;; amdgpu-corpus repo=pytorch/pytorch kind=compiled arch=gfx906 opt=O3
	.amdgcn_target "amdgcn-amd-amdhsa--gfx906"
	.amdhsa_code_object_version 6
	.section	.text._ZN2at6native6mbtopk4fillIjjEEvPT_S3_T0_,"axG",@progbits,_ZN2at6native6mbtopk4fillIjjEEvPT_S3_T0_,comdat
	.protected	_ZN2at6native6mbtopk4fillIjjEEvPT_S3_T0_ ; -- Begin function _ZN2at6native6mbtopk4fillIjjEEvPT_S3_T0_
	.globl	_ZN2at6native6mbtopk4fillIjjEEvPT_S3_T0_
	.p2align	8
	.type	_ZN2at6native6mbtopk4fillIjjEEvPT_S3_T0_,@function
_ZN2at6native6mbtopk4fillIjjEEvPT_S3_T0_: ; @_ZN2at6native6mbtopk4fillIjjEEvPT_S3_T0_
; %bb.0:
	s_load_dword s7, s[4:5], 0x1c
	s_load_dwordx2 s[2:3], s[4:5], 0x8
	s_add_u32 s0, s4, 16
	s_addc_u32 s1, s5, 0
	s_waitcnt lgkmcnt(0)
	s_and_b32 s8, s7, 0xffff
	s_mul_i32 s6, s6, s8
	v_add_u32_e32 v0, s6, v0
	v_cmp_gt_u32_e32 vcc, s3, v0
	s_and_saveexec_b64 s[6:7], vcc
	s_cbranch_execz .LBB0_3
; %bb.1:
	s_load_dword s9, s[0:1], 0x0
	s_load_dwordx2 s[6:7], s[4:5], 0x0
	s_mov_b64 s[4:5], 0
	v_mov_b32_e32 v1, 0
	v_mov_b32_e32 v3, s2
	s_waitcnt lgkmcnt(0)
	s_mul_i32 s8, s9, s8
	v_mov_b32_e32 v2, s7
.LBB0_2:                                ; =>This Inner Loop Header: Depth=1
	v_lshlrev_b64 v[4:5], 2, v[0:1]
	v_add_u32_e32 v0, s8, v0
	v_cmp_le_u32_e32 vcc, s3, v0
	v_add_co_u32_e64 v4, s[0:1], s6, v4
	v_addc_co_u32_e64 v5, s[0:1], v2, v5, s[0:1]
	s_or_b64 s[4:5], vcc, s[4:5]
	global_store_dword v[4:5], v3, off
	s_andn2_b64 exec, exec, s[4:5]
	s_cbranch_execnz .LBB0_2
.LBB0_3:
	s_endpgm
	.section	.rodata,"a",@progbits
	.p2align	6, 0x0
	.amdhsa_kernel _ZN2at6native6mbtopk4fillIjjEEvPT_S3_T0_
		.amdhsa_group_segment_fixed_size 0
		.amdhsa_private_segment_fixed_size 0
		.amdhsa_kernarg_size 272
		.amdhsa_user_sgpr_count 6
		.amdhsa_user_sgpr_private_segment_buffer 1
		.amdhsa_user_sgpr_dispatch_ptr 0
		.amdhsa_user_sgpr_queue_ptr 0
		.amdhsa_user_sgpr_kernarg_segment_ptr 1
		.amdhsa_user_sgpr_dispatch_id 0
		.amdhsa_user_sgpr_flat_scratch_init 0
		.amdhsa_user_sgpr_private_segment_size 0
		.amdhsa_uses_dynamic_stack 0
		.amdhsa_system_sgpr_private_segment_wavefront_offset 0
		.amdhsa_system_sgpr_workgroup_id_x 1
		.amdhsa_system_sgpr_workgroup_id_y 0
		.amdhsa_system_sgpr_workgroup_id_z 0
		.amdhsa_system_sgpr_workgroup_info 0
		.amdhsa_system_vgpr_workitem_id 0
		.amdhsa_next_free_vgpr 6
		.amdhsa_next_free_sgpr 10
		.amdhsa_reserve_vcc 1
		.amdhsa_reserve_flat_scratch 0
		.amdhsa_float_round_mode_32 0
		.amdhsa_float_round_mode_16_64 0
		.amdhsa_float_denorm_mode_32 3
		.amdhsa_float_denorm_mode_16_64 3
		.amdhsa_dx10_clamp 1
		.amdhsa_ieee_mode 1
		.amdhsa_fp16_overflow 0
		.amdhsa_exception_fp_ieee_invalid_op 0
		.amdhsa_exception_fp_denorm_src 0
		.amdhsa_exception_fp_ieee_div_zero 0
		.amdhsa_exception_fp_ieee_overflow 0
		.amdhsa_exception_fp_ieee_underflow 0
		.amdhsa_exception_fp_ieee_inexact 0
		.amdhsa_exception_int_div_zero 0
	.end_amdhsa_kernel
	.section	.text._ZN2at6native6mbtopk4fillIjjEEvPT_S3_T0_,"axG",@progbits,_ZN2at6native6mbtopk4fillIjjEEvPT_S3_T0_,comdat
.Lfunc_end0:
	.size	_ZN2at6native6mbtopk4fillIjjEEvPT_S3_T0_, .Lfunc_end0-_ZN2at6native6mbtopk4fillIjjEEvPT_S3_T0_
                                        ; -- End function
	.set _ZN2at6native6mbtopk4fillIjjEEvPT_S3_T0_.num_vgpr, 6
	.set _ZN2at6native6mbtopk4fillIjjEEvPT_S3_T0_.num_agpr, 0
	.set _ZN2at6native6mbtopk4fillIjjEEvPT_S3_T0_.numbered_sgpr, 10
	.set _ZN2at6native6mbtopk4fillIjjEEvPT_S3_T0_.num_named_barrier, 0
	.set _ZN2at6native6mbtopk4fillIjjEEvPT_S3_T0_.private_seg_size, 0
	.set _ZN2at6native6mbtopk4fillIjjEEvPT_S3_T0_.uses_vcc, 1
	.set _ZN2at6native6mbtopk4fillIjjEEvPT_S3_T0_.uses_flat_scratch, 0
	.set _ZN2at6native6mbtopk4fillIjjEEvPT_S3_T0_.has_dyn_sized_stack, 0
	.set _ZN2at6native6mbtopk4fillIjjEEvPT_S3_T0_.has_recursion, 0
	.set _ZN2at6native6mbtopk4fillIjjEEvPT_S3_T0_.has_indirect_call, 0
	.section	.AMDGPU.csdata,"",@progbits
; Kernel info:
; codeLenInByte = 152
; TotalNumSgprs: 14
; NumVgprs: 6
; ScratchSize: 0
; MemoryBound: 0
; FloatMode: 240
; IeeeMode: 1
; LDSByteSize: 0 bytes/workgroup (compile time only)
; SGPRBlocks: 1
; VGPRBlocks: 1
; NumSGPRsForWavesPerEU: 14
; NumVGPRsForWavesPerEU: 6
; Occupancy: 10
; WaveLimiterHint : 0
; COMPUTE_PGM_RSRC2:SCRATCH_EN: 0
; COMPUTE_PGM_RSRC2:USER_SGPR: 6
; COMPUTE_PGM_RSRC2:TRAP_HANDLER: 0
; COMPUTE_PGM_RSRC2:TGID_X_EN: 1
; COMPUTE_PGM_RSRC2:TGID_Y_EN: 0
; COMPUTE_PGM_RSRC2:TGID_Z_EN: 0
; COMPUTE_PGM_RSRC2:TIDIG_COMP_CNT: 0
	.section	.text._ZN2at6native6mbtopk23computeBlockDigitCountsIhjjLi1EEEvNS_4cuda6detail10TensorInfoIKT_T0_EEjPjjS8_iijT1_PSB_Ps,"axG",@progbits,_ZN2at6native6mbtopk23computeBlockDigitCountsIhjjLi1EEEvNS_4cuda6detail10TensorInfoIKT_T0_EEjPjjS8_iijT1_PSB_Ps,comdat
	.protected	_ZN2at6native6mbtopk23computeBlockDigitCountsIhjjLi1EEEvNS_4cuda6detail10TensorInfoIKT_T0_EEjPjjS8_iijT1_PSB_Ps ; -- Begin function _ZN2at6native6mbtopk23computeBlockDigitCountsIhjjLi1EEEvNS_4cuda6detail10TensorInfoIKT_T0_EEjPjjS8_iijT1_PSB_Ps
	.globl	_ZN2at6native6mbtopk23computeBlockDigitCountsIhjjLi1EEEvNS_4cuda6detail10TensorInfoIKT_T0_EEjPjjS8_iijT1_PSB_Ps
	.p2align	8
	.type	_ZN2at6native6mbtopk23computeBlockDigitCountsIhjjLi1EEEvNS_4cuda6detail10TensorInfoIKT_T0_EEjPjjS8_iijT1_PSB_Ps,@function
_ZN2at6native6mbtopk23computeBlockDigitCountsIhjjLi1EEEvNS_4cuda6detail10TensorInfoIKT_T0_EEjPjjS8_iijT1_PSB_Ps: ; @_ZN2at6native6mbtopk23computeBlockDigitCountsIhjjLi1EEEvNS_4cuda6detail10TensorInfoIKT_T0_EEjPjjS8_iijT1_PSB_Ps
; %bb.0:
	s_load_dwordx2 s[10:11], s[4:5], 0xf8
	s_load_dwordx4 s[12:15], s[4:5], 0xe8
	s_load_dwordx2 s[0:1], s[4:5], 0x110
	s_waitcnt lgkmcnt(0)
	v_cvt_f32_u32_e32 v1, s10
	s_sub_i32 s2, 0, s10
	s_mul_i32 s1, s1, s8
	s_add_i32 s1, s1, s7
	v_rcp_iflag_f32_e32 v1, v1
	s_mul_i32 s16, s1, s0
	s_add_i32 s16, s16, s6
	s_mov_b32 s7, 0
	v_mul_f32_e32 v1, 0x4f7ffffe, v1
	v_cvt_u32_f32_e32 v1, v1
	v_readfirstlane_b32 s0, v1
	s_mul_i32 s2, s2, s0
	s_mul_hi_u32 s1, s0, s2
	s_add_i32 s0, s0, s1
	s_mul_hi_u32 s0, s16, s0
	s_mul_i32 s1, s0, s10
	s_sub_i32 s1, s16, s1
	s_add_i32 s2, s0, 1
	s_sub_i32 s3, s1, s10
	s_cmp_ge_u32 s1, s10
	s_cselect_b32 s0, s2, s0
	s_cselect_b32 s1, s3, s1
	s_add_i32 s2, s0, 1
	s_cmp_ge_u32 s1, s10
	s_cselect_b32 s6, s2, s0
	s_cmp_ge_u32 s6, s12
	s_cbranch_scc1 .LBB1_27
; %bb.1:
	s_load_dwordx4 s[0:3], s[4:5], 0x100
	s_lshl_b64 s[8:9], s[6:7], 2
	s_movk_i32 s7, 0x100
	v_cmp_gt_u32_e32 vcc, s7, v0
	v_lshlrev_b32_e32 v1, 2, v0
	s_waitcnt lgkmcnt(0)
	s_add_u32 s0, s0, s8
	s_addc_u32 s1, s1, s9
	s_and_saveexec_b64 s[8:9], vcc
; %bb.2:
	v_mov_b32_e32 v2, 0
	ds_write_b32 v1, v2
; %bb.3:
	s_or_b64 exec, exec, s[8:9]
	s_load_dword s8, s[4:5], 0xd8
	s_mul_i32 s7, s6, s10
	s_sub_i32 s7, s16, s7
	s_add_i32 s9, s7, 1
	s_mul_i32 s7, s15, s7
	s_lshl_b32 s12, s7, 8
	s_waitcnt lgkmcnt(0)
	s_sub_i32 s7, s8, s12
	s_add_u32 s18, s7, 0xff
	s_addc_u32 s19, 0, 0
	s_lshr_b64 s[18:19], s[18:19], 8
	s_cmp_lt_u32 s9, s10
	s_cselect_b32 s17, s15, s18
	s_cmp_lt_i32 s17, 1
	s_mov_b32 s15, 0
	s_barrier
	s_cbranch_scc1 .LBB1_25
; %bb.4:
	s_load_dword s7, s[4:5], 0x6c
	s_load_dwordx2 s[18:19], s[4:5], 0x0
	s_load_dword s9, s[0:1], 0x0
	s_waitcnt lgkmcnt(0)
	s_mul_i32 s7, s7, s6
	s_add_u32 s4, s18, s7
	s_addc_u32 s5, s19, 0
	s_and_b32 s10, s14, 0xff
	s_cmp_lt_u32 s17, 4
	s_cbranch_scc1 .LBB1_19
; %bb.5:
	v_add_u32_e32 v6, s12, v0
	v_add_u32_e32 v2, 0x300, v6
	;; [unrolled: 1-line block ×4, first 2 shown]
	v_mul_lo_u32 v3, s13, v2
	v_mul_lo_u32 v4, s13, v4
	;; [unrolled: 1-line block ×4, first 2 shown]
	s_and_b32 s15, s17, 0x7ffffffc
	s_lshl_b32 s14, s13, 10
	s_mov_b32 s18, 0
	v_mov_b32_e32 v7, 1
	s_mov_b32 s19, 0
	s_branch .LBB1_7
.LBB1_6:                                ;   in Loop: Header=BB1_7 Depth=1
	s_or_b64 exec, exec, s[6:7]
	s_add_i32 s19, s19, 4
	s_add_i32 s18, s18, s14
	s_cmp_eq_u32 s15, s19
	v_add_u32_e32 v2, 0x400, v2
	s_cbranch_scc1 .LBB1_19
.LBB1_7:                                ; =>This Inner Loop Header: Depth=1
	v_add_u32_e32 v8, 0xfffffd00, v2
	v_cmp_gt_u32_e64 s[0:1], s8, v8
	s_and_saveexec_b64 s[6:7], s[0:1]
	s_cbranch_execz .LBB1_10
; %bb.8:                                ;   in Loop: Header=BB1_7 Depth=1
	v_add_u32_e32 v8, s18, v6
	global_load_ubyte v8, v8, s[4:5]
	s_waitcnt vmcnt(0)
	v_xor_b32_e32 v9, s9, v8
	v_and_b32_e32 v9, s11, v9
	v_cmp_eq_u32_e64 s[0:1], 0, v9
	s_and_b64 exec, exec, s[0:1]
; %bb.9:                                ;   in Loop: Header=BB1_7 Depth=1
	v_lshrrev_b32_e32 v8, s10, v8
	v_lshlrev_b32_e32 v8, 2, v8
	ds_add_u32 v8, v7
.LBB1_10:                               ;   in Loop: Header=BB1_7 Depth=1
	s_or_b64 exec, exec, s[6:7]
	v_add_u32_e32 v8, 0xfffffe00, v2
	v_cmp_gt_u32_e64 s[0:1], s8, v8
	s_and_saveexec_b64 s[6:7], s[0:1]
	s_cbranch_execz .LBB1_13
; %bb.11:                               ;   in Loop: Header=BB1_7 Depth=1
	v_add_u32_e32 v8, s18, v5
	global_load_ubyte v8, v8, s[4:5]
	s_waitcnt vmcnt(0)
	v_xor_b32_e32 v9, s9, v8
	v_and_b32_e32 v9, s11, v9
	v_cmp_eq_u32_e64 s[0:1], 0, v9
	s_and_b64 exec, exec, s[0:1]
; %bb.12:                               ;   in Loop: Header=BB1_7 Depth=1
	v_lshrrev_b32_e32 v8, s10, v8
	v_lshlrev_b32_e32 v8, 2, v8
	ds_add_u32 v8, v7
.LBB1_13:                               ;   in Loop: Header=BB1_7 Depth=1
	s_or_b64 exec, exec, s[6:7]
	v_add_u32_e32 v8, 0xffffff00, v2
	v_cmp_gt_u32_e64 s[0:1], s8, v8
	s_and_saveexec_b64 s[6:7], s[0:1]
	s_cbranch_execz .LBB1_16
; %bb.14:                               ;   in Loop: Header=BB1_7 Depth=1
	v_add_u32_e32 v8, s18, v4
	global_load_ubyte v8, v8, s[4:5]
	s_waitcnt vmcnt(0)
	v_xor_b32_e32 v9, s9, v8
	v_and_b32_e32 v9, s11, v9
	v_cmp_eq_u32_e64 s[0:1], 0, v9
	s_and_b64 exec, exec, s[0:1]
; %bb.15:                               ;   in Loop: Header=BB1_7 Depth=1
	v_lshrrev_b32_e32 v8, s10, v8
	v_lshlrev_b32_e32 v8, 2, v8
	ds_add_u32 v8, v7
.LBB1_16:                               ;   in Loop: Header=BB1_7 Depth=1
	s_or_b64 exec, exec, s[6:7]
	v_cmp_gt_u32_e64 s[0:1], s8, v2
	s_and_saveexec_b64 s[6:7], s[0:1]
	s_cbranch_execz .LBB1_6
; %bb.17:                               ;   in Loop: Header=BB1_7 Depth=1
	v_add_u32_e32 v8, s18, v3
	global_load_ubyte v8, v8, s[4:5]
	s_waitcnt vmcnt(0)
	v_xor_b32_e32 v9, s9, v8
	v_and_b32_e32 v9, s11, v9
	v_cmp_eq_u32_e64 s[0:1], 0, v9
	s_and_b64 exec, exec, s[0:1]
	s_cbranch_execz .LBB1_6
; %bb.18:                               ;   in Loop: Header=BB1_7 Depth=1
	v_lshrrev_b32_e32 v8, s10, v8
	v_lshlrev_b32_e32 v8, 2, v8
	ds_add_u32 v8, v7
	s_branch .LBB1_6
.LBB1_19:
	s_and_b32 s14, s17, 3
	s_cmp_eq_u32 s14, 0
	s_cbranch_scc1 .LBB1_25
; %bb.20:
	s_lshl_b32 s0, s15, 8
	s_add_i32 s0, s0, s12
	v_add_u32_e32 v2, s0, v0
	v_mul_lo_u32 v3, s13, v2
	s_lshl_b32 s12, s13, 8
	v_mov_b32_e32 v4, 1
	s_branch .LBB1_22
.LBB1_21:                               ;   in Loop: Header=BB1_22 Depth=1
	s_or_b64 exec, exec, s[6:7]
	s_add_i32 s14, s14, -1
	v_add_u32_e32 v3, s12, v3
	s_cmp_lg_u32 s14, 0
	v_add_u32_e32 v2, 0x100, v2
	s_cbranch_scc0 .LBB1_25
.LBB1_22:                               ; =>This Inner Loop Header: Depth=1
	v_cmp_gt_u32_e64 s[0:1], s8, v2
	s_and_saveexec_b64 s[6:7], s[0:1]
	s_cbranch_execz .LBB1_21
; %bb.23:                               ;   in Loop: Header=BB1_22 Depth=1
	global_load_ubyte v5, v3, s[4:5]
	s_waitcnt vmcnt(0)
	v_xor_b32_e32 v6, s9, v5
	v_and_b32_e32 v6, s11, v6
	v_cmp_eq_u32_e64 s[0:1], 0, v6
	s_and_b64 exec, exec, s[0:1]
	s_cbranch_execz .LBB1_21
; %bb.24:                               ;   in Loop: Header=BB1_22 Depth=1
	v_lshrrev_b32_e32 v5, s10, v5
	v_lshlrev_b32_e32 v5, 2, v5
	ds_add_u32 v5, v4
	s_branch .LBB1_21
.LBB1_25:
	s_waitcnt lgkmcnt(0)
	s_barrier
	s_and_saveexec_b64 s[0:1], vcc
	s_cbranch_execz .LBB1_27
; %bb.26:
	v_lshl_or_b32 v2, s16, 8, v0
	v_mov_b32_e32 v3, 0
	ds_read_b32 v5, v1
	v_lshlrev_b64 v[2:3], 1, v[2:3]
	v_mov_b32_e32 v4, s3
	v_add_co_u32_e32 v0, vcc, s2, v2
	v_addc_co_u32_e32 v1, vcc, v4, v3, vcc
	s_waitcnt lgkmcnt(0)
	global_store_short v[0:1], v5, off
.LBB1_27:
	s_endpgm
	.section	.rodata,"a",@progbits
	.p2align	6, 0x0
	.amdhsa_kernel _ZN2at6native6mbtopk23computeBlockDigitCountsIhjjLi1EEEvNS_4cuda6detail10TensorInfoIKT_T0_EEjPjjS8_iijT1_PSB_Ps
		.amdhsa_group_segment_fixed_size 1024
		.amdhsa_private_segment_fixed_size 0
		.amdhsa_kernarg_size 528
		.amdhsa_user_sgpr_count 6
		.amdhsa_user_sgpr_private_segment_buffer 1
		.amdhsa_user_sgpr_dispatch_ptr 0
		.amdhsa_user_sgpr_queue_ptr 0
		.amdhsa_user_sgpr_kernarg_segment_ptr 1
		.amdhsa_user_sgpr_dispatch_id 0
		.amdhsa_user_sgpr_flat_scratch_init 0
		.amdhsa_user_sgpr_private_segment_size 0
		.amdhsa_uses_dynamic_stack 0
		.amdhsa_system_sgpr_private_segment_wavefront_offset 0
		.amdhsa_system_sgpr_workgroup_id_x 1
		.amdhsa_system_sgpr_workgroup_id_y 1
		.amdhsa_system_sgpr_workgroup_id_z 1
		.amdhsa_system_sgpr_workgroup_info 0
		.amdhsa_system_vgpr_workitem_id 0
		.amdhsa_next_free_vgpr 10
		.amdhsa_next_free_sgpr 20
		.amdhsa_reserve_vcc 1
		.amdhsa_reserve_flat_scratch 0
		.amdhsa_float_round_mode_32 0
		.amdhsa_float_round_mode_16_64 0
		.amdhsa_float_denorm_mode_32 3
		.amdhsa_float_denorm_mode_16_64 3
		.amdhsa_dx10_clamp 1
		.amdhsa_ieee_mode 1
		.amdhsa_fp16_overflow 0
		.amdhsa_exception_fp_ieee_invalid_op 0
		.amdhsa_exception_fp_denorm_src 0
		.amdhsa_exception_fp_ieee_div_zero 0
		.amdhsa_exception_fp_ieee_overflow 0
		.amdhsa_exception_fp_ieee_underflow 0
		.amdhsa_exception_fp_ieee_inexact 0
		.amdhsa_exception_int_div_zero 0
	.end_amdhsa_kernel
	.section	.text._ZN2at6native6mbtopk23computeBlockDigitCountsIhjjLi1EEEvNS_4cuda6detail10TensorInfoIKT_T0_EEjPjjS8_iijT1_PSB_Ps,"axG",@progbits,_ZN2at6native6mbtopk23computeBlockDigitCountsIhjjLi1EEEvNS_4cuda6detail10TensorInfoIKT_T0_EEjPjjS8_iijT1_PSB_Ps,comdat
.Lfunc_end1:
	.size	_ZN2at6native6mbtopk23computeBlockDigitCountsIhjjLi1EEEvNS_4cuda6detail10TensorInfoIKT_T0_EEjPjjS8_iijT1_PSB_Ps, .Lfunc_end1-_ZN2at6native6mbtopk23computeBlockDigitCountsIhjjLi1EEEvNS_4cuda6detail10TensorInfoIKT_T0_EEjPjjS8_iijT1_PSB_Ps
                                        ; -- End function
	.set _ZN2at6native6mbtopk23computeBlockDigitCountsIhjjLi1EEEvNS_4cuda6detail10TensorInfoIKT_T0_EEjPjjS8_iijT1_PSB_Ps.num_vgpr, 10
	.set _ZN2at6native6mbtopk23computeBlockDigitCountsIhjjLi1EEEvNS_4cuda6detail10TensorInfoIKT_T0_EEjPjjS8_iijT1_PSB_Ps.num_agpr, 0
	.set _ZN2at6native6mbtopk23computeBlockDigitCountsIhjjLi1EEEvNS_4cuda6detail10TensorInfoIKT_T0_EEjPjjS8_iijT1_PSB_Ps.numbered_sgpr, 20
	.set _ZN2at6native6mbtopk23computeBlockDigitCountsIhjjLi1EEEvNS_4cuda6detail10TensorInfoIKT_T0_EEjPjjS8_iijT1_PSB_Ps.num_named_barrier, 0
	.set _ZN2at6native6mbtopk23computeBlockDigitCountsIhjjLi1EEEvNS_4cuda6detail10TensorInfoIKT_T0_EEjPjjS8_iijT1_PSB_Ps.private_seg_size, 0
	.set _ZN2at6native6mbtopk23computeBlockDigitCountsIhjjLi1EEEvNS_4cuda6detail10TensorInfoIKT_T0_EEjPjjS8_iijT1_PSB_Ps.uses_vcc, 1
	.set _ZN2at6native6mbtopk23computeBlockDigitCountsIhjjLi1EEEvNS_4cuda6detail10TensorInfoIKT_T0_EEjPjjS8_iijT1_PSB_Ps.uses_flat_scratch, 0
	.set _ZN2at6native6mbtopk23computeBlockDigitCountsIhjjLi1EEEvNS_4cuda6detail10TensorInfoIKT_T0_EEjPjjS8_iijT1_PSB_Ps.has_dyn_sized_stack, 0
	.set _ZN2at6native6mbtopk23computeBlockDigitCountsIhjjLi1EEEvNS_4cuda6detail10TensorInfoIKT_T0_EEjPjjS8_iijT1_PSB_Ps.has_recursion, 0
	.set _ZN2at6native6mbtopk23computeBlockDigitCountsIhjjLi1EEEvNS_4cuda6detail10TensorInfoIKT_T0_EEjPjjS8_iijT1_PSB_Ps.has_indirect_call, 0
	.section	.AMDGPU.csdata,"",@progbits
; Kernel info:
; codeLenInByte = 976
; TotalNumSgprs: 24
; NumVgprs: 10
; ScratchSize: 0
; MemoryBound: 0
; FloatMode: 240
; IeeeMode: 1
; LDSByteSize: 1024 bytes/workgroup (compile time only)
; SGPRBlocks: 2
; VGPRBlocks: 2
; NumSGPRsForWavesPerEU: 24
; NumVGPRsForWavesPerEU: 10
; Occupancy: 10
; WaveLimiterHint : 1
; COMPUTE_PGM_RSRC2:SCRATCH_EN: 0
; COMPUTE_PGM_RSRC2:USER_SGPR: 6
; COMPUTE_PGM_RSRC2:TRAP_HANDLER: 0
; COMPUTE_PGM_RSRC2:TGID_X_EN: 1
; COMPUTE_PGM_RSRC2:TGID_Y_EN: 1
; COMPUTE_PGM_RSRC2:TGID_Z_EN: 1
; COMPUTE_PGM_RSRC2:TIDIG_COMP_CNT: 0
	.section	.text._ZN2at6native6mbtopk29computeBlockwiseWithinKCountsIjhEEvPT_PsPjjibS6_PT0_S6_S4_S6_j,"axG",@progbits,_ZN2at6native6mbtopk29computeBlockwiseWithinKCountsIjhEEvPT_PsPjjibS6_PT0_S6_S4_S6_j,comdat
	.protected	_ZN2at6native6mbtopk29computeBlockwiseWithinKCountsIjhEEvPT_PsPjjibS6_PT0_S6_S4_S6_j ; -- Begin function _ZN2at6native6mbtopk29computeBlockwiseWithinKCountsIjhEEvPT_PsPjjibS6_PT0_S6_S4_S6_j
	.globl	_ZN2at6native6mbtopk29computeBlockwiseWithinKCountsIjhEEvPT_PsPjjibS6_PT0_S6_S4_S6_j
	.p2align	8
	.type	_ZN2at6native6mbtopk29computeBlockwiseWithinKCountsIjhEEvPT_PsPjjibS6_PT0_S6_S4_S6_j,@function
_ZN2at6native6mbtopk29computeBlockwiseWithinKCountsIjhEEvPT_PsPjjibS6_PT0_S6_S4_S6_j: ; @_ZN2at6native6mbtopk29computeBlockwiseWithinKCountsIjhEEvPT_PsPjjibS6_PT0_S6_S4_S6_j
; %bb.0:
	s_load_dwordx4 s[16:19], s[4:5], 0x18
	s_load_dword s2, s[4:5], 0x50
	s_load_dwordx2 s[0:1], s[4:5], 0x58
	s_waitcnt lgkmcnt(0)
	v_cvt_f32_u32_e32 v1, s16
	s_mul_i32 s1, s1, s8
	s_add_i32 s1, s1, s7
	v_rcp_iflag_f32_e32 v1, v1
	s_mul_i32 s0, s1, s0
	s_add_i32 s6, s0, s6
	s_cmp_ge_u32 s6, s2
	v_mul_f32_e32 v1, 0x4f7ffffe, v1
	v_cvt_u32_f32_e32 v1, v1
	v_readfirstlane_b32 s0, v1
	s_cbranch_scc1 .LBB2_40
; %bb.1:
	s_sub_i32 s1, 0, s16
	s_mul_i32 s1, s1, s0
	s_mul_hi_u32 s1, s0, s1
	s_add_i32 s0, s0, s1
	s_mul_hi_u32 s2, s6, s0
	s_mul_i32 s3, s2, s16
	s_sub_i32 s3, s6, s3
	s_add_i32 s8, s2, 1
	s_sub_i32 s9, s3, s16
	s_cmp_ge_u32 s3, s16
	s_load_dwordx4 s[20:23], s[4:5], 0x0
	s_load_dwordx2 s[0:1], s[4:5], 0x10
	s_cselect_b32 s2, s8, s2
	s_cselect_b32 s3, s9, s3
	s_add_i32 s8, s2, 1
	s_mov_b32 s7, 0
	s_cmp_ge_u32 s3, s16
	s_cselect_b32 s28, s8, s2
	s_mov_b32 s29, s7
	s_lshl_b64 s[24:25], s[28:29], 2
	s_waitcnt lgkmcnt(0)
	s_add_u32 s0, s0, s24
	s_movk_i32 s2, 0x100
	s_addc_u32 s1, s1, s25
	v_cmp_gt_u32_e64 s[2:3], s2, v0
	s_and_saveexec_b64 s[8:9], s[2:3]
	s_cbranch_execz .LBB2_8
; %bb.2:
	s_mul_i32 s10, s28, s16
	s_lshl_b32 s10, s10, 8
	s_mov_b32 s11, s7
	s_lshl_b64 s[10:11], s[10:11], 1
	s_add_u32 s10, s22, s10
	s_addc_u32 s11, s23, s11
	v_lshlrev_b32_e32 v1, 1, v0
	v_mov_b32_e32 v2, s11
	v_add_co_u32_e32 v1, vcc, s10, v1
	v_mov_b32_e32 v3, 0
	s_cmp_lt_u32 s16, 4
	v_addc_co_u32_e32 v2, vcc, 0, v2, vcc
	s_cbranch_scc1 .LBB2_41
; %bb.3:
	v_mov_b32_e32 v3, 0
	s_mov_b32 s10, 0
.LBB2_4:                                ; =>This Inner Loop Header: Depth=1
	global_load_sshort v4, v[1:2], off
	global_load_sshort v5, v[1:2], off offset:512
	global_load_sshort v6, v[1:2], off offset:1024
	;; [unrolled: 1-line block ×3, first 2 shown]
	s_mov_b32 s11, s10
	v_add_co_u32_e32 v1, vcc, 0x800, v1
	s_add_i32 s10, s10, 4
	s_add_i32 s11, s11, 7
	v_addc_co_u32_e32 v2, vcc, 0, v2, vcc
	s_cmp_ge_u32 s11, s16
	s_waitcnt vmcnt(2)
	v_add3_u32 v3, v3, v4, v5
	s_waitcnt vmcnt(0)
	v_add3_u32 v3, v3, v6, v7
	s_cbranch_scc0 .LBB2_4
; %bb.5:
	s_cmp_ge_u32 s10, s16
	s_cbranch_scc1 .LBB2_7
.LBB2_6:                                ; =>This Inner Loop Header: Depth=1
	global_load_sshort v4, v[1:2], off
	v_add_co_u32_e32 v1, vcc, 0x200, v1
	s_add_i32 s10, s10, 1
	v_addc_co_u32_e32 v2, vcc, 0, v2, vcc
	s_cmp_lt_u32 s10, s16
	s_waitcnt vmcnt(0)
	v_add_u32_e32 v3, v3, v4
	s_cbranch_scc1 .LBB2_6
.LBB2_7:
	v_lshlrev_b32_e32 v1, 2, v0
	ds_write_b32 v1, v3 offset:1056
.LBB2_8:
	s_or_b64 exec, exec, s[8:9]
	s_load_dword s19, s[0:1], 0x0
	v_mov_b32_e32 v3, 0
	s_waitcnt lgkmcnt(0)
	s_barrier
	s_and_saveexec_b64 s[0:1], s[2:3]
; %bb.9:
	v_lshlrev_b32_e32 v1, 2, v0
	ds_read_b32 v3, v1 offset:1056
; %bb.10:
	s_or_b64 exec, exec, s[0:1]
	v_lshrrev_b32_e32 v1, 3, v0
	v_and_b32_e32 v1, 28, v1
	v_lshl_add_u32 v2, v0, 2, v1
	v_cmp_gt_u32_e64 s[0:1], 64, v0
	v_mbcnt_lo_u32_b32 v1, -1, 0
	s_waitcnt lgkmcnt(0)
	ds_write_b32 v2, v3
	s_waitcnt lgkmcnt(0)
	s_barrier
	s_and_saveexec_b64 s[8:9], s[0:1]
	s_cbranch_execz .LBB2_12
; %bb.11:
	v_lshrrev_b32_e32 v4, 1, v0
	v_and_b32_e32 v4, 0x7c, v4
	v_lshl_add_u32 v8, v0, 4, v4
	ds_read2_b32 v[4:5], v8 offset1:1
	ds_read2_b32 v[6:7], v8 offset0:2 offset1:3
	v_mbcnt_hi_u32_b32 v9, -1, v1
	v_and_b32_e32 v10, 15, v9
	v_cmp_ne_u32_e32 vcc, 0, v10
	s_waitcnt lgkmcnt(1)
	v_add_u32_e32 v5, v5, v4
	s_waitcnt lgkmcnt(0)
	v_add3_u32 v5, v5, v6, v7
	v_bfe_i32 v7, v9, 4, 1
	s_nop 0
	v_mov_b32_dpp v6, v5 row_shr:1 row_mask:0xf bank_mask:0xf
	v_cndmask_b32_e32 v6, 0, v6, vcc
	v_add_u32_e32 v5, v6, v5
	v_cmp_lt_u32_e32 vcc, 1, v10
	; wave barrier
	s_nop 0
	v_mov_b32_dpp v6, v5 row_shr:2 row_mask:0xf bank_mask:0xf
	v_cndmask_b32_e32 v6, 0, v6, vcc
	v_add_u32_e32 v5, v5, v6
	v_cmp_lt_u32_e32 vcc, 3, v10
	s_nop 0
	v_mov_b32_dpp v6, v5 row_shr:4 row_mask:0xf bank_mask:0xf
	v_cndmask_b32_e32 v6, 0, v6, vcc
	v_add_u32_e32 v5, v5, v6
	v_cmp_lt_u32_e32 vcc, 7, v10
	;; [unrolled: 5-line block ×3, first 2 shown]
	s_nop 0
	v_mov_b32_dpp v6, v5 row_bcast:15 row_mask:0xf bank_mask:0xf
	v_and_b32_e32 v6, v7, v6
	v_add_u32_e32 v5, v5, v6
	v_and_b32_e32 v7, 64, v9
	s_nop 0
	v_mov_b32_dpp v6, v5 row_bcast:31 row_mask:0xf bank_mask:0xf
	v_cndmask_b32_e32 v6, 0, v6, vcc
	v_add_u32_e32 v5, v5, v6
	v_add_u32_e32 v6, -1, v9
	v_cmp_lt_i32_e32 vcc, v6, v7
	v_cndmask_b32_e32 v6, v6, v9, vcc
	v_lshlrev_b32_e32 v6, 2, v6
	ds_bpermute_b32 v5, v6, v5
	v_cmp_eq_u32_e32 vcc, 0, v0
	s_waitcnt lgkmcnt(0)
	v_add_u32_e32 v4, v5, v4
	v_cndmask_b32_e32 v5, v4, v3, vcc
	ds_write_b32 v8, v5
	; wave barrier
	ds_read2_b32 v[3:4], v8 offset0:1 offset1:2
	ds_read_b32 v6, v8 offset:12
	s_waitcnt lgkmcnt(1)
	v_add_u32_e32 v3, v3, v5
	v_add_u32_e32 v4, v4, v3
	ds_write2_b32 v8, v3, v4 offset0:1 offset1:2
	s_waitcnt lgkmcnt(1)
	v_add_u32_e32 v3, v6, v4
	ds_write_b32 v8, v3 offset:12
.LBB2_12:
	s_or_b64 exec, exec, s[8:9]
	s_waitcnt lgkmcnt(0)
	s_barrier
	ds_read_b32 v3, v2
	s_waitcnt lgkmcnt(0)
	s_barrier
	s_and_saveexec_b64 s[8:9], s[2:3]
; %bb.13:
	v_lshlrev_b32_e32 v2, 2, v0
	ds_write_b32 v2, v3 offset:1056
; %bb.14:
	s_or_b64 exec, exec, s[8:9]
	s_load_dwordx8 s[8:15], s[4:5], 0x28
	s_load_dwordx2 s[26:27], s[4:5], 0x48
	s_waitcnt lgkmcnt(0)
	s_barrier
	s_and_saveexec_b64 s[4:5], s[2:3]
	s_cbranch_execz .LBB2_23
; %bb.15:
	v_mov_b32_e32 v2, 0
	v_cmp_ne_u32_e32 vcc, 0, v0
	s_and_saveexec_b64 s[2:3], vcc
; %bb.16:
	v_lshlrev_b32_e32 v2, 2, v0
	ds_read_b32 v2, v2 offset:1052
; %bb.17:
	s_or_b64 exec, exec, s[2:3]
	s_waitcnt lgkmcnt(0)
	v_cmp_gt_u32_e32 vcc, s19, v2
	v_cmp_le_u32_e64 s[2:3], s19, v3
	s_and_b64 s[2:3], vcc, s[2:3]
	s_and_b64 exec, exec, s[2:3]
	s_cbranch_execz .LBB2_23
; %bb.18:
	s_add_u32 s2, s20, s24
	s_addc_u32 s3, s21, s25
	v_mov_b32_e32 v4, 0
	global_load_dword v3, v4, s[2:3]
	s_lshl_b32 s3, 0xff, s17
	v_not_b32_e32 v6, s3
	v_lshlrev_b32_e32 v5, s17, v0
	s_mul_i32 s2, s28, s16
	s_cmp_lg_u32 s6, s2
	s_waitcnt vmcnt(0)
	v_and_b32_e32 v3, v3, v6
	v_or_b32_e32 v3, v3, v5
	ds_write_b32 v4, v3 offset:2096
	s_cbranch_scc1 .LBB2_23
; %bb.19:
	s_add_u32 s2, s14, s24
	s_addc_u32 s3, s15, s25
	global_store_dword v4, v3, s[2:3]
	s_cmp_lt_i32 s17, 1
	s_mov_b64 s[2:3], -1
	s_cbranch_scc0 .LBB2_21
; %bb.20:
	s_add_u32 s2, s10, s28
	s_addc_u32 s3, s11, 0
	v_mov_b32_e32 v4, 0
	global_store_byte v4, v3, s[2:3]
	s_mov_b64 s[2:3], 0
.LBB2_21:
	s_andn2_b64 vcc, exec, s[2:3]
	s_cbranch_vccnz .LBB2_23
; %bb.22:
	s_add_u32 s2, s12, s24
	v_sub_u32_e32 v2, s19, v2
	s_addc_u32 s3, s13, s25
	v_mov_b32_e32 v3, 0
	global_store_dword v3, v2, s[2:3]
.LBB2_23:
	s_or_b64 exec, exec, s[4:5]
	v_mov_b32_e32 v2, 0
	s_waitcnt vmcnt(0) lgkmcnt(0)
	s_barrier
	ds_read_b32 v2, v2 offset:2096
	s_bitcmp0_b32 s18, 0
	s_waitcnt lgkmcnt(0)
	v_lshrrev_b32_e32 v2, s17, v2
	s_cbranch_scc0 .LBB2_25
; %bb.24:
	v_and_b32_e32 v3, 0xc0, v0
	v_cmp_lt_u32_sdwa s[10:11], v3, v2 src0_sel:DWORD src1_sel:BYTE_0
	v_cmp_lt_u32_sdwa s[4:5], v0, v2 src0_sel:DWORD src1_sel:BYTE_0
	s_cbranch_execz .LBB2_26
	s_branch .LBB2_27
.LBB2_25:
                                        ; implicit-def: $sgpr4_sgpr5
                                        ; implicit-def: $sgpr10_sgpr11
.LBB2_26:
	v_or_b32_e32 v3, 63, v0
	v_cmp_gt_u32_sdwa s[2:3], v3, v2 src0_sel:DWORD src1_sel:BYTE_0
	v_cmp_gt_u32_sdwa s[12:13], v0, v2 src0_sel:DWORD src1_sel:BYTE_0
	s_andn2_b64 s[4:5], s[4:5], exec
	s_and_b64 s[12:13], s[12:13], exec
	s_andn2_b64 s[10:11], s[10:11], exec
	s_and_b64 s[2:3], s[2:3], exec
	s_or_b64 s[4:5], s[4:5], s[12:13]
	s_or_b64 s[10:11], s[10:11], s[2:3]
.LBB2_27:
	v_mov_b32_e32 v2, 0
	s_and_saveexec_b64 s[2:3], s[10:11]
	s_cbranch_execz .LBB2_31
; %bb.28:
	v_mov_b32_e32 v2, 0
	s_and_saveexec_b64 s[10:11], s[4:5]
	s_cbranch_execz .LBB2_30
; %bb.29:
	s_lshl_b32 s4, s6, 8
	s_mov_b32 s5, 0
	s_lshl_b64 s[4:5], s[4:5], 1
	s_add_u32 s4, s22, s4
	s_addc_u32 s5, s23, s5
	v_lshlrev_b32_e32 v2, 1, v0
	global_load_sshort v2, v2, s[4:5]
.LBB2_30:
	s_or_b64 exec, exec, s[10:11]
	v_mbcnt_hi_u32_b32 v3, -1, v1
	v_mov_b32_e32 v4, 0x80
	v_lshl_or_b32 v4, v3, 2, v4
	s_waitcnt vmcnt(0)
	ds_bpermute_b32 v4, v4, v2
	v_and_b32_e32 v5, 63, v3
	v_cmp_gt_u32_e32 vcc, 48, v5
	v_cndmask_b32_e64 v6, 0, 16, vcc
	v_cmp_gt_u32_e32 vcc, 56, v5
	s_waitcnt lgkmcnt(0)
	v_add_u32_e32 v2, v4, v2
	v_add_lshl_u32 v4, v6, v3, 2
	ds_bpermute_b32 v4, v4, v2
	v_cndmask_b32_e64 v6, 0, 8, vcc
	v_add_lshl_u32 v6, v6, v3, 2
	v_cmp_gt_u32_e32 vcc, 60, v5
	s_waitcnt lgkmcnt(0)
	v_add_u32_e32 v2, v4, v2
	ds_bpermute_b32 v4, v6, v2
	v_cndmask_b32_e64 v6, 0, 4, vcc
	v_add_lshl_u32 v6, v6, v3, 2
	v_cmp_gt_u32_e32 vcc, 62, v5
	s_waitcnt lgkmcnt(0)
	v_add_u32_e32 v2, v4, v2
	ds_bpermute_b32 v4, v6, v2
	v_cndmask_b32_e64 v6, 0, 2, vcc
	v_add_lshl_u32 v6, v6, v3, 2
	v_cmp_ne_u32_e32 vcc, 63, v5
	v_addc_co_u32_e32 v3, vcc, 0, v3, vcc
	s_waitcnt lgkmcnt(0)
	v_add_u32_e32 v2, v4, v2
	ds_bpermute_b32 v4, v6, v2
	v_lshlrev_b32_e32 v3, 2, v3
	s_waitcnt lgkmcnt(0)
	v_add_u32_e32 v2, v4, v2
	ds_bpermute_b32 v3, v3, v2
	s_waitcnt lgkmcnt(0)
	v_add_u32_e32 v2, v3, v2
.LBB2_31:
	s_or_b64 exec, exec, s[2:3]
	v_and_b32_e32 v3, 63, v0
	v_cmp_eq_u32_e32 vcc, 0, v3
	s_and_saveexec_b64 s[2:3], vcc
; %bb.32:
	v_lshrrev_b32_e32 v3, 4, v0
	v_and_b32_e32 v3, 12, v3
	ds_write_b32 v3, v2 offset:2080
; %bb.33:
	s_or_b64 exec, exec, s[2:3]
	s_waitcnt lgkmcnt(0)
	s_barrier
	s_and_saveexec_b64 s[2:3], s[0:1]
	s_cbranch_execz .LBB2_40
; %bb.34:
	v_cmp_gt_u32_e32 vcc, 4, v0
	v_mov_b32_e32 v2, 0
	s_and_saveexec_b64 s[0:1], vcc
; %bb.35:
	v_lshlrev_b32_e32 v2, 2, v0
	ds_read_b32 v2, v2 offset:2080
; %bb.36:
	s_or_b64 exec, exec, s[0:1]
	v_mbcnt_hi_u32_b32 v1, -1, v1
	v_and_b32_e32 v3, 63, v1
	v_cmp_gt_u32_e32 vcc, 62, v3
	v_cndmask_b32_e64 v4, 0, 2, vcc
	v_add_lshl_u32 v4, v4, v1, 2
	s_waitcnt lgkmcnt(0)
	ds_bpermute_b32 v4, v4, v2
	v_cmp_ne_u32_e32 vcc, 63, v3
	v_addc_co_u32_e32 v3, vcc, 0, v1, vcc
	v_cmp_eq_u32_e32 vcc, 0, v0
	s_waitcnt lgkmcnt(0)
	v_add_u32_e32 v1, v4, v2
	v_lshlrev_b32_e32 v2, 2, v3
	ds_bpermute_b32 v2, v2, v1
	s_and_saveexec_b64 s[0:1], vcc
	s_cbranch_execz .LBB2_38
; %bb.37:
	s_lshl_b64 s[2:3], s[6:7], 2
	s_add_u32 s2, s8, s2
	s_addc_u32 s3, s9, s3
	v_mov_b32_e32 v3, 0
	global_load_dword v4, v3, s[2:3]
	s_waitcnt vmcnt(0) lgkmcnt(0)
	v_add3_u32 v1, v2, v1, v4
	global_store_dword v3, v1, s[2:3]
.LBB2_38:
	s_or_b64 exec, exec, s[0:1]
	v_or_b32_e32 v0, s17, v0
	v_cmp_eq_u32_e32 vcc, 0, v0
	s_and_b64 exec, exec, vcc
	s_cbranch_execz .LBB2_40
; %bb.39:
	v_mov_b32_e32 v0, 0
	ds_read_b32 v1, v0 offset:2096
	s_lshl_b32 s0, s6, 8
	s_mov_b32 s1, 0
	s_lshl_b64 s[0:1], s[0:1], 1
	s_add_u32 s0, s22, s0
	s_waitcnt lgkmcnt(1)
	v_mov_b32_e32 v2, 1
	s_addc_u32 s1, s23, s1
	s_waitcnt lgkmcnt(0)
	v_lshlrev_b32_sdwa v1, v2, v1 dst_sel:DWORD dst_unused:UNUSED_PAD src0_sel:DWORD src1_sel:BYTE_0
	global_load_sshort v1, v1, s[0:1]
	s_lshl_b64 s[0:1], s[6:7], 2
	s_add_u32 s0, s26, s0
	s_addc_u32 s1, s27, s1
	s_waitcnt vmcnt(0)
	global_store_dword v0, v1, s[0:1]
.LBB2_40:
	s_endpgm
.LBB2_41:
	s_mov_b32 s10, s7
	s_cmp_ge_u32 s10, s16
	s_cbranch_scc0 .LBB2_6
	s_branch .LBB2_7
	.section	.rodata,"a",@progbits
	.p2align	6, 0x0
	.amdhsa_kernel _ZN2at6native6mbtopk29computeBlockwiseWithinKCountsIjhEEvPT_PsPjjibS6_PT0_S6_S4_S6_j
		.amdhsa_group_segment_fixed_size 2100
		.amdhsa_private_segment_fixed_size 0
		.amdhsa_kernarg_size 344
		.amdhsa_user_sgpr_count 6
		.amdhsa_user_sgpr_private_segment_buffer 1
		.amdhsa_user_sgpr_dispatch_ptr 0
		.amdhsa_user_sgpr_queue_ptr 0
		.amdhsa_user_sgpr_kernarg_segment_ptr 1
		.amdhsa_user_sgpr_dispatch_id 0
		.amdhsa_user_sgpr_flat_scratch_init 0
		.amdhsa_user_sgpr_private_segment_size 0
		.amdhsa_uses_dynamic_stack 0
		.amdhsa_system_sgpr_private_segment_wavefront_offset 0
		.amdhsa_system_sgpr_workgroup_id_x 1
		.amdhsa_system_sgpr_workgroup_id_y 1
		.amdhsa_system_sgpr_workgroup_id_z 1
		.amdhsa_system_sgpr_workgroup_info 0
		.amdhsa_system_vgpr_workitem_id 0
		.amdhsa_next_free_vgpr 11
		.amdhsa_next_free_sgpr 30
		.amdhsa_reserve_vcc 1
		.amdhsa_reserve_flat_scratch 0
		.amdhsa_float_round_mode_32 0
		.amdhsa_float_round_mode_16_64 0
		.amdhsa_float_denorm_mode_32 3
		.amdhsa_float_denorm_mode_16_64 3
		.amdhsa_dx10_clamp 1
		.amdhsa_ieee_mode 1
		.amdhsa_fp16_overflow 0
		.amdhsa_exception_fp_ieee_invalid_op 0
		.amdhsa_exception_fp_denorm_src 0
		.amdhsa_exception_fp_ieee_div_zero 0
		.amdhsa_exception_fp_ieee_overflow 0
		.amdhsa_exception_fp_ieee_underflow 0
		.amdhsa_exception_fp_ieee_inexact 0
		.amdhsa_exception_int_div_zero 0
	.end_amdhsa_kernel
	.section	.text._ZN2at6native6mbtopk29computeBlockwiseWithinKCountsIjhEEvPT_PsPjjibS6_PT0_S6_S4_S6_j,"axG",@progbits,_ZN2at6native6mbtopk29computeBlockwiseWithinKCountsIjhEEvPT_PsPjjibS6_PT0_S6_S4_S6_j,comdat
.Lfunc_end2:
	.size	_ZN2at6native6mbtopk29computeBlockwiseWithinKCountsIjhEEvPT_PsPjjibS6_PT0_S6_S4_S6_j, .Lfunc_end2-_ZN2at6native6mbtopk29computeBlockwiseWithinKCountsIjhEEvPT_PsPjjibS6_PT0_S6_S4_S6_j
                                        ; -- End function
	.set _ZN2at6native6mbtopk29computeBlockwiseWithinKCountsIjhEEvPT_PsPjjibS6_PT0_S6_S4_S6_j.num_vgpr, 11
	.set _ZN2at6native6mbtopk29computeBlockwiseWithinKCountsIjhEEvPT_PsPjjibS6_PT0_S6_S4_S6_j.num_agpr, 0
	.set _ZN2at6native6mbtopk29computeBlockwiseWithinKCountsIjhEEvPT_PsPjjibS6_PT0_S6_S4_S6_j.numbered_sgpr, 30
	.set _ZN2at6native6mbtopk29computeBlockwiseWithinKCountsIjhEEvPT_PsPjjibS6_PT0_S6_S4_S6_j.num_named_barrier, 0
	.set _ZN2at6native6mbtopk29computeBlockwiseWithinKCountsIjhEEvPT_PsPjjibS6_PT0_S6_S4_S6_j.private_seg_size, 0
	.set _ZN2at6native6mbtopk29computeBlockwiseWithinKCountsIjhEEvPT_PsPjjibS6_PT0_S6_S4_S6_j.uses_vcc, 1
	.set _ZN2at6native6mbtopk29computeBlockwiseWithinKCountsIjhEEvPT_PsPjjibS6_PT0_S6_S4_S6_j.uses_flat_scratch, 0
	.set _ZN2at6native6mbtopk29computeBlockwiseWithinKCountsIjhEEvPT_PsPjjibS6_PT0_S6_S4_S6_j.has_dyn_sized_stack, 0
	.set _ZN2at6native6mbtopk29computeBlockwiseWithinKCountsIjhEEvPT_PsPjjibS6_PT0_S6_S4_S6_j.has_recursion, 0
	.set _ZN2at6native6mbtopk29computeBlockwiseWithinKCountsIjhEEvPT_PsPjjibS6_PT0_S6_S4_S6_j.has_indirect_call, 0
	.section	.AMDGPU.csdata,"",@progbits
; Kernel info:
; codeLenInByte = 1844
; TotalNumSgprs: 34
; NumVgprs: 11
; ScratchSize: 0
; MemoryBound: 0
; FloatMode: 240
; IeeeMode: 1
; LDSByteSize: 2100 bytes/workgroup (compile time only)
; SGPRBlocks: 4
; VGPRBlocks: 2
; NumSGPRsForWavesPerEU: 34
; NumVGPRsForWavesPerEU: 11
; Occupancy: 10
; WaveLimiterHint : 1
; COMPUTE_PGM_RSRC2:SCRATCH_EN: 0
; COMPUTE_PGM_RSRC2:USER_SGPR: 6
; COMPUTE_PGM_RSRC2:TRAP_HANDLER: 0
; COMPUTE_PGM_RSRC2:TGID_X_EN: 1
; COMPUTE_PGM_RSRC2:TGID_Y_EN: 1
; COMPUTE_PGM_RSRC2:TGID_Z_EN: 1
; COMPUTE_PGM_RSRC2:TIDIG_COMP_CNT: 0
	.section	.text._ZN2at6native6mbtopk10gatherTopKIhjLi1EEEvNS_4cuda6detail10TensorInfoIKT_T0_EES8_S8_bjS8_NS5_IS6_S8_EES8_NS5_IlS8_EES8_jjPS6_PjSD_j,"axG",@progbits,_ZN2at6native6mbtopk10gatherTopKIhjLi1EEEvNS_4cuda6detail10TensorInfoIKT_T0_EES8_S8_bjS8_NS5_IS6_S8_EES8_NS5_IlS8_EES8_jjPS6_PjSD_j,comdat
	.protected	_ZN2at6native6mbtopk10gatherTopKIhjLi1EEEvNS_4cuda6detail10TensorInfoIKT_T0_EES8_S8_bjS8_NS5_IS6_S8_EES8_NS5_IlS8_EES8_jjPS6_PjSD_j ; -- Begin function _ZN2at6native6mbtopk10gatherTopKIhjLi1EEEvNS_4cuda6detail10TensorInfoIKT_T0_EES8_S8_bjS8_NS5_IS6_S8_EES8_NS5_IlS8_EES8_jjPS6_PjSD_j
	.globl	_ZN2at6native6mbtopk10gatherTopKIhjLi1EEEvNS_4cuda6detail10TensorInfoIKT_T0_EES8_S8_bjS8_NS5_IS6_S8_EES8_NS5_IlS8_EES8_jjPS6_PjSD_j
	.p2align	8
	.type	_ZN2at6native6mbtopk10gatherTopKIhjLi1EEEvNS_4cuda6detail10TensorInfoIKT_T0_EES8_S8_bjS8_NS5_IS6_S8_EES8_NS5_IlS8_EES8_jjPS6_PjSD_j,@function
_ZN2at6native6mbtopk10gatherTopKIhjLi1EEEvNS_4cuda6detail10TensorInfoIKT_T0_EES8_S8_bjS8_NS5_IS6_S8_EES8_NS5_IlS8_EES8_jjPS6_PjSD_j: ; @_ZN2at6native6mbtopk10gatherTopKIhjLi1EEEvNS_4cuda6detail10TensorInfoIKT_T0_EES8_S8_bjS8_NS5_IS6_S8_EES8_NS5_IlS8_EES8_jjPS6_PjSD_j
; %bb.0:
	s_load_dwordx2 s[0:1], s[4:5], 0x2d8
	s_load_dword s2, s[4:5], 0x2d0
	s_waitcnt lgkmcnt(0)
	s_mul_i32 s1, s1, s8
	s_add_i32 s1, s1, s7
	s_mul_i32 s0, s1, s0
	s_add_i32 s0, s0, s6
	s_cmp_ge_u32 s0, s2
	s_cbranch_scc1 .LBB3_40
; %bb.1:
	s_load_dwordx8 s[8:15], s[4:5], 0x2a8
	s_mov_b32 s25, 0
	s_waitcnt lgkmcnt(0)
	v_cvt_f32_u32_e32 v1, s10
	s_sub_i32 s1, 0, s10
	v_rcp_iflag_f32_e32 v1, v1
	v_mul_f32_e32 v1, 0x4f7ffffe, v1
	v_cvt_u32_f32_e32 v1, v1
	v_readfirstlane_b32 s2, v1
	s_mul_i32 s1, s1, s2
	s_mul_hi_u32 s1, s2, s1
	s_add_i32 s2, s2, s1
	s_mul_hi_u32 s1, s0, s2
	s_mul_i32 s2, s1, s10
	s_sub_i32 s2, s0, s2
	s_add_i32 s3, s1, 1
	s_sub_i32 s6, s2, s10
	s_cmp_ge_u32 s2, s10
	s_cselect_b32 s1, s3, s1
	s_cselect_b32 s2, s6, s2
	s_add_i32 s3, s1, 1
	s_cmp_ge_u32 s2, s10
	s_cselect_b32 s11, s3, s1
	v_mov_b32_e32 v1, s11
	global_load_ubyte v6, v1, s[12:13]
	s_load_dwordx2 s[6:7], s[4:5], 0x1d0
	s_load_dwordx2 s[20:21], s[4:5], 0xf0
	;; [unrolled: 1-line block ×3, first 2 shown]
	s_mul_i32 s24, s11, s10
	s_sub_i32 s33, s0, s24
	v_cmp_ne_u32_e64 s[0:1], 0, v0
	v_cmp_eq_u32_e64 s[2:3], 0, v0
	s_and_saveexec_b64 s[12:13], s[2:3]
	s_cbranch_execz .LBB3_17
; %bb.2:
	s_load_dwordx2 s[26:27], s[4:5], 0x2c8
	s_lshl_b64 s[28:29], s[24:25], 2
	s_add_u32 s16, s14, s28
	s_addc_u32 s17, s15, s29
	s_mov_b32 s24, 0
	s_waitcnt lgkmcnt(0)
	s_add_u32 s18, s26, s28
	s_addc_u32 s19, s27, s29
	s_mov_b32 s34, 0
	s_cmp_lt_u32 s10, 4
	s_cbranch_scc1 .LBB3_14
; %bb.3:
	s_mov_b32 s35, 0
.LBB3_4:                                ; =>This Inner Loop Header: Depth=1
	s_add_u32 s30, s14, s28
	s_addc_u32 s31, s15, s29
	s_load_dwordx4 s[16:19], s[30:31], 0x0
	s_add_u32 s30, s26, s28
	s_addc_u32 s31, s27, s29
	s_cmp_ge_u32 s35, s33
	s_cbranch_scc0 .LBB3_11
; %bb.5:                                ;   in Loop: Header=BB3_4 Depth=1
	s_add_i32 s36, s35, 1
	s_cmp_ge_u32 s36, s33
	s_cbranch_scc0 .LBB3_12
.LBB3_6:                                ;   in Loop: Header=BB3_4 Depth=1
	s_add_i32 s36, s36, 1
	s_cmp_ge_u32 s36, s33
	s_cbranch_scc0 .LBB3_13
.LBB3_7:                                ;   in Loop: Header=BB3_4 Depth=1
	s_add_i32 s36, s36, 1
	s_cmp_ge_u32 s36, s33
	s_cbranch_scc1 .LBB3_9
.LBB3_8:                                ;   in Loop: Header=BB3_4 Depth=1
	s_load_dword s30, s[30:31], 0xc
	s_waitcnt lgkmcnt(0)
	s_add_i32 s25, s25, s19
	s_add_i32 s24, s30, s24
.LBB3_9:                                ;   in Loop: Header=BB3_4 Depth=1
	s_waitcnt lgkmcnt(0)
	s_add_i32 s16, s16, s34
	s_add_i32 s16, s16, s17
	;; [unrolled: 1-line block ×4, first 2 shown]
	s_add_u32 s14, s14, 16
	s_addc_u32 s15, s15, 0
	s_add_u32 s26, s26, 16
	s_addc_u32 s27, s27, 0
	s_add_i32 s31, s36, 4
	s_add_u32 s18, s26, s28
	s_addc_u32 s19, s27, s29
	s_add_u32 s16, s14, s28
	s_addc_u32 s17, s15, s29
	s_add_i32 s30, s36, 1
	s_cmp_ge_u32 s31, s10
	s_cbranch_scc1 .LBB3_15
; %bb.10:                               ;   in Loop: Header=BB3_4 Depth=1
	s_mov_b32 s35, s30
	s_branch .LBB3_4
.LBB3_11:                               ;   in Loop: Header=BB3_4 Depth=1
	s_load_dword s36, s[30:31], 0x0
	s_waitcnt lgkmcnt(0)
	s_add_i32 s25, s16, s25
	s_add_i32 s24, s36, s24
	;; [unrolled: 1-line block ×3, first 2 shown]
	s_cmp_ge_u32 s36, s33
	s_cbranch_scc1 .LBB3_6
.LBB3_12:                               ;   in Loop: Header=BB3_4 Depth=1
	s_load_dword s37, s[30:31], 0x4
	s_waitcnt lgkmcnt(0)
	s_add_i32 s25, s25, s17
	s_add_i32 s24, s37, s24
	;; [unrolled: 1-line block ×3, first 2 shown]
	s_cmp_ge_u32 s36, s33
	s_cbranch_scc1 .LBB3_7
.LBB3_13:                               ;   in Loop: Header=BB3_4 Depth=1
	s_load_dword s37, s[30:31], 0x8
	s_waitcnt lgkmcnt(0)
	s_add_i32 s25, s25, s18
	s_add_i32 s24, s37, s24
	;; [unrolled: 1-line block ×3, first 2 shown]
	s_cmp_ge_u32 s36, s33
	s_cbranch_scc0 .LBB3_8
	s_branch .LBB3_9
.LBB3_14:
	s_mov_b32 s14, 0
	s_cmp_ge_u32 s14, s10
	s_cbranch_scc0 .LBB3_38
	s_branch .LBB3_16
.LBB3_15:
	s_add_i32 s14, s35, 4
	s_cmp_ge_u32 s14, s10
	s_cbranch_scc0 .LBB3_38
.LBB3_16:
	v_mov_b32_e32 v1, s24
	v_mov_b32_e32 v2, s34
	;; [unrolled: 1-line block ×4, first 2 shown]
	ds_write_b96 v4, v[1:3] offset:1056
.LBB3_17:
	s_or_b64 exec, exec, s[12:13]
	s_load_dword s16, s[4:5], 0x23c
	s_load_dword s17, s[4:5], 0x15c
	;; [unrolled: 1-line block ×3, first 2 shown]
	s_load_dwordx4 s[12:15], s[4:5], 0xd8
	s_waitcnt lgkmcnt(0)
	s_mul_i32 s15, s9, s33
	s_lshl_b32 s15, s15, 8
	s_add_i32 s26, s33, 1
	s_mov_b32 s19, 0
	s_sub_i32 s24, s12, s15
	s_add_u32 s24, s24, 0xff
	s_addc_u32 s25, 0, 0
	s_lshr_b64 s[24:25], s[24:25], 8
	s_cmp_lt_u32 s26, s10
	s_cselect_b32 s9, s9, s24
	s_cmp_eq_u32 s9, 0
	s_waitcnt vmcnt(0)
	s_barrier
	s_cbranch_scc1 .LBB3_40
; %bb.18:
	s_mul_i32 s10, s11, s18
	s_add_u32 s10, s22, s10
	s_mul_i32 s17, s11, s17
	s_mul_i32 s18, s11, s16
	s_addc_u32 s11, s23, 0
	s_add_u32 s16, s20, s17
	v_mov_b32_e32 v5, 0
	s_addc_u32 s17, s21, 0
	s_lshl_b64 s[18:19], s[18:19], 3
	ds_read_b96 v[1:3], v5 offset:1056
	s_add_u32 s18, s6, s18
	s_addc_u32 s19, s7, s19
	v_lshrrev_b32_e32 v4, 1, v0
	s_bitcmp1_b32 s14, 0
	s_load_dword s14, s[4:5], 0xe8
	s_load_dword s20, s[4:5], 0x1c8
	v_and_b32_e32 v7, 0x7c, v4
	v_add_u32_e32 v4, -1, v0
	v_lshrrev_b32_e32 v9, 3, v4
	s_waitcnt lgkmcnt(0)
	v_add_u32_e32 v1, v1, v2
	v_lshrrev_b32_e32 v2, 3, v0
	v_and_b32_e32 v9, 0x1ffffffc, v9
	v_and_b32_e32 v2, 28, v2
	v_lshl_add_u32 v9, v4, 2, v9
	v_add_u32_e32 v4, s15, v0
	v_lshl_add_u32 v2, v0, 2, v2
	v_cmp_gt_u32_e64 s[4:5], 64, v0
	v_lshlrev_b32_e32 v8, 4, v0
	v_mul_lo_u32 v0, s14, v4
	v_mbcnt_lo_u32_b32 v10, -1, 0
	s_cselect_b64 s[6:7], -1, 0
	s_lshl_b32 s21, s14, 8
	v_mbcnt_hi_u32_b32 v10, -1, v10
                                        ; implicit-def: $vgpr11
	s_branch .LBB3_21
.LBB3_19:                               ;   in Loop: Header=BB3_21 Depth=1
	s_or_b64 exec, exec, s[14:15]
	v_add_u32_e32 v1, v14, v1
.LBB3_20:                               ;   in Loop: Header=BB3_21 Depth=1
	s_add_i32 s9, s9, -1
	v_add_u32_e32 v3, v13, v3
	v_add_u32_e32 v0, s21, v0
	s_cmp_lg_u32 s9, 0
	v_add_u32_e32 v4, 0x100, v4
	s_cbranch_scc0 .LBB3_40
.LBB3_21:                               ; =>This Inner Loop Header: Depth=1
	v_cmp_gt_u32_e32 vcc, s12, v4
	v_mov_b32_e32 v14, 0
	v_mov_b32_e32 v12, 0
	s_and_saveexec_b64 s[14:15], vcc
	s_cbranch_execz .LBB3_23
; %bb.22:                               ;   in Loop: Header=BB3_21 Depth=1
	global_load_ubyte v11, v0, s[10:11]
	s_waitcnt vmcnt(0)
	v_cmp_gt_u16_sdwa s[22:23], v11, v6 src0_sel:DWORD src1_sel:BYTE_0
	v_cndmask_b32_e64 v12, 0, 1, s[22:23]
	v_cmp_lt_u16_sdwa s[22:23], v11, v6 src0_sel:DWORD src1_sel:BYTE_0
	v_cndmask_b32_e64 v13, 0, 1, s[22:23]
	v_cndmask_b32_e64 v12, v13, v12, s[6:7]
	v_cmp_eq_u16_sdwa s[22:23], v11, v6 src0_sel:DWORD src1_sel:BYTE_0
	v_and_b32_e32 v14, 1, v12
	v_cndmask_b32_e64 v12, 0, 1, s[22:23]
.LBB3_23:                               ;   in Loop: Header=BB3_21 Depth=1
	s_or_b64 exec, exec, s[14:15]
	ds_write_b32 v2, v14
	s_waitcnt vmcnt(0) lgkmcnt(0)
	s_barrier
	s_and_saveexec_b64 s[14:15], s[4:5]
	s_cbranch_execz .LBB3_25
; %bb.24:                               ;   in Loop: Header=BB3_21 Depth=1
	v_add_u32_e32 v13, v7, v8
	ds_read2_b32 v[15:16], v13 offset1:1
	ds_read2_b32 v[17:18], v13 offset0:2 offset1:3
	v_and_b32_e32 v19, 15, v10
	v_cmp_ne_u32_e32 vcc, 0, v19
	s_waitcnt lgkmcnt(1)
	v_add_u32_e32 v16, v16, v15
	s_waitcnt lgkmcnt(0)
	v_add3_u32 v16, v16, v17, v18
	v_bfe_i32 v18, v10, 4, 1
	; wave barrier
	s_nop 0
	v_mov_b32_dpp v17, v16 row_shr:1 row_mask:0xf bank_mask:0xf
	v_cndmask_b32_e32 v17, 0, v17, vcc
	v_add_u32_e32 v16, v17, v16
	v_cmp_lt_u32_e32 vcc, 1, v19
	s_nop 0
	v_mov_b32_dpp v17, v16 row_shr:2 row_mask:0xf bank_mask:0xf
	v_cndmask_b32_e32 v17, 0, v17, vcc
	v_add_u32_e32 v16, v16, v17
	v_cmp_lt_u32_e32 vcc, 3, v19
	;; [unrolled: 5-line block ×4, first 2 shown]
	s_nop 0
	v_mov_b32_dpp v17, v16 row_bcast:15 row_mask:0xf bank_mask:0xf
	v_and_b32_e32 v17, v18, v17
	v_add_u32_e32 v16, v16, v17
	v_and_b32_e32 v18, 64, v10
	s_nop 0
	v_mov_b32_dpp v17, v16 row_bcast:31 row_mask:0xf bank_mask:0xf
	v_cndmask_b32_e32 v17, 0, v17, vcc
	v_add_u32_e32 v16, v16, v17
	v_add_u32_e32 v17, -1, v10
	v_cmp_lt_i32_e32 vcc, v17, v18
	v_cndmask_b32_e32 v17, v17, v10, vcc
	v_lshlrev_b32_e32 v17, 2, v17
	ds_bpermute_b32 v16, v17, v16
	s_waitcnt lgkmcnt(0)
	v_add_u32_e32 v15, v16, v15
	v_cndmask_b32_e64 v17, v15, v14, s[2:3]
	ds_write_b32 v13, v17
	; wave barrier
	ds_read2_b32 v[15:16], v13 offset0:1 offset1:2
	ds_read_b32 v18, v13 offset:12
	s_waitcnt lgkmcnt(1)
	v_add_u32_e32 v15, v15, v17
	v_add_u32_e32 v16, v16, v15
	ds_write2_b32 v13, v15, v16 offset0:1 offset1:2
	s_waitcnt lgkmcnt(1)
	v_add_u32_e32 v15, v18, v16
	ds_write_b32 v13, v15 offset:12
.LBB3_25:                               ;   in Loop: Header=BB3_21 Depth=1
	s_or_b64 exec, exec, s[14:15]
	v_mov_b32_e32 v15, 0
	s_waitcnt lgkmcnt(0)
	s_barrier
	s_and_saveexec_b64 s[14:15], s[0:1]
; %bb.26:                               ;   in Loop: Header=BB3_21 Depth=1
	ds_read_b32 v15, v9
; %bb.27:                               ;   in Loop: Header=BB3_21 Depth=1
	s_or_b64 exec, exec, s[14:15]
	ds_read_b32 v13, v5 offset:1048
	v_cmp_ne_u32_e32 vcc, 0, v14
	s_waitcnt lgkmcnt(0)
	s_barrier
	s_and_saveexec_b64 s[14:15], vcc
	s_cbranch_execz .LBB3_29
; %bb.28:                               ;   in Loop: Header=BB3_21 Depth=1
	v_add_u32_e32 v14, v15, v3
	v_mul_lo_u32 v16, v14, s20
	v_mul_lo_u32 v14, v14, s8
	v_mov_b32_e32 v15, v5
	global_store_byte v16, v11, s[16:17]
	v_lshlrev_b64 v[14:15], 3, v[14:15]
	v_mov_b32_e32 v16, s19
	v_add_co_u32_e32 v14, vcc, s18, v14
	v_addc_co_u32_e32 v15, vcc, v16, v15, vcc
	global_store_dwordx2 v[14:15], v[4:5], off
.LBB3_29:                               ;   in Loop: Header=BB3_21 Depth=1
	s_or_b64 exec, exec, s[14:15]
	v_cmp_le_u32_e32 vcc, s13, v1
	s_cbranch_vccnz .LBB3_20
; %bb.30:                               ;   in Loop: Header=BB3_21 Depth=1
	ds_write_b32 v2, v12
	s_waitcnt vmcnt(0) lgkmcnt(0)
	s_barrier
	s_and_saveexec_b64 s[14:15], s[4:5]
	s_cbranch_execz .LBB3_32
; %bb.31:                               ;   in Loop: Header=BB3_21 Depth=1
	v_add_u32_e32 v18, v7, v8
	ds_read2_b32 v[14:15], v18 offset1:1
	ds_read2_b32 v[16:17], v18 offset0:2 offset1:3
	v_and_b32_e32 v19, 15, v10
	v_cmp_ne_u32_e32 vcc, 0, v19
	s_waitcnt lgkmcnt(1)
	v_add_u32_e32 v15, v15, v14
	s_waitcnt lgkmcnt(0)
	v_add3_u32 v15, v15, v16, v17
	v_bfe_i32 v17, v10, 4, 1
	; wave barrier
	s_nop 0
	v_mov_b32_dpp v16, v15 row_shr:1 row_mask:0xf bank_mask:0xf
	v_cndmask_b32_e32 v16, 0, v16, vcc
	v_add_u32_e32 v15, v16, v15
	v_cmp_lt_u32_e32 vcc, 1, v19
	s_nop 0
	v_mov_b32_dpp v16, v15 row_shr:2 row_mask:0xf bank_mask:0xf
	v_cndmask_b32_e32 v16, 0, v16, vcc
	v_add_u32_e32 v15, v15, v16
	v_cmp_lt_u32_e32 vcc, 3, v19
	;; [unrolled: 5-line block ×4, first 2 shown]
	s_nop 0
	v_mov_b32_dpp v16, v15 row_bcast:15 row_mask:0xf bank_mask:0xf
	v_and_b32_e32 v16, v17, v16
	v_add_u32_e32 v15, v15, v16
	v_and_b32_e32 v17, 64, v10
	s_nop 0
	v_mov_b32_dpp v16, v15 row_bcast:31 row_mask:0xf bank_mask:0xf
	v_cndmask_b32_e32 v16, 0, v16, vcc
	v_add_u32_e32 v15, v15, v16
	v_add_u32_e32 v16, -1, v10
	v_cmp_lt_i32_e32 vcc, v16, v17
	v_cndmask_b32_e32 v16, v16, v10, vcc
	v_lshlrev_b32_e32 v16, 2, v16
	ds_bpermute_b32 v15, v16, v15
	s_waitcnt lgkmcnt(0)
	v_add_u32_e32 v14, v15, v14
	v_cndmask_b32_e64 v16, v14, v12, s[2:3]
	ds_write_b32 v18, v16
	; wave barrier
	ds_read2_b32 v[14:15], v18 offset0:1 offset1:2
	ds_read_b32 v17, v18 offset:12
	s_waitcnt lgkmcnt(1)
	v_add_u32_e32 v14, v14, v16
	v_add_u32_e32 v15, v15, v14
	ds_write2_b32 v18, v14, v15 offset0:1 offset1:2
	s_waitcnt lgkmcnt(1)
	v_add_u32_e32 v14, v17, v15
	ds_write_b32 v18, v14 offset:12
.LBB3_32:                               ;   in Loop: Header=BB3_21 Depth=1
	s_or_b64 exec, exec, s[14:15]
	v_mov_b32_e32 v15, 0
	s_waitcnt lgkmcnt(0)
	s_barrier
	s_and_saveexec_b64 s[14:15], s[0:1]
; %bb.33:                               ;   in Loop: Header=BB3_21 Depth=1
	ds_read_b32 v15, v9
; %bb.34:                               ;   in Loop: Header=BB3_21 Depth=1
	s_or_b64 exec, exec, s[14:15]
	ds_read_b32 v14, v5 offset:1048
	v_cmp_ne_u32_e32 vcc, 0, v12
	s_waitcnt lgkmcnt(0)
	s_barrier
	s_and_saveexec_b64 s[14:15], vcc
	s_cbranch_execz .LBB3_19
; %bb.35:                               ;   in Loop: Header=BB3_21 Depth=1
	v_add_u32_e32 v12, v15, v1
	v_cmp_gt_u32_e32 vcc, s13, v12
	s_and_b64 exec, exec, vcc
	s_cbranch_execz .LBB3_19
; %bb.36:                               ;   in Loop: Header=BB3_21 Depth=1
	v_mul_lo_u32 v15, v12, s8
	v_mov_b32_e32 v16, v5
	v_mul_lo_u32 v17, v12, s20
	v_mov_b32_e32 v12, s19
	v_lshlrev_b64 v[15:16], 3, v[15:16]
	global_store_byte v17, v11, s[16:17]
	v_add_co_u32_e32 v15, vcc, s18, v15
	v_addc_co_u32_e32 v16, vcc, v12, v16, vcc
	global_store_dwordx2 v[15:16], v[4:5], off
	s_branch .LBB3_19
.LBB3_37:                               ;   in Loop: Header=BB3_38 Depth=1
	s_add_u32 s16, s16, 4
	s_addc_u32 s17, s17, 0
	s_waitcnt lgkmcnt(0)
	s_add_i32 s34, s15, s34
	s_add_u32 s18, s18, 4
	s_addc_u32 s19, s19, 0
	s_add_i32 s14, s14, 1
	s_cmp_lt_u32 s14, s10
	s_cbranch_scc0 .LBB3_16
.LBB3_38:                               ; =>This Inner Loop Header: Depth=1
	s_load_dword s15, s[16:17], 0x0
	s_cmp_ge_u32 s14, s33
	s_cbranch_scc1 .LBB3_37
; %bb.39:                               ;   in Loop: Header=BB3_38 Depth=1
	s_load_dword s26, s[18:19], 0x0
	s_waitcnt lgkmcnt(0)
	s_add_i32 s25, s15, s25
	s_add_i32 s24, s26, s24
	s_branch .LBB3_37
.LBB3_40:
	s_endpgm
	.section	.rodata,"a",@progbits
	.p2align	6, 0x0
	.amdhsa_kernel _ZN2at6native6mbtopk10gatherTopKIhjLi1EEEvNS_4cuda6detail10TensorInfoIKT_T0_EES8_S8_bjS8_NS5_IS6_S8_EES8_NS5_IlS8_EES8_jjPS6_PjSD_j
		.amdhsa_group_segment_fixed_size 1068
		.amdhsa_private_segment_fixed_size 0
		.amdhsa_kernarg_size 984
		.amdhsa_user_sgpr_count 6
		.amdhsa_user_sgpr_private_segment_buffer 1
		.amdhsa_user_sgpr_dispatch_ptr 0
		.amdhsa_user_sgpr_queue_ptr 0
		.amdhsa_user_sgpr_kernarg_segment_ptr 1
		.amdhsa_user_sgpr_dispatch_id 0
		.amdhsa_user_sgpr_flat_scratch_init 0
		.amdhsa_user_sgpr_private_segment_size 0
		.amdhsa_uses_dynamic_stack 0
		.amdhsa_system_sgpr_private_segment_wavefront_offset 0
		.amdhsa_system_sgpr_workgroup_id_x 1
		.amdhsa_system_sgpr_workgroup_id_y 1
		.amdhsa_system_sgpr_workgroup_id_z 1
		.amdhsa_system_sgpr_workgroup_info 0
		.amdhsa_system_vgpr_workitem_id 0
		.amdhsa_next_free_vgpr 20
		.amdhsa_next_free_sgpr 38
		.amdhsa_reserve_vcc 1
		.amdhsa_reserve_flat_scratch 0
		.amdhsa_float_round_mode_32 0
		.amdhsa_float_round_mode_16_64 0
		.amdhsa_float_denorm_mode_32 3
		.amdhsa_float_denorm_mode_16_64 3
		.amdhsa_dx10_clamp 1
		.amdhsa_ieee_mode 1
		.amdhsa_fp16_overflow 0
		.amdhsa_exception_fp_ieee_invalid_op 0
		.amdhsa_exception_fp_denorm_src 0
		.amdhsa_exception_fp_ieee_div_zero 0
		.amdhsa_exception_fp_ieee_overflow 0
		.amdhsa_exception_fp_ieee_underflow 0
		.amdhsa_exception_fp_ieee_inexact 0
		.amdhsa_exception_int_div_zero 0
	.end_amdhsa_kernel
	.section	.text._ZN2at6native6mbtopk10gatherTopKIhjLi1EEEvNS_4cuda6detail10TensorInfoIKT_T0_EES8_S8_bjS8_NS5_IS6_S8_EES8_NS5_IlS8_EES8_jjPS6_PjSD_j,"axG",@progbits,_ZN2at6native6mbtopk10gatherTopKIhjLi1EEEvNS_4cuda6detail10TensorInfoIKT_T0_EES8_S8_bjS8_NS5_IS6_S8_EES8_NS5_IlS8_EES8_jjPS6_PjSD_j,comdat
.Lfunc_end3:
	.size	_ZN2at6native6mbtopk10gatherTopKIhjLi1EEEvNS_4cuda6detail10TensorInfoIKT_T0_EES8_S8_bjS8_NS5_IS6_S8_EES8_NS5_IlS8_EES8_jjPS6_PjSD_j, .Lfunc_end3-_ZN2at6native6mbtopk10gatherTopKIhjLi1EEEvNS_4cuda6detail10TensorInfoIKT_T0_EES8_S8_bjS8_NS5_IS6_S8_EES8_NS5_IlS8_EES8_jjPS6_PjSD_j
                                        ; -- End function
	.set _ZN2at6native6mbtopk10gatherTopKIhjLi1EEEvNS_4cuda6detail10TensorInfoIKT_T0_EES8_S8_bjS8_NS5_IS6_S8_EES8_NS5_IlS8_EES8_jjPS6_PjSD_j.num_vgpr, 20
	.set _ZN2at6native6mbtopk10gatherTopKIhjLi1EEEvNS_4cuda6detail10TensorInfoIKT_T0_EES8_S8_bjS8_NS5_IS6_S8_EES8_NS5_IlS8_EES8_jjPS6_PjSD_j.num_agpr, 0
	.set _ZN2at6native6mbtopk10gatherTopKIhjLi1EEEvNS_4cuda6detail10TensorInfoIKT_T0_EES8_S8_bjS8_NS5_IS6_S8_EES8_NS5_IlS8_EES8_jjPS6_PjSD_j.numbered_sgpr, 38
	.set _ZN2at6native6mbtopk10gatherTopKIhjLi1EEEvNS_4cuda6detail10TensorInfoIKT_T0_EES8_S8_bjS8_NS5_IS6_S8_EES8_NS5_IlS8_EES8_jjPS6_PjSD_j.num_named_barrier, 0
	.set _ZN2at6native6mbtopk10gatherTopKIhjLi1EEEvNS_4cuda6detail10TensorInfoIKT_T0_EES8_S8_bjS8_NS5_IS6_S8_EES8_NS5_IlS8_EES8_jjPS6_PjSD_j.private_seg_size, 0
	.set _ZN2at6native6mbtopk10gatherTopKIhjLi1EEEvNS_4cuda6detail10TensorInfoIKT_T0_EES8_S8_bjS8_NS5_IS6_S8_EES8_NS5_IlS8_EES8_jjPS6_PjSD_j.uses_vcc, 1
	.set _ZN2at6native6mbtopk10gatherTopKIhjLi1EEEvNS_4cuda6detail10TensorInfoIKT_T0_EES8_S8_bjS8_NS5_IS6_S8_EES8_NS5_IlS8_EES8_jjPS6_PjSD_j.uses_flat_scratch, 0
	.set _ZN2at6native6mbtopk10gatherTopKIhjLi1EEEvNS_4cuda6detail10TensorInfoIKT_T0_EES8_S8_bjS8_NS5_IS6_S8_EES8_NS5_IlS8_EES8_jjPS6_PjSD_j.has_dyn_sized_stack, 0
	.set _ZN2at6native6mbtopk10gatherTopKIhjLi1EEEvNS_4cuda6detail10TensorInfoIKT_T0_EES8_S8_bjS8_NS5_IS6_S8_EES8_NS5_IlS8_EES8_jjPS6_PjSD_j.has_recursion, 0
	.set _ZN2at6native6mbtopk10gatherTopKIhjLi1EEEvNS_4cuda6detail10TensorInfoIKT_T0_EES8_S8_bjS8_NS5_IS6_S8_EES8_NS5_IlS8_EES8_jjPS6_PjSD_j.has_indirect_call, 0
	.section	.AMDGPU.csdata,"",@progbits
; Kernel info:
; codeLenInByte = 1984
; TotalNumSgprs: 42
; NumVgprs: 20
; ScratchSize: 0
; MemoryBound: 0
; FloatMode: 240
; IeeeMode: 1
; LDSByteSize: 1068 bytes/workgroup (compile time only)
; SGPRBlocks: 5
; VGPRBlocks: 4
; NumSGPRsForWavesPerEU: 42
; NumVGPRsForWavesPerEU: 20
; Occupancy: 10
; WaveLimiterHint : 1
; COMPUTE_PGM_RSRC2:SCRATCH_EN: 0
; COMPUTE_PGM_RSRC2:USER_SGPR: 6
; COMPUTE_PGM_RSRC2:TRAP_HANDLER: 0
; COMPUTE_PGM_RSRC2:TGID_X_EN: 1
; COMPUTE_PGM_RSRC2:TGID_Y_EN: 1
; COMPUTE_PGM_RSRC2:TGID_Z_EN: 1
; COMPUTE_PGM_RSRC2:TIDIG_COMP_CNT: 0
	.section	.text._ZN2at6native6sbtopk10gatherTopKIhjLi1ELb0EEEvNS_4cuda6detail10TensorInfoIKT_T0_EES8_S8_bS8_S8_NS5_IS6_S8_EES8_NS5_IlS8_EES8_PS6_,"axG",@progbits,_ZN2at6native6sbtopk10gatherTopKIhjLi1ELb0EEEvNS_4cuda6detail10TensorInfoIKT_T0_EES8_S8_bS8_S8_NS5_IS6_S8_EES8_NS5_IlS8_EES8_PS6_,comdat
	.protected	_ZN2at6native6sbtopk10gatherTopKIhjLi1ELb0EEEvNS_4cuda6detail10TensorInfoIKT_T0_EES8_S8_bS8_S8_NS5_IS6_S8_EES8_NS5_IlS8_EES8_PS6_ ; -- Begin function _ZN2at6native6sbtopk10gatherTopKIhjLi1ELb0EEEvNS_4cuda6detail10TensorInfoIKT_T0_EES8_S8_bS8_S8_NS5_IS6_S8_EES8_NS5_IlS8_EES8_PS6_
	.globl	_ZN2at6native6sbtopk10gatherTopKIhjLi1ELb0EEEvNS_4cuda6detail10TensorInfoIKT_T0_EES8_S8_bS8_S8_NS5_IS6_S8_EES8_NS5_IlS8_EES8_PS6_
	.p2align	8
	.type	_ZN2at6native6sbtopk10gatherTopKIhjLi1ELb0EEEvNS_4cuda6detail10TensorInfoIKT_T0_EES8_S8_bS8_S8_NS5_IS6_S8_EES8_NS5_IlS8_EES8_PS6_,@function
_ZN2at6native6sbtopk10gatherTopKIhjLi1ELb0EEEvNS_4cuda6detail10TensorInfoIKT_T0_EES8_S8_bS8_S8_NS5_IS6_S8_EES8_NS5_IlS8_EES8_PS6_: ; @_ZN2at6native6sbtopk10gatherTopKIhjLi1ELb0EEEvNS_4cuda6detail10TensorInfoIKT_T0_EES8_S8_bS8_S8_NS5_IS6_S8_EES8_NS5_IlS8_EES8_PS6_
; %bb.0:
	s_load_dwordx2 s[14:15], s[4:5], 0x2b8
	s_load_dwordx4 s[36:39], s[4:5], 0xd8
	s_add_u32 s12, s4, 0x2b8
	s_addc_u32 s13, s5, 0
	s_waitcnt lgkmcnt(0)
	s_mul_i32 s0, s15, s8
	s_add_i32 s0, s0, s7
	s_mul_i32 s0, s0, s14
	s_add_i32 s7, s0, s6
	s_cmp_ge_u32 s7, s39
	s_cbranch_scc1 .LBB4_411
; %bb.1:
	s_load_dwordx2 s[0:1], s[4:5], 0x1d0
                                        ; implicit-def: $vgpr51 : SGPR spill to VGPR lane
	s_mov_b32 s50, 0
	v_cmp_eq_u32_e64 s[8:9], 0, v0
	s_waitcnt lgkmcnt(0)
	v_writelane_b32 v51, s0, 0
	v_writelane_b32 v51, s1, 1
	s_load_dword s49, s[4:5], 0xe8
	s_load_dwordx2 s[0:1], s[4:5], 0xf0
	s_waitcnt lgkmcnt(0)
	v_writelane_b32 v51, s0, 2
	v_writelane_b32 v51, s1, 3
	s_mov_b64 s[0:1], s[4:5]
	v_writelane_b32 v51, s0, 4
	s_load_dword s4, s[4:5], 0x6c
	v_writelane_b32 v51, s1, 5
	s_load_dwordx2 s[0:1], s[0:1], 0x0
	s_mov_b64 s[2:3], exec
	v_writelane_b32 v51, s8, 6
	v_writelane_b32 v51, s9, 7
	s_and_b64 s[8:9], s[2:3], s[8:9]
	s_mov_b64 exec, s[8:9]
; %bb.2:
	v_mov_b32_e32 v1, 0
	v_mov_b32_e32 v2, s36
	;; [unrolled: 1-line block ×3, first 2 shown]
	ds_write_b96 v1, v[1:3] offset:4096
; %bb.3:
	s_or_b64 exec, exec, s[2:3]
	s_waitcnt lgkmcnt(0)
	s_mul_i32 s4, s4, s7
	s_add_u32 s40, s0, s4
	s_addc_u32 s41, s1, 0
	s_barrier
	s_load_dword s0, s[12:13], 0xc
	s_bitcmp1_b32 s38, 0
	v_writelane_b32 v51, s7, 8
	s_cselect_b64 s[2:3], -1, 0
	v_writelane_b32 v51, s2, 9
	v_writelane_b32 v51, s3, 10
	s_xor_b64 s[2:3], s[2:3], -1
	v_mbcnt_lo_u32_b32 v1, -1, 0
	v_writelane_b32 v51, s2, 11
	v_mbcnt_hi_u32_b32 v21, -1, v1
	v_writelane_b32 v51, s3, 12
	s_waitcnt lgkmcnt(0)
	s_and_b32 s33, s0, 0xffff
	v_cmp_gt_u32_e32 vcc, 64, v0
	v_cmp_gt_i32_e64 s[2:3], 4, v21
	s_lshl_b32 s51, s33, 2
	s_bfe_u32 s4, s0, 0xa0006
	s_and_b64 s[2:3], vcc, s[2:3]
	v_writelane_b32 v51, s2, 13
	s_cmpk_gt_u32 s36, 0xc00
	v_writelane_b32 v51, s3, 14
	s_cselect_b64 s[2:3], -1, 0
	v_writelane_b32 v51, s2, 15
	v_writelane_b32 v51, s3, 16
	v_cmp_gt_u32_e64 s[2:3], s36, v0
	v_writelane_b32 v51, s2, 17
	s_cmp_gt_u32 s33, 63
	v_writelane_b32 v51, s3, 18
	s_cselect_b64 s[2:3], -1, 0
	v_mul_lo_u32 v22, s49, v0
	v_writelane_b32 v51, s2, 19
	v_writelane_b32 v51, s3, 20
	v_cmp_gt_u32_e64 s[2:3], 2, v0
	v_writelane_b32 v51, s2, 21
	v_writelane_b32 v51, s3, 22
	s_add_i32 s2, s33, -1
	v_mov_b32_e32 v1, s41
	v_add_co_u32_e32 v13, vcc, s40, v22
	v_writelane_b32 v51, s2, 23
	s_add_i32 s2, s2, s36
	v_addc_co_u32_e32 v14, vcc, 0, v1, vcc
	v_lshrrev_b32_e32 v1, 2, v0
	s_cmp_lt_u32 s6, s14
	v_and_b32_e32 v1, 0xf0, v1
	s_cselect_b32 s3, 12, 18
	v_or_b32_e32 v24, 0xc00, v1
	s_add_u32 s6, s12, s3
	v_add_u32_e32 v1, 2, v0
	s_addc_u32 s7, s13, 0
	v_max_u32_e32 v1, s36, v1
	v_lshlrev_b64 v[3:4], v21, -1
	v_writelane_b32 v51, s6, 24
	v_xad_u32 v1, v0, -1, v1
	v_writelane_b32 v51, s7, 25
	v_cmp_lt_u32_e64 s[6:7], 31, v1
	v_not_b32_e32 v19, v3
	v_add_u32_e32 v3, -4, v1
	v_writelane_b32 v51, s6, 26
	v_not_b32_e32 v18, v4
	v_lshrrev_b32_e32 v4, 2, v3
	v_writelane_b32 v51, s7, 27
	v_cmp_lt_u32_e64 s[6:7], 11, v3
	v_cvt_f32_u32_e32 v3, s51
	v_writelane_b32 v51, s49, 28
	v_writelane_b32 v51, s49, 29
	v_add_u32_e32 v4, 1, v4
	v_writelane_b32 v51, s49, 30
	v_rcp_iflag_f32_e32 v3, v3
	v_and_b32_e32 v5, 3, v4
	v_writelane_b32 v51, s6, 31
	s_add_i32 s3, s4, -1
	v_writelane_b32 v51, s7, 32
	v_cmp_ne_u32_e64 s[6:7], 0, v5
	s_bfe_u32 s5, s33, 0x30006
	s_and_b32 s3, s3, 0xffff
	v_writelane_b32 v51, s6, 33
	s_cmp_gt_u32 s3, 6
	v_writelane_b32 v51, s7, 34
	s_cselect_b64 s[6:7], -1, 0
	v_mul_f32_e32 v3, 0x4f7ffffe, v3
	v_writelane_b32 v51, s6, 35
	s_and_b32 s19, s4, 0x3f8
	v_cvt_u32_f32_e32 v3, v3
	v_writelane_b32 v51, s7, 36
	s_cmp_lg_u32 s5, 0
	v_writelane_b32 v51, s5, 37
	s_cselect_b64 s[4:5], -1, 0
	v_writelane_b32 v51, s4, 38
	v_writelane_b32 v51, s5, 39
	s_sub_i32 s3, 0, s51
	v_readfirstlane_b32 s4, v3
	s_mul_i32 s3, s3, s4
	s_mul_hi_u32 s3, s4, s3
	s_add_i32 s3, s4, s3
	v_writelane_b32 v51, s3, 40
	s_mul_hi_u32 s3, s36, s3
	s_mul_i32 s3, s3, s51
	v_cvt_f32_u32_e32 v3, s33
	s_sub_i32 s3, s36, s3
	s_sub_i32 s4, s3, s51
	s_cmp_ge_u32 s3, s51
	s_cselect_b32 s3, s4, s3
	v_rcp_iflag_f32_e32 v3, v3
	s_sub_i32 s4, s3, s51
	s_cmp_ge_u32 s3, s51
	s_cselect_b32 s3, s4, s3
	v_lshlrev_b32_e32 v20, 2, v0
	s_sub_i32 s21, s36, s3
	v_mul_f32_e32 v3, 0x4f7ffffe, v3
	v_cmp_gt_u32_e64 s[4:5], s21, v20
	v_cvt_u32_f32_e32 v3, v3
	v_writelane_b32 v51, s4, 41
	v_add_u32_e32 v28, s21, v0
	v_writelane_b32 v51, s5, 42
	v_cmp_gt_u32_e64 s[4:5], s36, v28
	v_writelane_b32 v51, s4, 43
	v_writelane_b32 v51, s5, 44
	s_sub_i32 s4, 0, s33
	v_readfirstlane_b32 s5, v3
	s_mul_i32 s4, s4, s5
	s_mul_hi_u32 s4, s5, s4
	s_add_i32 s4, s5, s4
	v_writelane_b32 v51, s4, 45
	s_mul_hi_u32 s4, s2, s4
	s_mul_i32 s4, s4, s33
	s_sub_i32 s4, s2, s4
	s_sub_i32 s5, s4, s33
	s_cmp_ge_u32 s4, s33
	v_mul_lo_u32 v3, s49, v20
	s_cselect_b32 s4, s5, s4
	s_sub_i32 s5, s4, s33
	s_cmp_ge_u32 s4, s33
	s_cselect_b32 s4, s5, s4
	v_add_u32_e32 v30, s49, v3
	v_or_b32_e32 v3, 2, v20
	s_sub_i32 s10, s2, s4
	v_mul_lo_u32 v32, s49, v3
	v_or_b32_e32 v3, 3, v20
	s_add_i32 s2, s33, s36
	v_and_b32_e32 v27, 0x7ffffffc, v4
	v_mul_lo_u32 v4, v28, s49
	v_mul_lo_u32 v33, s49, v3
	v_add_u32_e32 v3, s2, v0
	v_subrev_u32_e32 v3, s3, v3
	v_cmp_gt_u32_e64 s[4:5], s10, v0
	v_mul_lo_u32 v35, s49, v3
	v_and_b32_e32 v25, -4, v1
	v_writelane_b32 v51, s4, 46
	v_lshlrev_b32_e32 v2, 2, v21
	v_mov_b32_e32 v6, s41
	v_add_co_u32_e32 v15, vcc, s40, v4
	v_writelane_b32 v51, s5, 47
	s_mul_i32 s48, s49, s33
	v_cmp_ne_u32_e64 s[2:3], v1, v25
	v_cmp_eq_u32_e64 s[0:1], 0, v21
	v_mov_b32_e32 v23, 0
	v_and_b32_e32 v17, 0x100, v2
	v_add_u32_e32 v26, v0, v25
	s_mov_b32 s20, 6
	v_addc_co_u32_e32 v16, vcc, 0, v6, vcc
	v_lshlrev_b32_e32 v29, 2, v5
	s_lshl_b32 s11, s48, 2
	v_lshlrev_b32_e32 v34, 2, v22
	v_or_b32_e32 v36, 0xc00, v2
	s_mov_b64 s[58:59], 0
	v_mov_b32_e32 v40, s37
	s_mov_b32 s4, 0xc0c0004
	v_mov_b32_e32 v37, 8
	v_mov_b32_e32 v39, 0
	;; [unrolled: 1-line block ×4, first 2 shown]
	v_writelane_b32 v51, s2, 48
                                        ; implicit-def: $sgpr60_sgpr61
                                        ; implicit-def: $sgpr62_sgpr63
                                        ; implicit-def: $sgpr64_sgpr65
                                        ; implicit-def: $sgpr66_sgpr67
                                        ; implicit-def: $sgpr68_sgpr69
                                        ; implicit-def: $sgpr70_sgpr71
                                        ; implicit-def: $sgpr72_sgpr73
                                        ; implicit-def: $sgpr74_sgpr75
                                        ; implicit-def: $sgpr76_sgpr77
	v_writelane_b32 v51, s3, 49
                                        ; implicit-def: $sgpr78_sgpr79
	s_branch .LBB4_6
.LBB4_4:                                ;   in Loop: Header=BB4_6 Depth=1
	s_or_b64 exec, exec, s[14:15]
	s_andn2_b64 s[8:9], s[78:79], exec
	s_and_b64 s[12:13], s[12:13], exec
	s_or_b64 s[78:79], s[8:9], s[12:13]
	s_andn2_b64 s[76:77], s[76:77], exec
	s_andn2_b64 s[74:75], s[74:75], exec
	;; [unrolled: 1-line block ×4, first 2 shown]
	s_orn2_b64 s[6:7], s[6:7], exec
	v_mov_b32_e32 v40, v4
.LBB4_5:                                ;   in Loop: Header=BB4_6 Depth=1
	s_or_b64 exec, exec, s[2:3]
	s_and_b64 s[2:3], exec, s[6:7]
	s_or_b64 s[58:59], s[2:3], s[58:59]
	s_andn2_b64 s[2:3], s[68:69], exec
	s_and_b64 s[6:7], s[78:79], exec
	s_or_b64 s[68:69], s[2:3], s[6:7]
	s_andn2_b64 s[2:3], s[66:67], exec
	s_and_b64 s[6:7], s[76:77], exec
	;; [unrolled: 3-line block ×5, first 2 shown]
	s_or_b64 s[60:61], s[2:3], s[6:7]
	s_andn2_b64 exec, exec, s[58:59]
	s_cbranch_execz .LBB4_407
.LBB4_6:                                ; =>This Loop Header: Depth=1
                                        ;     Child Loop BB4_11 Depth 2
                                        ;     Child Loop BB4_32 Depth 2
	;; [unrolled: 1-line block ×26, first 2 shown]
	ds_read_b64 v[1:2], v23 offset:4096
	s_waitcnt lgkmcnt(0)
	v_readfirstlane_b32 s5, v1
	s_cmp_lg_u32 s5, 0
	s_cbranch_scc1 .LBB4_51
; %bb.7:                                ;   in Loop: Header=BB4_6 Depth=1
	v_readlane_b32 s2, v51, 15
	v_readlane_b32 s3, v51, 16
	s_and_b64 vcc, exec, s[2:3]
	s_cbranch_vccz .LBB4_19
; %bb.8:                                ;   in Loop: Header=BB4_6 Depth=1
	s_movk_i32 s5, 0xc01
	v_cmp_gt_u32_e32 vcc, s5, v2
	s_mov_b64 s[2:3], 0
	s_mov_b64 s[6:7], 0
	s_cbranch_vccz .LBB4_20
; %bb.9:                                ;   in Loop: Header=BB4_6 Depth=1
	v_readlane_b32 s6, v51, 24
	v_readlane_b32 s7, v51, 25
	s_nop 4
	global_load_ushort v1, v23, s[6:7]
	global_load_ubyte v4, v[13:14], off
	s_mov_b64 s[12:13], 0
	v_mov_b32_e32 v5, v0
	s_waitcnt vmcnt(1)
	v_add_u32_e32 v2, v0, v1
	v_mul_lo_u32 v2, s49, v2
	v_mul_lo_u32 v3, s49, v1
	s_branch .LBB4_11
.LBB4_10:                               ;   in Loop: Header=BB4_11 Depth=2
	s_or_b64 exec, exec, s[6:7]
	v_add_u32_e32 v2, v2, v3
	v_mov_b32_e32 v4, v6
	s_andn2_b64 exec, exec, s[12:13]
	s_cbranch_execz .LBB4_26
.LBB4_11:                               ;   Parent Loop BB4_6 Depth=1
                                        ; =>  This Inner Loop Header: Depth=2
	v_add_u32_e32 v5, v5, v1
	v_cmp_gt_u32_e64 s[6:7], s36, v5
	v_cmp_le_u32_e32 vcc, s36, v5
	s_waitcnt lgkmcnt(0)
	v_mov_b32_e32 v7, 0
	v_mov_b32_e32 v6, 0
	s_and_saveexec_b64 s[8:9], s[6:7]
	s_cbranch_execz .LBB4_13
; %bb.12:                               ;   in Loop: Header=BB4_11 Depth=2
	global_load_ubyte v6, v2, s[40:41]
.LBB4_13:                               ;   in Loop: Header=BB4_11 Depth=2
	s_or_b64 exec, exec, s[8:9]
	s_waitcnt vmcnt(0)
	v_and_b32_e32 v8, v4, v38
	v_cmp_eq_u32_sdwa s[14:15], v8, v31 src0_sel:BYTE_0 src1_sel:DWORD
	s_cmp_lg_u64 s[14:15], 0
	s_cselect_b64 s[6:7], -1, 0
	s_and_b64 s[6:7], s[0:1], s[6:7]
	s_and_saveexec_b64 s[16:17], s[6:7]
	s_cbranch_execz .LBB4_17
; %bb.14:                               ;   in Loop: Header=BB4_11 Depth=2
	s_mov_b64 s[22:23], exec
	v_mbcnt_lo_u32_b32 v7, s22, 0
	v_mbcnt_hi_u32_b32 v7, s23, v7
	s_bcnt1_i32_b64 s5, s[14:15]
	v_cmp_eq_u32_e64 s[6:7], 0, v7
                                        ; implicit-def: $vgpr8
	s_and_saveexec_b64 s[8:9], s[6:7]
; %bb.15:                               ;   in Loop: Header=BB4_11 Depth=2
	s_bcnt1_i32_b64 s6, s[22:23]
	s_mul_i32 s6, s5, s6
	v_mov_b32_e32 v8, s6
	ds_add_rtn_u32 v8, v23, v8 offset:4104
; %bb.16:                               ;   in Loop: Header=BB4_11 Depth=2
	s_or_b64 exec, exec, s[8:9]
	s_waitcnt lgkmcnt(0)
	v_readfirstlane_b32 s6, v8
	v_mov_b32_e32 v8, s6
	v_mad_u32_u24 v7, s5, v7, v8
.LBB4_17:                               ;   in Loop: Header=BB4_11 Depth=2
	s_or_b64 exec, exec, s[16:17]
	ds_bpermute_b32 v7, v17, v7
	s_and_b64 s[6:7], exec, vcc
	s_or_b64 s[12:13], s[6:7], s[12:13]
	s_and_saveexec_b64 s[6:7], s[14:15]
	s_cbranch_execz .LBB4_10
; %bb.18:                               ;   in Loop: Header=BB4_11 Depth=2
	v_and_b32_e32 v9, s14, v19
	v_and_b32_e32 v8, s15, v18
	v_bcnt_u32_b32 v9, v9, 0
	v_bcnt_u32_b32 v8, v8, v9
	s_waitcnt lgkmcnt(0)
	v_add_u32_e32 v7, v7, v8
	ds_write_b8 v7, v4
	s_branch .LBB4_10
.LBB4_19:                               ;   in Loop: Header=BB4_6 Depth=1
	s_mov_b64 s[2:3], -1
	s_mov_b64 s[6:7], 0
.LBB4_20:                               ;   in Loop: Header=BB4_6 Depth=1
	s_and_b64 vcc, exec, s[2:3]
	s_cbranch_vccz .LBB4_49
.LBB4_21:                               ;   in Loop: Header=BB4_6 Depth=1
	s_mov_b64 s[26:27], exec
	v_readlane_b32 s2, v51, 17
	v_readlane_b32 s3, v51, 18
	s_and_b64 s[2:3], s[26:27], s[2:3]
	s_mov_b64 exec, s[2:3]
	s_cbranch_execz .LBB4_46
; %bb.22:                               ;   in Loop: Header=BB4_6 Depth=1
	v_readlane_b32 s2, v51, 24
	v_readlane_b32 s3, v51, 25
	s_nop 4
	global_load_ushort v1, v23, s[2:3]
	global_load_ubyte v42, v[13:14], off
	v_mov_b32_e32 v2, v0
	s_waitcnt vmcnt(1)
	v_readfirstlane_b32 s5, v1
	v_add_u32_e32 v1, v0, v1
	v_cmp_gt_u32_e32 vcc, s36, v1
	s_and_saveexec_b64 s[30:31], vcc
	s_cbranch_execz .LBB4_45
; %bb.23:                               ;   in Loop: Header=BB4_6 Depth=1
	s_mov_b64 s[6:7], 0
	s_mul_i32 s8, s49, s5
                                        ; implicit-def: $vgpr2
                                        ; implicit-def: $vgpr5
                                        ; implicit-def: $vgpr4
                                        ; implicit-def: $vgpr3
	s_mov_b64 s[2:3], exec
	v_readlane_b32 s12, v51, 26
	v_readlane_b32 s13, v51, 27
	s_and_b64 s[12:13], s[2:3], s[12:13]
	s_xor_b64 s[34:35], s[12:13], s[2:3]
	s_mov_b64 exec, s[12:13]
	s_cbranch_execnz .LBB4_29
; %bb.24:                               ;   in Loop: Header=BB4_6 Depth=1
	s_andn2_saveexec_b64 s[2:3], s[34:35]
	s_cbranch_execnz .LBB4_40
.LBB4_25:                               ;   in Loop: Header=BB4_6 Depth=1
	s_or_b64 exec, exec, s[2:3]
	s_and_saveexec_b64 s[2:3], s[6:7]
	s_cbranch_execnz .LBB4_41
	s_branch .LBB4_44
.LBB4_26:                               ;   in Loop: Header=BB4_6 Depth=1
	s_or_b64 exec, exec, s[12:13]
	s_waitcnt lgkmcnt(0)
	s_barrier
	s_mov_b64 s[6:7], exec
	v_readlane_b32 s8, v51, 6
	v_readlane_b32 s9, v51, 7
	s_and_b64 s[8:9], s[6:7], s[8:9]
	s_mov_b64 exec, s[8:9]
	s_cbranch_execz .LBB4_28
; %bb.27:                               ;   in Loop: Header=BB4_6 Depth=1
	ds_read_b32 v1, v23 offset:4104
	s_waitcnt lgkmcnt(0)
	ds_write_b32 v23, v1 offset:4096
.LBB4_28:                               ;   in Loop: Header=BB4_6 Depth=1
	s_or_b64 exec, exec, s[6:7]
	s_waitcnt lgkmcnt(0)
	s_barrier
	s_mov_b64 s[6:7], -1
	s_and_b64 vcc, exec, s[2:3]
	s_cbranch_vccnz .LBB4_21
	s_branch .LBB4_49
.LBB4_29:                               ;   in Loop: Header=BB4_6 Depth=1
	v_cvt_f32_u32_e32 v2, s5
	s_sub_i32 s3, 0, s5
	v_add_u32_e32 v3, s5, v1
	v_max_u32_e32 v3, s36, v3
	v_rcp_iflag_f32_e32 v2, v2
	s_lshl_b32 s2, s5, 1
	v_sub_u32_e32 v3, v3, v0
	v_cmp_ne_u32_e32 vcc, s2, v3
	v_mul_f32_e32 v2, 0x4f7ffffe, v2
	v_cvt_u32_f32_e32 v2, v2
	v_cndmask_b32_e64 v6, 0, 1, vcc
	v_or_b32_e32 v6, s2, v6
	v_sub_u32_e32 v3, v3, v6
	v_mul_lo_u32 v4, s3, v2
	s_not_b32 s6, s8
	s_ashr_i32 s14, s6, 31
	s_abs_i32 s9, s8
	v_mul_hi_u32 v4, v2, v4
	v_mul_lo_u32 v5, s49, v1
	s_cmp_eq_u32 s5, 1
	s_cselect_b64 s[12:13], -1, 0
	v_add_u32_e32 v2, v2, v4
	v_mul_hi_u32 v4, v3, v2
	v_xor_b32_e32 v5, s14, v5
	s_mov_b64 s[2:3], -1
                                        ; implicit-def: $vgpr2
	v_mul_lo_u32 v6, v4, s5
	v_add_u32_e32 v7, 1, v4
	v_sub_u32_e32 v3, v3, v6
	v_subrev_u32_e32 v6, s5, v3
	v_cmp_le_u32_e64 s[6:7], s5, v3
	v_cndmask_b32_e64 v4, v4, v7, s[6:7]
	v_cndmask_b32_e64 v3, v3, v6, s[6:7]
	v_add_u32_e32 v6, 1, v4
	v_cmp_le_u32_e64 s[6:7], s5, v3
	v_cndmask_b32_e64 v3, v4, v6, s[6:7]
	v_addc_co_u32_e32 v3, vcc, 0, v3, vcc
	v_mul_hi_u32 v4, s9, v3
	v_mul_lo_u32 v3, s9, v3
	v_cmp_eq_u32_e32 vcc, 0, v4
	v_cmp_le_u32_e64 s[6:7], v3, v5
	s_and_b64 s[12:13], vcc, s[12:13]
	s_and_b64 s[12:13], s[12:13], s[6:7]
	v_mov_b32_e32 v4, v0
	s_and_saveexec_b64 s[6:7], s[12:13]
	s_cbranch_execz .LBB4_39
; %bb.30:                               ;   in Loop: Header=BB4_6 Depth=1
	v_add_u32_e32 v4, 3, v1
	v_add_u32_e32 v3, 2, v1
	;; [unrolled: 1-line block ×3, first 2 shown]
	v_mov_b32_e32 v8, v4
	s_waitcnt vmcnt(0)
	v_lshlrev_b32_e32 v43, 24, v42
	v_mov_b32_e32 v9, 0
	v_mov_b32_e32 v7, v3
	;; [unrolled: 1-line block ×4, first 2 shown]
                                        ; implicit-def: $vgpr42
	s_mov_b64 s[42:43], exec
	v_readlane_b32 s2, v51, 31
	v_readlane_b32 s3, v51, 32
	s_and_b64 s[2:3], s[42:43], s[2:3]
	s_mov_b64 exec, s[2:3]
	s_cbranch_execz .LBB4_34
; %bb.31:                               ;   in Loop: Header=BB4_6 Depth=1
	v_mov_b32_e32 v8, v4
	s_mov_b32 s2, 0
	s_mov_b64 s[80:81], 0
	v_mov_b32_e32 v41, v27
	v_mov_b32_e32 v7, v3
	;; [unrolled: 1-line block ×4, first 2 shown]
	v_readlane_b32 s3, v51, 28
	v_readlane_b32 s9, v51, 29
	;; [unrolled: 1-line block ×3, first 2 shown]
	s_mov_b32 s13, 0xc0c0007
.LBB4_32:                               ;   Parent Loop BB4_6 Depth=1
                                        ; =>  This Inner Loop Header: Depth=2
	v_mul_lo_u32 v2, v5, s49
	v_mul_lo_u32 v9, v6, s3
	v_mul_lo_u32 v11, v7, s9
	v_mov_b32_e32 v12, s41
	v_add_co_u32_e32 v2, vcc, s40, v2
	v_addc_co_u32_e32 v3, vcc, 0, v12, vcc
	v_mul_lo_u32 v4, v8, s12
	v_add_co_u32_e32 v9, vcc, s40, v9
	v_addc_co_u32_e32 v10, vcc, 0, v12, vcc
	v_add_co_u32_e32 v44, vcc, s40, v11
	v_addc_co_u32_e32 v45, vcc, 0, v12, vcc
	v_add_co_u32_e32 v46, vcc, s40, v4
	global_load_ubyte v4, v[44:45], off
	s_nop 0
	global_load_ubyte v9, v[9:10], off
	v_add_u32_e32 v10, 4, v7
	global_load_ubyte v2, v[2:3], off
	v_add_u32_e32 v3, 4, v6
	v_mul_lo_u32 v42, v10, s9
	v_mul_lo_u32 v10, v3, s3
	v_addc_co_u32_e32 v47, vcc, 0, v12, vcc
	v_add_u32_e32 v11, 4, v8
	v_mul_lo_u32 v44, v11, s12
	v_add_u32_e32 v41, -4, v41
	s_waitcnt vmcnt(1)
	v_perm_b32 v4, v9, v4, s4
	s_waitcnt vmcnt(0)
	v_perm_b32 v2, v43, v2, s13
	v_lshl_or_b32 v9, v4, 16, v2
	v_add_u32_e32 v2, 4, v5
	v_mul_lo_u32 v2, v2, s49
	v_add_u32_e32 v4, s2, v0
	s_add_i32 s2, s2, 16
	v_add_co_u32_e32 v2, vcc, s40, v2
	v_addc_co_u32_e32 v3, vcc, 0, v12, vcc
	v_add_co_u32_e32 v10, vcc, s40, v10
	v_addc_co_u32_e32 v11, vcc, 0, v12, vcc
	;; [unrolled: 2-line block ×3, first 2 shown]
	global_load_ubyte v46, v[46:47], off
	s_nop 0
	global_load_ubyte v2, v[2:3], off
	s_nop 0
	;; [unrolled: 2-line block ×3, first 2 shown]
	global_load_ubyte v10, v[10:11], off
	v_add_co_u32_e32 v44, vcc, s40, v44
	v_addc_co_u32_e32 v45, vcc, 0, v12, vcc
	v_add_u32_e32 v11, 8, v7
	v_add_u32_e32 v42, 8, v8
	v_mul_lo_u32 v50, v42, s12
	v_mul_lo_u32 v11, v11, s9
	s_waitcnt vmcnt(2)
	v_perm_b32 v2, v46, v2, s4
	s_waitcnt vmcnt(0)
	v_perm_b32 v3, v10, v3, s4
	v_lshl_or_b32 v10, v3, 16, v2
	v_add_u32_e32 v2, 8, v5
	v_mul_lo_u32 v2, v2, s49
	v_add_u32_e32 v3, 8, v6
	v_mul_lo_u32 v3, v3, s3
	v_add_co_u32_e32 v42, vcc, s40, v2
	v_addc_co_u32_e32 v43, vcc, 0, v12, vcc
	v_add_co_u32_e32 v46, vcc, s40, v3
	v_addc_co_u32_e32 v47, vcc, 0, v12, vcc
	v_add_co_u32_e32 v48, vcc, s40, v11
	global_load_ubyte v11, v[42:43], off
	s_nop 0
	global_load_ubyte v42, v[44:45], off
	v_addc_co_u32_e32 v49, vcc, 0, v12, vcc
	v_add_u32_e32 v45, 12, v8
	v_add_co_u32_e32 v2, vcc, s40, v50
	v_addc_co_u32_e32 v3, vcc, 0, v12, vcc
	v_add_u32_e32 v44, 12, v7
	v_add_u32_e32 v8, 16, v8
	;; [unrolled: 1-line block ×3, first 2 shown]
	s_waitcnt vmcnt(0)
	v_perm_b32 v11, v42, v11, s4
	global_load_ubyte v42, v[48:49], off
	global_load_ubyte v43, v[46:47], off
	v_mul_lo_u32 v49, v45, s12
	v_mul_lo_u32 v47, v44, s9
	s_waitcnt vmcnt(0)
	v_perm_b32 v42, v43, v42, s4
	v_lshl_or_b32 v11, v42, 16, v11
	v_add_u32_e32 v42, 12, v5
	v_mul_lo_u32 v42, v42, s49
	v_add_u32_e32 v43, 12, v6
	v_mul_lo_u32 v45, v43, s3
	v_add_u32_e32 v6, 16, v6
	v_add_co_u32_e32 v43, vcc, s40, v42
	v_addc_co_u32_e32 v44, vcc, 0, v12, vcc
	v_add_co_u32_e32 v45, vcc, s40, v45
	v_addc_co_u32_e32 v46, vcc, 0, v12, vcc
	;; [unrolled: 2-line block ×4, first 2 shown]
	global_load_ubyte v42, v[49:50], off
	global_load_ubyte v12, v[45:46], off
	s_nop 0
	global_load_ubyte v44, v[43:44], off
	v_cmp_eq_u32_e32 vcc, 0, v41
	global_load_ubyte v45, v[47:48], off
	v_add_u32_e32 v5, 16, v5
	global_load_ubyte v2, v[2:3], off
	s_or_b64 s[80:81], vcc, s[80:81]
	s_waitcnt vmcnt(2)
	v_perm_b32 v43, v44, v12, s4
	s_waitcnt vmcnt(1)
	v_perm_b32 v3, v12, v45, s4
	v_perm_b32 v46, v45, v42, s4
	s_waitcnt vmcnt(0)
	v_perm_b32 v2, v2, v44, s4
	v_lshl_or_b32 v12, v3, 16, v2
	v_lshl_or_b32 v43, v46, 16, v43
	ds_write_b128 v4, v[9:12]
	v_mov_b32_e32 v9, s2
	s_andn2_b64 exec, exec, s[80:81]
	s_cbranch_execnz .LBB4_32
; %bb.33:                               ;   in Loop: Header=BB4_6 Depth=1
	s_or_b64 exec, exec, s[80:81]
.LBB4_34:                               ;   in Loop: Header=BB4_6 Depth=1
	s_or_b64 exec, exec, s[42:43]
	s_mov_b64 s[2:3], exec
	v_readlane_b32 s12, v51, 33
	v_readlane_b32 s13, v51, 34
	s_and_b64 s[12:13], s[2:3], s[12:13]
	s_mov_b64 exec, s[12:13]
	s_cbranch_execz .LBB4_38
; %bb.35:                               ;   in Loop: Header=BB4_6 Depth=1
	v_add_u32_e32 v2, v0, v9
	s_mov_b64 s[12:13], 0
	v_mov_b32_e32 v3, v29
	v_readlane_b32 s9, v51, 28
	v_readlane_b32 s14, v51, 29
	;; [unrolled: 1-line block ×3, first 2 shown]
	s_mov_b32 s16, 0xc0c0007
.LBB4_36:                               ;   Parent Loop BB4_6 Depth=1
                                        ; =>  This Inner Loop Header: Depth=2
	v_mul_lo_u32 v9, v5, s49
	v_mul_lo_u32 v11, v6, s9
	;; [unrolled: 1-line block ×3, first 2 shown]
	v_mov_b32_e32 v45, s41
	v_add_co_u32_e32 v9, vcc, s40, v9
	v_addc_co_u32_e32 v10, vcc, 0, v45, vcc
	v_mul_lo_u32 v4, v8, s15
	v_add_co_u32_e32 v11, vcc, s40, v11
	v_addc_co_u32_e32 v12, vcc, 0, v45, vcc
	v_add_co_u32_e32 v41, vcc, s40, v41
	v_addc_co_u32_e32 v42, vcc, 0, v45, vcc
	;; [unrolled: 2-line block ×3, first 2 shown]
	global_load_ubyte v4, v[11:12], off
	s_nop 0
	global_load_ubyte v11, v[41:42], off
	s_nop 0
	;; [unrolled: 2-line block ×3, first 2 shown]
	global_load_ubyte v9, v[9:10], off
	v_add_u32_e32 v3, -4, v3
	v_cmp_eq_u32_e32 vcc, 0, v3
	v_add_u32_e32 v8, 4, v8
	v_add_u32_e32 v7, 4, v7
	v_add_u32_e32 v6, 4, v6
	v_add_u32_e32 v5, 4, v5
	s_or_b64 s[12:13], vcc, s[12:13]
	s_waitcnt vmcnt(1)
	v_perm_b32 v12, v11, v42, s4
	s_waitcnt vmcnt(0)
	v_perm_b32 v10, v9, v4, s4
	v_perm_b32 v4, v4, v11, s4
	;; [unrolled: 1-line block ×3, first 2 shown]
	v_lshl_or_b32 v4, v4, 16, v9
	v_lshl_or_b32 v43, v12, 16, v10
	ds_write_b32 v2, v4
	v_add_u32_e32 v2, 4, v2
	s_andn2_b64 exec, exec, s[12:13]
	s_cbranch_execnz .LBB4_36
; %bb.37:                               ;   in Loop: Header=BB4_6 Depth=1
	s_or_b64 exec, exec, s[12:13]
.LBB4_38:                               ;   in Loop: Header=BB4_6 Depth=1
	s_or_b64 exec, exec, s[2:3]
	v_readlane_b32 s2, v51, 48
	v_add_u32_e32 v1, v1, v25
	v_readlane_b32 s3, v51, 49
	v_add_u32_e32 v2, -1, v1
	s_orn2_b64 s[2:3], s[2:3], exec
	v_mov_b32_e32 v4, v26
.LBB4_39:                               ;   in Loop: Header=BB4_6 Depth=1
	s_or_b64 exec, exec, s[6:7]
	v_mov_b32_e32 v3, s8
	s_and_b64 s[6:7], s[2:3], exec
	s_waitcnt vmcnt(0)
	v_mov_b32_e32 v5, v42
	s_andn2_saveexec_b64 s[2:3], s[34:35]
	s_cbranch_execz .LBB4_25
.LBB4_40:                               ;   in Loop: Header=BB4_6 Depth=1
	v_mov_b32_e32 v3, s8
	s_or_b64 s[6:7], s[6:7], exec
	s_waitcnt vmcnt(0)
	v_mov_b32_e32 v5, v42
	v_mov_b32_e32 v4, v0
	s_or_b64 exec, exec, s[2:3]
	s_and_saveexec_b64 s[2:3], s[6:7]
	s_cbranch_execz .LBB4_44
.LBB4_41:                               ;   in Loop: Header=BB4_6 Depth=1
	v_mul_lo_u32 v2, s49, v1
	s_sub_i32 s8, 0, s5
	s_mov_b64 s[6:7], 0
.LBB4_42:                               ;   Parent Loop BB4_6 Depth=1
                                        ; =>  This Inner Loop Header: Depth=2
	global_load_ubyte v42, v2, s[40:41]
	v_mov_b32_e32 v6, v1
	v_add_u32_e32 v1, s5, v6
	v_cmp_le_u32_e32 vcc, s36, v1
	ds_write_b8 v4, v5
	v_add_u32_e32 v2, v2, v3
	s_or_b64 s[6:7], vcc, s[6:7]
	v_mov_b32_e32 v4, v6
	s_waitcnt vmcnt(0)
	v_mov_b32_e32 v5, v42
	s_andn2_b64 exec, exec, s[6:7]
	s_cbranch_execnz .LBB4_42
; %bb.43:                               ;   in Loop: Header=BB4_6 Depth=1
	s_or_b64 exec, exec, s[6:7]
	v_add_u32_e32 v2, s8, v1
.LBB4_44:                               ;   in Loop: Header=BB4_6 Depth=1
	s_or_b64 exec, exec, s[2:3]
.LBB4_45:                               ;   in Loop: Header=BB4_6 Depth=1
	s_or_b64 exec, exec, s[30:31]
	s_waitcnt vmcnt(0)
	ds_write_b8 v2, v42
.LBB4_46:                               ;   in Loop: Header=BB4_6 Depth=1
	s_or_b64 exec, exec, s[26:27]
	s_waitcnt lgkmcnt(0)
	s_barrier
	s_mov_b64 s[2:3], exec
	v_readlane_b32 s6, v51, 6
	v_readlane_b32 s7, v51, 7
	s_and_b64 s[6:7], s[2:3], s[6:7]
	s_mov_b64 exec, s[6:7]
; %bb.47:                               ;   in Loop: Header=BB4_6 Depth=1
	v_mov_b32_e32 v1, s36
	ds_write_b32 v23, v1 offset:4096
; %bb.48:                               ;   in Loop: Header=BB4_6 Depth=1
	s_or_b64 exec, exec, s[2:3]
	s_mov_b64 s[6:7], -1
	s_waitcnt lgkmcnt(0)
	s_barrier
.LBB4_49:                               ;   in Loop: Header=BB4_6 Depth=1
	s_mov_b32 s5, 0
	s_and_b64 vcc, exec, s[6:7]
	s_cbranch_vccz .LBB4_51
; %bb.50:                               ;   in Loop: Header=BB4_6 Depth=1
	ds_read_b32 v1, v23 offset:4096
	s_waitcnt lgkmcnt(0)
	v_readfirstlane_b32 s5, v1
.LBB4_51:                               ;   in Loop: Header=BB4_6 Depth=1
	s_cmp_lt_i32 s5, 1
	s_mov_b64 s[2:3], -1
                                        ; implicit-def: $vgpr4
	s_cbranch_scc1 .LBB4_61
; %bb.52:                               ;   in Loop: Header=BB4_6 Depth=1
	s_and_b64 vcc, exec, s[2:3]
	s_cbranch_vccnz .LBB4_72
.LBB4_53:                               ;   in Loop: Header=BB4_6 Depth=1
	s_lshl_b32 s5, s50, 6
	s_and_saveexec_b64 s[2:3], s[0:1]
.LBB4_54:                               ;   in Loop: Header=BB4_6 Depth=1
	v_lshl_add_u32 v5, s5, 2, v24
	ds_write_b128 v5, v[1:4]
.LBB4_55:                               ;   in Loop: Header=BB4_6 Depth=1
	s_or_b64 exec, exec, s[2:3]
	s_waitcnt lgkmcnt(0)
	s_barrier
	s_mov_b64 s[2:3], exec
	v_readlane_b32 s6, v51, 13
	v_readlane_b32 s7, v51, 14
	s_and_b64 s[6:7], s[2:3], s[6:7]
	s_mov_b64 exec, s[6:7]
	s_cbranch_execz .LBB4_86
; %bb.56:                               ;   in Loop: Header=BB4_6 Depth=1
	v_readlane_b32 s6, v51, 19
	v_readlane_b32 s7, v51, 20
	s_andn2_b64 vcc, exec, s[6:7]
	v_mov_b32_e32 v1, 0
	s_cbranch_vccnz .LBB4_85
; %bb.57:                               ;   in Loop: Header=BB4_6 Depth=1
	v_readlane_b32 s6, v51, 35
	v_readlane_b32 s7, v51, 36
	s_andn2_b64 vcc, exec, s[6:7]
	s_cbranch_vccnz .LBB4_81
; %bb.58:                               ;   in Loop: Header=BB4_6 Depth=1
	v_lshl_add_u32 v2, s50, 8, v36
	s_mov_b32 s6, 0
	v_mov_b32_e32 v1, 0
.LBB4_59:                               ;   Parent Loop BB4_6 Depth=1
                                        ; =>  This Inner Loop Header: Depth=2
	ds_read2_b32 v[3:4], v2 offset1:4
	ds_read2_b32 v[5:6], v2 offset0:8 offset1:12
	ds_read2_b32 v[7:8], v2 offset0:16 offset1:20
	;; [unrolled: 1-line block ×3, first 2 shown]
	s_add_i32 s6, s6, 8
	s_waitcnt lgkmcnt(3)
	v_add3_u32 v1, v3, v1, v4
	s_waitcnt lgkmcnt(2)
	v_add3_u32 v1, v5, v1, v6
	s_waitcnt lgkmcnt(1)
	v_add3_u32 v1, v7, v1, v8
	v_add_u32_e32 v2, 0x80, v2
	s_cmp_eq_u32 s19, s6
	s_waitcnt lgkmcnt(0)
	v_add3_u32 v1, v9, v1, v10
	s_cbranch_scc0 .LBB4_59
; %bb.60:                               ;   in Loop: Header=BB4_6 Depth=1
	s_mov_b32 s6, s19
	s_branch .LBB4_82
.LBB4_61:                               ;   in Loop: Header=BB4_6 Depth=1
	v_mov_b32_e32 v1, 0
	v_mov_b32_e32 v2, 0
	;; [unrolled: 1-line block ×4, first 2 shown]
	s_mov_b64 s[80:81], exec
	v_readlane_b32 s2, v51, 41
	v_readlane_b32 s3, v51, 42
	s_and_b64 s[2:3], s[80:81], s[2:3]
	s_mov_b64 exec, s[2:3]
	s_cbranch_execz .LBB4_65
; %bb.62:                               ;   in Loop: Header=BB4_6 Depth=1
	s_mov_b32 s2, 0
	s_mov_b64 s[82:83], 0
	s_mov_b32 s3, 0
	s_mov_b32 s8, 0
	;; [unrolled: 1-line block ×4, first 2 shown]
	v_mov_b32_e32 v5, v20
.LBB4_63:                               ;   Parent Loop BB4_6 Depth=1
                                        ; =>  This Inner Loop Header: Depth=2
	v_add_u32_e32 v1, s2, v34
	global_load_ubyte v1, v1, s[40:41]
	v_add_u32_e32 v2, s2, v30
	global_load_ubyte v2, v2, s[40:41]
	;; [unrolled: 2-line block ×4, first 2 shown]
	v_add_u32_e32 v5, s51, v5
	s_add_i32 s2, s2, s11
	s_waitcnt vmcnt(3)
	v_and_b32_e32 v6, v38, v1
	v_bfe_u32 v1, v1, s20, 2
	v_cmp_eq_u32_e32 vcc, v6, v31
	s_waitcnt vmcnt(2)
	v_and_b32_e32 v6, v38, v2
	v_bfe_u32 v2, v2, s20, 2
	v_cmp_eq_u32_e64 s[34:35], 0, v1
	v_cmp_eq_u32_e64 s[6:7], v6, v31
	s_waitcnt vmcnt(1)
	v_and_b32_e32 v6, v38, v3
	v_bfe_u32 v3, v3, s20, 2
	s_and_b64 s[14:15], vcc, s[34:35]
	v_cmp_eq_u32_e64 s[34:35], 0, v2
	v_cmp_eq_u32_e64 s[26:27], v6, v31
	s_waitcnt vmcnt(0)
	v_and_b32_e32 v6, v38, v4
	v_bfe_u32 v4, v4, s20, 2
	s_and_b64 s[16:17], s[6:7], s[34:35]
	v_cmp_eq_u32_e64 s[34:35], 0, v3
	v_cmp_eq_u32_e64 s[30:31], v6, v31
	s_and_b64 s[22:23], s[26:27], s[34:35]
	v_cmp_eq_u32_e64 s[34:35], 0, v4
	v_cndmask_b32_e64 v6, 0, 1, s[14:15]
	s_and_b64 s[24:25], s[30:31], s[34:35]
	v_cmp_ne_u32_e64 s[34:35], 0, v6
	v_cndmask_b32_e64 v6, 0, 1, s[16:17]
	s_bcnt1_i32_b64 s13, s[34:35]
	v_cmp_ne_u32_e64 s[34:35], 0, v6
	v_cndmask_b32_e64 v6, 0, 1, s[22:23]
	s_bcnt1_i32_b64 s14, s[34:35]
	;; [unrolled: 3-line block ×3, first 2 shown]
	v_cmp_ne_u32_e64 s[34:35], 0, v6
	s_add_i32 s12, s12, s13
	s_bcnt1_i32_b64 s16, s[34:35]
	s_add_i32 s12, s12, s14
	v_cmp_eq_u32_e64 s[34:35], 1, v1
	s_add_i32 s12, s12, s15
	s_and_b64 s[14:15], vcc, s[34:35]
	v_cmp_eq_u32_e64 s[34:35], 1, v2
	s_add_i32 s12, s12, s16
	s_and_b64 s[16:17], s[6:7], s[34:35]
	v_cmp_eq_u32_e64 s[34:35], 1, v3
	s_and_b64 s[22:23], s[26:27], s[34:35]
	v_cmp_eq_u32_e64 s[34:35], 1, v4
	v_cndmask_b32_e64 v6, 0, 1, s[14:15]
	s_and_b64 s[24:25], s[30:31], s[34:35]
	v_cmp_ne_u32_e64 s[34:35], 0, v6
	v_cndmask_b32_e64 v6, 0, 1, s[16:17]
	s_bcnt1_i32_b64 s13, s[34:35]
	v_cmp_ne_u32_e64 s[34:35], 0, v6
	v_cndmask_b32_e64 v6, 0, 1, s[22:23]
	s_bcnt1_i32_b64 s14, s[34:35]
	;; [unrolled: 3-line block ×3, first 2 shown]
	v_cmp_ne_u32_e64 s[34:35], 0, v6
	s_add_i32 s9, s9, s13
	s_bcnt1_i32_b64 s16, s[34:35]
	s_add_i32 s9, s9, s14
	v_cmp_eq_u32_e64 s[34:35], 2, v1
	s_add_i32 s9, s9, s15
	s_and_b64 s[14:15], vcc, s[34:35]
	v_cmp_eq_u32_e64 s[34:35], 2, v2
	s_add_i32 s9, s9, s16
	s_and_b64 s[16:17], s[6:7], s[34:35]
	v_cmp_eq_u32_e64 s[34:35], 2, v3
	s_and_b64 s[22:23], s[26:27], s[34:35]
	v_cmp_eq_u32_e64 s[34:35], 2, v4
	v_cndmask_b32_e64 v6, 0, 1, s[14:15]
	s_and_b64 s[24:25], s[30:31], s[34:35]
	v_cmp_ne_u32_e64 s[34:35], 0, v6
	v_cndmask_b32_e64 v6, 0, 1, s[16:17]
	s_bcnt1_i32_b64 s13, s[34:35]
	v_cmp_ne_u32_e64 s[34:35], 0, v6
	v_cndmask_b32_e64 v6, 0, 1, s[22:23]
	s_bcnt1_i32_b64 s14, s[34:35]
	;; [unrolled: 3-line block ×3, first 2 shown]
	v_cmp_ne_u32_e64 s[34:35], 0, v6
	s_add_i32 s8, s8, s13
	s_bcnt1_i32_b64 s16, s[34:35]
	s_add_i32 s8, s8, s14
	v_cmp_eq_u32_e64 s[34:35], 3, v1
	s_add_i32 s8, s8, s15
	s_and_b64 s[14:15], vcc, s[34:35]
	v_cmp_eq_u32_e32 vcc, 3, v2
	s_and_b64 s[6:7], s[6:7], vcc
	v_cmp_eq_u32_e32 vcc, 3, v3
	s_add_i32 s8, s8, s16
	s_and_b64 s[16:17], s[26:27], vcc
	v_cmp_eq_u32_e32 vcc, 3, v4
	v_cndmask_b32_e64 v1, 0, 1, s[14:15]
	s_and_b64 s[22:23], s[30:31], vcc
	v_cmp_ne_u32_e32 vcc, 0, v1
	v_cndmask_b32_e64 v1, 0, 1, s[6:7]
	s_bcnt1_i32_b64 s13, vcc
	v_cmp_ne_u32_e32 vcc, 0, v1
	v_cndmask_b32_e64 v1, 0, 1, s[16:17]
	s_bcnt1_i32_b64 s6, vcc
	v_cmp_ne_u32_e32 vcc, 0, v1
	v_cndmask_b32_e64 v1, 0, 1, s[22:23]
	s_add_i32 s3, s3, s13
	s_bcnt1_i32_b64 s7, vcc
	v_cmp_ne_u32_e32 vcc, 0, v1
	s_add_i32 s3, s3, s6
	s_bcnt1_i32_b64 s14, vcc
	s_add_i32 s3, s3, s7
	s_add_i32 s3, s3, s14
	v_cmp_le_u32_e32 vcc, s21, v5
	s_or_b64 s[82:83], vcc, s[82:83]
	v_mov_b32_e32 v1, s12
	v_mov_b32_e32 v2, s9
	;; [unrolled: 1-line block ×4, first 2 shown]
	s_andn2_b64 exec, exec, s[82:83]
	s_cbranch_execnz .LBB4_63
; %bb.64:                               ;   in Loop: Header=BB4_6 Depth=1
	s_or_b64 exec, exec, s[82:83]
.LBB4_65:                               ;   in Loop: Header=BB4_6 Depth=1
	s_or_b64 exec, exec, s[80:81]
	s_mov_b64 s[2:3], exec
	v_readlane_b32 s6, v51, 43
	v_readlane_b32 s7, v51, 44
	s_and_b64 s[6:7], s[2:3], s[6:7]
	s_mov_b64 exec, s[6:7]
	s_cbranch_execz .LBB4_71
; %bb.66:                               ;   in Loop: Header=BB4_6 Depth=1
	global_load_ubyte v8, v[15:16], off
	s_mov_b64 s[12:13], 0
	v_mov_b32_e32 v5, v35
	v_mov_b32_e32 v6, v28
	s_branch .LBB4_68
.LBB4_67:                               ;   in Loop: Header=BB4_68 Depth=2
	s_or_b64 exec, exec, s[8:9]
	s_waitcnt vmcnt(0)
	v_and_b32_e32 v8, 0xff, v8
	s_and_b64 s[6:7], exec, vcc
	v_and_b32_e32 v9, v38, v8
	v_bfe_u32 v8, v8, s20, 2
	s_or_b64 s[12:13], s[6:7], s[12:13]
	v_cmp_eq_u32_e32 vcc, v9, v31
	v_cmp_eq_u32_e64 s[6:7], 0, v8
	s_and_b64 s[6:7], vcc, s[6:7]
	v_cndmask_b32_e64 v9, 0, 1, s[6:7]
	v_cmp_ne_u32_e64 s[6:7], 0, v9
	s_bcnt1_i32_b64 s6, s[6:7]
	v_add_u32_e32 v1, s6, v1
	v_cmp_eq_u32_e64 s[6:7], 1, v8
	s_and_b64 s[6:7], vcc, s[6:7]
	v_cndmask_b32_e64 v9, 0, 1, s[6:7]
	v_cmp_ne_u32_e64 s[6:7], 0, v9
	s_bcnt1_i32_b64 s6, s[6:7]
	v_add_u32_e32 v2, s6, v2
	;; [unrolled: 6-line block ×3, first 2 shown]
	v_cmp_eq_u32_e64 s[6:7], 3, v8
	s_and_b64 s[6:7], vcc, s[6:7]
	v_cndmask_b32_e64 v8, 0, 1, s[6:7]
	v_cmp_ne_u32_e32 vcc, 0, v8
	s_bcnt1_i32_b64 s6, vcc
	v_add_u32_e32 v4, s6, v4
	v_add_u32_e32 v5, s48, v5
	v_mov_b32_e32 v8, v7
	s_andn2_b64 exec, exec, s[12:13]
	s_cbranch_execz .LBB4_70
.LBB4_68:                               ;   Parent Loop BB4_6 Depth=1
                                        ; =>  This Inner Loop Header: Depth=2
	v_add_u32_e32 v6, s33, v6
	v_cmp_gt_u32_e64 s[6:7], s36, v6
	v_cmp_le_u32_e32 vcc, s36, v6
	v_mov_b32_e32 v7, 0
	s_and_saveexec_b64 s[8:9], s[6:7]
	s_cbranch_execz .LBB4_67
; %bb.69:                               ;   in Loop: Header=BB4_68 Depth=2
	global_load_ubyte v7, v5, s[40:41]
	s_branch .LBB4_67
.LBB4_70:                               ;   in Loop: Header=BB4_6 Depth=1
	s_or_b64 exec, exec, s[12:13]
.LBB4_71:                               ;   in Loop: Header=BB4_6 Depth=1
	s_or_b64 exec, exec, s[2:3]
	s_branch .LBB4_53
.LBB4_72:                               ;   in Loop: Header=BB4_6 Depth=1
	v_readlane_b32 s2, v51, 40
	s_mul_hi_u32 s2, s5, s2
	s_mul_i32 s2, s2, s51
	s_sub_i32 s2, s5, s2
	s_sub_i32 s3, s2, s51
	s_cmp_ge_u32 s2, s51
	s_cselect_b32 s2, s3, s2
	s_sub_i32 s3, s2, s51
	s_cmp_ge_u32 s2, s51
	s_cselect_b32 s2, s3, s2
	s_sub_i32 s2, s5, s2
	v_cmp_gt_u32_e32 vcc, s2, v20
	v_mov_b32_e32 v1, 0
	v_mov_b32_e32 v2, 0
	;; [unrolled: 1-line block ×4, first 2 shown]
	s_and_saveexec_b64 s[80:81], vcc
	s_cbranch_execz .LBB4_76
; %bb.73:                               ;   in Loop: Header=BB4_6 Depth=1
	s_mov_b32 s3, 0
	s_mov_b64 s[82:83], 0
	s_mov_b32 s8, 0
	s_mov_b32 s9, 0
	;; [unrolled: 1-line block ×3, first 2 shown]
	v_mov_b32_e32 v5, v20
.LBB4_74:                               ;   Parent Loop BB4_6 Depth=1
                                        ; =>  This Inner Loop Header: Depth=2
	ds_read_b32 v1, v5
	v_add_u32_e32 v5, s51, v5
	s_waitcnt lgkmcnt(0)
	v_and_b32_e32 v3, 0xff, v1
	v_bfe_u32 v4, v1, 8, 8
	v_and_b32_e32 v6, v38, v3
	v_bfe_u32 v3, v3, s20, 2
	v_lshrrev_b32_e32 v2, 24, v1
	v_bfe_u32 v1, v1, 16, 8
	v_cmp_eq_u32_e32 vcc, v6, v31
	v_and_b32_e32 v6, v38, v4
	v_bfe_u32 v4, v4, s20, 2
	v_cmp_eq_u32_e64 s[34:35], 0, v3
	v_cmp_eq_u32_e64 s[6:7], v6, v31
	v_and_b32_e32 v6, v38, v1
	v_bfe_u32 v1, v1, s20, 2
	s_and_b64 s[14:15], vcc, s[34:35]
	v_cmp_eq_u32_e64 s[34:35], 0, v4
	v_cmp_eq_u32_e64 s[26:27], v6, v31
	v_and_b32_e32 v6, v38, v2
	v_bfe_u32 v2, v2, s20, 2
	s_and_b64 s[16:17], s[6:7], s[34:35]
	v_cmp_eq_u32_e64 s[34:35], 0, v1
	v_cmp_eq_u32_e64 s[30:31], v6, v31
	s_and_b64 s[22:23], s[26:27], s[34:35]
	v_cmp_eq_u32_e64 s[34:35], 0, v2
	v_cndmask_b32_e64 v6, 0, 1, s[14:15]
	s_and_b64 s[24:25], s[30:31], s[34:35]
	v_cmp_ne_u32_e64 s[34:35], 0, v6
	v_cndmask_b32_e64 v6, 0, 1, s[16:17]
	s_bcnt1_i32_b64 s13, s[34:35]
	v_cmp_ne_u32_e64 s[34:35], 0, v6
	v_cndmask_b32_e64 v6, 0, 1, s[22:23]
	s_bcnt1_i32_b64 s14, s[34:35]
	;; [unrolled: 3-line block ×3, first 2 shown]
	v_cmp_ne_u32_e64 s[34:35], 0, v6
	s_add_i32 s12, s12, s13
	s_bcnt1_i32_b64 s16, s[34:35]
	s_add_i32 s12, s12, s14
	v_cmp_eq_u32_e64 s[34:35], 1, v3
	s_add_i32 s12, s12, s15
	s_and_b64 s[14:15], vcc, s[34:35]
	v_cmp_eq_u32_e64 s[34:35], 1, v4
	s_add_i32 s12, s12, s16
	s_and_b64 s[16:17], s[6:7], s[34:35]
	v_cmp_eq_u32_e64 s[34:35], 1, v1
	s_and_b64 s[22:23], s[26:27], s[34:35]
	v_cmp_eq_u32_e64 s[34:35], 1, v2
	v_cndmask_b32_e64 v6, 0, 1, s[14:15]
	s_and_b64 s[24:25], s[30:31], s[34:35]
	v_cmp_ne_u32_e64 s[34:35], 0, v6
	v_cndmask_b32_e64 v6, 0, 1, s[16:17]
	s_bcnt1_i32_b64 s13, s[34:35]
	v_cmp_ne_u32_e64 s[34:35], 0, v6
	v_cndmask_b32_e64 v6, 0, 1, s[22:23]
	s_bcnt1_i32_b64 s14, s[34:35]
	;; [unrolled: 3-line block ×3, first 2 shown]
	v_cmp_ne_u32_e64 s[34:35], 0, v6
	s_add_i32 s9, s9, s13
	s_bcnt1_i32_b64 s16, s[34:35]
	s_add_i32 s9, s9, s14
	v_cmp_eq_u32_e64 s[34:35], 2, v3
	s_add_i32 s9, s9, s15
	s_and_b64 s[14:15], vcc, s[34:35]
	v_cmp_eq_u32_e64 s[34:35], 2, v4
	s_add_i32 s9, s9, s16
	s_and_b64 s[16:17], s[6:7], s[34:35]
	v_cmp_eq_u32_e64 s[34:35], 2, v1
	s_and_b64 s[22:23], s[26:27], s[34:35]
	v_cmp_eq_u32_e64 s[34:35], 2, v2
	v_cndmask_b32_e64 v6, 0, 1, s[14:15]
	s_and_b64 s[24:25], s[30:31], s[34:35]
	v_cmp_ne_u32_e64 s[34:35], 0, v6
	v_cndmask_b32_e64 v6, 0, 1, s[16:17]
	s_bcnt1_i32_b64 s13, s[34:35]
	v_cmp_ne_u32_e64 s[34:35], 0, v6
	v_cndmask_b32_e64 v6, 0, 1, s[22:23]
	s_bcnt1_i32_b64 s14, s[34:35]
	;; [unrolled: 3-line block ×3, first 2 shown]
	v_cmp_ne_u32_e64 s[34:35], 0, v6
	s_add_i32 s8, s8, s13
	s_bcnt1_i32_b64 s16, s[34:35]
	s_add_i32 s8, s8, s14
	v_cmp_eq_u32_e64 s[34:35], 3, v3
	s_add_i32 s8, s8, s15
	s_and_b64 s[14:15], vcc, s[34:35]
	v_cmp_eq_u32_e32 vcc, 3, v4
	s_and_b64 s[6:7], s[6:7], vcc
	v_cmp_eq_u32_e32 vcc, 3, v1
	s_add_i32 s8, s8, s16
	s_and_b64 s[16:17], s[26:27], vcc
	v_cmp_eq_u32_e32 vcc, 3, v2
	v_cndmask_b32_e64 v1, 0, 1, s[14:15]
	s_and_b64 s[22:23], s[30:31], vcc
	v_cmp_ne_u32_e32 vcc, 0, v1
	v_cndmask_b32_e64 v1, 0, 1, s[6:7]
	s_bcnt1_i32_b64 s13, vcc
	v_cmp_ne_u32_e32 vcc, 0, v1
	v_cndmask_b32_e64 v1, 0, 1, s[16:17]
	s_bcnt1_i32_b64 s6, vcc
	v_cmp_ne_u32_e32 vcc, 0, v1
	v_cndmask_b32_e64 v1, 0, 1, s[22:23]
	s_add_i32 s3, s3, s13
	s_bcnt1_i32_b64 s7, vcc
	v_cmp_ne_u32_e32 vcc, 0, v1
	s_add_i32 s3, s3, s6
	s_bcnt1_i32_b64 s14, vcc
	s_add_i32 s3, s3, s7
	s_add_i32 s3, s3, s14
	v_cmp_le_u32_e32 vcc, s2, v5
	s_or_b64 s[82:83], vcc, s[82:83]
	v_mov_b32_e32 v1, s12
	v_mov_b32_e32 v2, s9
	;; [unrolled: 1-line block ×4, first 2 shown]
	s_andn2_b64 exec, exec, s[82:83]
	s_cbranch_execnz .LBB4_74
; %bb.75:                               ;   in Loop: Header=BB4_6 Depth=1
	s_or_b64 exec, exec, s[82:83]
.LBB4_76:                               ;   in Loop: Header=BB4_6 Depth=1
	s_or_b64 exec, exec, s[80:81]
	v_add_u32_e32 v5, s2, v0
	v_cmp_gt_u32_e32 vcc, s5, v5
	s_and_saveexec_b64 s[12:13], vcc
	s_cbranch_execz .LBB4_80
; %bb.77:                               ;   in Loop: Header=BB4_6 Depth=1
	s_mov_b64 s[14:15], 0
.LBB4_78:                               ;   Parent Loop BB4_6 Depth=1
                                        ; =>  This Inner Loop Header: Depth=2
	ds_read_u8 v6, v5
	v_add_u32_e32 v5, s33, v5
	s_waitcnt lgkmcnt(0)
	v_and_b32_e32 v7, v38, v6
	v_bfe_u32 v6, v6, s20, 2
	v_cmp_eq_u32_e32 vcc, v7, v31
	v_cmp_eq_u32_e64 s[6:7], 0, v6
	s_and_b64 s[2:3], vcc, s[6:7]
	v_cndmask_b32_e64 v7, 0, 1, s[2:3]
	v_cmp_ne_u32_e64 s[6:7], 0, v7
	s_bcnt1_i32_b64 s2, s[6:7]
	v_cmp_eq_u32_e64 s[6:7], 1, v6
	v_add_u32_e32 v1, s2, v1
	s_and_b64 s[2:3], vcc, s[6:7]
	v_cndmask_b32_e64 v7, 0, 1, s[2:3]
	v_cmp_ne_u32_e64 s[6:7], 0, v7
	s_bcnt1_i32_b64 s2, s[6:7]
	v_cmp_eq_u32_e64 s[6:7], 2, v6
	v_add_u32_e32 v2, s2, v2
	;; [unrolled: 6-line block ×3, first 2 shown]
	s_and_b64 s[2:3], vcc, s[6:7]
	v_cndmask_b32_e64 v6, 0, 1, s[2:3]
	v_cmp_ne_u32_e32 vcc, 0, v6
	s_bcnt1_i32_b64 s2, vcc
	v_cmp_le_u32_e32 vcc, s5, v5
	v_add_u32_e32 v4, s2, v4
	s_or_b64 s[14:15], vcc, s[14:15]
	s_andn2_b64 exec, exec, s[14:15]
	s_cbranch_execnz .LBB4_78
; %bb.79:                               ;   in Loop: Header=BB4_6 Depth=1
	s_or_b64 exec, exec, s[14:15]
.LBB4_80:                               ;   in Loop: Header=BB4_6 Depth=1
	s_or_b64 exec, exec, s[12:13]
	s_lshl_b32 s5, s50, 6
	s_and_saveexec_b64 s[2:3], s[0:1]
	s_cbranch_execnz .LBB4_54
	s_branch .LBB4_55
.LBB4_81:                               ;   in Loop: Header=BB4_6 Depth=1
	v_mov_b32_e32 v1, 0
	s_mov_b32 s6, 0
.LBB4_82:                               ;   in Loop: Header=BB4_6 Depth=1
	v_readlane_b32 s8, v51, 38
	v_readlane_b32 s9, v51, 39
	s_andn2_b64 vcc, exec, s[8:9]
	s_cbranch_vccnz .LBB4_85
; %bb.83:                               ;   in Loop: Header=BB4_6 Depth=1
	s_lshl_b32 s7, s50, 8
	s_lshl_b32 s6, s6, 4
	s_add_i32 s7, s7, s6
	v_add_u32_e32 v2, s7, v36
	v_readlane_b32 s6, v51, 37
.LBB4_84:                               ;   Parent Loop BB4_6 Depth=1
                                        ; =>  This Inner Loop Header: Depth=2
	ds_read_b32 v3, v2
	s_add_i32 s6, s6, -1
	v_add_u32_e32 v2, 16, v2
	s_cmp_lg_u32 s6, 0
	s_waitcnt lgkmcnt(0)
	v_add_u32_e32 v1, v3, v1
	s_cbranch_scc1 .LBB4_84
.LBB4_85:                               ;   in Loop: Header=BB4_6 Depth=1
	v_add_lshl_u32 v2, s5, v21, 2
	ds_write_b32 v2, v1 offset:3072
.LBB4_86:                               ;   in Loop: Header=BB4_6 Depth=1
	s_or_b64 exec, exec, s[2:3]
	s_lshl_b32 s2, s5, 2
	v_mov_b32_e32 v1, s2
	s_waitcnt lgkmcnt(0)
	s_barrier
	ds_read_b128 v[1:4], v1 offset:3072
	v_readlane_b32 s2, v51, 11
	s_lshl_b32 s18, 3, s20
	v_readlane_b32 s3, v51, 12
	s_not_b32 s38, s18
	s_waitcnt lgkmcnt(0)
	v_readfirstlane_b32 s5, v1
	v_readfirstlane_b32 s39, v2
	;; [unrolled: 1-line block ×4, first 2 shown]
	v_cmp_eq_u32_e64 s[26:27], 1, v40
	s_mov_b64 s[86:87], -1
	s_mov_b64 s[30:31], 0
	s_andn2_b64 vcc, exec, s[2:3]
	s_mov_b64 s[80:81], 0
	s_mov_b64 s[34:35], 0
                                        ; implicit-def: $sgpr82_sgpr83
                                        ; implicit-def: $sgpr84_sgpr85
                                        ; implicit-def: $vgpr4
                                        ; implicit-def: $vgpr1
                                        ; implicit-def: $vgpr3
                                        ; implicit-def: $vgpr2
                                        ; implicit-def: $vgpr5
	s_cbranch_vccnz .LBB4_244
; %bb.87:                               ;   in Loop: Header=BB4_6 Depth=1
	s_cmp_eq_u32 s5, 1
	s_cselect_b64 s[2:3], -1, 0
	s_and_b64 s[6:7], s[2:3], s[26:27]
	s_mov_b64 s[2:3], -1
	v_mov_b32_e32 v3, v31
	v_mov_b32_e32 v2, v38
	;; [unrolled: 1-line block ×3, first 2 shown]
                                        ; implicit-def: $sgpr84_sgpr85
                                        ; implicit-def: $sgpr82_sgpr83
	s_and_saveexec_b64 s[12:13], s[6:7]
	s_cbranch_execz .LBB4_113
; %bb.88:                               ;   in Loop: Header=BB4_6 Depth=1
	ds_read_b32 v1, v23 offset:4096
	s_waitcnt lgkmcnt(0)
	s_barrier
	v_readfirstlane_b32 s8, v1
	s_mov_b64 s[2:3], exec
	v_readlane_b32 s14, v51, 21
	v_readlane_b32 s15, v51, 22
	s_and_b64 s[14:15], s[2:3], s[14:15]
	s_mov_b64 exec, s[14:15]
; %bb.89:                               ;   in Loop: Header=BB4_6 Depth=1
	ds_write_b8 v0, v23 offset:3072
; %bb.90:                               ;   in Loop: Header=BB4_6 Depth=1
	s_or_b64 exec, exec, s[2:3]
	v_and_b32_e32 v3, s38, v31
	v_or_b32_e32 v2, s18, v38
	s_mov_b64 s[82:83], -1
	s_mov_b64 s[84:85], 0
	s_cmp_eq_u32 s8, 0
	s_mov_b64 s[2:3], 0
	s_mov_b64 s[14:15], -1
	s_waitcnt lgkmcnt(0)
	s_barrier
                                        ; implicit-def: $vgpr5
	s_cbranch_scc1 .LBB4_101
; %bb.91:                               ;   in Loop: Header=BB4_6 Depth=1
	v_readlane_b32 s2, v51, 23
	s_add_i32 s2, s8, s2
	v_readlane_b32 s3, v51, 45
	s_mul_hi_u32 s3, s2, s3
	s_mul_i32 s3, s3, s33
	s_sub_i32 s3, s2, s3
	s_sub_i32 s9, s3, s33
	s_cmp_ge_u32 s3, s33
	s_cselect_b32 s3, s9, s3
	s_sub_i32 s9, s3, s33
	s_cmp_ge_u32 s3, s33
	s_cselect_b32 s3, s9, s3
	s_sub_i32 s9, s2, s3
	v_cmp_gt_u32_e32 vcc, s9, v0
	s_mov_b64 s[14:15], 0
	s_mov_b64 s[2:3], 0
                                        ; implicit-def: $vgpr5
	s_and_saveexec_b64 s[16:17], vcc
	s_cbranch_execz .LBB4_100
; %bb.92:                               ;   in Loop: Header=BB4_6 Depth=1
	v_mov_b32_e32 v1, v0
                                        ; implicit-def: $sgpr24_sgpr25
	s_branch .LBB4_95
.LBB4_93:                               ;   in Loop: Header=BB4_95 Depth=2
	s_or_b64 exec, exec, s[22:23]
	s_waitcnt lgkmcnt(0)
	s_barrier
	ds_read_u16 v4, v23 offset:3072
	s_mov_b64 s[22:23], -1
	s_waitcnt lgkmcnt(0)
	s_barrier
	v_cmp_ne_u32_sdwa s[28:29], v4, v23 src0_sel:BYTE_0 src1_sel:DWORD
	s_and_b64 vcc, exec, s[28:29]
	s_mov_b64 s[28:29], -1
	s_cbranch_vccz .LBB4_98
.LBB4_94:                               ;   in Loop: Header=BB4_95 Depth=2
	s_and_b64 s[22:23], exec, s[22:23]
	s_or_b64 s[2:3], s[22:23], s[2:3]
	s_andn2_b64 s[22:23], s[24:25], exec
	s_and_b64 s[24:25], s[28:29], exec
	s_or_b64 s[24:25], s[22:23], s[24:25]
	s_andn2_b64 exec, exec, s[2:3]
	s_cbranch_execz .LBB4_99
.LBB4_95:                               ;   Parent Loop BB4_6 Depth=1
                                        ; =>  This Inner Loop Header: Depth=2
	v_cmp_gt_u32_e32 vcc, s8, v1
	s_and_saveexec_b64 s[22:23], vcc
	s_cbranch_execz .LBB4_93
; %bb.96:                               ;   in Loop: Header=BB4_95 Depth=2
	ds_read_u8 v4, v1
	s_waitcnt lgkmcnt(0)
	v_and_b32_e32 v5, v4, v2
	v_cmp_eq_u32_sdwa s[28:29], v5, v3 src0_sel:BYTE_0 src1_sel:DWORD
	s_and_b64 exec, exec, s[28:29]
	s_cbranch_execz .LBB4_93
; %bb.97:                               ;   in Loop: Header=BB4_95 Depth=2
	v_lshlrev_b16_e32 v4, 8, v4
	v_or_b32_e32 v4, 1, v4
	ds_write_b16 v23, v4 offset:3072
	s_branch .LBB4_93
.LBB4_98:                               ;   in Loop: Header=BB4_95 Depth=2
	v_add_u32_e32 v1, s33, v1
	v_cmp_le_u32_e32 vcc, s9, v1
	s_mov_b64 s[28:29], 0
	s_orn2_b64 s[22:23], vcc, exec
	s_branch .LBB4_94
.LBB4_99:                               ;   in Loop: Header=BB4_6 Depth=1
	s_or_b64 exec, exec, s[2:3]
	v_lshrrev_b32_sdwa v5, v37, v4 dst_sel:DWORD dst_unused:UNUSED_PAD src0_sel:DWORD src1_sel:WORD_0
	s_and_b64 s[2:3], s[24:25], exec
.LBB4_100:                              ;   in Loop: Header=BB4_6 Depth=1
	s_or_b64 exec, exec, s[16:17]
.LBB4_101:                              ;   in Loop: Header=BB4_6 Depth=1
	s_and_b64 vcc, exec, s[14:15]
	s_cbranch_vccz .LBB4_112
; %bb.102:                              ;   in Loop: Header=BB4_6 Depth=1
                                        ; implicit-def: $vgpr5
	s_mov_b64 s[14:15], exec
	v_readlane_b32 s8, v51, 46
	v_readlane_b32 s9, v51, 47
	s_and_b64 s[8:9], s[14:15], s[8:9]
	s_mov_b64 exec, s[8:9]
	s_cbranch_execz .LBB4_111
; %bb.103:                              ;   in Loop: Header=BB4_6 Depth=1
	s_mov_b64 s[16:17], 0
	v_mov_b32_e32 v1, v22
	v_mov_b32_e32 v4, v0
                                        ; implicit-def: $sgpr24_sgpr25
	s_branch .LBB4_106
.LBB4_104:                              ;   in Loop: Header=BB4_106 Depth=2
	s_or_b64 exec, exec, s[22:23]
	s_waitcnt lgkmcnt(0)
	s_barrier
	ds_read_u16 v5, v23 offset:3072
	s_mov_b64 s[22:23], -1
	s_mov_b64 s[28:29], -1
	s_waitcnt lgkmcnt(0)
	s_barrier
	v_cmp_ne_u32_sdwa s[8:9], v5, v23 src0_sel:BYTE_0 src1_sel:DWORD
	s_and_b64 vcc, exec, s[8:9]
	s_cbranch_vccz .LBB4_109
.LBB4_105:                              ;   in Loop: Header=BB4_106 Depth=2
	s_and_b64 s[8:9], exec, s[22:23]
	s_or_b64 s[16:17], s[8:9], s[16:17]
	s_andn2_b64 s[8:9], s[24:25], exec
	s_and_b64 s[22:23], s[28:29], exec
	s_or_b64 s[24:25], s[8:9], s[22:23]
	s_andn2_b64 exec, exec, s[16:17]
	s_cbranch_execz .LBB4_110
.LBB4_106:                              ;   Parent Loop BB4_6 Depth=1
                                        ; =>  This Inner Loop Header: Depth=2
	v_cmp_gt_u32_e32 vcc, s36, v4
	s_and_saveexec_b64 s[22:23], vcc
	s_cbranch_execz .LBB4_104
; %bb.107:                              ;   in Loop: Header=BB4_106 Depth=2
	global_load_ubyte v5, v1, s[40:41]
	s_waitcnt vmcnt(0)
	v_and_b32_e32 v6, v5, v2
	v_cmp_eq_u32_sdwa s[8:9], v6, v3 src0_sel:BYTE_0 src1_sel:DWORD
	s_and_b64 exec, exec, s[8:9]
	s_cbranch_execz .LBB4_104
; %bb.108:                              ;   in Loop: Header=BB4_106 Depth=2
	v_lshlrev_b16_e32 v5, 8, v5
	v_or_b32_e32 v5, 1, v5
	ds_write_b16 v23, v5 offset:3072
	s_branch .LBB4_104
.LBB4_109:                              ;   in Loop: Header=BB4_106 Depth=2
	v_add_u32_e32 v4, s33, v4
	v_cmp_le_u32_e32 vcc, s10, v4
	v_add_u32_e32 v1, s48, v1
	s_mov_b64 s[28:29], 0
	s_orn2_b64 s[22:23], vcc, exec
	s_branch .LBB4_105
.LBB4_110:                              ;   in Loop: Header=BB4_6 Depth=1
	s_or_b64 exec, exec, s[16:17]
	s_andn2_b64 s[2:3], s[2:3], exec
	s_and_b64 s[8:9], s[24:25], exec
	v_lshrrev_b32_sdwa v5, v37, v5 dst_sel:DWORD dst_unused:UNUSED_PAD src0_sel:DWORD src1_sel:WORD_0
	s_or_b64 s[2:3], s[2:3], s[8:9]
.LBB4_111:                              ;   in Loop: Header=BB4_6 Depth=1
	s_or_b64 exec, exec, s[14:15]
	s_mov_b64 s[82:83], 0
	s_mov_b64 s[84:85], -1
.LBB4_112:                              ;   in Loop: Header=BB4_6 Depth=1
	s_orn2_b64 s[2:3], s[2:3], exec
.LBB4_113:                              ;   in Loop: Header=BB4_6 Depth=1
	s_or_b64 exec, exec, s[12:13]
	s_mov_b64 s[86:87], 0
	s_mov_b64 s[80:81], 0
	;; [unrolled: 1-line block ×3, first 2 shown]
                                        ; implicit-def: $vgpr4
                                        ; implicit-def: $vgpr1
	s_and_saveexec_b64 s[88:89], s[2:3]
	s_cbranch_execz .LBB4_243
; %bb.114:                              ;   in Loop: Header=BB4_6 Depth=1
	s_xor_b64 s[8:9], s[6:7], -1
	s_mov_b64 s[6:7], 0
	v_mov_b32_e32 v4, 1
	v_mov_b32_e32 v1, 1
	s_and_saveexec_b64 s[2:3], s[8:9]
	s_cbranch_execz .LBB4_123
; %bb.115:                              ;   in Loop: Header=BB4_6 Depth=1
	v_cmp_ge_u32_e32 vcc, s5, v40
	s_and_saveexec_b64 s[6:7], vcc
	s_xor_b64 s[6:7], exec, s[6:7]
	s_cbranch_execz .LBB4_120
; %bb.116:                              ;   in Loop: Header=BB4_6 Depth=1
	ds_read_b32 v1, v23 offset:4096
	v_and_b32_e32 v3, s38, v3
	v_or_b32_e32 v2, s18, v2
	s_waitcnt lgkmcnt(0)
	v_cmp_ne_u32_e32 vcc, 0, v1
	s_cbranch_vccnz .LBB4_120
; %bb.117:                              ;   in Loop: Header=BB4_6 Depth=1
	s_mov_b64 s[8:9], exec
	v_readlane_b32 s12, v51, 6
	v_readlane_b32 s13, v51, 7
	s_and_b64 s[12:13], s[8:9], s[12:13]
	s_mov_b64 exec, s[12:13]
; %bb.118:                              ;   in Loop: Header=BB4_6 Depth=1
	v_mov_b32_e32 v1, s5
	ds_write_b32 v23, v1 offset:4100
; %bb.119:                              ;   in Loop: Header=BB4_6 Depth=1
	s_or_b64 exec, exec, s[8:9]
	s_waitcnt lgkmcnt(0)
	s_barrier
.LBB4_120:                              ;   in Loop: Header=BB4_6 Depth=1
	s_or_saveexec_b64 s[6:7], s[6:7]
	s_mov_b64 s[12:13], 0
	v_mov_b32_e32 v1, 8
	v_mov_b32_e32 v4, v40
	s_xor_b64 exec, exec, s[6:7]
; %bb.121:                              ;   in Loop: Header=BB4_6 Depth=1
	s_mov_b64 s[12:13], exec
	v_subrev_u32_e32 v4, s5, v40
	v_mov_b32_e32 v1, 0
; %bb.122:                              ;   in Loop: Header=BB4_6 Depth=1
	s_or_b64 exec, exec, s[6:7]
	s_and_b64 s[6:7], s[12:13], exec
.LBB4_123:                              ;   in Loop: Header=BB4_6 Depth=1
	s_or_b64 exec, exec, s[2:3]
	s_mov_b64 s[2:3], -1
                                        ; implicit-def: $sgpr34_sgpr35
                                        ; implicit-def: $sgpr80_sgpr81
	s_and_saveexec_b64 s[8:9], s[6:7]
	s_xor_b64 s[6:7], exec, s[8:9]
	s_cbranch_execz .LBB4_240
; %bb.124:                              ;   in Loop: Header=BB4_6 Depth=1
	s_cmp_eq_u32 s39, 1
	s_cselect_b64 s[2:3], -1, 0
	v_cmp_eq_u32_e32 vcc, 1, v4
	s_and_b64 s[14:15], s[2:3], vcc
	s_mov_b64 s[2:3], -1
                                        ; implicit-def: $sgpr80_sgpr81
                                        ; implicit-def: $sgpr34_sgpr35
	s_and_saveexec_b64 s[12:13], s[14:15]
	s_cbranch_execz .LBB4_150
; %bb.125:                              ;   in Loop: Header=BB4_6 Depth=1
	ds_read_b32 v5, v23 offset:4096
	s_waitcnt lgkmcnt(0)
	s_barrier
	v_readfirstlane_b32 s8, v5
	s_mov_b64 s[2:3], exec
	v_readlane_b32 s16, v51, 21
	v_readlane_b32 s17, v51, 22
	s_and_b64 s[16:17], s[2:3], s[16:17]
	s_mov_b64 exec, s[16:17]
; %bb.126:                              ;   in Loop: Header=BB4_6 Depth=1
	ds_write_b8 v0, v23 offset:3072
; %bb.127:                              ;   in Loop: Header=BB4_6 Depth=1
	s_or_b64 exec, exec, s[2:3]
	v_and_b32_e32 v3, s38, v3
	v_lshl_or_b32 v3, 1, s20, v3
	v_or_b32_e32 v2, s18, v2
	s_mov_b64 s[34:35], -1
	s_mov_b64 s[80:81], 0
	s_cmp_eq_u32 s8, 0
	s_mov_b64 s[16:17], 0
	s_mov_b64 s[2:3], -1
	s_waitcnt lgkmcnt(0)
	s_barrier
                                        ; implicit-def: $vgpr5
	s_cbranch_scc1 .LBB4_138
; %bb.128:                              ;   in Loop: Header=BB4_6 Depth=1
	v_readlane_b32 s2, v51, 23
	s_add_i32 s2, s8, s2
	v_readlane_b32 s3, v51, 45
	s_mul_hi_u32 s3, s2, s3
	s_mul_i32 s3, s3, s33
	s_sub_i32 s3, s2, s3
	s_sub_i32 s9, s3, s33
	s_cmp_ge_u32 s3, s33
	s_cselect_b32 s3, s9, s3
	s_sub_i32 s9, s3, s33
	s_cmp_ge_u32 s3, s33
	s_cselect_b32 s3, s9, s3
	s_sub_i32 s9, s2, s3
	v_cmp_gt_u32_e32 vcc, s9, v0
	s_mov_b64 s[2:3], 0
                                        ; implicit-def: $vgpr5
	s_and_saveexec_b64 s[24:25], vcc
	s_cbranch_execz .LBB4_137
; %bb.129:                              ;   in Loop: Header=BB4_6 Depth=1
	v_mov_b32_e32 v5, v0
                                        ; implicit-def: $sgpr28_sgpr29
	s_branch .LBB4_132
.LBB4_130:                              ;   in Loop: Header=BB4_132 Depth=2
	s_or_b64 exec, exec, s[42:43]
	s_waitcnt lgkmcnt(0)
	s_barrier
	ds_read_u16 v6, v23 offset:3072
	s_mov_b64 s[22:23], -1
	s_waitcnt lgkmcnt(0)
	s_barrier
	v_cmp_ne_u32_sdwa s[42:43], v6, v23 src0_sel:BYTE_0 src1_sel:DWORD
	s_and_b64 vcc, exec, s[42:43]
	s_mov_b64 s[42:43], -1
	s_cbranch_vccz .LBB4_135
.LBB4_131:                              ;   in Loop: Header=BB4_132 Depth=2
	s_and_b64 s[22:23], exec, s[22:23]
	s_or_b64 s[16:17], s[22:23], s[16:17]
	s_andn2_b64 s[22:23], s[28:29], exec
	s_and_b64 s[28:29], s[42:43], exec
	s_or_b64 s[28:29], s[22:23], s[28:29]
	s_andn2_b64 exec, exec, s[16:17]
	s_cbranch_execz .LBB4_136
.LBB4_132:                              ;   Parent Loop BB4_6 Depth=1
                                        ; =>  This Inner Loop Header: Depth=2
	v_cmp_gt_u32_e32 vcc, s8, v5
	s_and_saveexec_b64 s[42:43], vcc
	s_cbranch_execz .LBB4_130
; %bb.133:                              ;   in Loop: Header=BB4_132 Depth=2
	ds_read_u8 v6, v5
	s_waitcnt lgkmcnt(0)
	v_and_b32_e32 v7, v6, v2
	v_cmp_eq_u32_sdwa s[22:23], v7, v3 src0_sel:BYTE_0 src1_sel:DWORD
	s_and_b64 exec, exec, s[22:23]
	s_cbranch_execz .LBB4_130
; %bb.134:                              ;   in Loop: Header=BB4_132 Depth=2
	v_lshlrev_b16_e32 v6, 8, v6
	v_or_b32_e32 v6, 1, v6
	ds_write_b16 v23, v6 offset:3072
	s_branch .LBB4_130
.LBB4_135:                              ;   in Loop: Header=BB4_132 Depth=2
	v_add_u32_e32 v5, s33, v5
	v_cmp_le_u32_e32 vcc, s9, v5
	s_mov_b64 s[42:43], 0
	s_orn2_b64 s[22:23], vcc, exec
	s_branch .LBB4_131
.LBB4_136:                              ;   in Loop: Header=BB4_6 Depth=1
	s_or_b64 exec, exec, s[16:17]
	v_lshrrev_b32_sdwa v5, v37, v6 dst_sel:DWORD dst_unused:UNUSED_PAD src0_sel:DWORD src1_sel:WORD_0
	s_and_b64 s[16:17], s[28:29], exec
.LBB4_137:                              ;   in Loop: Header=BB4_6 Depth=1
	s_or_b64 exec, exec, s[24:25]
.LBB4_138:                              ;   in Loop: Header=BB4_6 Depth=1
	s_and_b64 vcc, exec, s[2:3]
	s_cbranch_vccz .LBB4_149
; %bb.139:                              ;   in Loop: Header=BB4_6 Depth=1
                                        ; implicit-def: $vgpr5
	s_mov_b64 s[2:3], exec
	v_readlane_b32 s8, v51, 46
	v_readlane_b32 s9, v51, 47
	s_and_b64 s[8:9], s[2:3], s[8:9]
	s_mov_b64 exec, s[8:9]
	s_cbranch_execz .LBB4_148
; %bb.140:                              ;   in Loop: Header=BB4_6 Depth=1
	s_mov_b64 s[24:25], 0
	v_mov_b32_e32 v5, v22
	v_mov_b32_e32 v6, v0
                                        ; implicit-def: $sgpr28_sgpr29
	s_branch .LBB4_143
.LBB4_141:                              ;   in Loop: Header=BB4_143 Depth=2
	s_or_b64 exec, exec, s[34:35]
	s_waitcnt lgkmcnt(0)
	s_barrier
	ds_read_u16 v7, v23 offset:3072
	s_mov_b64 s[22:23], -1
	s_mov_b64 s[34:35], -1
	s_waitcnt lgkmcnt(0)
	s_barrier
	v_cmp_eq_u32_sdwa s[8:9], v7, v23 src0_sel:BYTE_0 src1_sel:DWORD
	s_and_b64 vcc, exec, s[8:9]
	s_cbranch_vccnz .LBB4_146
.LBB4_142:                              ;   in Loop: Header=BB4_143 Depth=2
	s_and_b64 s[8:9], exec, s[22:23]
	s_or_b64 s[24:25], s[8:9], s[24:25]
	s_andn2_b64 s[8:9], s[28:29], exec
	s_and_b64 s[22:23], s[34:35], exec
	s_or_b64 s[28:29], s[8:9], s[22:23]
	s_andn2_b64 exec, exec, s[24:25]
	s_cbranch_execz .LBB4_147
.LBB4_143:                              ;   Parent Loop BB4_6 Depth=1
                                        ; =>  This Inner Loop Header: Depth=2
	v_cmp_gt_u32_e32 vcc, s36, v6
	s_and_saveexec_b64 s[34:35], vcc
	s_cbranch_execz .LBB4_141
; %bb.144:                              ;   in Loop: Header=BB4_143 Depth=2
	global_load_ubyte v7, v5, s[40:41]
	s_waitcnt vmcnt(0)
	v_and_b32_e32 v8, v7, v2
	v_cmp_eq_u32_sdwa s[8:9], v8, v3 src0_sel:BYTE_0 src1_sel:DWORD
	s_and_b64 exec, exec, s[8:9]
	s_cbranch_execz .LBB4_141
; %bb.145:                              ;   in Loop: Header=BB4_143 Depth=2
	v_lshlrev_b16_e32 v7, 8, v7
	v_or_b32_e32 v7, 1, v7
	ds_write_b16 v23, v7 offset:3072
	s_branch .LBB4_141
.LBB4_146:                              ;   in Loop: Header=BB4_143 Depth=2
	v_add_u32_e32 v6, s33, v6
	v_cmp_le_u32_e32 vcc, s10, v6
	v_add_u32_e32 v5, s48, v5
	s_mov_b64 s[34:35], 0
	s_orn2_b64 s[22:23], vcc, exec
	s_branch .LBB4_142
.LBB4_147:                              ;   in Loop: Header=BB4_6 Depth=1
	s_or_b64 exec, exec, s[24:25]
	s_andn2_b64 s[8:9], s[16:17], exec
	s_and_b64 s[16:17], s[28:29], exec
	v_lshrrev_b32_sdwa v5, v37, v7 dst_sel:DWORD dst_unused:UNUSED_PAD src0_sel:DWORD src1_sel:WORD_0
	s_or_b64 s[16:17], s[8:9], s[16:17]
.LBB4_148:                              ;   in Loop: Header=BB4_6 Depth=1
	s_or_b64 exec, exec, s[2:3]
	s_mov_b64 s[34:35], 0
	s_mov_b64 s[80:81], -1
.LBB4_149:                              ;   in Loop: Header=BB4_6 Depth=1
	s_orn2_b64 s[2:3], s[16:17], exec
.LBB4_150:                              ;   in Loop: Header=BB4_6 Depth=1
	s_or_b64 exec, exec, s[12:13]
	s_mov_b64 s[12:13], 0
	s_and_saveexec_b64 s[90:91], s[2:3]
	s_cbranch_execz .LBB4_239
; %bb.151:                              ;   in Loop: Header=BB4_6 Depth=1
	s_xor_b64 s[8:9], s[14:15], -1
	v_mov_b32_e32 v6, 1
	v_mov_b32_e32 v1, 1
	s_and_saveexec_b64 s[2:3], s[8:9]
	s_cbranch_execz .LBB4_160
; %bb.152:                              ;   in Loop: Header=BB4_6 Depth=1
	v_cmp_ge_u32_e32 vcc, s39, v4
	s_and_saveexec_b64 s[8:9], vcc
	s_xor_b64 s[12:13], exec, s[8:9]
	s_cbranch_execz .LBB4_157
; %bb.153:                              ;   in Loop: Header=BB4_6 Depth=1
	v_and_b32_e32 v1, s38, v3
	v_lshl_or_b32 v3, 1, s20, v1
	ds_read_b32 v1, v23 offset:4096
	v_or_b32_e32 v2, s18, v2
	s_waitcnt lgkmcnt(0)
	v_cmp_ne_u32_e32 vcc, 0, v1
	s_cbranch_vccnz .LBB4_157
; %bb.154:                              ;   in Loop: Header=BB4_6 Depth=1
	s_mov_b64 s[8:9], exec
	v_readlane_b32 s14, v51, 6
	v_readlane_b32 s15, v51, 7
	s_and_b64 s[14:15], s[8:9], s[14:15]
	s_mov_b64 exec, s[14:15]
; %bb.155:                              ;   in Loop: Header=BB4_6 Depth=1
	v_mov_b32_e32 v1, s39
	ds_write_b32 v23, v1 offset:4100
; %bb.156:                              ;   in Loop: Header=BB4_6 Depth=1
	s_or_b64 exec, exec, s[8:9]
	s_waitcnt lgkmcnt(0)
	s_barrier
.LBB4_157:                              ;   in Loop: Header=BB4_6 Depth=1
	s_or_saveexec_b64 s[12:13], s[12:13]
	s_mov_b64 s[14:15], 0
	v_mov_b32_e32 v1, 8
	s_xor_b64 exec, exec, s[12:13]
; %bb.158:                              ;   in Loop: Header=BB4_6 Depth=1
	s_mov_b64 s[14:15], exec
	v_subrev_u32_e32 v4, s39, v4
	v_mov_b32_e32 v1, 0
; %bb.159:                              ;   in Loop: Header=BB4_6 Depth=1
	s_or_b64 exec, exec, s[12:13]
	s_and_b64 s[12:13], s[14:15], exec
	v_mov_b32_e32 v6, v4
.LBB4_160:                              ;   in Loop: Header=BB4_6 Depth=1
	s_or_b64 exec, exec, s[2:3]
	s_mov_b64 s[2:3], -1
                                        ; implicit-def: $sgpr94_sgpr95
                                        ; implicit-def: $sgpr42_sgpr43
	s_and_saveexec_b64 s[92:93], s[12:13]
	s_cbranch_execz .LBB4_238
; %bb.161:                              ;   in Loop: Header=BB4_6 Depth=1
	s_cmp_eq_u32 s46, 1
	s_cselect_b64 s[2:3], -1, 0
	v_cmp_eq_u32_e32 vcc, 1, v6
	s_and_b64 s[14:15], s[2:3], vcc
	s_mov_b64 s[2:3], -1
                                        ; implicit-def: $sgpr42_sgpr43
                                        ; implicit-def: $sgpr94_sgpr95
	s_and_saveexec_b64 s[12:13], s[14:15]
	s_cbranch_execz .LBB4_187
; %bb.162:                              ;   in Loop: Header=BB4_6 Depth=1
	ds_read_b32 v4, v23 offset:4096
	s_waitcnt lgkmcnt(0)
	s_barrier
	v_readfirstlane_b32 s8, v4
	s_mov_b64 s[2:3], exec
	v_readlane_b32 s16, v51, 21
	v_readlane_b32 s17, v51, 22
	s_and_b64 s[16:17], s[2:3], s[16:17]
	s_mov_b64 exec, s[16:17]
; %bb.163:                              ;   in Loop: Header=BB4_6 Depth=1
	ds_write_b8 v0, v23 offset:3072
; %bb.164:                              ;   in Loop: Header=BB4_6 Depth=1
	s_or_b64 exec, exec, s[2:3]
	v_and_b32_e32 v3, s38, v3
	v_lshl_or_b32 v3, 2, s20, v3
	v_or_b32_e32 v2, s18, v2
	s_mov_b64 s[94:95], -1
	s_mov_b64 s[42:43], 0
	s_cmp_eq_u32 s8, 0
	s_mov_b64 s[16:17], 0
	s_mov_b64 s[2:3], -1
	s_waitcnt lgkmcnt(0)
	s_barrier
                                        ; implicit-def: $vgpr5
	s_cbranch_scc1 .LBB4_175
; %bb.165:                              ;   in Loop: Header=BB4_6 Depth=1
	v_readlane_b32 s2, v51, 23
	s_add_i32 s2, s8, s2
	v_readlane_b32 s3, v51, 45
	s_mul_hi_u32 s3, s2, s3
	s_mul_i32 s3, s3, s33
	s_sub_i32 s3, s2, s3
	s_sub_i32 s9, s3, s33
	s_cmp_ge_u32 s3, s33
	s_cselect_b32 s3, s9, s3
	s_sub_i32 s9, s3, s33
	s_cmp_ge_u32 s3, s33
	s_cselect_b32 s3, s9, s3
	s_sub_i32 s9, s2, s3
	v_cmp_gt_u32_e32 vcc, s9, v0
	s_mov_b64 s[2:3], 0
                                        ; implicit-def: $vgpr5
	s_and_saveexec_b64 s[24:25], vcc
	s_cbranch_execz .LBB4_174
; %bb.166:                              ;   in Loop: Header=BB4_6 Depth=1
	v_mov_b32_e32 v4, v0
                                        ; implicit-def: $sgpr28_sgpr29
	s_branch .LBB4_169
.LBB4_167:                              ;   in Loop: Header=BB4_169 Depth=2
	s_or_b64 exec, exec, s[44:45]
	s_waitcnt lgkmcnt(0)
	s_barrier
	ds_read_u16 v5, v23 offset:3072
	s_mov_b64 s[22:23], -1
	s_waitcnt lgkmcnt(0)
	s_barrier
	v_cmp_ne_u32_sdwa s[44:45], v5, v23 src0_sel:BYTE_0 src1_sel:DWORD
	s_and_b64 vcc, exec, s[44:45]
	s_mov_b64 s[44:45], -1
	s_cbranch_vccz .LBB4_172
.LBB4_168:                              ;   in Loop: Header=BB4_169 Depth=2
	s_and_b64 s[22:23], exec, s[22:23]
	s_or_b64 s[16:17], s[22:23], s[16:17]
	s_andn2_b64 s[22:23], s[28:29], exec
	s_and_b64 s[28:29], s[44:45], exec
	s_or_b64 s[28:29], s[22:23], s[28:29]
	s_andn2_b64 exec, exec, s[16:17]
	s_cbranch_execz .LBB4_173
.LBB4_169:                              ;   Parent Loop BB4_6 Depth=1
                                        ; =>  This Inner Loop Header: Depth=2
	v_cmp_gt_u32_e32 vcc, s8, v4
	s_and_saveexec_b64 s[44:45], vcc
	s_cbranch_execz .LBB4_167
; %bb.170:                              ;   in Loop: Header=BB4_169 Depth=2
	ds_read_u8 v5, v4
	s_waitcnt lgkmcnt(0)
	v_and_b32_e32 v7, v5, v2
	v_cmp_eq_u32_sdwa s[22:23], v7, v3 src0_sel:BYTE_0 src1_sel:DWORD
	s_and_b64 exec, exec, s[22:23]
	s_cbranch_execz .LBB4_167
; %bb.171:                              ;   in Loop: Header=BB4_169 Depth=2
	v_lshlrev_b16_e32 v5, 8, v5
	v_or_b32_e32 v5, 1, v5
	ds_write_b16 v23, v5 offset:3072
	s_branch .LBB4_167
.LBB4_172:                              ;   in Loop: Header=BB4_169 Depth=2
	v_add_u32_e32 v4, s33, v4
	v_cmp_le_u32_e32 vcc, s9, v4
	s_mov_b64 s[44:45], 0
	s_orn2_b64 s[22:23], vcc, exec
	s_branch .LBB4_168
.LBB4_173:                              ;   in Loop: Header=BB4_6 Depth=1
	s_or_b64 exec, exec, s[16:17]
	v_lshrrev_b32_sdwa v5, v37, v5 dst_sel:DWORD dst_unused:UNUSED_PAD src0_sel:DWORD src1_sel:WORD_0
	s_and_b64 s[16:17], s[28:29], exec
.LBB4_174:                              ;   in Loop: Header=BB4_6 Depth=1
	s_or_b64 exec, exec, s[24:25]
.LBB4_175:                              ;   in Loop: Header=BB4_6 Depth=1
	s_and_b64 vcc, exec, s[2:3]
	s_cbranch_vccz .LBB4_186
; %bb.176:                              ;   in Loop: Header=BB4_6 Depth=1
                                        ; implicit-def: $vgpr5
	s_mov_b64 s[2:3], exec
	v_readlane_b32 s8, v51, 46
	v_readlane_b32 s9, v51, 47
	s_and_b64 s[8:9], s[2:3], s[8:9]
	s_mov_b64 exec, s[8:9]
	s_cbranch_execz .LBB4_185
; %bb.177:                              ;   in Loop: Header=BB4_6 Depth=1
	s_mov_b64 s[24:25], 0
	v_mov_b32_e32 v4, v22
	v_mov_b32_e32 v5, v0
                                        ; implicit-def: $sgpr28_sgpr29
	s_branch .LBB4_180
.LBB4_178:                              ;   in Loop: Header=BB4_180 Depth=2
	s_or_b64 exec, exec, s[42:43]
	s_waitcnt lgkmcnt(0)
	s_barrier
	ds_read_u16 v7, v23 offset:3072
	s_mov_b64 s[22:23], -1
	s_mov_b64 s[42:43], -1
	s_waitcnt lgkmcnt(0)
	s_barrier
	v_cmp_eq_u32_sdwa s[8:9], v7, v23 src0_sel:BYTE_0 src1_sel:DWORD
	s_and_b64 vcc, exec, s[8:9]
	s_cbranch_vccnz .LBB4_183
.LBB4_179:                              ;   in Loop: Header=BB4_180 Depth=2
	s_and_b64 s[8:9], exec, s[22:23]
	s_or_b64 s[24:25], s[8:9], s[24:25]
	s_andn2_b64 s[8:9], s[28:29], exec
	s_and_b64 s[22:23], s[42:43], exec
	s_or_b64 s[28:29], s[8:9], s[22:23]
	s_andn2_b64 exec, exec, s[24:25]
	s_cbranch_execz .LBB4_184
.LBB4_180:                              ;   Parent Loop BB4_6 Depth=1
                                        ; =>  This Inner Loop Header: Depth=2
	v_cmp_gt_u32_e32 vcc, s36, v5
	s_and_saveexec_b64 s[42:43], vcc
	s_cbranch_execz .LBB4_178
; %bb.181:                              ;   in Loop: Header=BB4_180 Depth=2
	global_load_ubyte v7, v4, s[40:41]
	s_waitcnt vmcnt(0)
	v_and_b32_e32 v8, v7, v2
	v_cmp_eq_u32_sdwa s[8:9], v8, v3 src0_sel:BYTE_0 src1_sel:DWORD
	s_and_b64 exec, exec, s[8:9]
	s_cbranch_execz .LBB4_178
; %bb.182:                              ;   in Loop: Header=BB4_180 Depth=2
	v_lshlrev_b16_e32 v7, 8, v7
	v_or_b32_e32 v7, 1, v7
	ds_write_b16 v23, v7 offset:3072
	s_branch .LBB4_178
.LBB4_183:                              ;   in Loop: Header=BB4_180 Depth=2
	v_add_u32_e32 v5, s33, v5
	v_cmp_le_u32_e32 vcc, s10, v5
	v_add_u32_e32 v4, s48, v4
	s_mov_b64 s[42:43], 0
	s_orn2_b64 s[22:23], vcc, exec
	s_branch .LBB4_179
.LBB4_184:                              ;   in Loop: Header=BB4_6 Depth=1
	s_or_b64 exec, exec, s[24:25]
	s_andn2_b64 s[8:9], s[16:17], exec
	s_and_b64 s[16:17], s[28:29], exec
	v_lshrrev_b32_sdwa v5, v37, v7 dst_sel:DWORD dst_unused:UNUSED_PAD src0_sel:DWORD src1_sel:WORD_0
	s_or_b64 s[16:17], s[8:9], s[16:17]
.LBB4_185:                              ;   in Loop: Header=BB4_6 Depth=1
	s_or_b64 exec, exec, s[2:3]
	s_mov_b64 s[94:95], 0
	s_mov_b64 s[42:43], -1
.LBB4_186:                              ;   in Loop: Header=BB4_6 Depth=1
	s_orn2_b64 s[2:3], s[16:17], exec
.LBB4_187:                              ;   in Loop: Header=BB4_6 Depth=1
	s_or_b64 exec, exec, s[12:13]
	s_mov_b64 s[12:13], 0
	s_and_saveexec_b64 s[44:45], s[2:3]
	s_cbranch_execz .LBB4_237
; %bb.188:                              ;   in Loop: Header=BB4_6 Depth=1
	s_xor_b64 s[8:9], s[14:15], -1
	v_mov_b32_e32 v4, 1
	v_mov_b32_e32 v1, 1
	s_and_saveexec_b64 s[2:3], s[8:9]
	s_cbranch_execz .LBB4_197
; %bb.189:                              ;   in Loop: Header=BB4_6 Depth=1
	v_cmp_ge_u32_e32 vcc, s46, v6
	s_and_saveexec_b64 s[8:9], vcc
	s_xor_b64 s[12:13], exec, s[8:9]
	s_cbranch_execz .LBB4_194
; %bb.190:                              ;   in Loop: Header=BB4_6 Depth=1
	v_and_b32_e32 v1, s38, v3
	v_lshl_or_b32 v3, 2, s20, v1
	ds_read_b32 v1, v23 offset:4096
	v_or_b32_e32 v2, s18, v2
	s_waitcnt lgkmcnt(0)
	v_cmp_ne_u32_e32 vcc, 0, v1
	s_cbranch_vccnz .LBB4_194
; %bb.191:                              ;   in Loop: Header=BB4_6 Depth=1
	s_mov_b64 s[8:9], exec
	v_readlane_b32 s14, v51, 6
	v_readlane_b32 s15, v51, 7
	s_and_b64 s[14:15], s[8:9], s[14:15]
	s_mov_b64 exec, s[14:15]
; %bb.192:                              ;   in Loop: Header=BB4_6 Depth=1
	v_mov_b32_e32 v1, s46
	ds_write_b32 v23, v1 offset:4100
; %bb.193:                              ;   in Loop: Header=BB4_6 Depth=1
	s_or_b64 exec, exec, s[8:9]
	s_waitcnt lgkmcnt(0)
	s_barrier
.LBB4_194:                              ;   in Loop: Header=BB4_6 Depth=1
	s_or_saveexec_b64 s[12:13], s[12:13]
	s_mov_b64 s[14:15], 0
	v_mov_b32_e32 v1, 8
	s_xor_b64 exec, exec, s[12:13]
; %bb.195:                              ;   in Loop: Header=BB4_6 Depth=1
	s_mov_b64 s[14:15], exec
	v_subrev_u32_e32 v6, s46, v6
	v_mov_b32_e32 v1, 0
; %bb.196:                              ;   in Loop: Header=BB4_6 Depth=1
	s_or_b64 exec, exec, s[12:13]
	s_and_b64 s[12:13], s[14:15], exec
	v_mov_b32_e32 v4, v6
.LBB4_197:                              ;   in Loop: Header=BB4_6 Depth=1
	s_or_b64 exec, exec, s[2:3]
	s_mov_b64 s[2:3], -1
                                        ; implicit-def: $sgpr24_sgpr25
                                        ; implicit-def: $sgpr16_sgpr17
	s_and_saveexec_b64 s[14:15], s[12:13]
	s_cbranch_execz .LBB4_236
; %bb.198:                              ;   in Loop: Header=BB4_6 Depth=1
	s_cmp_eq_u32 s47, 1
	s_cselect_b64 s[2:3], -1, 0
	v_cmp_eq_u32_e32 vcc, 1, v4
	s_and_b64 s[22:23], s[2:3], vcc
	s_mov_b64 s[52:53], -1
                                        ; implicit-def: $sgpr24_sgpr25
                                        ; implicit-def: $sgpr16_sgpr17
	s_and_saveexec_b64 s[28:29], s[22:23]
	s_cbranch_execz .LBB4_224
; %bb.199:                              ;   in Loop: Header=BB4_6 Depth=1
	ds_read_b32 v5, v23 offset:4096
	s_waitcnt lgkmcnt(0)
	s_barrier
	v_readfirstlane_b32 s12, v5
	s_mov_b64 s[2:3], exec
	v_readlane_b32 s8, v51, 21
	v_readlane_b32 s9, v51, 22
	s_and_b64 s[8:9], s[2:3], s[8:9]
	s_mov_b64 exec, s[8:9]
; %bb.200:                              ;   in Loop: Header=BB4_6 Depth=1
	ds_write_b8 v0, v23 offset:3072
; %bb.201:                              ;   in Loop: Header=BB4_6 Depth=1
	s_or_b64 exec, exec, s[2:3]
	v_or_b32_e32 v3, s18, v3
	v_or_b32_e32 v2, s18, v2
	s_mov_b64 s[16:17], -1
	s_mov_b64 s[24:25], 0
	s_cmp_eq_u32 s12, 0
	s_mov_b64 s[2:3], 0
	s_waitcnt lgkmcnt(0)
	s_barrier
                                        ; implicit-def: $vgpr5
	s_cbranch_scc1 .LBB4_212
; %bb.202:                              ;   in Loop: Header=BB4_6 Depth=1
	v_readlane_b32 s2, v51, 23
	s_add_i32 s2, s12, s2
	v_readlane_b32 s3, v51, 45
	s_mul_hi_u32 s3, s2, s3
	s_mul_i32 s3, s3, s33
	s_sub_i32 s3, s2, s3
	s_sub_i32 s8, s3, s33
	s_cmp_ge_u32 s3, s33
	s_cselect_b32 s3, s8, s3
	s_sub_i32 s8, s3, s33
	s_cmp_ge_u32 s3, s33
	s_cselect_b32 s3, s8, s3
	s_sub_i32 s13, s2, s3
	v_cmp_gt_u32_e32 vcc, s13, v0
	s_mov_b64 s[52:53], 0
	s_mov_b64 s[2:3], 0
                                        ; implicit-def: $vgpr5
	s_and_saveexec_b64 s[54:55], vcc
	s_cbranch_execz .LBB4_211
; %bb.203:                              ;   in Loop: Header=BB4_6 Depth=1
	v_writelane_b32 v51, s22, 50
	v_mov_b32_e32 v5, v0
	v_writelane_b32 v51, s23, 51
                                        ; implicit-def: $sgpr56_sgpr57
	s_branch .LBB4_206
.LBB4_204:                              ;   in Loop: Header=BB4_206 Depth=2
	s_or_b64 exec, exec, s[22:23]
	s_waitcnt lgkmcnt(0)
	s_barrier
	ds_read_u16 v6, v23 offset:3072
	s_mov_b64 s[22:23], -1
	s_waitcnt lgkmcnt(0)
	s_barrier
	v_cmp_ne_u32_sdwa s[8:9], v6, v23 src0_sel:BYTE_0 src1_sel:DWORD
	s_and_b64 vcc, exec, s[8:9]
	s_mov_b64 s[8:9], -1
	s_cbranch_vccz .LBB4_209
.LBB4_205:                              ;   in Loop: Header=BB4_206 Depth=2
	s_and_b64 s[22:23], exec, s[22:23]
	s_or_b64 s[2:3], s[22:23], s[2:3]
	s_andn2_b64 s[22:23], s[56:57], exec
	s_and_b64 s[8:9], s[8:9], exec
	s_or_b64 s[56:57], s[22:23], s[8:9]
	s_andn2_b64 exec, exec, s[2:3]
	s_cbranch_execz .LBB4_210
.LBB4_206:                              ;   Parent Loop BB4_6 Depth=1
                                        ; =>  This Inner Loop Header: Depth=2
	v_cmp_gt_u32_e32 vcc, s12, v5
	s_and_saveexec_b64 s[22:23], vcc
	s_cbranch_execz .LBB4_204
; %bb.207:                              ;   in Loop: Header=BB4_206 Depth=2
	ds_read_u8 v6, v5
	s_waitcnt lgkmcnt(0)
	v_and_b32_e32 v7, v6, v2
	v_cmp_eq_u32_sdwa s[8:9], v7, v3 src0_sel:BYTE_0 src1_sel:DWORD
	s_and_b64 exec, exec, s[8:9]
	s_cbranch_execz .LBB4_204
; %bb.208:                              ;   in Loop: Header=BB4_206 Depth=2
	v_lshlrev_b16_e32 v6, 8, v6
	v_or_b32_e32 v6, 1, v6
	ds_write_b16 v23, v6 offset:3072
	s_branch .LBB4_204
.LBB4_209:                              ;   in Loop: Header=BB4_206 Depth=2
	v_add_u32_e32 v5, s33, v5
	v_cmp_le_u32_e32 vcc, s13, v5
	s_mov_b64 s[8:9], 0
	s_orn2_b64 s[22:23], vcc, exec
	s_branch .LBB4_205
.LBB4_210:                              ;   in Loop: Header=BB4_6 Depth=1
	s_or_b64 exec, exec, s[2:3]
	v_readlane_b32 s22, v51, 50
	v_lshrrev_b32_sdwa v5, v37, v6 dst_sel:DWORD dst_unused:UNUSED_PAD src0_sel:DWORD src1_sel:WORD_0
	s_and_b64 s[2:3], s[56:57], exec
	v_readlane_b32 s23, v51, 51
.LBB4_211:                              ;   in Loop: Header=BB4_6 Depth=1
	s_or_b64 exec, exec, s[54:55]
.LBB4_212:                              ;   in Loop: Header=BB4_6 Depth=1
	s_and_b64 vcc, exec, s[52:53]
	s_cbranch_vccz .LBB4_223
; %bb.213:                              ;   in Loop: Header=BB4_6 Depth=1
                                        ; implicit-def: $vgpr5
	s_mov_b64 s[16:17], exec
	v_readlane_b32 s8, v51, 46
	v_readlane_b32 s9, v51, 47
	s_and_b64 s[8:9], s[16:17], s[8:9]
	s_mov_b64 exec, s[8:9]
	s_cbranch_execz .LBB4_222
; %bb.214:                              ;   in Loop: Header=BB4_6 Depth=1
	s_mov_b64 s[56:57], s[22:23]
	s_mov_b64 s[24:25], 0
	v_mov_b32_e32 v5, v22
	v_mov_b32_e32 v6, v0
                                        ; implicit-def: $sgpr52_sgpr53
	s_branch .LBB4_217
.LBB4_215:                              ;   in Loop: Header=BB4_217 Depth=2
	s_or_b64 exec, exec, s[22:23]
	s_waitcnt lgkmcnt(0)
	s_barrier
	ds_read_u16 v7, v23 offset:3072
	s_mov_b64 s[22:23], -1
	s_mov_b64 s[54:55], -1
	s_waitcnt lgkmcnt(0)
	s_barrier
	v_cmp_eq_u32_sdwa s[8:9], v7, v23 src0_sel:BYTE_0 src1_sel:DWORD
	s_and_b64 vcc, exec, s[8:9]
	s_cbranch_vccnz .LBB4_220
.LBB4_216:                              ;   in Loop: Header=BB4_217 Depth=2
	s_and_b64 s[8:9], exec, s[22:23]
	s_or_b64 s[24:25], s[8:9], s[24:25]
	s_andn2_b64 s[8:9], s[52:53], exec
	s_and_b64 s[12:13], s[54:55], exec
	s_or_b64 s[52:53], s[8:9], s[12:13]
	s_andn2_b64 exec, exec, s[24:25]
	s_cbranch_execz .LBB4_221
.LBB4_217:                              ;   Parent Loop BB4_6 Depth=1
                                        ; =>  This Inner Loop Header: Depth=2
	v_cmp_gt_u32_e32 vcc, s36, v6
	s_and_saveexec_b64 s[22:23], vcc
	s_cbranch_execz .LBB4_215
; %bb.218:                              ;   in Loop: Header=BB4_217 Depth=2
	global_load_ubyte v7, v5, s[40:41]
	s_waitcnt vmcnt(0)
	v_and_b32_e32 v8, v7, v2
	v_cmp_eq_u32_sdwa s[8:9], v8, v3 src0_sel:BYTE_0 src1_sel:DWORD
	s_and_b64 exec, exec, s[8:9]
	s_cbranch_execz .LBB4_215
; %bb.219:                              ;   in Loop: Header=BB4_217 Depth=2
	v_lshlrev_b16_e32 v7, 8, v7
	v_or_b32_e32 v7, 1, v7
	ds_write_b16 v23, v7 offset:3072
	s_branch .LBB4_215
.LBB4_220:                              ;   in Loop: Header=BB4_217 Depth=2
	v_add_u32_e32 v6, s33, v6
	v_cmp_le_u32_e32 vcc, s10, v6
	v_add_u32_e32 v5, s48, v5
	s_mov_b64 s[54:55], 0
	s_orn2_b64 s[22:23], vcc, exec
	s_branch .LBB4_216
.LBB4_221:                              ;   in Loop: Header=BB4_6 Depth=1
	s_or_b64 exec, exec, s[24:25]
	s_andn2_b64 s[2:3], s[2:3], exec
	s_and_b64 s[8:9], s[52:53], exec
	v_lshrrev_b32_sdwa v5, v37, v7 dst_sel:DWORD dst_unused:UNUSED_PAD src0_sel:DWORD src1_sel:WORD_0
	s_or_b64 s[2:3], s[2:3], s[8:9]
	s_mov_b64 s[22:23], s[56:57]
.LBB4_222:                              ;   in Loop: Header=BB4_6 Depth=1
	s_or_b64 exec, exec, s[16:17]
	s_mov_b64 s[16:17], 0
	s_mov_b64 s[24:25], -1
.LBB4_223:                              ;   in Loop: Header=BB4_6 Depth=1
	s_orn2_b64 s[52:53], s[2:3], exec
.LBB4_224:                              ;   in Loop: Header=BB4_6 Depth=1
	s_or_b64 exec, exec, s[28:29]
	s_mov_b64 s[28:29], 0
	s_and_saveexec_b64 s[2:3], s[52:53]
	s_cbranch_execz .LBB4_235
; %bb.225:                              ;   in Loop: Header=BB4_6 Depth=1
	s_xor_b64 s[8:9], s[22:23], -1
	v_mov_b32_e32 v1, 1
	v_mov_b32_e32 v6, 1
	s_and_saveexec_b64 s[12:13], s[8:9]
	s_cbranch_execz .LBB4_234
; %bb.226:                              ;   in Loop: Header=BB4_6 Depth=1
	v_cmp_ge_u32_e32 vcc, s47, v4
	s_and_saveexec_b64 s[8:9], vcc
	s_xor_b64 s[28:29], exec, s[8:9]
	s_cbranch_execz .LBB4_231
; %bb.227:                              ;   in Loop: Header=BB4_6 Depth=1
	ds_read_b32 v1, v23 offset:4096
	v_or_b32_e32 v3, s18, v3
	v_or_b32_e32 v2, s18, v2
	s_waitcnt lgkmcnt(0)
	v_cmp_ne_u32_e32 vcc, 0, v1
	s_cbranch_vccnz .LBB4_231
; %bb.228:                              ;   in Loop: Header=BB4_6 Depth=1
	s_mov_b64 s[8:9], exec
	v_readlane_b32 s22, v51, 6
	v_readlane_b32 s23, v51, 7
	s_and_b64 s[22:23], s[8:9], s[22:23]
	s_mov_b64 exec, s[22:23]
; %bb.229:                              ;   in Loop: Header=BB4_6 Depth=1
	v_mov_b32_e32 v1, s47
	ds_write_b32 v23, v1 offset:4100
; %bb.230:                              ;   in Loop: Header=BB4_6 Depth=1
	s_or_b64 exec, exec, s[8:9]
	s_waitcnt lgkmcnt(0)
	s_barrier
.LBB4_231:                              ;   in Loop: Header=BB4_6 Depth=1
	s_andn2_saveexec_b64 s[22:23], s[28:29]
; %bb.232:                              ;   in Loop: Header=BB4_6 Depth=1
	v_subrev_u32_e32 v4, s47, v4
; %bb.233:                              ;   in Loop: Header=BB4_6 Depth=1
	s_or_b64 exec, exec, s[22:23]
	v_mov_b32_e32 v1, 8
	v_mov_b32_e32 v6, v4
.LBB4_234:                              ;   in Loop: Header=BB4_6 Depth=1
	s_or_b64 exec, exec, s[12:13]
	s_mov_b64 s[28:29], exec
	v_mov_b32_e32 v4, v6
.LBB4_235:                              ;   in Loop: Header=BB4_6 Depth=1
	s_or_b64 exec, exec, s[2:3]
	s_orn2_b64 s[2:3], s[28:29], exec
.LBB4_236:                              ;   in Loop: Header=BB4_6 Depth=1
	s_or_b64 exec, exec, s[14:15]
	s_andn2_b64 s[8:9], s[42:43], exec
	s_and_b64 s[12:13], s[24:25], exec
	s_or_b64 s[42:43], s[8:9], s[12:13]
	s_andn2_b64 s[8:9], s[94:95], exec
	s_and_b64 s[12:13], s[16:17], exec
	s_or_b64 s[94:95], s[8:9], s[12:13]
	s_and_b64 s[12:13], s[2:3], exec
	v_mov_b32_e32 v6, v4
.LBB4_237:                              ;   in Loop: Header=BB4_6 Depth=1
	s_or_b64 exec, exec, s[44:45]
	s_orn2_b64 s[2:3], s[12:13], exec
.LBB4_238:                              ;   in Loop: Header=BB4_6 Depth=1
	s_or_b64 exec, exec, s[92:93]
	s_andn2_b64 s[8:9], s[80:81], exec
	s_and_b64 s[12:13], s[42:43], exec
	s_or_b64 s[80:81], s[8:9], s[12:13]
	s_andn2_b64 s[8:9], s[34:35], exec
	s_and_b64 s[12:13], s[94:95], exec
	s_or_b64 s[34:35], s[8:9], s[12:13]
	s_and_b64 s[12:13], s[2:3], exec
	v_mov_b32_e32 v4, v6
.LBB4_239:                              ;   in Loop: Header=BB4_6 Depth=1
	s_or_b64 exec, exec, s[90:91]
	s_orn2_b64 s[2:3], s[12:13], exec
.LBB4_240:                              ;   in Loop: Header=BB4_6 Depth=1
	s_or_b64 exec, exec, s[6:7]
	s_mov_b64 s[6:7], 0
	s_mov_b64 s[12:13], 0
	s_and_saveexec_b64 s[8:9], s[2:3]
	s_xor_b64 s[2:3], exec, s[8:9]
; %bb.241:                              ;   in Loop: Header=BB4_6 Depth=1
	v_cmp_eq_u32_e32 vcc, 8, v1
	v_cmp_ne_u32_e64 s[6:7], 8, v1
	s_and_b64 s[12:13], s[6:7], exec
	s_and_b64 s[6:7], vcc, exec
; %bb.242:                              ;   in Loop: Header=BB4_6 Depth=1
	s_or_b64 exec, exec, s[2:3]
	s_andn2_b64 s[2:3], s[84:85], exec
	s_and_b64 s[8:9], s[80:81], exec
	s_or_b64 s[84:85], s[2:3], s[8:9]
	s_andn2_b64 s[2:3], s[82:83], exec
	s_and_b64 s[8:9], s[34:35], exec
	s_or_b64 s[82:83], s[2:3], s[8:9]
	s_and_b64 s[34:35], s[12:13], exec
	s_and_b64 s[80:81], s[6:7], exec
.LBB4_243:                              ;   in Loop: Header=BB4_6 Depth=1
	s_or_b64 exec, exec, s[88:89]
.LBB4_244:                              ;   in Loop: Header=BB4_6 Depth=1
	s_and_b64 vcc, exec, s[86:87]
	s_cbranch_vccz .LBB4_257
; %bb.245:                              ;   in Loop: Header=BB4_6 Depth=1
	s_cmp_eq_u32 s47, 1
	s_cselect_b64 s[2:3], -1, 0
	s_and_b64 s[6:7], s[2:3], s[26:27]
	s_mov_b64 s[2:3], -1
                                        ; implicit-def: $sgpr26_sgpr27
                                        ; implicit-def: $sgpr30_sgpr31
	s_and_saveexec_b64 s[12:13], s[6:7]
	s_cbranch_execz .LBB4_272
; %bb.246:                              ;   in Loop: Header=BB4_6 Depth=1
	ds_read_b32 v1, v23 offset:4096
	s_waitcnt lgkmcnt(0)
	s_barrier
	v_readfirstlane_b32 s42, v1
	s_mov_b64 s[2:3], exec
	v_readlane_b32 s8, v51, 21
	v_readlane_b32 s9, v51, 22
	s_and_b64 s[8:9], s[2:3], s[8:9]
	s_mov_b64 exec, s[8:9]
; %bb.247:                              ;   in Loop: Header=BB4_6 Depth=1
	ds_write_b8 v0, v23 offset:3072
; %bb.248:                              ;   in Loop: Header=BB4_6 Depth=1
	s_or_b64 exec, exec, s[2:3]
	v_or_b32_e32 v31, s18, v31
	v_or_b32_e32 v38, s18, v38
	s_mov_b64 s[30:31], -1
	s_mov_b64 s[26:27], 0
	s_cmp_eq_u32 s42, 0
	s_mov_b64 s[14:15], 0
	s_mov_b64 s[2:3], -1
	s_waitcnt lgkmcnt(0)
	s_barrier
                                        ; implicit-def: $vgpr39
	s_cbranch_scc1 .LBB4_260
; %bb.249:                              ;   in Loop: Header=BB4_6 Depth=1
	v_readlane_b32 s2, v51, 23
	s_add_i32 s2, s42, s2
	v_readlane_b32 s3, v51, 45
	s_mul_hi_u32 s3, s2, s3
	s_mul_i32 s3, s3, s33
	s_sub_i32 s3, s2, s3
	s_sub_i32 s8, s3, s33
	s_cmp_ge_u32 s3, s33
	s_cselect_b32 s3, s8, s3
	s_sub_i32 s8, s3, s33
	s_cmp_ge_u32 s3, s33
	s_cselect_b32 s3, s8, s3
	s_sub_i32 s43, s2, s3
	v_cmp_gt_u32_e32 vcc, s43, v0
	s_mov_b64 s[2:3], 0
                                        ; implicit-def: $vgpr39
	s_and_saveexec_b64 s[16:17], vcc
	s_cbranch_execz .LBB4_259
; %bb.250:                              ;   in Loop: Header=BB4_6 Depth=1
	v_mov_b32_e32 v1, v0
                                        ; implicit-def: $sgpr24_sgpr25
	s_branch .LBB4_253
.LBB4_251:                              ;   in Loop: Header=BB4_253 Depth=2
	s_or_b64 exec, exec, s[28:29]
	s_waitcnt lgkmcnt(0)
	s_barrier
	ds_read_u16 v2, v23 offset:3072
	s_mov_b64 s[8:9], -1
	s_waitcnt lgkmcnt(0)
	s_barrier
	v_cmp_ne_u32_sdwa s[22:23], v2, v23 src0_sel:BYTE_0 src1_sel:DWORD
	s_and_b64 vcc, exec, s[22:23]
	s_mov_b64 s[22:23], -1
	s_cbranch_vccz .LBB4_256
.LBB4_252:                              ;   in Loop: Header=BB4_253 Depth=2
	s_and_b64 s[8:9], exec, s[8:9]
	s_or_b64 s[14:15], s[8:9], s[14:15]
	s_andn2_b64 s[8:9], s[24:25], exec
	s_and_b64 s[22:23], s[22:23], exec
	s_or_b64 s[24:25], s[8:9], s[22:23]
	s_andn2_b64 exec, exec, s[14:15]
	s_cbranch_execz .LBB4_258
.LBB4_253:                              ;   Parent Loop BB4_6 Depth=1
                                        ; =>  This Inner Loop Header: Depth=2
	v_cmp_gt_u32_e32 vcc, s42, v1
	s_and_saveexec_b64 s[28:29], vcc
	s_cbranch_execz .LBB4_251
; %bb.254:                              ;   in Loop: Header=BB4_253 Depth=2
	ds_read_u8 v2, v1
	s_waitcnt lgkmcnt(0)
	v_and_b32_e32 v3, v2, v38
	v_cmp_eq_u32_sdwa s[8:9], v3, v31 src0_sel:BYTE_0 src1_sel:DWORD
	s_and_b64 exec, exec, s[8:9]
	s_cbranch_execz .LBB4_251
; %bb.255:                              ;   in Loop: Header=BB4_253 Depth=2
	v_lshlrev_b16_e32 v2, 8, v2
	v_or_b32_e32 v2, 1, v2
	ds_write_b16 v23, v2 offset:3072
	s_branch .LBB4_251
.LBB4_256:                              ;   in Loop: Header=BB4_253 Depth=2
	v_add_u32_e32 v1, s33, v1
	v_cmp_le_u32_e32 vcc, s43, v1
	s_mov_b64 s[22:23], 0
	s_orn2_b64 s[8:9], vcc, exec
	s_branch .LBB4_252
.LBB4_257:                              ;   in Loop: Header=BB4_6 Depth=1
	s_mov_b64 s[26:27], 0
	v_mov_b32_e32 v31, v3
	v_mov_b32_e32 v38, v2
	;; [unrolled: 1-line block ×3, first 2 shown]
	s_and_saveexec_b64 s[2:3], s[80:81]
	s_cbranch_execnz .LBB4_403
	s_branch .LBB4_404
.LBB4_258:                              ;   in Loop: Header=BB4_6 Depth=1
	s_or_b64 exec, exec, s[14:15]
	v_lshrrev_b32_sdwa v39, v37, v2 dst_sel:DWORD dst_unused:UNUSED_PAD src0_sel:DWORD src1_sel:WORD_0
	s_and_b64 s[14:15], s[24:25], exec
.LBB4_259:                              ;   in Loop: Header=BB4_6 Depth=1
	s_or_b64 exec, exec, s[16:17]
.LBB4_260:                              ;   in Loop: Header=BB4_6 Depth=1
	s_and_b64 vcc, exec, s[2:3]
	s_cbranch_vccz .LBB4_271
; %bb.261:                              ;   in Loop: Header=BB4_6 Depth=1
                                        ; implicit-def: $vgpr39
	s_mov_b64 s[2:3], exec
	v_readlane_b32 s8, v51, 46
	v_readlane_b32 s9, v51, 47
	s_and_b64 s[8:9], s[2:3], s[8:9]
	s_mov_b64 exec, s[8:9]
	s_cbranch_execz .LBB4_270
; %bb.262:                              ;   in Loop: Header=BB4_6 Depth=1
	s_mov_b64 s[16:17], 0
	v_mov_b32_e32 v1, v22
	v_mov_b32_e32 v2, v0
                                        ; implicit-def: $sgpr24_sgpr25
	s_branch .LBB4_265
.LBB4_263:                              ;   in Loop: Header=BB4_265 Depth=2
	s_or_b64 exec, exec, s[26:27]
	s_waitcnt lgkmcnt(0)
	s_barrier
	ds_read_u16 v3, v23 offset:3072
	s_mov_b64 s[22:23], -1
	s_mov_b64 s[26:27], -1
	s_waitcnt lgkmcnt(0)
	s_barrier
	v_cmp_ne_u32_sdwa s[8:9], v3, v23 src0_sel:BYTE_0 src1_sel:DWORD
	s_and_b64 vcc, exec, s[8:9]
	s_cbranch_vccz .LBB4_268
.LBB4_264:                              ;   in Loop: Header=BB4_265 Depth=2
	s_and_b64 s[8:9], exec, s[22:23]
	s_or_b64 s[16:17], s[8:9], s[16:17]
	s_andn2_b64 s[8:9], s[24:25], exec
	s_and_b64 s[22:23], s[26:27], exec
	s_or_b64 s[24:25], s[8:9], s[22:23]
	s_andn2_b64 exec, exec, s[16:17]
	s_cbranch_execz .LBB4_269
.LBB4_265:                              ;   Parent Loop BB4_6 Depth=1
                                        ; =>  This Inner Loop Header: Depth=2
	v_cmp_gt_u32_e32 vcc, s36, v2
	s_and_saveexec_b64 s[26:27], vcc
	s_cbranch_execz .LBB4_263
; %bb.266:                              ;   in Loop: Header=BB4_265 Depth=2
	global_load_ubyte v3, v1, s[40:41]
	s_waitcnt vmcnt(0)
	v_and_b32_e32 v4, v3, v38
	v_cmp_eq_u32_sdwa s[8:9], v4, v31 src0_sel:BYTE_0 src1_sel:DWORD
	s_and_b64 exec, exec, s[8:9]
	s_cbranch_execz .LBB4_263
; %bb.267:                              ;   in Loop: Header=BB4_265 Depth=2
	v_lshlrev_b16_e32 v3, 8, v3
	v_or_b32_e32 v3, 1, v3
	ds_write_b16 v23, v3 offset:3072
	s_branch .LBB4_263
.LBB4_268:                              ;   in Loop: Header=BB4_265 Depth=2
	v_add_u32_e32 v2, s33, v2
	v_cmp_le_u32_e32 vcc, s10, v2
	v_add_u32_e32 v1, s48, v1
	s_mov_b64 s[26:27], 0
	s_orn2_b64 s[22:23], vcc, exec
	s_branch .LBB4_264
.LBB4_269:                              ;   in Loop: Header=BB4_6 Depth=1
	s_or_b64 exec, exec, s[16:17]
	s_andn2_b64 s[8:9], s[14:15], exec
	s_and_b64 s[14:15], s[24:25], exec
	v_lshrrev_b32_sdwa v39, v37, v3 dst_sel:DWORD dst_unused:UNUSED_PAD src0_sel:DWORD src1_sel:WORD_0
	s_or_b64 s[14:15], s[8:9], s[14:15]
.LBB4_270:                              ;   in Loop: Header=BB4_6 Depth=1
	s_or_b64 exec, exec, s[2:3]
	s_mov_b64 s[30:31], 0
	s_mov_b64 s[26:27], -1
.LBB4_271:                              ;   in Loop: Header=BB4_6 Depth=1
	s_orn2_b64 s[2:3], s[14:15], exec
.LBB4_272:                              ;   in Loop: Header=BB4_6 Depth=1
	s_or_b64 exec, exec, s[12:13]
                                        ; implicit-def: $vgpr4
                                        ; implicit-def: $vgpr1
	s_and_saveexec_b64 s[82:83], s[2:3]
	s_cbranch_execz .LBB4_402
; %bb.273:                              ;   in Loop: Header=BB4_6 Depth=1
	s_xor_b64 s[8:9], s[6:7], -1
	s_mov_b64 s[6:7], 0
	v_mov_b32_e32 v4, 1
	v_mov_b32_e32 v1, 1
	s_and_saveexec_b64 s[2:3], s[8:9]
	s_cbranch_execz .LBB4_282
; %bb.274:                              ;   in Loop: Header=BB4_6 Depth=1
	v_cmp_ge_u32_e32 vcc, s47, v40
	s_and_saveexec_b64 s[6:7], vcc
	s_xor_b64 s[6:7], exec, s[6:7]
	s_cbranch_execz .LBB4_279
; %bb.275:                              ;   in Loop: Header=BB4_6 Depth=1
	ds_read_b32 v1, v23 offset:4096
	v_or_b32_e32 v31, s18, v31
	v_or_b32_e32 v38, s18, v38
	s_waitcnt lgkmcnt(0)
	v_cmp_ne_u32_e32 vcc, 0, v1
	s_cbranch_vccnz .LBB4_279
; %bb.276:                              ;   in Loop: Header=BB4_6 Depth=1
	s_mov_b64 s[8:9], exec
	v_readlane_b32 s12, v51, 6
	v_readlane_b32 s13, v51, 7
	s_and_b64 s[12:13], s[8:9], s[12:13]
	s_mov_b64 exec, s[12:13]
; %bb.277:                              ;   in Loop: Header=BB4_6 Depth=1
	v_mov_b32_e32 v1, s47
	ds_write_b32 v23, v1 offset:4100
; %bb.278:                              ;   in Loop: Header=BB4_6 Depth=1
	s_or_b64 exec, exec, s[8:9]
	s_waitcnt lgkmcnt(0)
	s_barrier
.LBB4_279:                              ;   in Loop: Header=BB4_6 Depth=1
	s_or_saveexec_b64 s[6:7], s[6:7]
	s_mov_b64 s[12:13], 0
	v_mov_b32_e32 v1, 5
	s_xor_b64 exec, exec, s[6:7]
; %bb.280:                              ;   in Loop: Header=BB4_6 Depth=1
	v_subrev_u32_e32 v40, s47, v40
	v_mov_b32_e32 v1, 0
	s_mov_b64 s[12:13], exec
; %bb.281:                              ;   in Loop: Header=BB4_6 Depth=1
	s_or_b64 exec, exec, s[6:7]
	s_and_b64 s[6:7], s[12:13], exec
	v_mov_b32_e32 v4, v40
.LBB4_282:                              ;   in Loop: Header=BB4_6 Depth=1
	s_or_b64 exec, exec, s[2:3]
	s_mov_b64 s[2:3], -1
                                        ; implicit-def: $sgpr84_sgpr85
                                        ; implicit-def: $sgpr86_sgpr87
	s_and_saveexec_b64 s[8:9], s[6:7]
	s_xor_b64 s[6:7], exec, s[8:9]
	s_cbranch_execz .LBB4_399
; %bb.283:                              ;   in Loop: Header=BB4_6 Depth=1
	s_cmp_eq_u32 s46, 1
	s_cselect_b64 s[2:3], -1, 0
	v_cmp_eq_u32_e32 vcc, 1, v4
	s_and_b64 s[14:15], s[2:3], vcc
	s_mov_b64 s[2:3], -1
                                        ; implicit-def: $sgpr86_sgpr87
                                        ; implicit-def: $sgpr84_sgpr85
	s_and_saveexec_b64 s[12:13], s[14:15]
	s_cbranch_execz .LBB4_309
; %bb.284:                              ;   in Loop: Header=BB4_6 Depth=1
	ds_read_b32 v2, v23 offset:4096
	s_waitcnt lgkmcnt(0)
	s_barrier
	v_readfirstlane_b32 s44, v2
	s_mov_b64 s[2:3], exec
	v_readlane_b32 s8, v51, 21
	v_readlane_b32 s9, v51, 22
	s_and_b64 s[8:9], s[2:3], s[8:9]
	s_mov_b64 exec, s[8:9]
; %bb.285:                              ;   in Loop: Header=BB4_6 Depth=1
	ds_write_b8 v0, v23 offset:3072
; %bb.286:                              ;   in Loop: Header=BB4_6 Depth=1
	s_or_b64 exec, exec, s[2:3]
	v_and_b32_e32 v2, s38, v31
	v_lshl_or_b32 v31, 2, s20, v2
	v_or_b32_e32 v38, s18, v38
	s_mov_b64 s[84:85], -1
	s_mov_b64 s[86:87], 0
	s_cmp_eq_u32 s44, 0
	s_mov_b64 s[16:17], 0
	s_mov_b64 s[2:3], -1
	s_waitcnt lgkmcnt(0)
	s_barrier
                                        ; implicit-def: $vgpr39
	s_cbranch_scc1 .LBB4_297
; %bb.287:                              ;   in Loop: Header=BB4_6 Depth=1
	v_readlane_b32 s2, v51, 23
	s_add_i32 s2, s44, s2
	v_readlane_b32 s3, v51, 45
	s_mul_hi_u32 s3, s2, s3
	s_mul_i32 s3, s3, s33
	s_sub_i32 s3, s2, s3
	s_sub_i32 s8, s3, s33
	s_cmp_ge_u32 s3, s33
	s_cselect_b32 s3, s8, s3
	s_sub_i32 s8, s3, s33
	s_cmp_ge_u32 s3, s33
	s_cselect_b32 s3, s8, s3
	s_sub_i32 s45, s2, s3
	v_cmp_gt_u32_e32 vcc, s45, v0
	s_mov_b64 s[2:3], 0
                                        ; implicit-def: $vgpr39
	s_and_saveexec_b64 s[24:25], vcc
	s_cbranch_execz .LBB4_296
; %bb.288:                              ;   in Loop: Header=BB4_6 Depth=1
	v_mov_b32_e32 v2, v0
                                        ; implicit-def: $sgpr28_sgpr29
	s_branch .LBB4_291
.LBB4_289:                              ;   in Loop: Header=BB4_291 Depth=2
	s_or_b64 exec, exec, s[42:43]
	s_waitcnt lgkmcnt(0)
	s_barrier
	ds_read_u16 v3, v23 offset:3072
	s_mov_b64 s[8:9], -1
	s_waitcnt lgkmcnt(0)
	s_barrier
	v_cmp_ne_u32_sdwa s[22:23], v3, v23 src0_sel:BYTE_0 src1_sel:DWORD
	s_and_b64 vcc, exec, s[22:23]
	s_mov_b64 s[22:23], -1
	s_cbranch_vccz .LBB4_294
.LBB4_290:                              ;   in Loop: Header=BB4_291 Depth=2
	s_and_b64 s[8:9], exec, s[8:9]
	s_or_b64 s[16:17], s[8:9], s[16:17]
	s_andn2_b64 s[8:9], s[28:29], exec
	s_and_b64 s[22:23], s[22:23], exec
	s_or_b64 s[28:29], s[8:9], s[22:23]
	s_andn2_b64 exec, exec, s[16:17]
	s_cbranch_execz .LBB4_295
.LBB4_291:                              ;   Parent Loop BB4_6 Depth=1
                                        ; =>  This Inner Loop Header: Depth=2
	v_cmp_gt_u32_e32 vcc, s44, v2
	s_and_saveexec_b64 s[42:43], vcc
	s_cbranch_execz .LBB4_289
; %bb.292:                              ;   in Loop: Header=BB4_291 Depth=2
	ds_read_u8 v3, v2
	s_waitcnt lgkmcnt(0)
	v_and_b32_e32 v5, v3, v38
	v_cmp_eq_u32_sdwa s[8:9], v5, v31 src0_sel:BYTE_0 src1_sel:DWORD
	s_and_b64 exec, exec, s[8:9]
	s_cbranch_execz .LBB4_289
; %bb.293:                              ;   in Loop: Header=BB4_291 Depth=2
	v_lshlrev_b16_e32 v3, 8, v3
	v_or_b32_e32 v3, 1, v3
	ds_write_b16 v23, v3 offset:3072
	s_branch .LBB4_289
.LBB4_294:                              ;   in Loop: Header=BB4_291 Depth=2
	v_add_u32_e32 v2, s33, v2
	v_cmp_le_u32_e32 vcc, s45, v2
	s_mov_b64 s[22:23], 0
	s_orn2_b64 s[8:9], vcc, exec
	s_branch .LBB4_290
.LBB4_295:                              ;   in Loop: Header=BB4_6 Depth=1
	s_or_b64 exec, exec, s[16:17]
	v_lshrrev_b32_sdwa v39, v37, v3 dst_sel:DWORD dst_unused:UNUSED_PAD src0_sel:DWORD src1_sel:WORD_0
	s_and_b64 s[16:17], s[28:29], exec
.LBB4_296:                              ;   in Loop: Header=BB4_6 Depth=1
	s_or_b64 exec, exec, s[24:25]
.LBB4_297:                              ;   in Loop: Header=BB4_6 Depth=1
	s_and_b64 vcc, exec, s[2:3]
	s_cbranch_vccz .LBB4_308
; %bb.298:                              ;   in Loop: Header=BB4_6 Depth=1
                                        ; implicit-def: $vgpr39
	s_mov_b64 s[2:3], exec
	v_readlane_b32 s8, v51, 46
	v_readlane_b32 s9, v51, 47
	s_and_b64 s[8:9], s[2:3], s[8:9]
	s_mov_b64 exec, s[8:9]
	s_cbranch_execz .LBB4_307
; %bb.299:                              ;   in Loop: Header=BB4_6 Depth=1
	s_mov_b64 s[24:25], 0
	v_mov_b32_e32 v2, v22
	v_mov_b32_e32 v3, v0
                                        ; implicit-def: $sgpr28_sgpr29
	s_branch .LBB4_302
.LBB4_300:                              ;   in Loop: Header=BB4_302 Depth=2
	s_or_b64 exec, exec, s[42:43]
	s_waitcnt lgkmcnt(0)
	s_barrier
	ds_read_u16 v5, v23 offset:3072
	s_mov_b64 s[22:23], -1
	s_mov_b64 s[42:43], -1
	s_waitcnt lgkmcnt(0)
	s_barrier
	v_cmp_eq_u32_sdwa s[8:9], v5, v23 src0_sel:BYTE_0 src1_sel:DWORD
	s_and_b64 vcc, exec, s[8:9]
	s_cbranch_vccnz .LBB4_305
.LBB4_301:                              ;   in Loop: Header=BB4_302 Depth=2
	s_and_b64 s[8:9], exec, s[22:23]
	s_or_b64 s[24:25], s[8:9], s[24:25]
	s_andn2_b64 s[8:9], s[28:29], exec
	s_and_b64 s[22:23], s[42:43], exec
	s_or_b64 s[28:29], s[8:9], s[22:23]
	s_andn2_b64 exec, exec, s[24:25]
	s_cbranch_execz .LBB4_306
.LBB4_302:                              ;   Parent Loop BB4_6 Depth=1
                                        ; =>  This Inner Loop Header: Depth=2
	v_cmp_gt_u32_e32 vcc, s36, v3
	s_and_saveexec_b64 s[42:43], vcc
	s_cbranch_execz .LBB4_300
; %bb.303:                              ;   in Loop: Header=BB4_302 Depth=2
	global_load_ubyte v5, v2, s[40:41]
	s_waitcnt vmcnt(0)
	v_and_b32_e32 v6, v5, v38
	v_cmp_eq_u32_sdwa s[8:9], v6, v31 src0_sel:BYTE_0 src1_sel:DWORD
	s_and_b64 exec, exec, s[8:9]
	s_cbranch_execz .LBB4_300
; %bb.304:                              ;   in Loop: Header=BB4_302 Depth=2
	v_lshlrev_b16_e32 v5, 8, v5
	v_or_b32_e32 v5, 1, v5
	ds_write_b16 v23, v5 offset:3072
	s_branch .LBB4_300
.LBB4_305:                              ;   in Loop: Header=BB4_302 Depth=2
	v_add_u32_e32 v3, s33, v3
	v_cmp_le_u32_e32 vcc, s10, v3
	v_add_u32_e32 v2, s48, v2
	s_mov_b64 s[42:43], 0
	s_orn2_b64 s[22:23], vcc, exec
	s_branch .LBB4_301
.LBB4_306:                              ;   in Loop: Header=BB4_6 Depth=1
	s_or_b64 exec, exec, s[24:25]
	s_andn2_b64 s[8:9], s[16:17], exec
	s_and_b64 s[16:17], s[28:29], exec
	v_lshrrev_b32_sdwa v39, v37, v5 dst_sel:DWORD dst_unused:UNUSED_PAD src0_sel:DWORD src1_sel:WORD_0
	s_or_b64 s[16:17], s[8:9], s[16:17]
.LBB4_307:                              ;   in Loop: Header=BB4_6 Depth=1
	s_or_b64 exec, exec, s[2:3]
	s_mov_b64 s[84:85], 0
	s_mov_b64 s[86:87], -1
.LBB4_308:                              ;   in Loop: Header=BB4_6 Depth=1
	s_orn2_b64 s[2:3], s[16:17], exec
.LBB4_309:                              ;   in Loop: Header=BB4_6 Depth=1
	s_or_b64 exec, exec, s[12:13]
	s_mov_b64 s[12:13], 0
	s_and_saveexec_b64 s[88:89], s[2:3]
	s_cbranch_execz .LBB4_398
; %bb.310:                              ;   in Loop: Header=BB4_6 Depth=1
	s_xor_b64 s[8:9], s[14:15], -1
	v_mov_b32_e32 v2, 1
	v_mov_b32_e32 v1, 1
	s_and_saveexec_b64 s[2:3], s[8:9]
	s_cbranch_execz .LBB4_319
; %bb.311:                              ;   in Loop: Header=BB4_6 Depth=1
	v_cmp_ge_u32_e32 vcc, s46, v4
	s_and_saveexec_b64 s[8:9], vcc
	s_xor_b64 s[12:13], exec, s[8:9]
	s_cbranch_execz .LBB4_316
; %bb.312:                              ;   in Loop: Header=BB4_6 Depth=1
	v_and_b32_e32 v1, s38, v31
	v_lshl_or_b32 v31, 2, s20, v1
	ds_read_b32 v1, v23 offset:4096
	v_or_b32_e32 v38, s18, v38
	s_waitcnt lgkmcnt(0)
	v_cmp_ne_u32_e32 vcc, 0, v1
	s_cbranch_vccnz .LBB4_316
; %bb.313:                              ;   in Loop: Header=BB4_6 Depth=1
	s_mov_b64 s[8:9], exec
	v_readlane_b32 s14, v51, 6
	v_readlane_b32 s15, v51, 7
	s_and_b64 s[14:15], s[8:9], s[14:15]
	s_mov_b64 exec, s[14:15]
; %bb.314:                              ;   in Loop: Header=BB4_6 Depth=1
	v_mov_b32_e32 v1, s46
	ds_write_b32 v23, v1 offset:4100
; %bb.315:                              ;   in Loop: Header=BB4_6 Depth=1
	s_or_b64 exec, exec, s[8:9]
	s_waitcnt lgkmcnt(0)
	s_barrier
.LBB4_316:                              ;   in Loop: Header=BB4_6 Depth=1
	s_or_saveexec_b64 s[12:13], s[12:13]
	s_mov_b64 s[14:15], 0
	v_mov_b32_e32 v1, 5
	s_xor_b64 exec, exec, s[12:13]
; %bb.317:                              ;   in Loop: Header=BB4_6 Depth=1
	v_subrev_u32_e32 v4, s46, v4
	v_mov_b32_e32 v1, 0
	s_mov_b64 s[14:15], exec
; %bb.318:                              ;   in Loop: Header=BB4_6 Depth=1
	s_or_b64 exec, exec, s[12:13]
	s_and_b64 s[12:13], s[14:15], exec
	v_mov_b32_e32 v2, v4
.LBB4_319:                              ;   in Loop: Header=BB4_6 Depth=1
	s_or_b64 exec, exec, s[2:3]
	s_mov_b64 s[2:3], -1
                                        ; implicit-def: $sgpr92_sgpr93
                                        ; implicit-def: $sgpr94_sgpr95
	s_and_saveexec_b64 s[90:91], s[12:13]
	s_cbranch_execz .LBB4_397
; %bb.320:                              ;   in Loop: Header=BB4_6 Depth=1
	s_cmp_eq_u32 s39, 1
	s_cselect_b64 s[2:3], -1, 0
	v_cmp_eq_u32_e32 vcc, 1, v2
	s_and_b64 s[14:15], s[2:3], vcc
	s_mov_b64 s[2:3], -1
                                        ; implicit-def: $sgpr94_sgpr95
                                        ; implicit-def: $sgpr92_sgpr93
	s_and_saveexec_b64 s[12:13], s[14:15]
	s_cbranch_execz .LBB4_346
; %bb.321:                              ;   in Loop: Header=BB4_6 Depth=1
	ds_read_b32 v3, v23 offset:4096
	s_waitcnt lgkmcnt(0)
	s_barrier
	v_readfirstlane_b32 s44, v3
	s_mov_b64 s[2:3], exec
	v_readlane_b32 s8, v51, 21
	v_readlane_b32 s9, v51, 22
	s_and_b64 s[8:9], s[2:3], s[8:9]
	s_mov_b64 exec, s[8:9]
; %bb.322:                              ;   in Loop: Header=BB4_6 Depth=1
	ds_write_b8 v0, v23 offset:3072
; %bb.323:                              ;   in Loop: Header=BB4_6 Depth=1
	s_or_b64 exec, exec, s[2:3]
	v_and_b32_e32 v3, s38, v31
	v_lshl_or_b32 v31, 1, s20, v3
	v_or_b32_e32 v38, s18, v38
	s_mov_b64 s[92:93], -1
	s_mov_b64 s[94:95], 0
	s_cmp_eq_u32 s44, 0
	s_mov_b64 s[16:17], 0
	s_mov_b64 s[2:3], -1
	s_waitcnt lgkmcnt(0)
	s_barrier
                                        ; implicit-def: $vgpr39
	s_cbranch_scc1 .LBB4_334
; %bb.324:                              ;   in Loop: Header=BB4_6 Depth=1
	v_readlane_b32 s2, v51, 23
	s_add_i32 s2, s44, s2
	v_readlane_b32 s3, v51, 45
	s_mul_hi_u32 s3, s2, s3
	s_mul_i32 s3, s3, s33
	s_sub_i32 s3, s2, s3
	s_sub_i32 s8, s3, s33
	s_cmp_ge_u32 s3, s33
	s_cselect_b32 s3, s8, s3
	s_sub_i32 s8, s3, s33
	s_cmp_ge_u32 s3, s33
	s_cselect_b32 s3, s8, s3
	s_sub_i32 s45, s2, s3
	v_cmp_gt_u32_e32 vcc, s45, v0
	s_mov_b64 s[2:3], 0
                                        ; implicit-def: $vgpr39
	s_and_saveexec_b64 s[24:25], vcc
	s_cbranch_execz .LBB4_333
; %bb.325:                              ;   in Loop: Header=BB4_6 Depth=1
	v_mov_b32_e32 v3, v0
                                        ; implicit-def: $sgpr28_sgpr29
	s_branch .LBB4_328
.LBB4_326:                              ;   in Loop: Header=BB4_328 Depth=2
	s_or_b64 exec, exec, s[42:43]
	s_waitcnt lgkmcnt(0)
	s_barrier
	ds_read_u16 v4, v23 offset:3072
	s_mov_b64 s[8:9], -1
	s_waitcnt lgkmcnt(0)
	s_barrier
	v_cmp_ne_u32_sdwa s[22:23], v4, v23 src0_sel:BYTE_0 src1_sel:DWORD
	s_and_b64 vcc, exec, s[22:23]
	s_mov_b64 s[22:23], -1
	s_cbranch_vccz .LBB4_331
.LBB4_327:                              ;   in Loop: Header=BB4_328 Depth=2
	s_and_b64 s[8:9], exec, s[8:9]
	s_or_b64 s[16:17], s[8:9], s[16:17]
	s_andn2_b64 s[8:9], s[28:29], exec
	s_and_b64 s[22:23], s[22:23], exec
	s_or_b64 s[28:29], s[8:9], s[22:23]
	s_andn2_b64 exec, exec, s[16:17]
	s_cbranch_execz .LBB4_332
.LBB4_328:                              ;   Parent Loop BB4_6 Depth=1
                                        ; =>  This Inner Loop Header: Depth=2
	v_cmp_gt_u32_e32 vcc, s44, v3
	s_and_saveexec_b64 s[42:43], vcc
	s_cbranch_execz .LBB4_326
; %bb.329:                              ;   in Loop: Header=BB4_328 Depth=2
	ds_read_u8 v4, v3
	s_waitcnt lgkmcnt(0)
	v_and_b32_e32 v5, v4, v38
	v_cmp_eq_u32_sdwa s[8:9], v5, v31 src0_sel:BYTE_0 src1_sel:DWORD
	s_and_b64 exec, exec, s[8:9]
	s_cbranch_execz .LBB4_326
; %bb.330:                              ;   in Loop: Header=BB4_328 Depth=2
	v_lshlrev_b16_e32 v4, 8, v4
	v_or_b32_e32 v4, 1, v4
	ds_write_b16 v23, v4 offset:3072
	s_branch .LBB4_326
.LBB4_331:                              ;   in Loop: Header=BB4_328 Depth=2
	v_add_u32_e32 v3, s33, v3
	v_cmp_le_u32_e32 vcc, s45, v3
	s_mov_b64 s[22:23], 0
	s_orn2_b64 s[8:9], vcc, exec
	s_branch .LBB4_327
.LBB4_332:                              ;   in Loop: Header=BB4_6 Depth=1
	s_or_b64 exec, exec, s[16:17]
	v_lshrrev_b32_sdwa v39, v37, v4 dst_sel:DWORD dst_unused:UNUSED_PAD src0_sel:DWORD src1_sel:WORD_0
	s_and_b64 s[16:17], s[28:29], exec
.LBB4_333:                              ;   in Loop: Header=BB4_6 Depth=1
	s_or_b64 exec, exec, s[24:25]
.LBB4_334:                              ;   in Loop: Header=BB4_6 Depth=1
	s_and_b64 vcc, exec, s[2:3]
	s_cbranch_vccz .LBB4_345
; %bb.335:                              ;   in Loop: Header=BB4_6 Depth=1
                                        ; implicit-def: $vgpr39
	s_mov_b64 s[2:3], exec
	v_readlane_b32 s8, v51, 46
	v_readlane_b32 s9, v51, 47
	s_and_b64 s[8:9], s[2:3], s[8:9]
	s_mov_b64 exec, s[8:9]
	s_cbranch_execz .LBB4_344
; %bb.336:                              ;   in Loop: Header=BB4_6 Depth=1
	s_mov_b64 s[24:25], 0
	v_mov_b32_e32 v3, v22
	v_mov_b32_e32 v4, v0
                                        ; implicit-def: $sgpr28_sgpr29
	s_branch .LBB4_339
.LBB4_337:                              ;   in Loop: Header=BB4_339 Depth=2
	s_or_b64 exec, exec, s[42:43]
	s_waitcnt lgkmcnt(0)
	s_barrier
	ds_read_u16 v5, v23 offset:3072
	s_mov_b64 s[22:23], -1
	s_mov_b64 s[42:43], -1
	s_waitcnt lgkmcnt(0)
	s_barrier
	v_cmp_eq_u32_sdwa s[8:9], v5, v23 src0_sel:BYTE_0 src1_sel:DWORD
	s_and_b64 vcc, exec, s[8:9]
	s_cbranch_vccnz .LBB4_342
.LBB4_338:                              ;   in Loop: Header=BB4_339 Depth=2
	s_and_b64 s[8:9], exec, s[22:23]
	s_or_b64 s[24:25], s[8:9], s[24:25]
	s_andn2_b64 s[8:9], s[28:29], exec
	s_and_b64 s[22:23], s[42:43], exec
	s_or_b64 s[28:29], s[8:9], s[22:23]
	s_andn2_b64 exec, exec, s[24:25]
	s_cbranch_execz .LBB4_343
.LBB4_339:                              ;   Parent Loop BB4_6 Depth=1
                                        ; =>  This Inner Loop Header: Depth=2
	v_cmp_gt_u32_e32 vcc, s36, v4
	s_and_saveexec_b64 s[42:43], vcc
	s_cbranch_execz .LBB4_337
; %bb.340:                              ;   in Loop: Header=BB4_339 Depth=2
	global_load_ubyte v5, v3, s[40:41]
	s_waitcnt vmcnt(0)
	v_and_b32_e32 v6, v5, v38
	v_cmp_eq_u32_sdwa s[8:9], v6, v31 src0_sel:BYTE_0 src1_sel:DWORD
	s_and_b64 exec, exec, s[8:9]
	s_cbranch_execz .LBB4_337
; %bb.341:                              ;   in Loop: Header=BB4_339 Depth=2
	v_lshlrev_b16_e32 v5, 8, v5
	v_or_b32_e32 v5, 1, v5
	ds_write_b16 v23, v5 offset:3072
	s_branch .LBB4_337
.LBB4_342:                              ;   in Loop: Header=BB4_339 Depth=2
	v_add_u32_e32 v4, s33, v4
	v_cmp_le_u32_e32 vcc, s10, v4
	v_add_u32_e32 v3, s48, v3
	s_mov_b64 s[42:43], 0
	s_orn2_b64 s[22:23], vcc, exec
	s_branch .LBB4_338
.LBB4_343:                              ;   in Loop: Header=BB4_6 Depth=1
	s_or_b64 exec, exec, s[24:25]
	s_andn2_b64 s[8:9], s[16:17], exec
	s_and_b64 s[16:17], s[28:29], exec
	v_lshrrev_b32_sdwa v39, v37, v5 dst_sel:DWORD dst_unused:UNUSED_PAD src0_sel:DWORD src1_sel:WORD_0
	s_or_b64 s[16:17], s[8:9], s[16:17]
.LBB4_344:                              ;   in Loop: Header=BB4_6 Depth=1
	s_or_b64 exec, exec, s[2:3]
	s_mov_b64 s[92:93], 0
	s_mov_b64 s[94:95], -1
.LBB4_345:                              ;   in Loop: Header=BB4_6 Depth=1
	s_orn2_b64 s[2:3], s[16:17], exec
.LBB4_346:                              ;   in Loop: Header=BB4_6 Depth=1
	s_or_b64 exec, exec, s[12:13]
	s_mov_b64 s[12:13], 0
	s_and_saveexec_b64 s[42:43], s[2:3]
	s_cbranch_execz .LBB4_396
; %bb.347:                              ;   in Loop: Header=BB4_6 Depth=1
	s_xor_b64 s[8:9], s[14:15], -1
	v_mov_b32_e32 v3, 1
	v_mov_b32_e32 v1, 1
	s_and_saveexec_b64 s[2:3], s[8:9]
	s_cbranch_execz .LBB4_356
; %bb.348:                              ;   in Loop: Header=BB4_6 Depth=1
	v_cmp_ge_u32_e32 vcc, s39, v2
	s_and_saveexec_b64 s[8:9], vcc
	s_xor_b64 s[12:13], exec, s[8:9]
	s_cbranch_execz .LBB4_353
; %bb.349:                              ;   in Loop: Header=BB4_6 Depth=1
	v_and_b32_e32 v1, s38, v31
	v_lshl_or_b32 v31, 1, s20, v1
	ds_read_b32 v1, v23 offset:4096
	v_or_b32_e32 v38, s18, v38
	s_waitcnt lgkmcnt(0)
	v_cmp_ne_u32_e32 vcc, 0, v1
	s_cbranch_vccnz .LBB4_353
; %bb.350:                              ;   in Loop: Header=BB4_6 Depth=1
	s_mov_b64 s[8:9], exec
	v_readlane_b32 s14, v51, 6
	v_readlane_b32 s15, v51, 7
	s_and_b64 s[14:15], s[8:9], s[14:15]
	s_mov_b64 exec, s[14:15]
; %bb.351:                              ;   in Loop: Header=BB4_6 Depth=1
	v_mov_b32_e32 v1, s39
	ds_write_b32 v23, v1 offset:4100
; %bb.352:                              ;   in Loop: Header=BB4_6 Depth=1
	s_or_b64 exec, exec, s[8:9]
	s_waitcnt lgkmcnt(0)
	s_barrier
.LBB4_353:                              ;   in Loop: Header=BB4_6 Depth=1
	s_or_saveexec_b64 s[12:13], s[12:13]
	s_mov_b64 s[14:15], 0
	v_mov_b32_e32 v1, 5
	s_xor_b64 exec, exec, s[12:13]
; %bb.354:                              ;   in Loop: Header=BB4_6 Depth=1
	v_subrev_u32_e32 v2, s39, v2
	v_mov_b32_e32 v1, 0
	s_mov_b64 s[14:15], exec
; %bb.355:                              ;   in Loop: Header=BB4_6 Depth=1
	s_or_b64 exec, exec, s[12:13]
	s_and_b64 s[12:13], s[14:15], exec
	v_mov_b32_e32 v3, v2
.LBB4_356:                              ;   in Loop: Header=BB4_6 Depth=1
	s_or_b64 exec, exec, s[2:3]
	s_mov_b64 s[2:3], -1
                                        ; implicit-def: $sgpr16_sgpr17
                                        ; implicit-def: $sgpr14_sgpr15
	s_and_saveexec_b64 s[44:45], s[12:13]
	s_cbranch_execz .LBB4_395
; %bb.357:                              ;   in Loop: Header=BB4_6 Depth=1
	s_cmp_eq_u32 s5, 1
	s_cselect_b64 s[2:3], -1, 0
	v_cmp_eq_u32_e32 vcc, 1, v3
	s_and_b64 s[12:13], s[2:3], vcc
	s_mov_b64 s[28:29], -1
                                        ; implicit-def: $sgpr16_sgpr17
                                        ; implicit-def: $sgpr14_sgpr15
	s_and_saveexec_b64 s[24:25], s[12:13]
	s_cbranch_execz .LBB4_383
; %bb.358:                              ;   in Loop: Header=BB4_6 Depth=1
	ds_read_b32 v2, v23 offset:4096
	s_waitcnt lgkmcnt(0)
	s_barrier
	v_readfirstlane_b32 s39, v2
	s_mov_b64 s[2:3], exec
	v_readlane_b32 s8, v51, 21
	v_readlane_b32 s9, v51, 22
	s_and_b64 s[8:9], s[2:3], s[8:9]
	s_mov_b64 exec, s[8:9]
; %bb.359:                              ;   in Loop: Header=BB4_6 Depth=1
	ds_write_b8 v0, v23 offset:3072
; %bb.360:                              ;   in Loop: Header=BB4_6 Depth=1
	s_or_b64 exec, exec, s[2:3]
	v_and_b32_e32 v31, s38, v31
	v_or_b32_e32 v38, s18, v38
	s_mov_b64 s[14:15], -1
	s_mov_b64 s[16:17], 0
	s_cmp_eq_u32 s39, 0
	s_mov_b64 s[28:29], 0
	s_mov_b64 s[2:3], -1
	s_waitcnt lgkmcnt(0)
	s_barrier
                                        ; implicit-def: $vgpr39
	s_cbranch_scc1 .LBB4_371
; %bb.361:                              ;   in Loop: Header=BB4_6 Depth=1
	v_readlane_b32 s2, v51, 23
	s_add_i32 s2, s39, s2
	v_readlane_b32 s3, v51, 45
	s_mul_hi_u32 s3, s2, s3
	s_mul_i32 s3, s3, s33
	s_sub_i32 s3, s2, s3
	s_sub_i32 s8, s3, s33
	s_cmp_ge_u32 s3, s33
	s_cselect_b32 s3, s8, s3
	s_sub_i32 s8, s3, s33
	s_cmp_ge_u32 s3, s33
	s_cselect_b32 s3, s8, s3
	s_sub_i32 s46, s2, s3
	v_cmp_gt_u32_e32 vcc, s46, v0
	s_mov_b64 s[2:3], 0
                                        ; implicit-def: $vgpr39
	s_and_saveexec_b64 s[52:53], vcc
	s_cbranch_execz .LBB4_370
; %bb.362:                              ;   in Loop: Header=BB4_6 Depth=1
	v_mov_b32_e32 v2, v0
                                        ; implicit-def: $sgpr54_sgpr55
	s_branch .LBB4_365
.LBB4_363:                              ;   in Loop: Header=BB4_365 Depth=2
	s_or_b64 exec, exec, s[56:57]
	s_waitcnt lgkmcnt(0)
	s_barrier
	ds_read_u16 v4, v23 offset:3072
	s_mov_b64 s[8:9], -1
	s_waitcnt lgkmcnt(0)
	s_barrier
	v_cmp_ne_u32_sdwa s[22:23], v4, v23 src0_sel:BYTE_0 src1_sel:DWORD
	s_and_b64 vcc, exec, s[22:23]
	s_mov_b64 s[22:23], -1
	s_cbranch_vccz .LBB4_368
.LBB4_364:                              ;   in Loop: Header=BB4_365 Depth=2
	s_and_b64 s[8:9], exec, s[8:9]
	s_or_b64 s[28:29], s[8:9], s[28:29]
	s_andn2_b64 s[8:9], s[54:55], exec
	s_and_b64 s[22:23], s[22:23], exec
	s_or_b64 s[54:55], s[8:9], s[22:23]
	s_andn2_b64 exec, exec, s[28:29]
	s_cbranch_execz .LBB4_369
.LBB4_365:                              ;   Parent Loop BB4_6 Depth=1
                                        ; =>  This Inner Loop Header: Depth=2
	v_cmp_gt_u32_e32 vcc, s39, v2
	s_and_saveexec_b64 s[56:57], vcc
	s_cbranch_execz .LBB4_363
; %bb.366:                              ;   in Loop: Header=BB4_365 Depth=2
	ds_read_u8 v4, v2
	s_waitcnt lgkmcnt(0)
	v_and_b32_e32 v5, v4, v38
	v_cmp_eq_u32_sdwa s[8:9], v5, v31 src0_sel:BYTE_0 src1_sel:DWORD
	s_and_b64 exec, exec, s[8:9]
	s_cbranch_execz .LBB4_363
; %bb.367:                              ;   in Loop: Header=BB4_365 Depth=2
	v_lshlrev_b16_e32 v4, 8, v4
	v_or_b32_e32 v4, 1, v4
	ds_write_b16 v23, v4 offset:3072
	s_branch .LBB4_363
.LBB4_368:                              ;   in Loop: Header=BB4_365 Depth=2
	v_add_u32_e32 v2, s33, v2
	v_cmp_le_u32_e32 vcc, s46, v2
	s_mov_b64 s[22:23], 0
	s_orn2_b64 s[8:9], vcc, exec
	s_branch .LBB4_364
.LBB4_369:                              ;   in Loop: Header=BB4_6 Depth=1
	s_or_b64 exec, exec, s[28:29]
	v_lshrrev_b32_sdwa v39, v37, v4 dst_sel:DWORD dst_unused:UNUSED_PAD src0_sel:DWORD src1_sel:WORD_0
	s_and_b64 s[28:29], s[54:55], exec
.LBB4_370:                              ;   in Loop: Header=BB4_6 Depth=1
	s_or_b64 exec, exec, s[52:53]
.LBB4_371:                              ;   in Loop: Header=BB4_6 Depth=1
	s_and_b64 vcc, exec, s[2:3]
	s_cbranch_vccz .LBB4_382
; %bb.372:                              ;   in Loop: Header=BB4_6 Depth=1
                                        ; implicit-def: $vgpr39
	s_mov_b64 s[2:3], exec
	v_readlane_b32 s8, v51, 46
	v_readlane_b32 s9, v51, 47
	s_and_b64 s[8:9], s[2:3], s[8:9]
	s_mov_b64 exec, s[8:9]
	s_cbranch_execz .LBB4_381
; %bb.373:                              ;   in Loop: Header=BB4_6 Depth=1
	s_mov_b64 s[14:15], 0
	v_mov_b32_e32 v2, v22
	v_mov_b32_e32 v4, v0
                                        ; implicit-def: $sgpr16_sgpr17
	s_branch .LBB4_376
.LBB4_374:                              ;   in Loop: Header=BB4_376 Depth=2
	s_or_b64 exec, exec, s[52:53]
	s_waitcnt lgkmcnt(0)
	s_barrier
	ds_read_u16 v5, v23 offset:3072
	s_mov_b64 s[22:23], -1
	s_mov_b64 s[52:53], -1
	s_waitcnt lgkmcnt(0)
	s_barrier
	v_cmp_eq_u32_sdwa s[8:9], v5, v23 src0_sel:BYTE_0 src1_sel:DWORD
	s_and_b64 vcc, exec, s[8:9]
	s_cbranch_vccnz .LBB4_379
.LBB4_375:                              ;   in Loop: Header=BB4_376 Depth=2
	s_and_b64 s[8:9], exec, s[22:23]
	s_or_b64 s[14:15], s[8:9], s[14:15]
	s_andn2_b64 s[8:9], s[16:17], exec
	s_and_b64 s[16:17], s[52:53], exec
	s_or_b64 s[16:17], s[8:9], s[16:17]
	s_andn2_b64 exec, exec, s[14:15]
	s_cbranch_execz .LBB4_380
.LBB4_376:                              ;   Parent Loop BB4_6 Depth=1
                                        ; =>  This Inner Loop Header: Depth=2
	v_cmp_gt_u32_e32 vcc, s36, v4
	s_and_saveexec_b64 s[52:53], vcc
	s_cbranch_execz .LBB4_374
; %bb.377:                              ;   in Loop: Header=BB4_376 Depth=2
	global_load_ubyte v5, v2, s[40:41]
	s_waitcnt vmcnt(0)
	v_and_b32_e32 v6, v5, v38
	v_cmp_eq_u32_sdwa s[8:9], v6, v31 src0_sel:BYTE_0 src1_sel:DWORD
	s_and_b64 exec, exec, s[8:9]
	s_cbranch_execz .LBB4_374
; %bb.378:                              ;   in Loop: Header=BB4_376 Depth=2
	v_lshlrev_b16_e32 v5, 8, v5
	v_or_b32_e32 v5, 1, v5
	ds_write_b16 v23, v5 offset:3072
	s_branch .LBB4_374
.LBB4_379:                              ;   in Loop: Header=BB4_376 Depth=2
	v_add_u32_e32 v4, s33, v4
	v_cmp_le_u32_e32 vcc, s10, v4
	v_add_u32_e32 v2, s48, v2
	s_mov_b64 s[52:53], 0
	s_orn2_b64 s[22:23], vcc, exec
	s_branch .LBB4_375
.LBB4_380:                              ;   in Loop: Header=BB4_6 Depth=1
	s_or_b64 exec, exec, s[14:15]
	s_andn2_b64 s[8:9], s[28:29], exec
	s_and_b64 s[14:15], s[16:17], exec
	v_lshrrev_b32_sdwa v39, v37, v5 dst_sel:DWORD dst_unused:UNUSED_PAD src0_sel:DWORD src1_sel:WORD_0
	s_or_b64 s[28:29], s[8:9], s[14:15]
.LBB4_381:                              ;   in Loop: Header=BB4_6 Depth=1
	s_or_b64 exec, exec, s[2:3]
	s_mov_b64 s[14:15], 0
	s_mov_b64 s[16:17], -1
.LBB4_382:                              ;   in Loop: Header=BB4_6 Depth=1
	s_orn2_b64 s[28:29], s[28:29], exec
.LBB4_383:                              ;   in Loop: Header=BB4_6 Depth=1
	s_or_b64 exec, exec, s[24:25]
	s_mov_b64 s[24:25], 0
	s_and_saveexec_b64 s[2:3], s[28:29]
	s_cbranch_execz .LBB4_394
; %bb.384:                              ;   in Loop: Header=BB4_6 Depth=1
	s_xor_b64 s[8:9], s[12:13], -1
	v_mov_b32_e32 v1, 1
	v_mov_b32_e32 v2, 1
	s_and_saveexec_b64 s[12:13], s[8:9]
	s_cbranch_execz .LBB4_393
; %bb.385:                              ;   in Loop: Header=BB4_6 Depth=1
	v_cmp_ge_u32_e32 vcc, s5, v3
	s_and_saveexec_b64 s[8:9], vcc
	s_xor_b64 s[24:25], exec, s[8:9]
	s_cbranch_execz .LBB4_390
; %bb.386:                              ;   in Loop: Header=BB4_6 Depth=1
	ds_read_b32 v1, v23 offset:4096
	v_and_b32_e32 v31, s38, v31
	v_or_b32_e32 v38, s18, v38
	s_waitcnt lgkmcnt(0)
	v_cmp_ne_u32_e32 vcc, 0, v1
	s_cbranch_vccnz .LBB4_390
; %bb.387:                              ;   in Loop: Header=BB4_6 Depth=1
	s_mov_b64 s[8:9], exec
	v_readlane_b32 s22, v51, 6
	v_readlane_b32 s23, v51, 7
	s_and_b64 s[22:23], s[8:9], s[22:23]
	s_mov_b64 exec, s[22:23]
; %bb.388:                              ;   in Loop: Header=BB4_6 Depth=1
	v_mov_b32_e32 v1, s5
	ds_write_b32 v23, v1 offset:4100
; %bb.389:                              ;   in Loop: Header=BB4_6 Depth=1
	s_or_b64 exec, exec, s[8:9]
	s_waitcnt lgkmcnt(0)
	s_barrier
.LBB4_390:                              ;   in Loop: Header=BB4_6 Depth=1
	s_andn2_saveexec_b64 s[24:25], s[24:25]
; %bb.391:                              ;   in Loop: Header=BB4_6 Depth=1
	v_subrev_u32_e32 v3, s5, v3
; %bb.392:                              ;   in Loop: Header=BB4_6 Depth=1
	s_or_b64 exec, exec, s[24:25]
	v_mov_b32_e32 v1, 5
	v_mov_b32_e32 v2, v3
.LBB4_393:                              ;   in Loop: Header=BB4_6 Depth=1
	s_or_b64 exec, exec, s[12:13]
	s_mov_b64 s[24:25], exec
	v_mov_b32_e32 v3, v2
.LBB4_394:                              ;   in Loop: Header=BB4_6 Depth=1
	s_or_b64 exec, exec, s[2:3]
	s_orn2_b64 s[2:3], s[24:25], exec
.LBB4_395:                              ;   in Loop: Header=BB4_6 Depth=1
	s_or_b64 exec, exec, s[44:45]
	s_andn2_b64 s[8:9], s[94:95], exec
	s_and_b64 s[12:13], s[16:17], exec
	s_or_b64 s[94:95], s[8:9], s[12:13]
	s_andn2_b64 s[8:9], s[92:93], exec
	s_and_b64 s[12:13], s[14:15], exec
	s_or_b64 s[92:93], s[8:9], s[12:13]
	s_and_b64 s[12:13], s[2:3], exec
	v_mov_b32_e32 v2, v3
.LBB4_396:                              ;   in Loop: Header=BB4_6 Depth=1
	s_or_b64 exec, exec, s[42:43]
	s_orn2_b64 s[2:3], s[12:13], exec
.LBB4_397:                              ;   in Loop: Header=BB4_6 Depth=1
	s_or_b64 exec, exec, s[90:91]
	s_andn2_b64 s[8:9], s[86:87], exec
	s_and_b64 s[12:13], s[94:95], exec
	s_or_b64 s[86:87], s[8:9], s[12:13]
	s_andn2_b64 s[8:9], s[84:85], exec
	s_and_b64 s[12:13], s[92:93], exec
	s_or_b64 s[84:85], s[8:9], s[12:13]
	s_and_b64 s[12:13], s[2:3], exec
	v_mov_b32_e32 v4, v2
.LBB4_398:                              ;   in Loop: Header=BB4_6 Depth=1
	s_or_b64 exec, exec, s[88:89]
	s_orn2_b64 s[2:3], s[12:13], exec
.LBB4_399:                              ;   in Loop: Header=BB4_6 Depth=1
	s_or_b64 exec, exec, s[6:7]
	s_mov_b64 s[6:7], s[80:81]
	s_mov_b64 s[12:13], s[34:35]
	s_and_saveexec_b64 s[14:15], s[2:3]
; %bb.400:                              ;   in Loop: Header=BB4_6 Depth=1
	v_cmp_ne_u32_e64 s[6:7], 5, v1
	v_cmp_eq_u32_e32 vcc, 5, v1
	s_andn2_b64 s[2:3], s[34:35], exec
	s_and_b64 s[6:7], s[6:7], exec
	s_or_b64 s[12:13], s[2:3], s[6:7]
	s_andn2_b64 s[2:3], s[80:81], exec
	s_and_b64 s[6:7], vcc, exec
	s_or_b64 s[6:7], s[2:3], s[6:7]
; %bb.401:                              ;   in Loop: Header=BB4_6 Depth=1
	s_or_b64 exec, exec, s[14:15]
	s_andn2_b64 s[2:3], s[26:27], exec
	s_and_b64 s[8:9], s[86:87], exec
	s_or_b64 s[26:27], s[2:3], s[8:9]
	s_andn2_b64 s[2:3], s[30:31], exec
	s_and_b64 s[8:9], s[84:85], exec
	s_or_b64 s[30:31], s[2:3], s[8:9]
	;; [unrolled: 3-line block ×4, first 2 shown]
.LBB4_402:                              ;   in Loop: Header=BB4_6 Depth=1
	s_or_b64 exec, exec, s[82:83]
	s_mov_b64 s[82:83], 0
	s_mov_b64 s[84:85], 0
	s_and_saveexec_b64 s[2:3], s[80:81]
.LBB4_403:                              ;   in Loop: Header=BB4_6 Depth=1
	v_mov_b32_e32 v1, 0
	s_or_b64 s[34:35], s[34:35], exec
.LBB4_404:                              ;   in Loop: Header=BB4_6 Depth=1
	s_or_b64 exec, exec, s[2:3]
	s_andn2_b64 s[2:3], s[76:77], exec
	s_and_b64 s[8:9], s[26:27], exec
	s_or_b64 s[76:77], s[2:3], s[8:9]
	s_andn2_b64 s[2:3], s[74:75], exec
	s_and_b64 s[8:9], s[30:31], exec
	s_or_b64 s[74:75], s[2:3], s[8:9]
	;; [unrolled: 3-line block ×3, first 2 shown]
	s_andn2_b64 s[2:3], s[70:71], exec
	s_and_b64 s[8:9], s[82:83], exec
	s_mov_b64 s[6:7], -1
	s_andn2_b64 s[78:79], s[78:79], exec
	s_or_b64 s[70:71], s[2:3], s[8:9]
	v_mov_b32_e32 v40, v4
	s_and_saveexec_b64 s[2:3], s[34:35]
	s_xor_b64 s[2:3], exec, s[2:3]
	s_cbranch_execz .LBB4_5
; %bb.405:                              ;   in Loop: Header=BB4_6 Depth=1
	v_cmp_eq_u32_e32 vcc, 0, v1
	s_mov_b64 s[12:13], -1
	s_and_saveexec_b64 s[14:15], vcc
	s_cbranch_execz .LBB4_4
; %bb.406:                              ;   in Loop: Header=BB4_6 Depth=1
	s_xor_b32 s50, s50, 1
	s_add_i32 s5, s20, -2
	s_cmp_eq_u32 s20, 0
	s_cselect_b64 s[6:7], -1, 0
	s_xor_b64 s[12:13], exec, -1
	s_orn2_b64 s[6:7], s[6:7], exec
	s_mov_b32 s20, s5
	s_branch .LBB4_4
.LBB4_407:
	s_or_b64 exec, exec, s[58:59]
	s_xor_b64 s[6:7], s[66:67], -1
	s_xor_b64 s[18:19], s[64:65], -1
	;; [unrolled: 1-line block ×5, first 2 shown]
	s_mov_b64 s[12:13], 0
	s_and_saveexec_b64 s[10:11], s[4:5]
	s_xor_b64 s[10:11], exec, s[10:11]
	s_cbranch_execnz .LBB4_412
; %bb.408:
	s_andn2_saveexec_b64 s[0:1], s[10:11]
	s_cbranch_execnz .LBB4_431
.LBB4_409:
	s_or_b64 exec, exec, s[0:1]
	s_and_saveexec_b64 s[0:1], s[12:13]
.LBB4_410:
	; divergent unreachable
.LBB4_411:
	s_endpgm
.LBB4_412:
	s_mov_b64 s[14:15], 0
	s_and_saveexec_b64 s[4:5], s[8:9]
	s_xor_b64 s[12:13], exec, s[4:5]
	s_cbranch_execz .LBB4_429
; %bb.413:
	s_mov_b64 s[16:17], 0
	s_and_saveexec_b64 s[4:5], s[18:19]
	s_xor_b64 s[14:15], exec, s[4:5]
	s_cbranch_execz .LBB4_427
; %bb.414:
	;; [unrolled: 5-line block ×3, first 2 shown]
	s_and_saveexec_b64 s[4:5], s[2:3]
	s_xor_b64 s[2:3], exec, s[4:5]
; %bb.416:
	v_mov_b32_e32 v39, v31
; %bb.417:
	s_or_b64 exec, exec, s[2:3]
	s_mov_b64 s[2:3], exec
	v_readlane_b32 s4, v51, 6
	v_readlane_b32 s5, v51, 7
	;; [unrolled: 1-line block ×3, first 2 shown]
	s_and_b64 s[4:5], s[2:3], s[4:5]
	v_readlane_b32 s45, v51, 10
	s_mov_b64 exec, s[4:5]
; %bb.418:
	v_mov_b32_e32 v1, 0
	ds_write_b32 v1, v1 offset:4108
; %bb.419:
	s_or_b64 exec, exec, s[2:3]
	v_mov_b32_e32 v3, 0
	s_waitcnt lgkmcnt(0)
	s_barrier
	s_mov_b64 s[2:3], exec
	v_readlane_b32 s4, v51, 17
	v_readlane_b32 s5, v51, 18
	s_and_b64 s[4:5], s[2:3], s[4:5]
	s_mov_b64 exec, s[4:5]
	s_cbranch_execz .LBB4_421
; %bb.420:
	global_load_ubyte v3, v[13:14], off
.LBB4_421:
	s_or_b64 exec, exec, s[2:3]
	v_readlane_b32 s4, v51, 4
	v_readlane_b32 s5, v51, 5
	s_load_dword s2, s[4:5], 0x15c
	s_load_dword s3, s[4:5], 0x23c
	s_add_i32 s34, s36, 63
	s_load_dword s35, s[4:5], 0x2a8
	s_load_dword s38, s[4:5], 0x1c8
	v_readlane_b32 s5, v51, 8
	s_andn2_b32 s34, s34, 63
	s_waitcnt lgkmcnt(0)
	s_mul_i32 s4, s2, s5
	v_readlane_b32 s6, v51, 2
	s_mul_i32 s2, s3, s5
	s_mov_b32 s3, 0
	v_readlane_b32 s7, v51, 3
	s_add_u32 s8, s6, s4
	s_addc_u32 s9, s7, 0
	s_lshl_b64 s[2:3], s[2:3], 3
	v_readlane_b32 s4, v51, 0
	v_readlane_b32 s5, v51, 1
	s_add_u32 s39, s4, s2
	s_addc_u32 s42, s5, s3
	v_cmp_gt_u32_e32 vcc, s34, v0
	s_mov_b64 s[2:3], -1
	s_mov_b64 s[4:5], 0
	s_and_saveexec_b64 s[20:21], vcc
	s_cbranch_execnz .LBB4_432
; %bb.422:
	s_or_b64 exec, exec, s[20:21]
	s_and_saveexec_b64 s[6:7], s[2:3]
	s_cbranch_execnz .LBB4_447
.LBB4_423:
	s_or_b64 exec, exec, s[6:7]
	s_and_saveexec_b64 s[0:1], s[4:5]
	s_xor_b64 s[0:1], exec, s[0:1]
	s_cbranch_execnz .LBB4_470
.LBB4_424:
	s_or_b64 exec, exec, s[0:1]
	s_and_b64 s[18:19], s[18:19], exec
.LBB4_425:
	s_andn2_saveexec_b64 s[0:1], s[16:17]
	s_cbranch_execnz .LBB4_472
.LBB4_426:
	s_or_b64 exec, exec, s[0:1]
	s_and_b64 s[16:17], s[18:19], exec
.LBB4_427:
	s_andn2_saveexec_b64 s[0:1], s[14:15]
	s_cbranch_execnz .LBB4_471
.LBB4_428:
	s_or_b64 exec, exec, s[0:1]
	s_and_b64 s[14:15], s[16:17], exec
.LBB4_429:
	s_andn2_saveexec_b64 s[0:1], s[12:13]
	s_cbranch_execnz .LBB4_466
.LBB4_430:
	s_or_b64 exec, exec, s[0:1]
	s_and_b64 s[12:13], s[14:15], exec
	s_andn2_saveexec_b64 s[0:1], s[10:11]
	s_cbranch_execz .LBB4_409
.LBB4_431:
	s_or_b64 s[12:13], s[12:13], exec
	s_trap 2
	s_or_b64 exec, exec, s[0:1]
	s_and_saveexec_b64 s[0:1], s[12:13]
	s_cbranch_execnz .LBB4_410
	s_branch .LBB4_411
.LBB4_432:
	v_add_u32_e32 v1, s33, v0
	v_mul_lo_u32 v4, s49, v1
	s_mov_b64 s[22:23], 0
	v_mov_b32_e32 v2, 0
	v_mov_b32_e32 v1, v0
                                        ; implicit-def: $sgpr24_sgpr25
                                        ; implicit-def: $vgpr7
	s_branch .LBB4_434
.LBB4_433:                              ;   in Loop: Header=BB4_434 Depth=1
	s_or_b64 exec, exec, s[26:27]
	s_xor_b64 s[4:5], s[6:7], -1
	s_and_b64 s[2:3], exec, s[2:3]
	s_or_b64 s[22:23], s[2:3], s[22:23]
	s_andn2_b64 s[2:3], s[24:25], exec
	s_and_b64 s[4:5], s[4:5], exec
	s_or_b64 s[24:25], s[2:3], s[4:5]
	v_mov_b32_e32 v3, v6
	v_mov_b32_e32 v1, v5
	s_andn2_b64 exec, exec, s[22:23]
	s_cbranch_execz .LBB4_446
.LBB4_434:                              ; =>This Inner Loop Header: Depth=1
	v_add_u32_e32 v5, s33, v1
	v_cmp_gt_u32_e64 s[4:5], s36, v5
	v_mov_b32_e32 v6, 0
	s_and_saveexec_b64 s[2:3], s[4:5]
	s_cbranch_execz .LBB4_436
; %bb.435:                              ;   in Loop: Header=BB4_434 Depth=1
	global_load_ubyte v6, v4, s[40:41]
.LBB4_436:                              ;   in Loop: Header=BB4_434 Depth=1
	s_or_b64 exec, exec, s[2:3]
	s_waitcnt vmcnt(0)
	v_cmp_gt_u16_sdwa s[2:3], v3, v39 src0_sel:BYTE_0 src1_sel:BYTE_0
	v_cndmask_b32_e64 v8, 0, 1, s[2:3]
	v_cmp_lt_u16_sdwa s[2:3], v3, v39 src0_sel:BYTE_0 src1_sel:BYTE_0
	v_cndmask_b32_e64 v9, 0, 1, s[2:3]
	v_cndmask_b32_e64 v8, v9, v8, s[44:45]
	v_and_b32_e32 v8, 1, v8
	v_cmp_gt_u32_e64 s[4:5], s36, v1
	v_cmp_eq_u32_e64 s[6:7], 1, v8
	s_and_b64 s[26:27], s[4:5], s[6:7]
	v_cndmask_b32_e64 v8, 0, 1, s[26:27]
	v_cmp_ne_u32_e64 s[4:5], 0, v8
	s_cmp_lg_u64 s[4:5], 0
	s_cselect_b64 s[2:3], -1, 0
	s_and_b64 s[6:7], s[0:1], s[2:3]
	s_and_saveexec_b64 s[2:3], s[6:7]
	s_cbranch_execz .LBB4_440
; %bb.437:                              ;   in Loop: Header=BB4_434 Depth=1
	s_mov_b64 s[30:31], exec
	s_waitcnt lgkmcnt(0)
	v_mbcnt_lo_u32_b32 v7, s30, 0
	v_mbcnt_hi_u32_b32 v7, s31, v7
	s_bcnt1_i32_b64 s43, s[4:5]
	v_cmp_eq_u32_e64 s[6:7], 0, v7
                                        ; implicit-def: $vgpr8
	s_and_saveexec_b64 s[28:29], s[6:7]
; %bb.438:                              ;   in Loop: Header=BB4_434 Depth=1
	s_bcnt1_i32_b64 s6, s[30:31]
	s_mul_i32 s6, s43, s6
	v_mov_b32_e32 v8, s6
	ds_add_rtn_u32 v8, v2, v8 offset:4108
; %bb.439:                              ;   in Loop: Header=BB4_434 Depth=1
	s_or_b64 exec, exec, s[28:29]
	s_waitcnt lgkmcnt(0)
	v_readfirstlane_b32 s6, v8
	v_mov_b32_e32 v8, s6
	v_mad_u32_u24 v7, s43, v7, v8
.LBB4_440:                              ;   in Loop: Header=BB4_434 Depth=1
	s_or_b64 exec, exec, s[2:3]
	s_waitcnt lgkmcnt(0)
	ds_bpermute_b32 v7, v17, v7
	s_mov_b64 s[2:3], -1
	s_mov_b64 s[28:29], -1
	s_and_saveexec_b64 s[6:7], s[26:27]
	s_cbranch_execz .LBB4_444
; %bb.441:                              ;   in Loop: Header=BB4_434 Depth=1
	v_and_b32_e32 v9, s4, v19
	v_and_b32_e32 v8, s5, v18
	v_bcnt_u32_b32 v9, v9, 0
	v_bcnt_u32_b32 v8, v8, v9
	s_waitcnt lgkmcnt(0)
	v_add_u32_e32 v8, v7, v8
	v_cmp_gt_u32_e64 s[4:5], s37, v8
	s_mov_b64 s[26:27], 0
	s_and_saveexec_b64 s[28:29], s[4:5]
; %bb.442:                              ;   in Loop: Header=BB4_434 Depth=1
	v_mul_lo_u32 v10, v8, s38
	v_mul_lo_u32 v8, v8, s35
	v_mov_b32_e32 v9, v2
	s_mov_b64 s[26:27], exec
	global_store_byte v10, v3, s[8:9]
	v_lshlrev_b64 v[8:9], 3, v[8:9]
	v_mov_b32_e32 v3, s42
	v_add_co_u32_e64 v8, s[4:5], s39, v8
	v_addc_co_u32_e64 v9, s[4:5], v3, v9, s[4:5]
	global_store_dwordx2 v[8:9], v[1:2], off
; %bb.443:                              ;   in Loop: Header=BB4_434 Depth=1
	s_or_b64 exec, exec, s[28:29]
	s_orn2_b64 s[28:29], s[26:27], exec
.LBB4_444:                              ;   in Loop: Header=BB4_434 Depth=1
	s_or_b64 exec, exec, s[6:7]
	s_mov_b64 s[6:7], -1
	s_and_saveexec_b64 s[26:27], s[28:29]
	s_cbranch_execz .LBB4_433
; %bb.445:                              ;   in Loop: Header=BB4_434 Depth=1
	v_cmp_le_u32_e64 s[4:5], s34, v5
	v_add_u32_e32 v4, s48, v4
	s_xor_b64 s[6:7], exec, -1
	s_orn2_b64 s[2:3], s[4:5], exec
	s_branch .LBB4_433
.LBB4_446:
	s_or_b64 exec, exec, s[22:23]
	s_mov_b64 s[4:5], exec
	s_orn2_b64 s[2:3], s[24:25], exec
	s_or_b64 exec, exec, s[20:21]
	s_and_saveexec_b64 s[6:7], s[2:3]
	s_cbranch_execz .LBB4_423
.LBB4_447:
	v_mov_b32_e32 v6, 0
	s_waitcnt vmcnt(0) lgkmcnt(0)
	s_barrier
	s_mov_b64 s[2:3], exec
	v_readlane_b32 s18, v51, 17
	v_readlane_b32 s19, v51, 18
	s_and_b64 s[18:19], s[2:3], s[18:19]
	s_mov_b64 exec, s[18:19]
	s_cbranch_execz .LBB4_449
; %bb.448:
	global_load_ubyte v6, v[13:14], off
.LBB4_449:
	s_or_b64 exec, exec, s[2:3]
	s_mov_b64 s[2:3], 0
	s_and_saveexec_b64 s[18:19], vcc
	s_cbranch_execz .LBB4_469
; %bb.450:
	v_add_u32_e32 v1, s33, v0
	v_mul_lo_u32 v2, s49, v1
	s_mov_b64 s[20:21], 0
	v_mov_b32_e32 v1, 0
                                        ; implicit-def: $sgpr22_sgpr23
                                        ; implicit-def: $vgpr5
	s_branch .LBB4_453
.LBB4_451:                              ;   in Loop: Header=BB4_453 Depth=1
	s_or_b64 exec, exec, s[26:27]
	s_orn2_b64 s[28:29], s[28:29], exec
	s_orn2_b64 s[26:27], s[24:25], exec
.LBB4_452:                              ;   in Loop: Header=BB4_453 Depth=1
	s_or_b64 exec, exec, s[2:3]
	s_xor_b64 s[2:3], s[28:29], -1
	s_and_b64 s[24:25], exec, s[26:27]
	s_or_b64 s[20:21], s[24:25], s[20:21]
	s_andn2_b64 s[22:23], s[22:23], exec
	s_and_b64 s[2:3], s[2:3], exec
	s_or_b64 s[22:23], s[22:23], s[2:3]
	v_mov_b32_e32 v0, v3
	v_mov_b32_e32 v6, v4
	s_andn2_b64 exec, exec, s[20:21]
	s_cbranch_execz .LBB4_467
.LBB4_453:                              ; =>This Inner Loop Header: Depth=1
	v_add_u32_e32 v3, s33, v0
	v_cmp_gt_u32_e32 vcc, s36, v3
	v_mov_b32_e32 v4, 0
	s_and_saveexec_b64 s[2:3], vcc
	s_cbranch_execz .LBB4_455
; %bb.454:                              ;   in Loop: Header=BB4_453 Depth=1
	global_load_ubyte v4, v2, s[40:41]
.LBB4_455:                              ;   in Loop: Header=BB4_453 Depth=1
	s_or_b64 exec, exec, s[2:3]
	v_cmp_gt_u32_e32 vcc, s36, v0
	s_waitcnt vmcnt(0)
	v_cmp_eq_u16_sdwa s[2:3], v6, v39 src0_sel:BYTE_0 src1_sel:BYTE_0
	s_and_b64 s[24:25], vcc, s[2:3]
	v_cndmask_b32_e64 v6, 0, 1, s[24:25]
	v_cmp_ne_u32_e32 vcc, 0, v6
	s_cmp_lg_u64 vcc, 0
	s_cselect_b64 s[2:3], -1, 0
	s_and_b64 s[2:3], s[0:1], s[2:3]
	s_and_saveexec_b64 s[26:27], s[2:3]
	s_cbranch_execz .LBB4_459
; %bb.456:                              ;   in Loop: Header=BB4_453 Depth=1
	s_mov_b64 s[30:31], exec
	v_mbcnt_lo_u32_b32 v5, s30, 0
	v_mbcnt_hi_u32_b32 v5, s31, v5
	s_bcnt1_i32_b64 s43, vcc
	v_cmp_eq_u32_e64 s[2:3], 0, v5
                                        ; implicit-def: $vgpr6
	s_and_saveexec_b64 s[28:29], s[2:3]
; %bb.457:                              ;   in Loop: Header=BB4_453 Depth=1
	s_bcnt1_i32_b64 s2, s[30:31]
	s_mul_i32 s2, s43, s2
	v_mov_b32_e32 v6, s2
	ds_add_rtn_u32 v6, v1, v6 offset:4108
; %bb.458:                              ;   in Loop: Header=BB4_453 Depth=1
	s_or_b64 exec, exec, s[28:29]
	s_waitcnt lgkmcnt(0)
	v_readfirstlane_b32 s2, v6
	v_mov_b32_e32 v6, s2
	v_mad_u32_u24 v5, s43, v5, v6
.LBB4_459:                              ;   in Loop: Header=BB4_453 Depth=1
	s_or_b64 exec, exec, s[26:27]
	ds_bpermute_b32 v5, v17, v5
	s_cmp_eq_u64 vcc, 0
	s_cselect_b64 s[28:29], -1, 0
	s_mov_b64 s[26:27], -1
	s_waitcnt lgkmcnt(0)
	v_cmp_gt_u32_e64 s[2:3], s37, v5
	s_or_b64 s[30:31], s[28:29], s[2:3]
	s_mov_b64 s[28:29], -1
	s_and_saveexec_b64 s[2:3], s[30:31]
	s_cbranch_execz .LBB4_452
; %bb.460:                              ;   in Loop: Header=BB4_453 Depth=1
	v_and_b32_e32 v7, vcc_lo, v19
	v_and_b32_e32 v6, vcc_hi, v18
	v_bcnt_u32_b32 v7, v7, 0
	v_bcnt_u32_b32 v6, v6, v7
	v_sub_u32_e32 v7, s37, v5
	v_cmp_gt_u32_e32 vcc, v7, v6
	s_and_b64 s[44:45], s[24:25], vcc
	s_mov_b64 s[24:25], -1
	s_mov_b64 s[30:31], -1
	s_and_saveexec_b64 s[26:27], s[44:45]
	s_cbranch_execz .LBB4_464
; %bb.461:                              ;   in Loop: Header=BB4_453 Depth=1
	v_add_u32_e32 v6, v5, v6
	v_cmp_gt_u32_e32 vcc, s37, v6
	s_mov_b64 s[30:31], 0
	s_and_saveexec_b64 s[28:29], vcc
; %bb.462:                              ;   in Loop: Header=BB4_453 Depth=1
	v_mul_lo_u32 v8, v6, s38
	v_mul_lo_u32 v6, v6, s35
	v_mov_b32_e32 v7, v1
	s_mov_b64 s[30:31], exec
	global_store_byte v8, v39, s[8:9]
	v_lshlrev_b64 v[6:7], 3, v[6:7]
	v_mov_b32_e32 v8, s42
	v_add_co_u32_e32 v6, vcc, s39, v6
	v_addc_co_u32_e32 v7, vcc, v8, v7, vcc
	global_store_dwordx2 v[6:7], v[0:1], off
; %bb.463:                              ;   in Loop: Header=BB4_453 Depth=1
	s_or_b64 exec, exec, s[28:29]
	s_xor_b64 s[28:29], exec, -1
	s_orn2_b64 s[30:31], s[30:31], exec
.LBB4_464:                              ;   in Loop: Header=BB4_453 Depth=1
	s_or_b64 exec, exec, s[26:27]
	s_and_saveexec_b64 s[26:27], s[30:31]
	s_cbranch_execz .LBB4_451
; %bb.465:                              ;   in Loop: Header=BB4_453 Depth=1
	v_cmp_le_u32_e32 vcc, s34, v3
	v_add_u32_e32 v2, s48, v2
	s_or_b64 s[28:29], s[28:29], exec
	s_orn2_b64 s[24:25], vcc, exec
	s_branch .LBB4_451
.LBB4_466:
	s_or_b64 s[14:15], s[14:15], exec
	s_trap 2
	s_branch .LBB4_430
.LBB4_467:
	s_or_b64 exec, exec, s[20:21]
	s_mov_b64 s[0:1], 0
	s_and_saveexec_b64 s[2:3], s[22:23]
	s_xor_b64 s[2:3], exec, s[2:3]
	s_cbranch_execnz .LBB4_473
.LBB4_468:
	s_or_b64 exec, exec, s[2:3]
	s_and_b64 s[2:3], s[0:1], exec
.LBB4_469:
	s_or_b64 exec, exec, s[18:19]
	s_and_b64 s[18:19], s[2:3], exec
	s_andn2_b64 s[4:5], s[4:5], exec
	s_or_b64 exec, exec, s[6:7]
	s_and_saveexec_b64 s[0:1], s[4:5]
	s_xor_b64 s[0:1], exec, s[0:1]
	s_cbranch_execz .LBB4_424
.LBB4_470:
	s_trap 2
	s_or_b64 s[18:19], s[18:19], exec
	s_branch .LBB4_424
.LBB4_471:
	s_or_b64 s[16:17], s[16:17], exec
	s_trap 2
	s_branch .LBB4_428
.LBB4_472:
	s_trap 2
	s_or_b64 s[18:19], s[18:19], exec
	s_branch .LBB4_426
.LBB4_473:
	s_mov_b64 s[0:1], exec
	s_trap 2
	s_branch .LBB4_468
	.section	.rodata,"a",@progbits
	.p2align	6, 0x0
	.amdhsa_kernel _ZN2at6native6sbtopk10gatherTopKIhjLi1ELb0EEEvNS_4cuda6detail10TensorInfoIKT_T0_EES8_S8_bS8_S8_NS5_IS6_S8_EES8_NS5_IlS8_EES8_PS6_
		.amdhsa_group_segment_fixed_size 4112
		.amdhsa_private_segment_fixed_size 0
		.amdhsa_kernarg_size 952
		.amdhsa_user_sgpr_count 6
		.amdhsa_user_sgpr_private_segment_buffer 1
		.amdhsa_user_sgpr_dispatch_ptr 0
		.amdhsa_user_sgpr_queue_ptr 0
		.amdhsa_user_sgpr_kernarg_segment_ptr 1
		.amdhsa_user_sgpr_dispatch_id 0
		.amdhsa_user_sgpr_flat_scratch_init 0
		.amdhsa_user_sgpr_private_segment_size 0
		.amdhsa_uses_dynamic_stack 0
		.amdhsa_system_sgpr_private_segment_wavefront_offset 0
		.amdhsa_system_sgpr_workgroup_id_x 1
		.amdhsa_system_sgpr_workgroup_id_y 1
		.amdhsa_system_sgpr_workgroup_id_z 1
		.amdhsa_system_sgpr_workgroup_info 0
		.amdhsa_system_vgpr_workitem_id 0
		.amdhsa_next_free_vgpr 52
		.amdhsa_next_free_sgpr 96
		.amdhsa_reserve_vcc 1
		.amdhsa_reserve_flat_scratch 0
		.amdhsa_float_round_mode_32 0
		.amdhsa_float_round_mode_16_64 0
		.amdhsa_float_denorm_mode_32 3
		.amdhsa_float_denorm_mode_16_64 3
		.amdhsa_dx10_clamp 1
		.amdhsa_ieee_mode 1
		.amdhsa_fp16_overflow 0
		.amdhsa_exception_fp_ieee_invalid_op 0
		.amdhsa_exception_fp_denorm_src 0
		.amdhsa_exception_fp_ieee_div_zero 0
		.amdhsa_exception_fp_ieee_overflow 0
		.amdhsa_exception_fp_ieee_underflow 0
		.amdhsa_exception_fp_ieee_inexact 0
		.amdhsa_exception_int_div_zero 0
	.end_amdhsa_kernel
	.section	.text._ZN2at6native6sbtopk10gatherTopKIhjLi1ELb0EEEvNS_4cuda6detail10TensorInfoIKT_T0_EES8_S8_bS8_S8_NS5_IS6_S8_EES8_NS5_IlS8_EES8_PS6_,"axG",@progbits,_ZN2at6native6sbtopk10gatherTopKIhjLi1ELb0EEEvNS_4cuda6detail10TensorInfoIKT_T0_EES8_S8_bS8_S8_NS5_IS6_S8_EES8_NS5_IlS8_EES8_PS6_,comdat
.Lfunc_end4:
	.size	_ZN2at6native6sbtopk10gatherTopKIhjLi1ELb0EEEvNS_4cuda6detail10TensorInfoIKT_T0_EES8_S8_bS8_S8_NS5_IS6_S8_EES8_NS5_IlS8_EES8_PS6_, .Lfunc_end4-_ZN2at6native6sbtopk10gatherTopKIhjLi1ELb0EEEvNS_4cuda6detail10TensorInfoIKT_T0_EES8_S8_bS8_S8_NS5_IS6_S8_EES8_NS5_IlS8_EES8_PS6_
                                        ; -- End function
	.set _ZN2at6native6sbtopk10gatherTopKIhjLi1ELb0EEEvNS_4cuda6detail10TensorInfoIKT_T0_EES8_S8_bS8_S8_NS5_IS6_S8_EES8_NS5_IlS8_EES8_PS6_.num_vgpr, 52
	.set _ZN2at6native6sbtopk10gatherTopKIhjLi1ELb0EEEvNS_4cuda6detail10TensorInfoIKT_T0_EES8_S8_bS8_S8_NS5_IS6_S8_EES8_NS5_IlS8_EES8_PS6_.num_agpr, 0
	.set _ZN2at6native6sbtopk10gatherTopKIhjLi1ELb0EEEvNS_4cuda6detail10TensorInfoIKT_T0_EES8_S8_bS8_S8_NS5_IS6_S8_EES8_NS5_IlS8_EES8_PS6_.numbered_sgpr, 96
	.set _ZN2at6native6sbtopk10gatherTopKIhjLi1ELb0EEEvNS_4cuda6detail10TensorInfoIKT_T0_EES8_S8_bS8_S8_NS5_IS6_S8_EES8_NS5_IlS8_EES8_PS6_.num_named_barrier, 0
	.set _ZN2at6native6sbtopk10gatherTopKIhjLi1ELb0EEEvNS_4cuda6detail10TensorInfoIKT_T0_EES8_S8_bS8_S8_NS5_IS6_S8_EES8_NS5_IlS8_EES8_PS6_.private_seg_size, 0
	.set _ZN2at6native6sbtopk10gatherTopKIhjLi1ELb0EEEvNS_4cuda6detail10TensorInfoIKT_T0_EES8_S8_bS8_S8_NS5_IS6_S8_EES8_NS5_IlS8_EES8_PS6_.uses_vcc, 1
	.set _ZN2at6native6sbtopk10gatherTopKIhjLi1ELb0EEEvNS_4cuda6detail10TensorInfoIKT_T0_EES8_S8_bS8_S8_NS5_IS6_S8_EES8_NS5_IlS8_EES8_PS6_.uses_flat_scratch, 0
	.set _ZN2at6native6sbtopk10gatherTopKIhjLi1ELb0EEEvNS_4cuda6detail10TensorInfoIKT_T0_EES8_S8_bS8_S8_NS5_IS6_S8_EES8_NS5_IlS8_EES8_PS6_.has_dyn_sized_stack, 0
	.set _ZN2at6native6sbtopk10gatherTopKIhjLi1ELb0EEEvNS_4cuda6detail10TensorInfoIKT_T0_EES8_S8_bS8_S8_NS5_IS6_S8_EES8_NS5_IlS8_EES8_PS6_.has_recursion, 0
	.set _ZN2at6native6sbtopk10gatherTopKIhjLi1ELb0EEEvNS_4cuda6detail10TensorInfoIKT_T0_EES8_S8_bS8_S8_NS5_IS6_S8_EES8_NS5_IlS8_EES8_PS6_.has_indirect_call, 0
	.section	.AMDGPU.csdata,"",@progbits
; Kernel info:
; codeLenInByte = 15404
; TotalNumSgprs: 100
; NumVgprs: 52
; ScratchSize: 0
; MemoryBound: 0
; FloatMode: 240
; IeeeMode: 1
; LDSByteSize: 4112 bytes/workgroup (compile time only)
; SGPRBlocks: 12
; VGPRBlocks: 12
; NumSGPRsForWavesPerEU: 100
; NumVGPRsForWavesPerEU: 52
; Occupancy: 4
; WaveLimiterHint : 1
; COMPUTE_PGM_RSRC2:SCRATCH_EN: 0
; COMPUTE_PGM_RSRC2:USER_SGPR: 6
; COMPUTE_PGM_RSRC2:TRAP_HANDLER: 0
; COMPUTE_PGM_RSRC2:TGID_X_EN: 1
; COMPUTE_PGM_RSRC2:TGID_Y_EN: 1
; COMPUTE_PGM_RSRC2:TGID_Z_EN: 1
; COMPUTE_PGM_RSRC2:TIDIG_COMP_CNT: 0
	.section	.text._ZN2at6native6mbtopk23computeBlockDigitCountsIhjjLi2EEEvNS_4cuda6detail10TensorInfoIKT_T0_EEjPjjS8_iijT1_PSB_Ps,"axG",@progbits,_ZN2at6native6mbtopk23computeBlockDigitCountsIhjjLi2EEEvNS_4cuda6detail10TensorInfoIKT_T0_EEjPjjS8_iijT1_PSB_Ps,comdat
	.protected	_ZN2at6native6mbtopk23computeBlockDigitCountsIhjjLi2EEEvNS_4cuda6detail10TensorInfoIKT_T0_EEjPjjS8_iijT1_PSB_Ps ; -- Begin function _ZN2at6native6mbtopk23computeBlockDigitCountsIhjjLi2EEEvNS_4cuda6detail10TensorInfoIKT_T0_EEjPjjS8_iijT1_PSB_Ps
	.globl	_ZN2at6native6mbtopk23computeBlockDigitCountsIhjjLi2EEEvNS_4cuda6detail10TensorInfoIKT_T0_EEjPjjS8_iijT1_PSB_Ps
	.p2align	8
	.type	_ZN2at6native6mbtopk23computeBlockDigitCountsIhjjLi2EEEvNS_4cuda6detail10TensorInfoIKT_T0_EEjPjjS8_iijT1_PSB_Ps,@function
_ZN2at6native6mbtopk23computeBlockDigitCountsIhjjLi2EEEvNS_4cuda6detail10TensorInfoIKT_T0_EEjPjjS8_iijT1_PSB_Ps: ; @_ZN2at6native6mbtopk23computeBlockDigitCountsIhjjLi2EEEvNS_4cuda6detail10TensorInfoIKT_T0_EEjPjjS8_iijT1_PSB_Ps
; %bb.0:
	s_load_dwordx2 s[10:11], s[4:5], 0xf8
	s_load_dwordx4 s[12:15], s[4:5], 0xe8
	s_load_dwordx2 s[0:1], s[4:5], 0x110
	s_waitcnt lgkmcnt(0)
	v_cvt_f32_u32_e32 v1, s10
	s_sub_i32 s2, 0, s10
	s_mul_i32 s1, s1, s8
	s_add_i32 s1, s1, s7
	v_rcp_iflag_f32_e32 v1, v1
	s_mul_i32 s16, s1, s0
	s_add_i32 s16, s16, s6
	s_mov_b32 s7, 0
	v_mul_f32_e32 v1, 0x4f7ffffe, v1
	v_cvt_u32_f32_e32 v1, v1
	v_readfirstlane_b32 s0, v1
	s_mul_i32 s2, s2, s0
	s_mul_hi_u32 s1, s0, s2
	s_add_i32 s0, s0, s1
	s_mul_hi_u32 s0, s16, s0
	s_mul_i32 s1, s0, s10
	s_sub_i32 s1, s16, s1
	s_add_i32 s2, s0, 1
	s_sub_i32 s3, s1, s10
	s_cmp_ge_u32 s1, s10
	s_cselect_b32 s0, s2, s0
	s_cselect_b32 s1, s3, s1
	s_add_i32 s2, s0, 1
	s_cmp_ge_u32 s1, s10
	s_cselect_b32 s6, s2, s0
	s_cmp_ge_u32 s6, s12
	s_cbranch_scc1 .LBB5_27
; %bb.1:
	s_load_dword s18, s[4:5], 0xc
	s_load_dwordx4 s[0:3], s[4:5], 0x100
	s_lshl_b64 s[8:9], s[6:7], 2
	s_movk_i32 s7, 0x100
	v_cmp_gt_u32_e32 vcc, s7, v0
	s_waitcnt lgkmcnt(0)
	v_cvt_f32_u32_e32 v1, s18
	s_add_u32 s0, s0, s8
	s_addc_u32 s1, s1, s9
	v_rcp_iflag_f32_e32 v1, v1
	v_mul_f32_e32 v1, 0x4f7ffffe, v1
	v_cvt_u32_f32_e32 v1, v1
	v_readfirstlane_b32 s7, v1
	v_lshlrev_b32_e32 v1, 2, v0
	s_and_saveexec_b64 s[8:9], vcc
; %bb.2:
	v_mov_b32_e32 v2, 0
	ds_write_b32 v1, v2
; %bb.3:
	s_or_b64 exec, exec, s[8:9]
	s_load_dword s8, s[4:5], 0xd8
	s_mul_i32 s9, s6, s10
	s_sub_i32 s9, s16, s9
	s_add_i32 s17, s9, 1
	s_mul_i32 s9, s15, s9
	s_lshl_b32 s12, s9, 8
	s_waitcnt lgkmcnt(0)
	s_sub_i32 s9, s8, s12
	s_add_u32 s20, s9, 0xff
	s_addc_u32 s21, 0, 0
	s_lshr_b64 s[20:21], s[20:21], 8
	s_cmp_lt_u32 s17, s10
	s_cselect_b32 s17, s15, s20
	s_cmp_lt_i32 s17, 1
	s_mov_b32 s15, 0
	s_barrier
	s_cbranch_scc1 .LBB5_25
; %bb.4:
	s_sub_i32 s9, 0, s18
	s_mul_i32 s9, s9, s7
	s_mul_hi_u32 s9, s7, s9
	s_add_i32 s7, s7, s9
	s_load_dwordx2 s[20:21], s[4:5], 0x6c
	s_load_dwordx2 s[22:23], s[4:5], 0x0
	s_mul_hi_u32 s4, s6, s7
	s_load_dword s9, s[0:1], 0x0
	s_mul_i32 s0, s4, s18
	s_sub_i32 s0, s6, s0
	s_add_i32 s1, s4, 1
	s_sub_i32 s5, s0, s18
	s_cmp_ge_u32 s0, s18
	s_cselect_b32 s1, s1, s4
	s_cselect_b32 s0, s5, s0
	s_add_i32 s4, s1, 1
	s_cmp_ge_u32 s0, s18
	s_cselect_b32 s0, s4, s1
	s_mul_i32 s1, s0, s18
	s_sub_i32 s1, s6, s1
	s_waitcnt lgkmcnt(0)
	s_mul_i32 s1, s1, s21
	s_mul_i32 s0, s0, s20
	s_add_i32 s0, s0, s1
	s_add_u32 s4, s22, s0
	s_addc_u32 s5, s23, 0
	s_and_b32 s10, s14, 0xff
	s_cmp_lt_u32 s17, 4
	s_cbranch_scc1 .LBB5_19
; %bb.5:
	v_add_u32_e32 v6, s12, v0
	v_add_u32_e32 v2, 0x300, v6
	;; [unrolled: 1-line block ×4, first 2 shown]
	v_mul_lo_u32 v3, s13, v2
	v_mul_lo_u32 v4, s13, v4
	;; [unrolled: 1-line block ×4, first 2 shown]
	s_and_b32 s15, s17, 0x7ffffffc
	s_lshl_b32 s14, s13, 10
	s_mov_b32 s18, 0
	v_mov_b32_e32 v7, 1
	s_mov_b32 s19, 0
	s_branch .LBB5_7
.LBB5_6:                                ;   in Loop: Header=BB5_7 Depth=1
	s_or_b64 exec, exec, s[6:7]
	s_add_i32 s19, s19, 4
	s_add_i32 s18, s18, s14
	s_cmp_eq_u32 s15, s19
	v_add_u32_e32 v2, 0x400, v2
	s_cbranch_scc1 .LBB5_19
.LBB5_7:                                ; =>This Inner Loop Header: Depth=1
	v_add_u32_e32 v8, 0xfffffd00, v2
	v_cmp_gt_u32_e64 s[0:1], s8, v8
	s_and_saveexec_b64 s[6:7], s[0:1]
	s_cbranch_execz .LBB5_10
; %bb.8:                                ;   in Loop: Header=BB5_7 Depth=1
	v_add_u32_e32 v8, s18, v6
	global_load_ubyte v8, v8, s[4:5]
	s_waitcnt vmcnt(0)
	v_xor_b32_e32 v9, s9, v8
	v_and_b32_e32 v9, s11, v9
	v_cmp_eq_u32_e64 s[0:1], 0, v9
	s_and_b64 exec, exec, s[0:1]
; %bb.9:                                ;   in Loop: Header=BB5_7 Depth=1
	v_lshrrev_b32_e32 v8, s10, v8
	v_lshlrev_b32_e32 v8, 2, v8
	ds_add_u32 v8, v7
.LBB5_10:                               ;   in Loop: Header=BB5_7 Depth=1
	s_or_b64 exec, exec, s[6:7]
	v_add_u32_e32 v8, 0xfffffe00, v2
	v_cmp_gt_u32_e64 s[0:1], s8, v8
	s_and_saveexec_b64 s[6:7], s[0:1]
	s_cbranch_execz .LBB5_13
; %bb.11:                               ;   in Loop: Header=BB5_7 Depth=1
	v_add_u32_e32 v8, s18, v5
	global_load_ubyte v8, v8, s[4:5]
	s_waitcnt vmcnt(0)
	v_xor_b32_e32 v9, s9, v8
	v_and_b32_e32 v9, s11, v9
	v_cmp_eq_u32_e64 s[0:1], 0, v9
	s_and_b64 exec, exec, s[0:1]
; %bb.12:                               ;   in Loop: Header=BB5_7 Depth=1
	v_lshrrev_b32_e32 v8, s10, v8
	v_lshlrev_b32_e32 v8, 2, v8
	ds_add_u32 v8, v7
.LBB5_13:                               ;   in Loop: Header=BB5_7 Depth=1
	s_or_b64 exec, exec, s[6:7]
	v_add_u32_e32 v8, 0xffffff00, v2
	v_cmp_gt_u32_e64 s[0:1], s8, v8
	s_and_saveexec_b64 s[6:7], s[0:1]
	s_cbranch_execz .LBB5_16
; %bb.14:                               ;   in Loop: Header=BB5_7 Depth=1
	v_add_u32_e32 v8, s18, v4
	global_load_ubyte v8, v8, s[4:5]
	s_waitcnt vmcnt(0)
	v_xor_b32_e32 v9, s9, v8
	v_and_b32_e32 v9, s11, v9
	v_cmp_eq_u32_e64 s[0:1], 0, v9
	s_and_b64 exec, exec, s[0:1]
; %bb.15:                               ;   in Loop: Header=BB5_7 Depth=1
	v_lshrrev_b32_e32 v8, s10, v8
	v_lshlrev_b32_e32 v8, 2, v8
	ds_add_u32 v8, v7
.LBB5_16:                               ;   in Loop: Header=BB5_7 Depth=1
	s_or_b64 exec, exec, s[6:7]
	v_cmp_gt_u32_e64 s[0:1], s8, v2
	s_and_saveexec_b64 s[6:7], s[0:1]
	s_cbranch_execz .LBB5_6
; %bb.17:                               ;   in Loop: Header=BB5_7 Depth=1
	v_add_u32_e32 v8, s18, v3
	global_load_ubyte v8, v8, s[4:5]
	s_waitcnt vmcnt(0)
	v_xor_b32_e32 v9, s9, v8
	v_and_b32_e32 v9, s11, v9
	v_cmp_eq_u32_e64 s[0:1], 0, v9
	s_and_b64 exec, exec, s[0:1]
	s_cbranch_execz .LBB5_6
; %bb.18:                               ;   in Loop: Header=BB5_7 Depth=1
	v_lshrrev_b32_e32 v8, s10, v8
	v_lshlrev_b32_e32 v8, 2, v8
	ds_add_u32 v8, v7
	s_branch .LBB5_6
.LBB5_19:
	s_and_b32 s14, s17, 3
	s_cmp_eq_u32 s14, 0
	s_cbranch_scc1 .LBB5_25
; %bb.20:
	s_lshl_b32 s0, s15, 8
	s_add_i32 s0, s0, s12
	v_add_u32_e32 v2, s0, v0
	v_mul_lo_u32 v3, s13, v2
	s_lshl_b32 s12, s13, 8
	v_mov_b32_e32 v4, 1
	s_branch .LBB5_22
.LBB5_21:                               ;   in Loop: Header=BB5_22 Depth=1
	s_or_b64 exec, exec, s[6:7]
	s_add_i32 s14, s14, -1
	v_add_u32_e32 v3, s12, v3
	s_cmp_lg_u32 s14, 0
	v_add_u32_e32 v2, 0x100, v2
	s_cbranch_scc0 .LBB5_25
.LBB5_22:                               ; =>This Inner Loop Header: Depth=1
	v_cmp_gt_u32_e64 s[0:1], s8, v2
	s_and_saveexec_b64 s[6:7], s[0:1]
	s_cbranch_execz .LBB5_21
; %bb.23:                               ;   in Loop: Header=BB5_22 Depth=1
	global_load_ubyte v5, v3, s[4:5]
	s_waitcnt vmcnt(0)
	v_xor_b32_e32 v6, s9, v5
	v_and_b32_e32 v6, s11, v6
	v_cmp_eq_u32_e64 s[0:1], 0, v6
	s_and_b64 exec, exec, s[0:1]
	s_cbranch_execz .LBB5_21
; %bb.24:                               ;   in Loop: Header=BB5_22 Depth=1
	v_lshrrev_b32_e32 v5, s10, v5
	v_lshlrev_b32_e32 v5, 2, v5
	ds_add_u32 v5, v4
	s_branch .LBB5_21
.LBB5_25:
	s_waitcnt lgkmcnt(0)
	s_barrier
	s_and_saveexec_b64 s[0:1], vcc
	s_cbranch_execz .LBB5_27
; %bb.26:
	v_lshl_or_b32 v2, s16, 8, v0
	v_mov_b32_e32 v3, 0
	ds_read_b32 v5, v1
	v_lshlrev_b64 v[2:3], 1, v[2:3]
	v_mov_b32_e32 v4, s3
	v_add_co_u32_e32 v0, vcc, s2, v2
	v_addc_co_u32_e32 v1, vcc, v4, v3, vcc
	s_waitcnt lgkmcnt(0)
	global_store_short v[0:1], v5, off
.LBB5_27:
	s_endpgm
	.section	.rodata,"a",@progbits
	.p2align	6, 0x0
	.amdhsa_kernel _ZN2at6native6mbtopk23computeBlockDigitCountsIhjjLi2EEEvNS_4cuda6detail10TensorInfoIKT_T0_EEjPjjS8_iijT1_PSB_Ps
		.amdhsa_group_segment_fixed_size 1024
		.amdhsa_private_segment_fixed_size 0
		.amdhsa_kernarg_size 528
		.amdhsa_user_sgpr_count 6
		.amdhsa_user_sgpr_private_segment_buffer 1
		.amdhsa_user_sgpr_dispatch_ptr 0
		.amdhsa_user_sgpr_queue_ptr 0
		.amdhsa_user_sgpr_kernarg_segment_ptr 1
		.amdhsa_user_sgpr_dispatch_id 0
		.amdhsa_user_sgpr_flat_scratch_init 0
		.amdhsa_user_sgpr_private_segment_size 0
		.amdhsa_uses_dynamic_stack 0
		.amdhsa_system_sgpr_private_segment_wavefront_offset 0
		.amdhsa_system_sgpr_workgroup_id_x 1
		.amdhsa_system_sgpr_workgroup_id_y 1
		.amdhsa_system_sgpr_workgroup_id_z 1
		.amdhsa_system_sgpr_workgroup_info 0
		.amdhsa_system_vgpr_workitem_id 0
		.amdhsa_next_free_vgpr 10
		.amdhsa_next_free_sgpr 24
		.amdhsa_reserve_vcc 1
		.amdhsa_reserve_flat_scratch 0
		.amdhsa_float_round_mode_32 0
		.amdhsa_float_round_mode_16_64 0
		.amdhsa_float_denorm_mode_32 3
		.amdhsa_float_denorm_mode_16_64 3
		.amdhsa_dx10_clamp 1
		.amdhsa_ieee_mode 1
		.amdhsa_fp16_overflow 0
		.amdhsa_exception_fp_ieee_invalid_op 0
		.amdhsa_exception_fp_denorm_src 0
		.amdhsa_exception_fp_ieee_div_zero 0
		.amdhsa_exception_fp_ieee_overflow 0
		.amdhsa_exception_fp_ieee_underflow 0
		.amdhsa_exception_fp_ieee_inexact 0
		.amdhsa_exception_int_div_zero 0
	.end_amdhsa_kernel
	.section	.text._ZN2at6native6mbtopk23computeBlockDigitCountsIhjjLi2EEEvNS_4cuda6detail10TensorInfoIKT_T0_EEjPjjS8_iijT1_PSB_Ps,"axG",@progbits,_ZN2at6native6mbtopk23computeBlockDigitCountsIhjjLi2EEEvNS_4cuda6detail10TensorInfoIKT_T0_EEjPjjS8_iijT1_PSB_Ps,comdat
.Lfunc_end5:
	.size	_ZN2at6native6mbtopk23computeBlockDigitCountsIhjjLi2EEEvNS_4cuda6detail10TensorInfoIKT_T0_EEjPjjS8_iijT1_PSB_Ps, .Lfunc_end5-_ZN2at6native6mbtopk23computeBlockDigitCountsIhjjLi2EEEvNS_4cuda6detail10TensorInfoIKT_T0_EEjPjjS8_iijT1_PSB_Ps
                                        ; -- End function
	.set _ZN2at6native6mbtopk23computeBlockDigitCountsIhjjLi2EEEvNS_4cuda6detail10TensorInfoIKT_T0_EEjPjjS8_iijT1_PSB_Ps.num_vgpr, 10
	.set _ZN2at6native6mbtopk23computeBlockDigitCountsIhjjLi2EEEvNS_4cuda6detail10TensorInfoIKT_T0_EEjPjjS8_iijT1_PSB_Ps.num_agpr, 0
	.set _ZN2at6native6mbtopk23computeBlockDigitCountsIhjjLi2EEEvNS_4cuda6detail10TensorInfoIKT_T0_EEjPjjS8_iijT1_PSB_Ps.numbered_sgpr, 24
	.set _ZN2at6native6mbtopk23computeBlockDigitCountsIhjjLi2EEEvNS_4cuda6detail10TensorInfoIKT_T0_EEjPjjS8_iijT1_PSB_Ps.num_named_barrier, 0
	.set _ZN2at6native6mbtopk23computeBlockDigitCountsIhjjLi2EEEvNS_4cuda6detail10TensorInfoIKT_T0_EEjPjjS8_iijT1_PSB_Ps.private_seg_size, 0
	.set _ZN2at6native6mbtopk23computeBlockDigitCountsIhjjLi2EEEvNS_4cuda6detail10TensorInfoIKT_T0_EEjPjjS8_iijT1_PSB_Ps.uses_vcc, 1
	.set _ZN2at6native6mbtopk23computeBlockDigitCountsIhjjLi2EEEvNS_4cuda6detail10TensorInfoIKT_T0_EEjPjjS8_iijT1_PSB_Ps.uses_flat_scratch, 0
	.set _ZN2at6native6mbtopk23computeBlockDigitCountsIhjjLi2EEEvNS_4cuda6detail10TensorInfoIKT_T0_EEjPjjS8_iijT1_PSB_Ps.has_dyn_sized_stack, 0
	.set _ZN2at6native6mbtopk23computeBlockDigitCountsIhjjLi2EEEvNS_4cuda6detail10TensorInfoIKT_T0_EEjPjjS8_iijT1_PSB_Ps.has_recursion, 0
	.set _ZN2at6native6mbtopk23computeBlockDigitCountsIhjjLi2EEEvNS_4cuda6detail10TensorInfoIKT_T0_EEjPjjS8_iijT1_PSB_Ps.has_indirect_call, 0
	.section	.AMDGPU.csdata,"",@progbits
; Kernel info:
; codeLenInByte = 1084
; TotalNumSgprs: 28
; NumVgprs: 10
; ScratchSize: 0
; MemoryBound: 0
; FloatMode: 240
; IeeeMode: 1
; LDSByteSize: 1024 bytes/workgroup (compile time only)
; SGPRBlocks: 3
; VGPRBlocks: 2
; NumSGPRsForWavesPerEU: 28
; NumVGPRsForWavesPerEU: 10
; Occupancy: 10
; WaveLimiterHint : 1
; COMPUTE_PGM_RSRC2:SCRATCH_EN: 0
; COMPUTE_PGM_RSRC2:USER_SGPR: 6
; COMPUTE_PGM_RSRC2:TRAP_HANDLER: 0
; COMPUTE_PGM_RSRC2:TGID_X_EN: 1
; COMPUTE_PGM_RSRC2:TGID_Y_EN: 1
; COMPUTE_PGM_RSRC2:TGID_Z_EN: 1
; COMPUTE_PGM_RSRC2:TIDIG_COMP_CNT: 0
	.section	.text._ZN2at6native6mbtopk10gatherTopKIhjLi2EEEvNS_4cuda6detail10TensorInfoIKT_T0_EES8_S8_bjS8_NS5_IS6_S8_EES8_NS5_IlS8_EES8_jjPS6_PjSD_j,"axG",@progbits,_ZN2at6native6mbtopk10gatherTopKIhjLi2EEEvNS_4cuda6detail10TensorInfoIKT_T0_EES8_S8_bjS8_NS5_IS6_S8_EES8_NS5_IlS8_EES8_jjPS6_PjSD_j,comdat
	.protected	_ZN2at6native6mbtopk10gatherTopKIhjLi2EEEvNS_4cuda6detail10TensorInfoIKT_T0_EES8_S8_bjS8_NS5_IS6_S8_EES8_NS5_IlS8_EES8_jjPS6_PjSD_j ; -- Begin function _ZN2at6native6mbtopk10gatherTopKIhjLi2EEEvNS_4cuda6detail10TensorInfoIKT_T0_EES8_S8_bjS8_NS5_IS6_S8_EES8_NS5_IlS8_EES8_jjPS6_PjSD_j
	.globl	_ZN2at6native6mbtopk10gatherTopKIhjLi2EEEvNS_4cuda6detail10TensorInfoIKT_T0_EES8_S8_bjS8_NS5_IS6_S8_EES8_NS5_IlS8_EES8_jjPS6_PjSD_j
	.p2align	8
	.type	_ZN2at6native6mbtopk10gatherTopKIhjLi2EEEvNS_4cuda6detail10TensorInfoIKT_T0_EES8_S8_bjS8_NS5_IS6_S8_EES8_NS5_IlS8_EES8_jjPS6_PjSD_j,@function
_ZN2at6native6mbtopk10gatherTopKIhjLi2EEEvNS_4cuda6detail10TensorInfoIKT_T0_EES8_S8_bjS8_NS5_IS6_S8_EES8_NS5_IlS8_EES8_jjPS6_PjSD_j: ; @_ZN2at6native6mbtopk10gatherTopKIhjLi2EEEvNS_4cuda6detail10TensorInfoIKT_T0_EES8_S8_bjS8_NS5_IS6_S8_EES8_NS5_IlS8_EES8_jjPS6_PjSD_j
; %bb.0:
	s_load_dwordx2 s[0:1], s[4:5], 0x2d8
	s_load_dword s2, s[4:5], 0x2d0
	s_waitcnt lgkmcnt(0)
	s_mul_i32 s1, s1, s8
	s_add_i32 s1, s1, s7
	s_mul_i32 s0, s1, s0
	s_add_i32 s0, s0, s6
	s_cmp_ge_u32 s0, s2
	s_cbranch_scc1 .LBB6_40
; %bb.1:
	s_load_dwordx8 s[8:15], s[4:5], 0x2a8
	s_load_dword s41, s[4:5], 0xc
	s_waitcnt lgkmcnt(0)
	v_cvt_f32_u32_e32 v1, s10
	s_sub_i32 s1, 0, s10
	v_rcp_iflag_f32_e32 v1, v1
	v_mul_f32_e32 v1, 0x4f7ffffe, v1
	v_cvt_u32_f32_e32 v1, v1
	v_readfirstlane_b32 s2, v1
	s_mul_i32 s1, s1, s2
	s_mul_hi_u32 s1, s2, s1
	s_add_i32 s2, s2, s1
	s_mul_hi_u32 s1, s0, s2
	s_mul_i32 s2, s1, s10
	s_sub_i32 s2, s0, s2
	s_add_i32 s3, s1, 1
	s_sub_i32 s6, s2, s10
	s_cmp_ge_u32 s2, s10
	s_cselect_b32 s1, s3, s1
	s_cselect_b32 s2, s6, s2
	s_add_i32 s3, s1, 1
	s_cmp_ge_u32 s2, s10
	s_cselect_b32 s11, s3, s1
	v_mov_b32_e32 v1, s11
	global_load_ubyte v6, v1, s[12:13]
	v_cvt_f32_u32_e32 v1, s41
	s_load_dwordx2 s[20:21], s[4:5], 0xf0
	s_load_dwordx2 s[28:29], s[4:5], 0x6c
	;; [unrolled: 1-line block ×4, first 2 shown]
	s_load_dword s33, s[4:5], 0x1dc
	s_load_dwordx2 s[6:7], s[4:5], 0x1d0
	s_load_dwordx2 s[26:27], s[4:5], 0x15c
	s_load_dword s40, s[4:5], 0xfc
	s_mul_i32 s12, s11, s10
	v_rcp_iflag_f32_e32 v1, v1
	s_sub_i32 s45, s0, s12
	s_sub_i32 s0, 0, s41
	s_waitcnt lgkmcnt(0)
	v_cvt_f32_u32_e32 v2, s40
	v_mul_f32_e32 v1, 0x4f7ffffe, v1
	v_cvt_u32_f32_e32 v1, v1
	s_mov_b32 s13, 0
	v_cmp_eq_u32_e64 s[2:3], 0, v0
	v_readfirstlane_b32 s1, v1
	v_rcp_iflag_f32_e32 v1, v2
	v_cvt_f32_u32_e32 v2, s33
	s_mul_i32 s0, s0, s1
	s_mul_hi_u32 s0, s1, s0
	v_mul_f32_e32 v1, 0x4f7ffffe, v1
	v_cvt_u32_f32_e32 v1, v1
	v_rcp_iflag_f32_e32 v2, v2
	s_add_i32 s1, s1, s0
	s_mul_hi_u32 s44, s11, s1
	v_readfirstlane_b32 s1, v1
	v_mul_f32_e32 v1, 0x4f7ffffe, v2
	s_sub_i32 s0, 0, s40
	v_cvt_u32_f32_e32 v1, v1
	s_mul_i32 s0, s0, s1
	s_mul_hi_u32 s0, s1, s0
	s_add_i32 s1, s1, s0
	s_mul_hi_u32 s43, s11, s1
	s_sub_i32 s0, 0, s33
	v_readfirstlane_b32 s1, v1
	s_mul_i32 s0, s0, s1
	s_mul_hi_u32 s0, s1, s0
	s_add_i32 s1, s1, s0
	s_mul_hi_u32 s42, s11, s1
	v_cmp_ne_u32_e64 s[0:1], 0, v0
	s_and_saveexec_b64 s[30:31], s[2:3]
	s_cbranch_execz .LBB6_17
; %bb.2:
	s_load_dwordx2 s[34:35], s[4:5], 0x2c8
	s_lshl_b64 s[36:37], s[12:13], 2
	s_add_u32 s16, s14, s36
	s_addc_u32 s17, s15, s37
	s_mov_b32 s12, 0
	s_waitcnt lgkmcnt(0)
	s_add_u32 s18, s34, s36
	s_addc_u32 s19, s35, s37
	s_mov_b32 s46, 0
	s_cmp_lt_u32 s10, 4
	s_cbranch_scc1 .LBB6_14
; %bb.3:
	s_mov_b32 s47, 0
.LBB6_4:                                ; =>This Inner Loop Header: Depth=1
	s_add_u32 s38, s14, s36
	s_addc_u32 s39, s15, s37
	s_load_dwordx4 s[16:19], s[38:39], 0x0
	s_add_u32 s38, s34, s36
	s_addc_u32 s39, s35, s37
	s_cmp_ge_u32 s47, s45
	s_cbranch_scc0 .LBB6_11
; %bb.5:                                ;   in Loop: Header=BB6_4 Depth=1
	s_add_i32 s48, s47, 1
	s_cmp_ge_u32 s48, s45
	s_cbranch_scc0 .LBB6_12
.LBB6_6:                                ;   in Loop: Header=BB6_4 Depth=1
	s_add_i32 s48, s48, 1
	s_cmp_ge_u32 s48, s45
	s_cbranch_scc0 .LBB6_13
.LBB6_7:                                ;   in Loop: Header=BB6_4 Depth=1
	s_add_i32 s48, s48, 1
	s_cmp_ge_u32 s48, s45
	s_cbranch_scc1 .LBB6_9
.LBB6_8:                                ;   in Loop: Header=BB6_4 Depth=1
	s_load_dword s38, s[38:39], 0xc
	s_waitcnt lgkmcnt(0)
	s_add_i32 s13, s13, s19
	s_add_i32 s12, s38, s12
.LBB6_9:                                ;   in Loop: Header=BB6_4 Depth=1
	s_waitcnt lgkmcnt(0)
	s_add_i32 s16, s16, s46
	s_add_i32 s16, s16, s17
	;; [unrolled: 1-line block ×4, first 2 shown]
	s_add_u32 s14, s14, 16
	s_addc_u32 s15, s15, 0
	s_add_u32 s34, s34, 16
	s_addc_u32 s35, s35, 0
	s_add_i32 s39, s48, 4
	s_add_u32 s18, s34, s36
	s_addc_u32 s19, s35, s37
	s_add_u32 s16, s14, s36
	s_addc_u32 s17, s15, s37
	s_add_i32 s38, s48, 1
	s_cmp_ge_u32 s39, s10
	s_cbranch_scc1 .LBB6_15
; %bb.10:                               ;   in Loop: Header=BB6_4 Depth=1
	s_mov_b32 s47, s38
	s_branch .LBB6_4
.LBB6_11:                               ;   in Loop: Header=BB6_4 Depth=1
	s_load_dword s48, s[38:39], 0x0
	s_waitcnt lgkmcnt(0)
	s_add_i32 s13, s16, s13
	s_add_i32 s12, s48, s12
	;; [unrolled: 1-line block ×3, first 2 shown]
	s_cmp_ge_u32 s48, s45
	s_cbranch_scc1 .LBB6_6
.LBB6_12:                               ;   in Loop: Header=BB6_4 Depth=1
	s_load_dword s49, s[38:39], 0x4
	s_waitcnt lgkmcnt(0)
	s_add_i32 s13, s13, s17
	s_add_i32 s12, s49, s12
	;; [unrolled: 1-line block ×3, first 2 shown]
	s_cmp_ge_u32 s48, s45
	s_cbranch_scc1 .LBB6_7
.LBB6_13:                               ;   in Loop: Header=BB6_4 Depth=1
	s_load_dword s49, s[38:39], 0x8
	s_waitcnt lgkmcnt(0)
	s_add_i32 s13, s13, s18
	s_add_i32 s12, s49, s12
	;; [unrolled: 1-line block ×3, first 2 shown]
	s_cmp_ge_u32 s48, s45
	s_cbranch_scc0 .LBB6_8
	s_branch .LBB6_9
.LBB6_14:
	s_mov_b32 s14, 0
	s_cmp_ge_u32 s14, s10
	s_cbranch_scc0 .LBB6_38
	s_branch .LBB6_16
.LBB6_15:
	s_add_i32 s14, s47, 4
	s_cmp_ge_u32 s14, s10
	s_cbranch_scc0 .LBB6_38
.LBB6_16:
	v_mov_b32_e32 v1, s12
	v_mov_b32_e32 v2, s46
	;; [unrolled: 1-line block ×4, first 2 shown]
	ds_write_b96 v4, v[1:3] offset:1056
.LBB6_17:
	s_or_b64 exec, exec, s[30:31]
	s_load_dwordx4 s[12:15], s[4:5], 0xd8
	s_waitcnt lgkmcnt(0)
	s_mul_i32 s15, s9, s45
	s_lshl_b32 s15, s15, 8
	s_add_i32 s18, s45, 1
	s_mov_b32 s19, 0
	s_sub_i32 s16, s12, s15
	s_add_u32 s16, s16, 0xff
	s_addc_u32 s17, 0, 0
	s_lshr_b64 s[16:17], s[16:17], 8
	s_cmp_lt_u32 s18, s10
	s_cselect_b32 s9, s9, s16
	s_cmp_eq_u32 s9, 0
	s_waitcnt vmcnt(0)
	s_barrier
	s_cbranch_scc1 .LBB6_40
; %bb.18:
	s_mul_i32 s10, s44, s41
	s_sub_i32 s10, s11, s10
	s_add_i32 s16, s44, 1
	s_sub_i32 s17, s10, s41
	s_cmp_ge_u32 s10, s41
	s_cselect_b32 s16, s16, s44
	s_cselect_b32 s10, s17, s10
	s_add_i32 s17, s16, 1
	s_cmp_ge_u32 s10, s41
	s_cselect_b32 s10, s17, s16
	s_mul_i32 s16, s10, s41
	s_sub_i32 s16, s11, s16
	s_mul_i32 s16, s16, s29
	s_mul_i32 s10, s10, s28
	s_add_i32 s10, s10, s16
	s_mul_i32 s16, s43, s40
	s_sub_i32 s16, s11, s16
	s_add_i32 s17, s43, 1
	s_sub_i32 s18, s16, s40
	s_cmp_ge_u32 s16, s40
	s_cselect_b32 s17, s17, s43
	s_cselect_b32 s16, s18, s16
	s_add_i32 s18, s17, 1
	s_cmp_ge_u32 s16, s40
	s_cselect_b32 s16, s18, s17
	s_mul_i32 s17, s16, s40
	s_sub_i32 s17, s11, s17
	s_mul_i32 s17, s17, s27
	s_mul_i32 s16, s16, s26
	s_add_i32 s16, s16, s17
	;; [unrolled: 15-line block ×3, first 2 shown]
	s_add_u32 s10, s22, s10
	s_addc_u32 s11, s23, 0
	s_add_u32 s16, s20, s16
	v_mov_b32_e32 v5, 0
	s_addc_u32 s17, s21, 0
	s_lshl_b64 s[18:19], s[18:19], 3
	ds_read_b96 v[1:3], v5 offset:1056
	s_add_u32 s18, s6, s18
	s_addc_u32 s19, s7, s19
	v_lshrrev_b32_e32 v4, 1, v0
	s_bitcmp1_b32 s14, 0
	s_load_dword s14, s[4:5], 0xe8
	s_load_dword s20, s[4:5], 0x1c8
	v_and_b32_e32 v7, 0x7c, v4
	v_add_u32_e32 v4, -1, v0
	v_lshrrev_b32_e32 v9, 3, v4
	s_waitcnt lgkmcnt(0)
	v_add_u32_e32 v1, v1, v2
	v_lshrrev_b32_e32 v2, 3, v0
	v_and_b32_e32 v9, 0x1ffffffc, v9
	v_and_b32_e32 v2, 28, v2
	v_lshl_add_u32 v9, v4, 2, v9
	v_add_u32_e32 v4, s15, v0
	v_lshl_add_u32 v2, v0, 2, v2
	v_cmp_gt_u32_e64 s[4:5], 64, v0
	v_lshlrev_b32_e32 v8, 4, v0
	v_mul_lo_u32 v0, s14, v4
	v_mbcnt_lo_u32_b32 v10, -1, 0
	s_cselect_b64 s[6:7], -1, 0
	s_lshl_b32 s21, s14, 8
	v_mbcnt_hi_u32_b32 v10, -1, v10
                                        ; implicit-def: $vgpr11
	s_branch .LBB6_21
.LBB6_19:                               ;   in Loop: Header=BB6_21 Depth=1
	s_or_b64 exec, exec, s[14:15]
	v_add_u32_e32 v1, v14, v1
.LBB6_20:                               ;   in Loop: Header=BB6_21 Depth=1
	s_add_i32 s9, s9, -1
	v_add_u32_e32 v3, v13, v3
	v_add_u32_e32 v0, s21, v0
	s_cmp_lg_u32 s9, 0
	v_add_u32_e32 v4, 0x100, v4
	s_cbranch_scc0 .LBB6_40
.LBB6_21:                               ; =>This Inner Loop Header: Depth=1
	v_cmp_gt_u32_e32 vcc, s12, v4
	v_mov_b32_e32 v14, 0
	v_mov_b32_e32 v12, 0
	s_and_saveexec_b64 s[14:15], vcc
	s_cbranch_execz .LBB6_23
; %bb.22:                               ;   in Loop: Header=BB6_21 Depth=1
	global_load_ubyte v11, v0, s[10:11]
	s_waitcnt vmcnt(0)
	v_cmp_gt_u16_sdwa s[22:23], v11, v6 src0_sel:DWORD src1_sel:BYTE_0
	v_cndmask_b32_e64 v12, 0, 1, s[22:23]
	v_cmp_lt_u16_sdwa s[22:23], v11, v6 src0_sel:DWORD src1_sel:BYTE_0
	v_cndmask_b32_e64 v13, 0, 1, s[22:23]
	v_cndmask_b32_e64 v12, v13, v12, s[6:7]
	v_cmp_eq_u16_sdwa s[22:23], v11, v6 src0_sel:DWORD src1_sel:BYTE_0
	v_and_b32_e32 v14, 1, v12
	v_cndmask_b32_e64 v12, 0, 1, s[22:23]
.LBB6_23:                               ;   in Loop: Header=BB6_21 Depth=1
	s_or_b64 exec, exec, s[14:15]
	ds_write_b32 v2, v14
	s_waitcnt vmcnt(0) lgkmcnt(0)
	s_barrier
	s_and_saveexec_b64 s[14:15], s[4:5]
	s_cbranch_execz .LBB6_25
; %bb.24:                               ;   in Loop: Header=BB6_21 Depth=1
	v_add_u32_e32 v13, v7, v8
	ds_read2_b32 v[15:16], v13 offset1:1
	ds_read2_b32 v[17:18], v13 offset0:2 offset1:3
	v_and_b32_e32 v19, 15, v10
	v_cmp_ne_u32_e32 vcc, 0, v19
	s_waitcnt lgkmcnt(1)
	v_add_u32_e32 v16, v16, v15
	s_waitcnt lgkmcnt(0)
	v_add3_u32 v16, v16, v17, v18
	v_bfe_i32 v18, v10, 4, 1
	; wave barrier
	s_nop 0
	v_mov_b32_dpp v17, v16 row_shr:1 row_mask:0xf bank_mask:0xf
	v_cndmask_b32_e32 v17, 0, v17, vcc
	v_add_u32_e32 v16, v17, v16
	v_cmp_lt_u32_e32 vcc, 1, v19
	s_nop 0
	v_mov_b32_dpp v17, v16 row_shr:2 row_mask:0xf bank_mask:0xf
	v_cndmask_b32_e32 v17, 0, v17, vcc
	v_add_u32_e32 v16, v16, v17
	v_cmp_lt_u32_e32 vcc, 3, v19
	;; [unrolled: 5-line block ×4, first 2 shown]
	s_nop 0
	v_mov_b32_dpp v17, v16 row_bcast:15 row_mask:0xf bank_mask:0xf
	v_and_b32_e32 v17, v18, v17
	v_add_u32_e32 v16, v16, v17
	v_and_b32_e32 v18, 64, v10
	s_nop 0
	v_mov_b32_dpp v17, v16 row_bcast:31 row_mask:0xf bank_mask:0xf
	v_cndmask_b32_e32 v17, 0, v17, vcc
	v_add_u32_e32 v16, v16, v17
	v_add_u32_e32 v17, -1, v10
	v_cmp_lt_i32_e32 vcc, v17, v18
	v_cndmask_b32_e32 v17, v17, v10, vcc
	v_lshlrev_b32_e32 v17, 2, v17
	ds_bpermute_b32 v16, v17, v16
	s_waitcnt lgkmcnt(0)
	v_add_u32_e32 v15, v16, v15
	v_cndmask_b32_e64 v17, v15, v14, s[2:3]
	ds_write_b32 v13, v17
	; wave barrier
	ds_read2_b32 v[15:16], v13 offset0:1 offset1:2
	ds_read_b32 v18, v13 offset:12
	s_waitcnt lgkmcnt(1)
	v_add_u32_e32 v15, v15, v17
	v_add_u32_e32 v16, v16, v15
	ds_write2_b32 v13, v15, v16 offset0:1 offset1:2
	s_waitcnt lgkmcnt(1)
	v_add_u32_e32 v15, v18, v16
	ds_write_b32 v13, v15 offset:12
.LBB6_25:                               ;   in Loop: Header=BB6_21 Depth=1
	s_or_b64 exec, exec, s[14:15]
	v_mov_b32_e32 v15, 0
	s_waitcnt lgkmcnt(0)
	s_barrier
	s_and_saveexec_b64 s[14:15], s[0:1]
; %bb.26:                               ;   in Loop: Header=BB6_21 Depth=1
	ds_read_b32 v15, v9
; %bb.27:                               ;   in Loop: Header=BB6_21 Depth=1
	s_or_b64 exec, exec, s[14:15]
	ds_read_b32 v13, v5 offset:1048
	v_cmp_ne_u32_e32 vcc, 0, v14
	s_waitcnt lgkmcnt(0)
	s_barrier
	s_and_saveexec_b64 s[14:15], vcc
	s_cbranch_execz .LBB6_29
; %bb.28:                               ;   in Loop: Header=BB6_21 Depth=1
	v_add_u32_e32 v14, v15, v3
	v_mul_lo_u32 v16, v14, s20
	v_mul_lo_u32 v14, v14, s8
	v_mov_b32_e32 v15, v5
	global_store_byte v16, v11, s[16:17]
	v_lshlrev_b64 v[14:15], 3, v[14:15]
	v_mov_b32_e32 v16, s19
	v_add_co_u32_e32 v14, vcc, s18, v14
	v_addc_co_u32_e32 v15, vcc, v16, v15, vcc
	global_store_dwordx2 v[14:15], v[4:5], off
.LBB6_29:                               ;   in Loop: Header=BB6_21 Depth=1
	s_or_b64 exec, exec, s[14:15]
	v_cmp_le_u32_e32 vcc, s13, v1
	s_cbranch_vccnz .LBB6_20
; %bb.30:                               ;   in Loop: Header=BB6_21 Depth=1
	ds_write_b32 v2, v12
	s_waitcnt vmcnt(0) lgkmcnt(0)
	s_barrier
	s_and_saveexec_b64 s[14:15], s[4:5]
	s_cbranch_execz .LBB6_32
; %bb.31:                               ;   in Loop: Header=BB6_21 Depth=1
	v_add_u32_e32 v18, v7, v8
	ds_read2_b32 v[14:15], v18 offset1:1
	ds_read2_b32 v[16:17], v18 offset0:2 offset1:3
	v_and_b32_e32 v19, 15, v10
	v_cmp_ne_u32_e32 vcc, 0, v19
	s_waitcnt lgkmcnt(1)
	v_add_u32_e32 v15, v15, v14
	s_waitcnt lgkmcnt(0)
	v_add3_u32 v15, v15, v16, v17
	v_bfe_i32 v17, v10, 4, 1
	; wave barrier
	s_nop 0
	v_mov_b32_dpp v16, v15 row_shr:1 row_mask:0xf bank_mask:0xf
	v_cndmask_b32_e32 v16, 0, v16, vcc
	v_add_u32_e32 v15, v16, v15
	v_cmp_lt_u32_e32 vcc, 1, v19
	s_nop 0
	v_mov_b32_dpp v16, v15 row_shr:2 row_mask:0xf bank_mask:0xf
	v_cndmask_b32_e32 v16, 0, v16, vcc
	v_add_u32_e32 v15, v15, v16
	v_cmp_lt_u32_e32 vcc, 3, v19
	;; [unrolled: 5-line block ×4, first 2 shown]
	s_nop 0
	v_mov_b32_dpp v16, v15 row_bcast:15 row_mask:0xf bank_mask:0xf
	v_and_b32_e32 v16, v17, v16
	v_add_u32_e32 v15, v15, v16
	v_and_b32_e32 v17, 64, v10
	s_nop 0
	v_mov_b32_dpp v16, v15 row_bcast:31 row_mask:0xf bank_mask:0xf
	v_cndmask_b32_e32 v16, 0, v16, vcc
	v_add_u32_e32 v15, v15, v16
	v_add_u32_e32 v16, -1, v10
	v_cmp_lt_i32_e32 vcc, v16, v17
	v_cndmask_b32_e32 v16, v16, v10, vcc
	v_lshlrev_b32_e32 v16, 2, v16
	ds_bpermute_b32 v15, v16, v15
	s_waitcnt lgkmcnt(0)
	v_add_u32_e32 v14, v15, v14
	v_cndmask_b32_e64 v16, v14, v12, s[2:3]
	ds_write_b32 v18, v16
	; wave barrier
	ds_read2_b32 v[14:15], v18 offset0:1 offset1:2
	ds_read_b32 v17, v18 offset:12
	s_waitcnt lgkmcnt(1)
	v_add_u32_e32 v14, v14, v16
	v_add_u32_e32 v15, v15, v14
	ds_write2_b32 v18, v14, v15 offset0:1 offset1:2
	s_waitcnt lgkmcnt(1)
	v_add_u32_e32 v14, v17, v15
	ds_write_b32 v18, v14 offset:12
.LBB6_32:                               ;   in Loop: Header=BB6_21 Depth=1
	s_or_b64 exec, exec, s[14:15]
	v_mov_b32_e32 v15, 0
	s_waitcnt lgkmcnt(0)
	s_barrier
	s_and_saveexec_b64 s[14:15], s[0:1]
; %bb.33:                               ;   in Loop: Header=BB6_21 Depth=1
	ds_read_b32 v15, v9
; %bb.34:                               ;   in Loop: Header=BB6_21 Depth=1
	s_or_b64 exec, exec, s[14:15]
	ds_read_b32 v14, v5 offset:1048
	v_cmp_ne_u32_e32 vcc, 0, v12
	s_waitcnt lgkmcnt(0)
	s_barrier
	s_and_saveexec_b64 s[14:15], vcc
	s_cbranch_execz .LBB6_19
; %bb.35:                               ;   in Loop: Header=BB6_21 Depth=1
	v_add_u32_e32 v12, v15, v1
	v_cmp_gt_u32_e32 vcc, s13, v12
	s_and_b64 exec, exec, vcc
	s_cbranch_execz .LBB6_19
; %bb.36:                               ;   in Loop: Header=BB6_21 Depth=1
	v_mul_lo_u32 v15, v12, s8
	v_mov_b32_e32 v16, v5
	v_mul_lo_u32 v17, v12, s20
	v_mov_b32_e32 v12, s19
	v_lshlrev_b64 v[15:16], 3, v[15:16]
	global_store_byte v17, v11, s[16:17]
	v_add_co_u32_e32 v15, vcc, s18, v15
	v_addc_co_u32_e32 v16, vcc, v12, v16, vcc
	global_store_dwordx2 v[15:16], v[4:5], off
	s_branch .LBB6_19
.LBB6_37:                               ;   in Loop: Header=BB6_38 Depth=1
	s_add_u32 s16, s16, 4
	s_addc_u32 s17, s17, 0
	s_waitcnt lgkmcnt(0)
	s_add_i32 s46, s15, s46
	s_add_u32 s18, s18, 4
	s_addc_u32 s19, s19, 0
	s_add_i32 s14, s14, 1
	s_cmp_lt_u32 s14, s10
	s_cbranch_scc0 .LBB6_16
.LBB6_38:                               ; =>This Inner Loop Header: Depth=1
	s_load_dword s15, s[16:17], 0x0
	s_cmp_ge_u32 s14, s45
	s_cbranch_scc1 .LBB6_37
; %bb.39:                               ;   in Loop: Header=BB6_38 Depth=1
	s_load_dword s34, s[18:19], 0x0
	s_waitcnt lgkmcnt(0)
	s_add_i32 s13, s15, s13
	s_add_i32 s12, s34, s12
	s_branch .LBB6_37
.LBB6_40:
	s_endpgm
	.section	.rodata,"a",@progbits
	.p2align	6, 0x0
	.amdhsa_kernel _ZN2at6native6mbtopk10gatherTopKIhjLi2EEEvNS_4cuda6detail10TensorInfoIKT_T0_EES8_S8_bjS8_NS5_IS6_S8_EES8_NS5_IlS8_EES8_jjPS6_PjSD_j
		.amdhsa_group_segment_fixed_size 1068
		.amdhsa_private_segment_fixed_size 0
		.amdhsa_kernarg_size 984
		.amdhsa_user_sgpr_count 6
		.amdhsa_user_sgpr_private_segment_buffer 1
		.amdhsa_user_sgpr_dispatch_ptr 0
		.amdhsa_user_sgpr_queue_ptr 0
		.amdhsa_user_sgpr_kernarg_segment_ptr 1
		.amdhsa_user_sgpr_dispatch_id 0
		.amdhsa_user_sgpr_flat_scratch_init 0
		.amdhsa_user_sgpr_private_segment_size 0
		.amdhsa_uses_dynamic_stack 0
		.amdhsa_system_sgpr_private_segment_wavefront_offset 0
		.amdhsa_system_sgpr_workgroup_id_x 1
		.amdhsa_system_sgpr_workgroup_id_y 1
		.amdhsa_system_sgpr_workgroup_id_z 1
		.amdhsa_system_sgpr_workgroup_info 0
		.amdhsa_system_vgpr_workitem_id 0
		.amdhsa_next_free_vgpr 20
		.amdhsa_next_free_sgpr 50
		.amdhsa_reserve_vcc 1
		.amdhsa_reserve_flat_scratch 0
		.amdhsa_float_round_mode_32 0
		.amdhsa_float_round_mode_16_64 0
		.amdhsa_float_denorm_mode_32 3
		.amdhsa_float_denorm_mode_16_64 3
		.amdhsa_dx10_clamp 1
		.amdhsa_ieee_mode 1
		.amdhsa_fp16_overflow 0
		.amdhsa_exception_fp_ieee_invalid_op 0
		.amdhsa_exception_fp_denorm_src 0
		.amdhsa_exception_fp_ieee_div_zero 0
		.amdhsa_exception_fp_ieee_overflow 0
		.amdhsa_exception_fp_ieee_underflow 0
		.amdhsa_exception_fp_ieee_inexact 0
		.amdhsa_exception_int_div_zero 0
	.end_amdhsa_kernel
	.section	.text._ZN2at6native6mbtopk10gatherTopKIhjLi2EEEvNS_4cuda6detail10TensorInfoIKT_T0_EES8_S8_bjS8_NS5_IS6_S8_EES8_NS5_IlS8_EES8_jjPS6_PjSD_j,"axG",@progbits,_ZN2at6native6mbtopk10gatherTopKIhjLi2EEEvNS_4cuda6detail10TensorInfoIKT_T0_EES8_S8_bjS8_NS5_IS6_S8_EES8_NS5_IlS8_EES8_jjPS6_PjSD_j,comdat
.Lfunc_end6:
	.size	_ZN2at6native6mbtopk10gatherTopKIhjLi2EEEvNS_4cuda6detail10TensorInfoIKT_T0_EES8_S8_bjS8_NS5_IS6_S8_EES8_NS5_IlS8_EES8_jjPS6_PjSD_j, .Lfunc_end6-_ZN2at6native6mbtopk10gatherTopKIhjLi2EEEvNS_4cuda6detail10TensorInfoIKT_T0_EES8_S8_bjS8_NS5_IS6_S8_EES8_NS5_IlS8_EES8_jjPS6_PjSD_j
                                        ; -- End function
	.set _ZN2at6native6mbtopk10gatherTopKIhjLi2EEEvNS_4cuda6detail10TensorInfoIKT_T0_EES8_S8_bjS8_NS5_IS6_S8_EES8_NS5_IlS8_EES8_jjPS6_PjSD_j.num_vgpr, 20
	.set _ZN2at6native6mbtopk10gatherTopKIhjLi2EEEvNS_4cuda6detail10TensorInfoIKT_T0_EES8_S8_bjS8_NS5_IS6_S8_EES8_NS5_IlS8_EES8_jjPS6_PjSD_j.num_agpr, 0
	.set _ZN2at6native6mbtopk10gatherTopKIhjLi2EEEvNS_4cuda6detail10TensorInfoIKT_T0_EES8_S8_bjS8_NS5_IS6_S8_EES8_NS5_IlS8_EES8_jjPS6_PjSD_j.numbered_sgpr, 50
	.set _ZN2at6native6mbtopk10gatherTopKIhjLi2EEEvNS_4cuda6detail10TensorInfoIKT_T0_EES8_S8_bjS8_NS5_IS6_S8_EES8_NS5_IlS8_EES8_jjPS6_PjSD_j.num_named_barrier, 0
	.set _ZN2at6native6mbtopk10gatherTopKIhjLi2EEEvNS_4cuda6detail10TensorInfoIKT_T0_EES8_S8_bjS8_NS5_IS6_S8_EES8_NS5_IlS8_EES8_jjPS6_PjSD_j.private_seg_size, 0
	.set _ZN2at6native6mbtopk10gatherTopKIhjLi2EEEvNS_4cuda6detail10TensorInfoIKT_T0_EES8_S8_bjS8_NS5_IS6_S8_EES8_NS5_IlS8_EES8_jjPS6_PjSD_j.uses_vcc, 1
	.set _ZN2at6native6mbtopk10gatherTopKIhjLi2EEEvNS_4cuda6detail10TensorInfoIKT_T0_EES8_S8_bjS8_NS5_IS6_S8_EES8_NS5_IlS8_EES8_jjPS6_PjSD_j.uses_flat_scratch, 0
	.set _ZN2at6native6mbtopk10gatherTopKIhjLi2EEEvNS_4cuda6detail10TensorInfoIKT_T0_EES8_S8_bjS8_NS5_IS6_S8_EES8_NS5_IlS8_EES8_jjPS6_PjSD_j.has_dyn_sized_stack, 0
	.set _ZN2at6native6mbtopk10gatherTopKIhjLi2EEEvNS_4cuda6detail10TensorInfoIKT_T0_EES8_S8_bjS8_NS5_IS6_S8_EES8_NS5_IlS8_EES8_jjPS6_PjSD_j.has_recursion, 0
	.set _ZN2at6native6mbtopk10gatherTopKIhjLi2EEEvNS_4cuda6detail10TensorInfoIKT_T0_EES8_S8_bjS8_NS5_IS6_S8_EES8_NS5_IlS8_EES8_jjPS6_PjSD_j.has_indirect_call, 0
	.section	.AMDGPU.csdata,"",@progbits
; Kernel info:
; codeLenInByte = 2312
; TotalNumSgprs: 54
; NumVgprs: 20
; ScratchSize: 0
; MemoryBound: 0
; FloatMode: 240
; IeeeMode: 1
; LDSByteSize: 1068 bytes/workgroup (compile time only)
; SGPRBlocks: 6
; VGPRBlocks: 4
; NumSGPRsForWavesPerEU: 54
; NumVGPRsForWavesPerEU: 20
; Occupancy: 10
; WaveLimiterHint : 1
; COMPUTE_PGM_RSRC2:SCRATCH_EN: 0
; COMPUTE_PGM_RSRC2:USER_SGPR: 6
; COMPUTE_PGM_RSRC2:TRAP_HANDLER: 0
; COMPUTE_PGM_RSRC2:TGID_X_EN: 1
; COMPUTE_PGM_RSRC2:TGID_Y_EN: 1
; COMPUTE_PGM_RSRC2:TGID_Z_EN: 1
; COMPUTE_PGM_RSRC2:TIDIG_COMP_CNT: 0
	.section	.text._ZN2at6native6sbtopk10gatherTopKIhjLi2ELb0EEEvNS_4cuda6detail10TensorInfoIKT_T0_EES8_S8_bS8_S8_NS5_IS6_S8_EES8_NS5_IlS8_EES8_PS6_,"axG",@progbits,_ZN2at6native6sbtopk10gatherTopKIhjLi2ELb0EEEvNS_4cuda6detail10TensorInfoIKT_T0_EES8_S8_bS8_S8_NS5_IS6_S8_EES8_NS5_IlS8_EES8_PS6_,comdat
	.protected	_ZN2at6native6sbtopk10gatherTopKIhjLi2ELb0EEEvNS_4cuda6detail10TensorInfoIKT_T0_EES8_S8_bS8_S8_NS5_IS6_S8_EES8_NS5_IlS8_EES8_PS6_ ; -- Begin function _ZN2at6native6sbtopk10gatherTopKIhjLi2ELb0EEEvNS_4cuda6detail10TensorInfoIKT_T0_EES8_S8_bS8_S8_NS5_IS6_S8_EES8_NS5_IlS8_EES8_PS6_
	.globl	_ZN2at6native6sbtopk10gatherTopKIhjLi2ELb0EEEvNS_4cuda6detail10TensorInfoIKT_T0_EES8_S8_bS8_S8_NS5_IS6_S8_EES8_NS5_IlS8_EES8_PS6_
	.p2align	8
	.type	_ZN2at6native6sbtopk10gatherTopKIhjLi2ELb0EEEvNS_4cuda6detail10TensorInfoIKT_T0_EES8_S8_bS8_S8_NS5_IS6_S8_EES8_NS5_IlS8_EES8_PS6_,@function
_ZN2at6native6sbtopk10gatherTopKIhjLi2ELb0EEEvNS_4cuda6detail10TensorInfoIKT_T0_EES8_S8_bS8_S8_NS5_IS6_S8_EES8_NS5_IlS8_EES8_PS6_: ; @_ZN2at6native6sbtopk10gatherTopKIhjLi2ELb0EEEvNS_4cuda6detail10TensorInfoIKT_T0_EES8_S8_bS8_S8_NS5_IS6_S8_EES8_NS5_IlS8_EES8_PS6_
; %bb.0:
	s_load_dwordx2 s[14:15], s[4:5], 0x2b8
	s_load_dwordx4 s[36:39], s[4:5], 0xd8
	s_add_u32 s12, s4, 0x2b8
	s_addc_u32 s13, s5, 0
	s_waitcnt lgkmcnt(0)
	s_mul_i32 s0, s15, s8
	s_add_i32 s0, s0, s7
	s_mul_i32 s0, s0, s14
	s_add_i32 s16, s0, s6
	s_cmp_ge_u32 s16, s39
	s_cbranch_scc1 .LBB7_411
; %bb.1:
	s_load_dwordx2 s[8:9], s[4:5], 0x23c
                                        ; implicit-def: $vgpr51 : SGPR spill to VGPR lane
	s_load_dword s15, s[4:5], 0xc
	s_load_dword s52, s[4:5], 0xe8
	s_load_dwordx2 s[2:3], s[4:5], 0x6c
	s_load_dwordx2 s[0:1], s[4:5], 0x0
	s_load_dword s10, s[4:5], 0x1dc
	s_load_dword s11, s[4:5], 0xfc
	s_waitcnt lgkmcnt(0)
	v_cvt_f32_u32_e32 v1, s15
	s_mov_b32 s54, 0
	v_writelane_b32 v51, s8, 0
	v_writelane_b32 v51, s9, 1
	s_load_dwordx2 s[8:9], s[4:5], 0x1d0
	v_rcp_iflag_f32_e32 v1, v1
	v_cvt_f32_u32_e32 v2, s11
	v_mul_f32_e32 v1, 0x4f7ffffe, v1
	s_waitcnt lgkmcnt(0)
	v_writelane_b32 v51, s8, 2
	v_writelane_b32 v51, s9, 3
	s_load_dwordx2 s[8:9], s[4:5], 0x15c
	v_cvt_u32_f32_e32 v1, v1
	v_rcp_iflag_f32_e32 v2, v2
	s_waitcnt lgkmcnt(0)
	v_writelane_b32 v51, s8, 4
	v_writelane_b32 v51, s9, 5
	;; [unrolled: 1-line block ×4, first 2 shown]
	s_load_dwordx2 s[4:5], s[4:5], 0xf0
	v_readfirstlane_b32 s7, v1
	v_mul_f32_e32 v1, 0x4f7ffffe, v2
	v_cvt_f32_u32_e32 v2, s10
	v_cvt_u32_f32_e32 v1, v1
	s_waitcnt lgkmcnt(0)
	v_writelane_b32 v51, s4, 8
	v_writelane_b32 v51, s5, 9
	v_rcp_iflag_f32_e32 v2, v2
	s_sub_i32 s5, 0, s15
	s_mul_i32 s5, s5, s7
	s_mul_hi_u32 s5, s7, s5
	s_add_i32 s7, s7, s5
	v_readfirstlane_b32 s8, v1
	v_mul_f32_e32 v1, 0x4f7ffffe, v2
	s_mul_hi_u32 s5, s16, s7
	s_sub_i32 s7, 0, s11
	v_cvt_u32_f32_e32 v1, v1
	s_mul_i32 s7, s7, s8
	s_mul_hi_u32 s7, s8, s7
	s_add_i32 s8, s8, s7
	s_mul_hi_u32 s4, s16, s8
	s_sub_i32 s7, 0, s10
	v_readfirstlane_b32 s8, v1
	s_mul_i32 s7, s7, s8
	v_writelane_b32 v51, s11, 10
	s_mul_hi_u32 s7, s8, s7
	v_writelane_b32 v51, s4, 11
	s_add_i32 s8, s8, s7
	v_writelane_b32 v51, s10, 12
	s_mul_hi_u32 s4, s16, s8
	v_writelane_b32 v51, s4, 13
	v_cmp_eq_u32_e64 s[10:11], 0, v0
	s_mov_b64 s[8:9], exec
	v_writelane_b32 v51, s10, 14
	v_writelane_b32 v51, s11, 15
	s_and_b64 s[10:11], s[8:9], s[10:11]
	s_mov_b64 exec, s[10:11]
; %bb.2:
	v_mov_b32_e32 v1, 0
	v_mov_b32_e32 v2, s36
	;; [unrolled: 1-line block ×3, first 2 shown]
	ds_write_b96 v1, v[1:3] offset:4096
; %bb.3:
	s_or_b64 exec, exec, s[8:9]
	s_mul_i32 s7, s5, s15
	s_sub_i32 s7, s16, s7
	s_add_i32 s8, s5, 1
	s_sub_i32 s9, s7, s15
	s_cmp_ge_u32 s7, s15
	s_cselect_b32 s5, s8, s5
	s_cselect_b32 s7, s9, s7
	s_add_i32 s8, s5, 1
	s_cmp_ge_u32 s7, s15
	s_cselect_b32 s5, s8, s5
	s_mul_i32 s4, s5, s15
	s_sub_i32 s4, s16, s4
	s_mul_i32 s4, s4, s3
	s_mul_i32 s2, s5, s2
	s_add_i32 s2, s2, s4
	s_add_u32 s40, s0, s2
	s_addc_u32 s41, s1, 0
	s_waitcnt lgkmcnt(0)
	s_barrier
	s_load_dword s0, s[12:13], 0xc
	s_bitcmp1_b32 s38, 0
	v_writelane_b32 v51, s16, 16
	s_cselect_b64 s[2:3], -1, 0
	v_writelane_b32 v51, s2, 17
	v_writelane_b32 v51, s3, 18
	s_xor_b64 s[2:3], s[2:3], -1
	v_mbcnt_lo_u32_b32 v1, -1, 0
	v_writelane_b32 v51, s2, 19
	v_mbcnt_hi_u32_b32 v21, -1, v1
	v_writelane_b32 v51, s3, 20
	s_waitcnt lgkmcnt(0)
	s_and_b32 s33, s0, 0xffff
	v_cmp_gt_u32_e32 vcc, 64, v0
	v_cmp_gt_i32_e64 s[2:3], 4, v21
	s_lshl_b32 s55, s33, 2
	s_bfe_u32 s4, s0, 0xa0006
	s_and_b64 s[2:3], vcc, s[2:3]
	v_writelane_b32 v51, s2, 21
	s_cmpk_gt_u32 s36, 0xc00
	v_writelane_b32 v51, s3, 22
	s_cselect_b64 s[2:3], -1, 0
	v_writelane_b32 v51, s2, 23
	v_writelane_b32 v51, s3, 24
	v_cmp_gt_u32_e64 s[2:3], s36, v0
	v_writelane_b32 v51, s2, 25
	s_cmp_gt_u32 s33, 63
	v_writelane_b32 v51, s3, 26
	s_cselect_b64 s[2:3], -1, 0
	v_writelane_b32 v51, s2, 27
	v_writelane_b32 v51, s3, 28
	v_cmp_gt_u32_e64 s[2:3], 2, v0
	v_writelane_b32 v51, s2, 29
	v_writelane_b32 v51, s3, 30
	s_add_i32 s2, s33, -1
	v_lshlrev_b64 v[2:3], v21, -1
	v_writelane_b32 v51, s2, 31
	s_add_i32 s2, s2, s36
	v_not_b32_e32 v19, v2
	v_lshrrev_b32_e32 v2, 2, v0
	s_cmp_lt_u32 s6, s14
	v_and_b32_e32 v2, 0xf0, v2
	s_cselect_b32 s3, 12, 18
	v_or_b32_e32 v24, 0xc00, v2
	s_add_u32 s6, s12, s3
	v_add_u32_e32 v2, 2, v0
	s_addc_u32 s7, s13, 0
	v_max_u32_e32 v2, s36, v2
	v_writelane_b32 v51, s6, 32
	v_xad_u32 v2, v0, -1, v2
	v_writelane_b32 v51, s7, 33
	v_cmp_lt_u32_e64 s[6:7], 31, v2
	v_writelane_b32 v51, s6, 34
	v_writelane_b32 v51, s7, 35
	v_not_b32_e32 v18, v3
	v_add_u32_e32 v3, -4, v2
	v_writelane_b32 v51, s52, 36
	v_lshrrev_b32_e32 v4, 2, v3
	v_writelane_b32 v51, s52, 37
	v_add_u32_e32 v4, 1, v4
	v_writelane_b32 v51, s52, 38
	v_cmp_lt_u32_e64 s[6:7], 11, v3
	v_and_b32_e32 v5, 3, v4
	v_writelane_b32 v51, s6, 39
	v_writelane_b32 v51, s7, 40
	v_cmp_ne_u32_e64 s[6:7], 0, v5
	v_and_b32_e32 v25, -4, v2
	v_writelane_b32 v51, s6, 41
	v_writelane_b32 v51, s7, 42
	v_cmp_ne_u32_e64 s[6:7], v2, v25
	v_cvt_f32_u32_e32 v2, s55
	s_add_i32 s3, s4, -1
	s_bfe_u32 s5, s33, 0x30006
	s_and_b32 s3, s3, 0xffff
	v_rcp_iflag_f32_e32 v2, v2
	v_writelane_b32 v51, s6, 43
	s_cmp_gt_u32 s3, 6
	v_writelane_b32 v51, s7, 44
	s_cselect_b64 s[6:7], -1, 0
	v_mul_f32_e32 v2, 0x4f7ffffe, v2
	v_writelane_b32 v51, s6, 45
	s_and_b32 s23, s4, 0x3f8
	v_cvt_u32_f32_e32 v2, v2
	v_writelane_b32 v51, s7, 46
	s_cmp_lg_u32 s5, 0
	v_writelane_b32 v51, s5, 47
	s_cselect_b64 s[4:5], -1, 0
	v_writelane_b32 v51, s4, 48
	v_writelane_b32 v51, s5, 49
	s_sub_i32 s3, 0, s55
	v_readfirstlane_b32 s4, v2
	s_mul_i32 s3, s3, s4
	s_mul_hi_u32 s3, s4, s3
	s_add_i32 s3, s4, s3
	v_writelane_b32 v51, s3, 50
	s_mul_hi_u32 s3, s36, s3
	s_mul_i32 s3, s3, s55
	v_cvt_f32_u32_e32 v2, s33
	s_sub_i32 s3, s36, s3
	s_sub_i32 s4, s3, s55
	s_cmp_ge_u32 s3, s55
	s_cselect_b32 s3, s4, s3
	v_rcp_iflag_f32_e32 v2, v2
	s_sub_i32 s4, s3, s55
	s_cmp_ge_u32 s3, s55
	s_cselect_b32 s3, s4, s3
	v_lshlrev_b32_e32 v20, 2, v0
	s_sub_i32 s11, s36, s3
	v_mul_f32_e32 v2, 0x4f7ffffe, v2
	v_cmp_gt_u32_e64 s[4:5], s11, v20
	v_cvt_u32_f32_e32 v2, v2
	v_writelane_b32 v51, s4, 51
	v_add_u32_e32 v28, s11, v0
	v_writelane_b32 v51, s5, 52
	v_cmp_gt_u32_e64 s[4:5], s36, v28
	v_writelane_b32 v51, s4, 53
	v_writelane_b32 v51, s5, 54
	s_sub_i32 s4, 0, s33
	v_readfirstlane_b32 s5, v2
	s_mul_i32 s4, s4, s5
	s_mul_hi_u32 s4, s5, s4
	s_add_i32 s4, s5, s4
	v_writelane_b32 v51, s4, 55
	s_mul_hi_u32 s4, s2, s4
	s_mul_i32 s4, s4, s33
	s_sub_i32 s4, s2, s4
	s_sub_i32 s5, s4, s33
	s_cmp_ge_u32 s4, s33
	v_mul_lo_u32 v2, s52, v20
	s_cselect_b32 s4, s5, s4
	s_sub_i32 s5, s4, s33
	s_cmp_ge_u32 s4, s33
	v_mul_lo_u32 v22, s52, v0
	s_cselect_b32 s4, s5, s4
	v_add_u32_e32 v31, s52, v2
	v_or_b32_e32 v2, 2, v20
	s_sub_i32 s4, s2, s4
	v_mul_lo_u32 v32, s52, v2
	v_or_b32_e32 v2, 3, v20
	s_add_i32 s2, s33, s36
	v_mul_lo_u32 v3, v28, s52
	v_mul_lo_u32 v33, s52, v2
	v_add_u32_e32 v2, s2, v0
	v_subrev_u32_e32 v2, s3, v2
	v_mov_b32_e32 v1, s41
	v_add_co_u32_e32 v13, vcc, s40, v22
	v_mul_lo_u32 v35, s52, v2
	v_addc_co_u32_e32 v14, vcc, 0, v1, vcc
	v_lshlrev_b32_e32 v1, 2, v21
	v_and_b32_e32 v27, 0x7ffffffc, v4
	v_mov_b32_e32 v4, s41
	v_add_co_u32_e32 v15, vcc, s40, v3
	v_cmp_gt_u32_e64 s[6:7], s4, v0
	s_mul_i32 s53, s52, s33
	v_cmp_eq_u32_e64 s[0:1], 0, v21
	v_mov_b32_e32 v23, 0
	v_and_b32_e32 v17, 0x100, v1
	v_add_u32_e32 v26, v0, v25
	s_mov_b32 s10, 6
	v_addc_co_u32_e32 v16, vcc, 0, v4, vcc
	v_writelane_b32 v51, s6, 56
	v_lshlrev_b32_e32 v30, 2, v5
	s_lshl_b32 s5, s53, 2
	v_lshlrev_b32_e32 v34, 2, v22
	v_or_b32_e32 v36, 0xc00, v1
	s_mov_b64 s[62:63], 0
	v_mov_b32_e32 v40, s37
	s_mov_b32 s20, 0xc0c0004
	v_mov_b32_e32 v37, 8
	v_mov_b32_e32 v39, 0
	;; [unrolled: 1-line block ×4, first 2 shown]
	v_writelane_b32 v51, s7, 57
                                        ; implicit-def: $sgpr64_sgpr65
                                        ; implicit-def: $sgpr66_sgpr67
                                        ; implicit-def: $sgpr70_sgpr71
                                        ; implicit-def: $sgpr72_sgpr73
                                        ; implicit-def: $sgpr68_sgpr69
                                        ; implicit-def: $sgpr74_sgpr75
                                        ; implicit-def: $sgpr76_sgpr77
                                        ; implicit-def: $sgpr78_sgpr79
                                        ; implicit-def: $sgpr80_sgpr81
                                        ; implicit-def: $sgpr82_sgpr83
	s_branch .LBB7_6
.LBB7_4:                                ;   in Loop: Header=BB7_6 Depth=1
	s_or_b64 exec, exec, s[14:15]
	s_andn2_b64 s[8:9], s[82:83], exec
	s_and_b64 s[12:13], s[12:13], exec
	s_or_b64 s[82:83], s[8:9], s[12:13]
	s_andn2_b64 s[80:81], s[80:81], exec
	s_andn2_b64 s[78:79], s[78:79], exec
	;; [unrolled: 1-line block ×4, first 2 shown]
	s_orn2_b64 s[6:7], s[6:7], exec
	v_mov_b32_e32 v40, v4
.LBB7_5:                                ;   in Loop: Header=BB7_6 Depth=1
	s_or_b64 exec, exec, s[2:3]
	s_and_b64 s[2:3], exec, s[6:7]
	s_or_b64 s[62:63], s[2:3], s[62:63]
	s_andn2_b64 s[2:3], s[68:69], exec
	s_and_b64 s[6:7], s[82:83], exec
	s_or_b64 s[68:69], s[2:3], s[6:7]
	s_andn2_b64 s[2:3], s[72:73], exec
	s_and_b64 s[6:7], s[80:81], exec
	;; [unrolled: 3-line block ×5, first 2 shown]
	s_or_b64 s[64:65], s[2:3], s[6:7]
	s_andn2_b64 exec, exec, s[62:63]
	s_cbranch_execz .LBB7_407
.LBB7_6:                                ; =>This Loop Header: Depth=1
                                        ;     Child Loop BB7_11 Depth 2
                                        ;     Child Loop BB7_32 Depth 2
	;; [unrolled: 1-line block ×26, first 2 shown]
	ds_read_b64 v[1:2], v23 offset:4096
	s_waitcnt lgkmcnt(0)
	v_readfirstlane_b32 s16, v1
	s_cmp_lg_u32 s16, 0
	s_cbranch_scc1 .LBB7_51
; %bb.7:                                ;   in Loop: Header=BB7_6 Depth=1
	v_readlane_b32 s2, v51, 23
	v_readlane_b32 s3, v51, 24
	s_and_b64 vcc, exec, s[2:3]
	s_cbranch_vccz .LBB7_19
; %bb.8:                                ;   in Loop: Header=BB7_6 Depth=1
	s_movk_i32 s6, 0xc01
	v_cmp_gt_u32_e32 vcc, s6, v2
	s_mov_b64 s[2:3], 0
	s_mov_b64 s[6:7], 0
	s_cbranch_vccz .LBB7_20
; %bb.9:                                ;   in Loop: Header=BB7_6 Depth=1
	v_readlane_b32 s6, v51, 32
	v_readlane_b32 s7, v51, 33
	s_nop 4
	global_load_ushort v1, v23, s[6:7]
	global_load_ubyte v4, v[13:14], off
	s_mov_b64 s[12:13], 0
	v_mov_b32_e32 v5, v0
	s_waitcnt vmcnt(1)
	v_add_u32_e32 v2, v0, v1
	v_mul_lo_u32 v2, s52, v2
	v_mul_lo_u32 v3, s52, v1
	s_branch .LBB7_11
.LBB7_10:                               ;   in Loop: Header=BB7_11 Depth=2
	s_or_b64 exec, exec, s[6:7]
	v_add_u32_e32 v2, v2, v3
	v_mov_b32_e32 v4, v6
	s_andn2_b64 exec, exec, s[12:13]
	s_cbranch_execz .LBB7_26
.LBB7_11:                               ;   Parent Loop BB7_6 Depth=1
                                        ; =>  This Inner Loop Header: Depth=2
	v_add_u32_e32 v5, v5, v1
	v_cmp_gt_u32_e64 s[6:7], s36, v5
	v_cmp_le_u32_e32 vcc, s36, v5
	s_waitcnt lgkmcnt(0)
	v_mov_b32_e32 v7, 0
	v_mov_b32_e32 v6, 0
	s_and_saveexec_b64 s[8:9], s[6:7]
	s_cbranch_execz .LBB7_13
; %bb.12:                               ;   in Loop: Header=BB7_11 Depth=2
	global_load_ubyte v6, v2, s[40:41]
.LBB7_13:                               ;   in Loop: Header=BB7_11 Depth=2
	s_or_b64 exec, exec, s[8:9]
	s_waitcnt vmcnt(0)
	v_and_b32_e32 v8, v4, v38
	v_cmp_eq_u32_sdwa s[14:15], v8, v29 src0_sel:BYTE_0 src1_sel:DWORD
	s_cmp_lg_u64 s[14:15], 0
	s_cselect_b64 s[6:7], -1, 0
	s_and_b64 s[6:7], s[0:1], s[6:7]
	s_and_saveexec_b64 s[16:17], s[6:7]
	s_cbranch_execz .LBB7_17
; %bb.14:                               ;   in Loop: Header=BB7_11 Depth=2
	s_mov_b64 s[18:19], exec
	v_mbcnt_lo_u32_b32 v7, s18, 0
	v_mbcnt_hi_u32_b32 v7, s19, v7
	s_bcnt1_i32_b64 s21, s[14:15]
	v_cmp_eq_u32_e64 s[6:7], 0, v7
                                        ; implicit-def: $vgpr8
	s_and_saveexec_b64 s[8:9], s[6:7]
; %bb.15:                               ;   in Loop: Header=BB7_11 Depth=2
	s_bcnt1_i32_b64 s6, s[18:19]
	s_mul_i32 s6, s21, s6
	v_mov_b32_e32 v8, s6
	ds_add_rtn_u32 v8, v23, v8 offset:4104
; %bb.16:                               ;   in Loop: Header=BB7_11 Depth=2
	s_or_b64 exec, exec, s[8:9]
	s_waitcnt lgkmcnt(0)
	v_readfirstlane_b32 s6, v8
	v_mov_b32_e32 v8, s6
	v_mad_u32_u24 v7, s21, v7, v8
.LBB7_17:                               ;   in Loop: Header=BB7_11 Depth=2
	s_or_b64 exec, exec, s[16:17]
	ds_bpermute_b32 v7, v17, v7
	s_and_b64 s[6:7], exec, vcc
	s_or_b64 s[12:13], s[6:7], s[12:13]
	s_and_saveexec_b64 s[6:7], s[14:15]
	s_cbranch_execz .LBB7_10
; %bb.18:                               ;   in Loop: Header=BB7_11 Depth=2
	v_and_b32_e32 v9, s14, v19
	v_and_b32_e32 v8, s15, v18
	v_bcnt_u32_b32 v9, v9, 0
	v_bcnt_u32_b32 v8, v8, v9
	s_waitcnt lgkmcnt(0)
	v_add_u32_e32 v7, v7, v8
	ds_write_b8 v7, v4
	s_branch .LBB7_10
.LBB7_19:                               ;   in Loop: Header=BB7_6 Depth=1
	s_mov_b64 s[2:3], -1
	s_mov_b64 s[6:7], 0
.LBB7_20:                               ;   in Loop: Header=BB7_6 Depth=1
	s_and_b64 vcc, exec, s[2:3]
	s_cbranch_vccz .LBB7_49
.LBB7_21:                               ;   in Loop: Header=BB7_6 Depth=1
	s_mov_b64 s[26:27], exec
	v_readlane_b32 s2, v51, 25
	v_readlane_b32 s3, v51, 26
	s_and_b64 s[2:3], s[26:27], s[2:3]
	s_mov_b64 exec, s[2:3]
	s_cbranch_execz .LBB7_46
; %bb.22:                               ;   in Loop: Header=BB7_6 Depth=1
	v_readlane_b32 s2, v51, 32
	v_readlane_b32 s3, v51, 33
	s_nop 4
	global_load_ushort v1, v23, s[2:3]
	global_load_ubyte v42, v[13:14], off
	v_mov_b32_e32 v2, v0
	s_waitcnt vmcnt(1)
	v_readfirstlane_b32 s8, v1
	v_add_u32_e32 v1, v0, v1
	v_cmp_gt_u32_e32 vcc, s36, v1
	s_and_saveexec_b64 s[30:31], vcc
	s_cbranch_execz .LBB7_45
; %bb.23:                               ;   in Loop: Header=BB7_6 Depth=1
	s_mov_b64 s[6:7], 0
	s_mul_i32 s9, s52, s8
                                        ; implicit-def: $vgpr2
                                        ; implicit-def: $vgpr5
                                        ; implicit-def: $vgpr4
                                        ; implicit-def: $vgpr3
	s_mov_b64 s[2:3], exec
	v_readlane_b32 s12, v51, 34
	v_readlane_b32 s13, v51, 35
	s_and_b64 s[12:13], s[2:3], s[12:13]
	s_xor_b64 s[34:35], s[12:13], s[2:3]
	s_mov_b64 exec, s[12:13]
	s_cbranch_execnz .LBB7_29
; %bb.24:                               ;   in Loop: Header=BB7_6 Depth=1
	s_andn2_saveexec_b64 s[2:3], s[34:35]
	s_cbranch_execnz .LBB7_40
.LBB7_25:                               ;   in Loop: Header=BB7_6 Depth=1
	s_or_b64 exec, exec, s[2:3]
	s_and_saveexec_b64 s[2:3], s[6:7]
	s_cbranch_execnz .LBB7_41
	s_branch .LBB7_44
.LBB7_26:                               ;   in Loop: Header=BB7_6 Depth=1
	s_or_b64 exec, exec, s[12:13]
	s_waitcnt lgkmcnt(0)
	s_barrier
	s_mov_b64 s[6:7], exec
	v_readlane_b32 s8, v51, 14
	v_readlane_b32 s9, v51, 15
	s_and_b64 s[8:9], s[6:7], s[8:9]
	s_mov_b64 exec, s[8:9]
	s_cbranch_execz .LBB7_28
; %bb.27:                               ;   in Loop: Header=BB7_6 Depth=1
	ds_read_b32 v1, v23 offset:4104
	s_waitcnt lgkmcnt(0)
	ds_write_b32 v23, v1 offset:4096
.LBB7_28:                               ;   in Loop: Header=BB7_6 Depth=1
	s_or_b64 exec, exec, s[6:7]
	s_waitcnt lgkmcnt(0)
	s_barrier
	s_mov_b64 s[6:7], -1
	s_and_b64 vcc, exec, s[2:3]
	s_cbranch_vccnz .LBB7_21
	s_branch .LBB7_49
.LBB7_29:                               ;   in Loop: Header=BB7_6 Depth=1
	v_cvt_f32_u32_e32 v2, s8
	s_sub_i32 s3, 0, s8
	v_add_u32_e32 v3, s8, v1
	v_max_u32_e32 v3, s36, v3
	v_rcp_iflag_f32_e32 v2, v2
	s_lshl_b32 s2, s8, 1
	v_sub_u32_e32 v3, v3, v0
	v_cmp_ne_u32_e32 vcc, s2, v3
	v_mul_f32_e32 v2, 0x4f7ffffe, v2
	v_cvt_u32_f32_e32 v2, v2
	v_cndmask_b32_e64 v6, 0, 1, vcc
	v_or_b32_e32 v6, s2, v6
	v_sub_u32_e32 v3, v3, v6
	v_mul_lo_u32 v4, s3, v2
	s_not_b32 s6, s9
	s_ashr_i32 s14, s6, 31
	s_abs_i32 s12, s9
	v_mul_hi_u32 v4, v2, v4
	v_mul_lo_u32 v5, s52, v1
	s_cmp_eq_u32 s8, 1
	s_mov_b64 s[2:3], -1
	v_add_u32_e32 v2, v2, v4
	v_mul_hi_u32 v4, v3, v2
	v_xor_b32_e32 v5, s14, v5
                                        ; implicit-def: $vgpr2
	v_mul_lo_u32 v6, v4, s8
	v_add_u32_e32 v7, 1, v4
	v_sub_u32_e32 v3, v3, v6
	v_subrev_u32_e32 v6, s8, v3
	v_cmp_le_u32_e64 s[6:7], s8, v3
	v_cndmask_b32_e64 v4, v4, v7, s[6:7]
	v_cndmask_b32_e64 v3, v3, v6, s[6:7]
	v_add_u32_e32 v6, 1, v4
	v_cmp_le_u32_e64 s[6:7], s8, v3
	v_cndmask_b32_e64 v3, v4, v6, s[6:7]
	v_addc_co_u32_e32 v3, vcc, 0, v3, vcc
	v_mul_hi_u32 v4, s12, v3
	v_mul_lo_u32 v3, s12, v3
	s_cselect_b64 s[12:13], -1, 0
	v_cmp_eq_u32_e32 vcc, 0, v4
	v_cmp_le_u32_e64 s[6:7], v3, v5
	s_and_b64 s[12:13], vcc, s[12:13]
	s_and_b64 s[12:13], s[12:13], s[6:7]
	v_mov_b32_e32 v4, v0
	s_and_saveexec_b64 s[6:7], s[12:13]
	s_cbranch_execz .LBB7_39
; %bb.30:                               ;   in Loop: Header=BB7_6 Depth=1
	v_add_u32_e32 v4, 3, v1
	v_add_u32_e32 v3, 2, v1
	;; [unrolled: 1-line block ×3, first 2 shown]
	v_mov_b32_e32 v8, v4
	s_waitcnt vmcnt(0)
	v_lshlrev_b32_e32 v43, 24, v42
	v_mov_b32_e32 v9, 0
	v_mov_b32_e32 v7, v3
	;; [unrolled: 1-line block ×4, first 2 shown]
                                        ; implicit-def: $vgpr42
	s_mov_b64 s[42:43], exec
	v_readlane_b32 s2, v51, 39
	v_readlane_b32 s3, v51, 40
	s_and_b64 s[2:3], s[42:43], s[2:3]
	s_mov_b64 exec, s[2:3]
	s_cbranch_execz .LBB7_34
; %bb.31:                               ;   in Loop: Header=BB7_6 Depth=1
	v_mov_b32_e32 v8, v4
	s_mov_b32 s2, 0
	s_mov_b64 s[44:45], 0
	v_mov_b32_e32 v41, v27
	v_mov_b32_e32 v7, v3
	;; [unrolled: 1-line block ×4, first 2 shown]
	v_readlane_b32 s3, v51, 36
	v_readlane_b32 s12, v51, 37
	;; [unrolled: 1-line block ×3, first 2 shown]
	s_mov_b32 s14, 0xc0c0007
.LBB7_32:                               ;   Parent Loop BB7_6 Depth=1
                                        ; =>  This Inner Loop Header: Depth=2
	v_mul_lo_u32 v2, v5, s52
	v_mul_lo_u32 v9, v6, s3
	;; [unrolled: 1-line block ×3, first 2 shown]
	v_mov_b32_e32 v12, s41
	v_add_co_u32_e32 v2, vcc, s40, v2
	v_addc_co_u32_e32 v3, vcc, 0, v12, vcc
	v_mul_lo_u32 v4, v8, s13
	v_add_co_u32_e32 v9, vcc, s40, v9
	v_addc_co_u32_e32 v10, vcc, 0, v12, vcc
	v_add_co_u32_e32 v44, vcc, s40, v11
	v_addc_co_u32_e32 v45, vcc, 0, v12, vcc
	v_add_co_u32_e32 v46, vcc, s40, v4
	global_load_ubyte v4, v[44:45], off
	s_nop 0
	global_load_ubyte v9, v[9:10], off
	v_add_u32_e32 v10, 4, v7
	global_load_ubyte v2, v[2:3], off
	v_add_u32_e32 v3, 4, v6
	v_mul_lo_u32 v42, v10, s12
	v_mul_lo_u32 v10, v3, s3
	v_addc_co_u32_e32 v47, vcc, 0, v12, vcc
	v_add_u32_e32 v11, 4, v8
	v_mul_lo_u32 v44, v11, s13
	v_add_u32_e32 v41, -4, v41
	s_waitcnt vmcnt(1)
	v_perm_b32 v4, v9, v4, s20
	s_waitcnt vmcnt(0)
	v_perm_b32 v2, v43, v2, s14
	v_lshl_or_b32 v9, v4, 16, v2
	v_add_u32_e32 v2, 4, v5
	v_mul_lo_u32 v2, v2, s52
	v_add_u32_e32 v4, s2, v0
	s_add_i32 s2, s2, 16
	v_add_co_u32_e32 v2, vcc, s40, v2
	v_addc_co_u32_e32 v3, vcc, 0, v12, vcc
	v_add_co_u32_e32 v10, vcc, s40, v10
	v_addc_co_u32_e32 v11, vcc, 0, v12, vcc
	;; [unrolled: 2-line block ×3, first 2 shown]
	global_load_ubyte v46, v[46:47], off
	s_nop 0
	global_load_ubyte v2, v[2:3], off
	s_nop 0
	;; [unrolled: 2-line block ×3, first 2 shown]
	global_load_ubyte v10, v[10:11], off
	v_add_co_u32_e32 v44, vcc, s40, v44
	v_addc_co_u32_e32 v45, vcc, 0, v12, vcc
	v_add_u32_e32 v11, 8, v7
	v_add_u32_e32 v42, 8, v8
	v_mul_lo_u32 v50, v42, s13
	v_mul_lo_u32 v11, v11, s12
	s_waitcnt vmcnt(2)
	v_perm_b32 v2, v46, v2, s20
	s_waitcnt vmcnt(0)
	v_perm_b32 v3, v10, v3, s20
	v_lshl_or_b32 v10, v3, 16, v2
	v_add_u32_e32 v2, 8, v5
	v_mul_lo_u32 v2, v2, s52
	v_add_u32_e32 v3, 8, v6
	v_mul_lo_u32 v3, v3, s3
	v_add_co_u32_e32 v42, vcc, s40, v2
	v_addc_co_u32_e32 v43, vcc, 0, v12, vcc
	v_add_co_u32_e32 v46, vcc, s40, v3
	v_addc_co_u32_e32 v47, vcc, 0, v12, vcc
	v_add_co_u32_e32 v48, vcc, s40, v11
	global_load_ubyte v11, v[42:43], off
	s_nop 0
	global_load_ubyte v42, v[44:45], off
	v_addc_co_u32_e32 v49, vcc, 0, v12, vcc
	v_add_u32_e32 v45, 12, v8
	v_add_co_u32_e32 v2, vcc, s40, v50
	v_addc_co_u32_e32 v3, vcc, 0, v12, vcc
	v_add_u32_e32 v44, 12, v7
	v_add_u32_e32 v8, 16, v8
	;; [unrolled: 1-line block ×3, first 2 shown]
	s_waitcnt vmcnt(0)
	v_perm_b32 v11, v42, v11, s20
	global_load_ubyte v42, v[48:49], off
	global_load_ubyte v43, v[46:47], off
	v_mul_lo_u32 v49, v45, s13
	v_mul_lo_u32 v47, v44, s12
	s_waitcnt vmcnt(0)
	v_perm_b32 v42, v43, v42, s20
	v_lshl_or_b32 v11, v42, 16, v11
	v_add_u32_e32 v42, 12, v5
	v_mul_lo_u32 v42, v42, s52
	v_add_u32_e32 v43, 12, v6
	v_mul_lo_u32 v45, v43, s3
	v_add_u32_e32 v6, 16, v6
	v_add_co_u32_e32 v43, vcc, s40, v42
	v_addc_co_u32_e32 v44, vcc, 0, v12, vcc
	v_add_co_u32_e32 v45, vcc, s40, v45
	v_addc_co_u32_e32 v46, vcc, 0, v12, vcc
	v_add_co_u32_e32 v47, vcc, s40, v47
	v_addc_co_u32_e32 v48, vcc, 0, v12, vcc
	v_add_co_u32_e32 v49, vcc, s40, v49
	v_addc_co_u32_e32 v50, vcc, 0, v12, vcc
	global_load_ubyte v42, v[49:50], off
	global_load_ubyte v12, v[45:46], off
	s_nop 0
	global_load_ubyte v44, v[43:44], off
	v_cmp_eq_u32_e32 vcc, 0, v41
	global_load_ubyte v45, v[47:48], off
	v_add_u32_e32 v5, 16, v5
	global_load_ubyte v2, v[2:3], off
	s_or_b64 s[44:45], vcc, s[44:45]
	s_waitcnt vmcnt(2)
	v_perm_b32 v43, v44, v12, s20
	s_waitcnt vmcnt(1)
	v_perm_b32 v3, v12, v45, s20
	v_perm_b32 v46, v45, v42, s20
	s_waitcnt vmcnt(0)
	v_perm_b32 v2, v2, v44, s20
	v_lshl_or_b32 v12, v3, 16, v2
	v_lshl_or_b32 v43, v46, 16, v43
	ds_write_b128 v4, v[9:12]
	v_mov_b32_e32 v9, s2
	s_andn2_b64 exec, exec, s[44:45]
	s_cbranch_execnz .LBB7_32
; %bb.33:                               ;   in Loop: Header=BB7_6 Depth=1
	s_or_b64 exec, exec, s[44:45]
.LBB7_34:                               ;   in Loop: Header=BB7_6 Depth=1
	s_or_b64 exec, exec, s[42:43]
	s_mov_b64 s[2:3], exec
	v_readlane_b32 s12, v51, 41
	v_readlane_b32 s13, v51, 42
	s_and_b64 s[12:13], s[2:3], s[12:13]
	s_mov_b64 exec, s[12:13]
	s_cbranch_execz .LBB7_38
; %bb.35:                               ;   in Loop: Header=BB7_6 Depth=1
	v_add_u32_e32 v2, v0, v9
	s_mov_b64 s[12:13], 0
	v_mov_b32_e32 v3, v30
	v_readlane_b32 s14, v51, 36
	v_readlane_b32 s15, v51, 37
	;; [unrolled: 1-line block ×3, first 2 shown]
	s_mov_b32 s17, 0xc0c0007
.LBB7_36:                               ;   Parent Loop BB7_6 Depth=1
                                        ; =>  This Inner Loop Header: Depth=2
	v_mul_lo_u32 v9, v5, s52
	v_mul_lo_u32 v11, v6, s14
	;; [unrolled: 1-line block ×3, first 2 shown]
	v_mov_b32_e32 v45, s41
	v_add_co_u32_e32 v9, vcc, s40, v9
	v_addc_co_u32_e32 v10, vcc, 0, v45, vcc
	v_mul_lo_u32 v4, v8, s16
	v_add_co_u32_e32 v11, vcc, s40, v11
	v_addc_co_u32_e32 v12, vcc, 0, v45, vcc
	v_add_co_u32_e32 v41, vcc, s40, v41
	v_addc_co_u32_e32 v42, vcc, 0, v45, vcc
	;; [unrolled: 2-line block ×3, first 2 shown]
	global_load_ubyte v4, v[11:12], off
	s_nop 0
	global_load_ubyte v11, v[41:42], off
	s_nop 0
	;; [unrolled: 2-line block ×3, first 2 shown]
	global_load_ubyte v9, v[9:10], off
	v_add_u32_e32 v3, -4, v3
	v_cmp_eq_u32_e32 vcc, 0, v3
	v_add_u32_e32 v8, 4, v8
	v_add_u32_e32 v7, 4, v7
	;; [unrolled: 1-line block ×4, first 2 shown]
	s_or_b64 s[12:13], vcc, s[12:13]
	s_waitcnt vmcnt(1)
	v_perm_b32 v12, v11, v42, s20
	s_waitcnt vmcnt(0)
	v_perm_b32 v10, v9, v4, s20
	v_perm_b32 v4, v4, v11, s20
	;; [unrolled: 1-line block ×3, first 2 shown]
	v_lshl_or_b32 v4, v4, 16, v9
	v_lshl_or_b32 v43, v12, 16, v10
	ds_write_b32 v2, v4
	v_add_u32_e32 v2, 4, v2
	s_andn2_b64 exec, exec, s[12:13]
	s_cbranch_execnz .LBB7_36
; %bb.37:                               ;   in Loop: Header=BB7_6 Depth=1
	s_or_b64 exec, exec, s[12:13]
.LBB7_38:                               ;   in Loop: Header=BB7_6 Depth=1
	s_or_b64 exec, exec, s[2:3]
	v_readlane_b32 s2, v51, 43
	v_add_u32_e32 v1, v1, v25
	v_readlane_b32 s3, v51, 44
	v_add_u32_e32 v2, -1, v1
	s_orn2_b64 s[2:3], s[2:3], exec
	v_mov_b32_e32 v4, v26
.LBB7_39:                               ;   in Loop: Header=BB7_6 Depth=1
	s_or_b64 exec, exec, s[6:7]
	v_mov_b32_e32 v3, s9
	s_and_b64 s[6:7], s[2:3], exec
	s_waitcnt vmcnt(0)
	v_mov_b32_e32 v5, v42
	s_andn2_saveexec_b64 s[2:3], s[34:35]
	s_cbranch_execz .LBB7_25
.LBB7_40:                               ;   in Loop: Header=BB7_6 Depth=1
	v_mov_b32_e32 v3, s9
	s_or_b64 s[6:7], s[6:7], exec
	s_waitcnt vmcnt(0)
	v_mov_b32_e32 v5, v42
	v_mov_b32_e32 v4, v0
	s_or_b64 exec, exec, s[2:3]
	s_and_saveexec_b64 s[2:3], s[6:7]
	s_cbranch_execz .LBB7_44
.LBB7_41:                               ;   in Loop: Header=BB7_6 Depth=1
	v_mul_lo_u32 v2, s52, v1
	s_sub_i32 s9, 0, s8
	s_mov_b64 s[6:7], 0
.LBB7_42:                               ;   Parent Loop BB7_6 Depth=1
                                        ; =>  This Inner Loop Header: Depth=2
	global_load_ubyte v42, v2, s[40:41]
	v_mov_b32_e32 v6, v1
	v_add_u32_e32 v1, s8, v6
	v_cmp_le_u32_e32 vcc, s36, v1
	ds_write_b8 v4, v5
	v_add_u32_e32 v2, v2, v3
	s_or_b64 s[6:7], vcc, s[6:7]
	v_mov_b32_e32 v4, v6
	s_waitcnt vmcnt(0)
	v_mov_b32_e32 v5, v42
	s_andn2_b64 exec, exec, s[6:7]
	s_cbranch_execnz .LBB7_42
; %bb.43:                               ;   in Loop: Header=BB7_6 Depth=1
	s_or_b64 exec, exec, s[6:7]
	v_add_u32_e32 v2, s9, v1
.LBB7_44:                               ;   in Loop: Header=BB7_6 Depth=1
	s_or_b64 exec, exec, s[2:3]
.LBB7_45:                               ;   in Loop: Header=BB7_6 Depth=1
	s_or_b64 exec, exec, s[30:31]
	s_waitcnt vmcnt(0)
	ds_write_b8 v2, v42
.LBB7_46:                               ;   in Loop: Header=BB7_6 Depth=1
	s_or_b64 exec, exec, s[26:27]
	s_waitcnt lgkmcnt(0)
	s_barrier
	s_mov_b64 s[2:3], exec
	v_readlane_b32 s6, v51, 14
	v_readlane_b32 s7, v51, 15
	s_and_b64 s[6:7], s[2:3], s[6:7]
	s_mov_b64 exec, s[6:7]
; %bb.47:                               ;   in Loop: Header=BB7_6 Depth=1
	v_mov_b32_e32 v1, s36
	ds_write_b32 v23, v1 offset:4096
; %bb.48:                               ;   in Loop: Header=BB7_6 Depth=1
	s_or_b64 exec, exec, s[2:3]
	s_mov_b64 s[6:7], -1
	s_waitcnt lgkmcnt(0)
	s_barrier
.LBB7_49:                               ;   in Loop: Header=BB7_6 Depth=1
	s_mov_b32 s16, 0
	s_and_b64 vcc, exec, s[6:7]
	s_cbranch_vccz .LBB7_51
; %bb.50:                               ;   in Loop: Header=BB7_6 Depth=1
	ds_read_b32 v1, v23 offset:4096
	s_waitcnt lgkmcnt(0)
	v_readfirstlane_b32 s16, v1
.LBB7_51:                               ;   in Loop: Header=BB7_6 Depth=1
	s_cmp_lt_i32 s16, 1
	s_mov_b64 s[2:3], -1
                                        ; implicit-def: $vgpr4
	s_cbranch_scc1 .LBB7_61
; %bb.52:                               ;   in Loop: Header=BB7_6 Depth=1
	s_and_b64 vcc, exec, s[2:3]
	s_cbranch_vccnz .LBB7_72
.LBB7_53:                               ;   in Loop: Header=BB7_6 Depth=1
	s_lshl_b32 s8, s54, 6
	s_and_saveexec_b64 s[2:3], s[0:1]
.LBB7_54:                               ;   in Loop: Header=BB7_6 Depth=1
	v_lshl_add_u32 v5, s8, 2, v24
	ds_write_b128 v5, v[1:4]
.LBB7_55:                               ;   in Loop: Header=BB7_6 Depth=1
	s_or_b64 exec, exec, s[2:3]
	s_waitcnt lgkmcnt(0)
	s_barrier
	s_mov_b64 s[6:7], exec
	v_readlane_b32 s2, v51, 21
	v_readlane_b32 s3, v51, 22
	s_and_b64 s[2:3], s[6:7], s[2:3]
	s_mov_b64 exec, s[2:3]
	s_cbranch_execz .LBB7_86
; %bb.56:                               ;   in Loop: Header=BB7_6 Depth=1
	v_readlane_b32 s2, v51, 27
	v_readlane_b32 s3, v51, 28
	v_mov_b32_e32 v1, 0
	s_andn2_b64 vcc, exec, s[2:3]
	s_cbranch_vccnz .LBB7_85
; %bb.57:                               ;   in Loop: Header=BB7_6 Depth=1
	v_readlane_b32 s2, v51, 45
	v_readlane_b32 s3, v51, 46
	s_andn2_b64 vcc, exec, s[2:3]
	s_cbranch_vccnz .LBB7_81
; %bb.58:                               ;   in Loop: Header=BB7_6 Depth=1
	v_lshl_add_u32 v2, s54, 8, v36
	s_mov_b32 s2, 0
	v_mov_b32_e32 v1, 0
.LBB7_59:                               ;   Parent Loop BB7_6 Depth=1
                                        ; =>  This Inner Loop Header: Depth=2
	ds_read2_b32 v[3:4], v2 offset1:4
	ds_read2_b32 v[5:6], v2 offset0:8 offset1:12
	s_add_i32 s2, s2, 8
	s_cmp_eq_u32 s23, s2
	s_waitcnt lgkmcnt(1)
	v_add3_u32 v1, v3, v1, v4
	ds_read2_b32 v[3:4], v2 offset0:16 offset1:20
	s_waitcnt lgkmcnt(1)
	v_add3_u32 v1, v5, v1, v6
	s_waitcnt lgkmcnt(0)
	v_add3_u32 v1, v3, v1, v4
	ds_read2_b32 v[3:4], v2 offset0:24 offset1:28
	v_add_u32_e32 v2, 0x80, v2
	s_waitcnt lgkmcnt(0)
	v_add3_u32 v1, v3, v1, v4
	s_cbranch_scc0 .LBB7_59
; %bb.60:                               ;   in Loop: Header=BB7_6 Depth=1
	s_mov_b32 s2, s23
	s_branch .LBB7_82
.LBB7_61:                               ;   in Loop: Header=BB7_6 Depth=1
	v_mov_b32_e32 v1, 0
	v_mov_b32_e32 v2, 0
	;; [unrolled: 1-line block ×4, first 2 shown]
	s_mov_b64 s[84:85], exec
	v_readlane_b32 s2, v51, 51
	v_readlane_b32 s3, v51, 52
	s_and_b64 s[2:3], s[84:85], s[2:3]
	s_mov_b64 exec, s[2:3]
	s_cbranch_execz .LBB7_65
; %bb.62:                               ;   in Loop: Header=BB7_6 Depth=1
	s_mov_b32 s2, 0
	s_mov_b64 s[86:87], 0
	s_mov_b32 s3, 0
	s_mov_b32 s8, 0
	;; [unrolled: 1-line block ×4, first 2 shown]
	v_mov_b32_e32 v5, v20
.LBB7_63:                               ;   Parent Loop BB7_6 Depth=1
                                        ; =>  This Inner Loop Header: Depth=2
	v_add_u32_e32 v1, s2, v34
	global_load_ubyte v1, v1, s[40:41]
	v_add_u32_e32 v2, s2, v31
	global_load_ubyte v2, v2, s[40:41]
	;; [unrolled: 2-line block ×4, first 2 shown]
	v_add_u32_e32 v5, s55, v5
	s_add_i32 s2, s2, s5
	s_waitcnt vmcnt(3)
	v_and_b32_e32 v6, v38, v1
	v_bfe_u32 v1, v1, s10, 2
	v_cmp_eq_u32_e32 vcc, v6, v29
	s_waitcnt vmcnt(2)
	v_and_b32_e32 v6, v38, v2
	v_bfe_u32 v2, v2, s10, 2
	v_cmp_eq_u32_e64 s[34:35], 0, v1
	v_cmp_eq_u32_e64 s[6:7], v6, v29
	s_waitcnt vmcnt(1)
	v_and_b32_e32 v6, v38, v3
	v_bfe_u32 v3, v3, s10, 2
	s_and_b64 s[14:15], vcc, s[34:35]
	v_cmp_eq_u32_e64 s[34:35], 0, v2
	v_cmp_eq_u32_e64 s[26:27], v6, v29
	s_waitcnt vmcnt(0)
	v_and_b32_e32 v6, v38, v4
	v_bfe_u32 v4, v4, s10, 2
	s_and_b64 s[18:19], s[6:7], s[34:35]
	v_cmp_eq_u32_e64 s[34:35], 0, v3
	v_cmp_eq_u32_e64 s[30:31], v6, v29
	s_and_b64 s[24:25], s[26:27], s[34:35]
	v_cmp_eq_u32_e64 s[34:35], 0, v4
	v_cndmask_b32_e64 v6, 0, 1, s[14:15]
	s_and_b64 s[28:29], s[30:31], s[34:35]
	v_cmp_ne_u32_e64 s[34:35], 0, v6
	v_cndmask_b32_e64 v6, 0, 1, s[18:19]
	s_bcnt1_i32_b64 s13, s[34:35]
	v_cmp_ne_u32_e64 s[34:35], 0, v6
	v_cndmask_b32_e64 v6, 0, 1, s[24:25]
	s_bcnt1_i32_b64 s14, s[34:35]
	;; [unrolled: 3-line block ×3, first 2 shown]
	v_cmp_ne_u32_e64 s[34:35], 0, v6
	s_add_i32 s12, s12, s13
	s_bcnt1_i32_b64 s17, s[34:35]
	s_add_i32 s12, s12, s14
	v_cmp_eq_u32_e64 s[34:35], 1, v1
	s_add_i32 s12, s12, s15
	s_and_b64 s[14:15], vcc, s[34:35]
	v_cmp_eq_u32_e64 s[34:35], 1, v2
	s_and_b64 s[18:19], s[6:7], s[34:35]
	v_cmp_eq_u32_e64 s[34:35], 1, v3
	s_and_b64 s[24:25], s[26:27], s[34:35]
	v_cmp_eq_u32_e64 s[34:35], 1, v4
	v_cndmask_b32_e64 v6, 0, 1, s[14:15]
	s_and_b64 s[28:29], s[30:31], s[34:35]
	v_cmp_ne_u32_e64 s[34:35], 0, v6
	v_cndmask_b32_e64 v6, 0, 1, s[18:19]
	s_bcnt1_i32_b64 s13, s[34:35]
	v_cmp_ne_u32_e64 s[34:35], 0, v6
	v_cndmask_b32_e64 v6, 0, 1, s[24:25]
	s_bcnt1_i32_b64 s14, s[34:35]
	;; [unrolled: 3-line block ×3, first 2 shown]
	v_cmp_ne_u32_e64 s[34:35], 0, v6
	s_add_i32 s9, s9, s13
	s_add_i32 s12, s12, s17
	s_bcnt1_i32_b64 s17, s[34:35]
	s_add_i32 s9, s9, s14
	v_cmp_eq_u32_e64 s[34:35], 2, v1
	s_add_i32 s9, s9, s15
	s_and_b64 s[14:15], vcc, s[34:35]
	v_cmp_eq_u32_e64 s[34:35], 2, v2
	s_and_b64 s[18:19], s[6:7], s[34:35]
	v_cmp_eq_u32_e64 s[34:35], 2, v3
	s_and_b64 s[24:25], s[26:27], s[34:35]
	v_cmp_eq_u32_e64 s[34:35], 2, v4
	v_cndmask_b32_e64 v6, 0, 1, s[14:15]
	s_and_b64 s[28:29], s[30:31], s[34:35]
	v_cmp_ne_u32_e64 s[34:35], 0, v6
	v_cndmask_b32_e64 v6, 0, 1, s[18:19]
	s_bcnt1_i32_b64 s13, s[34:35]
	v_cmp_ne_u32_e64 s[34:35], 0, v6
	v_cndmask_b32_e64 v6, 0, 1, s[24:25]
	s_bcnt1_i32_b64 s14, s[34:35]
	v_cmp_ne_u32_e64 s[34:35], 0, v6
	v_cndmask_b32_e64 v6, 0, 1, s[28:29]
	s_bcnt1_i32_b64 s15, s[34:35]
	v_cmp_ne_u32_e64 s[34:35], 0, v6
	s_add_i32 s8, s8, s13
	s_add_i32 s9, s9, s17
	s_bcnt1_i32_b64 s17, s[34:35]
	s_add_i32 s8, s8, s14
	v_cmp_eq_u32_e64 s[34:35], 3, v1
	s_add_i32 s8, s8, s15
	s_and_b64 s[14:15], vcc, s[34:35]
	v_cmp_eq_u32_e32 vcc, 3, v2
	s_and_b64 s[6:7], s[6:7], vcc
	v_cmp_eq_u32_e32 vcc, 3, v3
	s_and_b64 s[18:19], s[26:27], vcc
	v_cmp_eq_u32_e32 vcc, 3, v4
	v_cndmask_b32_e64 v1, 0, 1, s[14:15]
	s_and_b64 s[24:25], s[30:31], vcc
	v_cmp_ne_u32_e32 vcc, 0, v1
	v_cndmask_b32_e64 v1, 0, 1, s[6:7]
	s_bcnt1_i32_b64 s13, vcc
	v_cmp_ne_u32_e32 vcc, 0, v1
	v_cndmask_b32_e64 v1, 0, 1, s[18:19]
	s_bcnt1_i32_b64 s6, vcc
	v_cmp_ne_u32_e32 vcc, 0, v1
	v_cndmask_b32_e64 v1, 0, 1, s[24:25]
	s_add_i32 s3, s3, s13
	s_bcnt1_i32_b64 s7, vcc
	v_cmp_ne_u32_e32 vcc, 0, v1
	s_add_i32 s3, s3, s6
	s_bcnt1_i32_b64 s14, vcc
	s_add_i32 s3, s3, s7
	s_add_i32 s8, s8, s17
	;; [unrolled: 1-line block ×3, first 2 shown]
	v_cmp_le_u32_e32 vcc, s11, v5
	s_or_b64 s[86:87], vcc, s[86:87]
	v_mov_b32_e32 v1, s12
	v_mov_b32_e32 v2, s9
	v_mov_b32_e32 v3, s8
	v_mov_b32_e32 v4, s3
	s_andn2_b64 exec, exec, s[86:87]
	s_cbranch_execnz .LBB7_63
; %bb.64:                               ;   in Loop: Header=BB7_6 Depth=1
	s_or_b64 exec, exec, s[86:87]
.LBB7_65:                               ;   in Loop: Header=BB7_6 Depth=1
	s_or_b64 exec, exec, s[84:85]
	s_mov_b64 s[2:3], exec
	v_readlane_b32 s6, v51, 53
	v_readlane_b32 s7, v51, 54
	s_and_b64 s[6:7], s[2:3], s[6:7]
	s_mov_b64 exec, s[6:7]
	s_cbranch_execz .LBB7_71
; %bb.66:                               ;   in Loop: Header=BB7_6 Depth=1
	global_load_ubyte v8, v[15:16], off
	s_mov_b64 s[12:13], 0
	v_mov_b32_e32 v5, v35
	v_mov_b32_e32 v6, v28
	s_branch .LBB7_68
.LBB7_67:                               ;   in Loop: Header=BB7_68 Depth=2
	s_or_b64 exec, exec, s[8:9]
	s_waitcnt vmcnt(0)
	v_and_b32_e32 v8, 0xff, v8
	s_and_b64 s[6:7], exec, vcc
	v_and_b32_e32 v9, v38, v8
	v_bfe_u32 v8, v8, s10, 2
	s_or_b64 s[12:13], s[6:7], s[12:13]
	v_cmp_eq_u32_e32 vcc, v9, v29
	v_cmp_eq_u32_e64 s[6:7], 0, v8
	s_and_b64 s[6:7], vcc, s[6:7]
	v_cndmask_b32_e64 v9, 0, 1, s[6:7]
	v_cmp_ne_u32_e64 s[6:7], 0, v9
	s_bcnt1_i32_b64 s6, s[6:7]
	v_add_u32_e32 v1, s6, v1
	v_cmp_eq_u32_e64 s[6:7], 1, v8
	s_and_b64 s[6:7], vcc, s[6:7]
	v_cndmask_b32_e64 v9, 0, 1, s[6:7]
	v_cmp_ne_u32_e64 s[6:7], 0, v9
	s_bcnt1_i32_b64 s6, s[6:7]
	v_add_u32_e32 v2, s6, v2
	;; [unrolled: 6-line block ×3, first 2 shown]
	v_cmp_eq_u32_e64 s[6:7], 3, v8
	s_and_b64 s[6:7], vcc, s[6:7]
	v_cndmask_b32_e64 v8, 0, 1, s[6:7]
	v_cmp_ne_u32_e32 vcc, 0, v8
	s_bcnt1_i32_b64 s6, vcc
	v_add_u32_e32 v4, s6, v4
	v_add_u32_e32 v5, s53, v5
	v_mov_b32_e32 v8, v7
	s_andn2_b64 exec, exec, s[12:13]
	s_cbranch_execz .LBB7_70
.LBB7_68:                               ;   Parent Loop BB7_6 Depth=1
                                        ; =>  This Inner Loop Header: Depth=2
	v_add_u32_e32 v6, s33, v6
	v_cmp_gt_u32_e64 s[6:7], s36, v6
	v_cmp_le_u32_e32 vcc, s36, v6
	v_mov_b32_e32 v7, 0
	s_and_saveexec_b64 s[8:9], s[6:7]
	s_cbranch_execz .LBB7_67
; %bb.69:                               ;   in Loop: Header=BB7_68 Depth=2
	global_load_ubyte v7, v5, s[40:41]
	s_branch .LBB7_67
.LBB7_70:                               ;   in Loop: Header=BB7_6 Depth=1
	s_or_b64 exec, exec, s[12:13]
.LBB7_71:                               ;   in Loop: Header=BB7_6 Depth=1
	s_or_b64 exec, exec, s[2:3]
	s_branch .LBB7_53
.LBB7_72:                               ;   in Loop: Header=BB7_6 Depth=1
	v_readlane_b32 s2, v51, 50
	s_mul_hi_u32 s2, s16, s2
	s_mul_i32 s2, s2, s55
	s_sub_i32 s2, s16, s2
	s_sub_i32 s3, s2, s55
	s_cmp_ge_u32 s2, s55
	s_cselect_b32 s2, s3, s2
	s_sub_i32 s3, s2, s55
	s_cmp_ge_u32 s2, s55
	s_cselect_b32 s2, s3, s2
	s_sub_i32 s2, s16, s2
	v_cmp_gt_u32_e32 vcc, s2, v20
	v_mov_b32_e32 v1, 0
	v_mov_b32_e32 v2, 0
	v_mov_b32_e32 v3, 0
	v_mov_b32_e32 v4, 0
	s_and_saveexec_b64 s[84:85], vcc
	s_cbranch_execz .LBB7_76
; %bb.73:                               ;   in Loop: Header=BB7_6 Depth=1
	s_mov_b32 s3, 0
	s_mov_b64 s[86:87], 0
	s_mov_b32 s8, 0
	s_mov_b32 s9, 0
	;; [unrolled: 1-line block ×3, first 2 shown]
	v_mov_b32_e32 v5, v20
.LBB7_74:                               ;   Parent Loop BB7_6 Depth=1
                                        ; =>  This Inner Loop Header: Depth=2
	ds_read_b32 v1, v5
	v_add_u32_e32 v5, s55, v5
	s_waitcnt lgkmcnt(0)
	v_and_b32_e32 v3, 0xff, v1
	v_bfe_u32 v4, v1, 8, 8
	v_and_b32_e32 v6, v38, v3
	v_bfe_u32 v3, v3, s10, 2
	v_lshrrev_b32_e32 v2, 24, v1
	v_bfe_u32 v1, v1, 16, 8
	v_cmp_eq_u32_e32 vcc, v6, v29
	v_and_b32_e32 v6, v38, v4
	v_bfe_u32 v4, v4, s10, 2
	v_cmp_eq_u32_e64 s[34:35], 0, v3
	v_cmp_eq_u32_e64 s[6:7], v6, v29
	v_and_b32_e32 v6, v38, v1
	v_bfe_u32 v1, v1, s10, 2
	s_and_b64 s[14:15], vcc, s[34:35]
	v_cmp_eq_u32_e64 s[34:35], 0, v4
	v_cmp_eq_u32_e64 s[26:27], v6, v29
	v_and_b32_e32 v6, v38, v2
	v_bfe_u32 v2, v2, s10, 2
	s_and_b64 s[18:19], s[6:7], s[34:35]
	v_cmp_eq_u32_e64 s[34:35], 0, v1
	v_cmp_eq_u32_e64 s[30:31], v6, v29
	s_and_b64 s[24:25], s[26:27], s[34:35]
	v_cmp_eq_u32_e64 s[34:35], 0, v2
	v_cndmask_b32_e64 v6, 0, 1, s[14:15]
	s_and_b64 s[28:29], s[30:31], s[34:35]
	v_cmp_ne_u32_e64 s[34:35], 0, v6
	v_cndmask_b32_e64 v6, 0, 1, s[18:19]
	s_bcnt1_i32_b64 s13, s[34:35]
	v_cmp_ne_u32_e64 s[34:35], 0, v6
	v_cndmask_b32_e64 v6, 0, 1, s[24:25]
	s_bcnt1_i32_b64 s14, s[34:35]
	;; [unrolled: 3-line block ×3, first 2 shown]
	v_cmp_ne_u32_e64 s[34:35], 0, v6
	s_add_i32 s12, s12, s13
	s_bcnt1_i32_b64 s17, s[34:35]
	s_add_i32 s12, s12, s14
	v_cmp_eq_u32_e64 s[34:35], 1, v3
	s_add_i32 s12, s12, s15
	s_and_b64 s[14:15], vcc, s[34:35]
	v_cmp_eq_u32_e64 s[34:35], 1, v4
	s_and_b64 s[18:19], s[6:7], s[34:35]
	v_cmp_eq_u32_e64 s[34:35], 1, v1
	s_and_b64 s[24:25], s[26:27], s[34:35]
	v_cmp_eq_u32_e64 s[34:35], 1, v2
	v_cndmask_b32_e64 v6, 0, 1, s[14:15]
	s_and_b64 s[28:29], s[30:31], s[34:35]
	v_cmp_ne_u32_e64 s[34:35], 0, v6
	v_cndmask_b32_e64 v6, 0, 1, s[18:19]
	s_bcnt1_i32_b64 s13, s[34:35]
	v_cmp_ne_u32_e64 s[34:35], 0, v6
	v_cndmask_b32_e64 v6, 0, 1, s[24:25]
	s_bcnt1_i32_b64 s14, s[34:35]
	v_cmp_ne_u32_e64 s[34:35], 0, v6
	v_cndmask_b32_e64 v6, 0, 1, s[28:29]
	s_bcnt1_i32_b64 s15, s[34:35]
	v_cmp_ne_u32_e64 s[34:35], 0, v6
	s_add_i32 s9, s9, s13
	s_add_i32 s12, s12, s17
	s_bcnt1_i32_b64 s17, s[34:35]
	s_add_i32 s9, s9, s14
	v_cmp_eq_u32_e64 s[34:35], 2, v3
	s_add_i32 s9, s9, s15
	s_and_b64 s[14:15], vcc, s[34:35]
	v_cmp_eq_u32_e64 s[34:35], 2, v4
	s_and_b64 s[18:19], s[6:7], s[34:35]
	v_cmp_eq_u32_e64 s[34:35], 2, v1
	s_and_b64 s[24:25], s[26:27], s[34:35]
	v_cmp_eq_u32_e64 s[34:35], 2, v2
	v_cndmask_b32_e64 v6, 0, 1, s[14:15]
	s_and_b64 s[28:29], s[30:31], s[34:35]
	v_cmp_ne_u32_e64 s[34:35], 0, v6
	v_cndmask_b32_e64 v6, 0, 1, s[18:19]
	s_bcnt1_i32_b64 s13, s[34:35]
	v_cmp_ne_u32_e64 s[34:35], 0, v6
	v_cndmask_b32_e64 v6, 0, 1, s[24:25]
	s_bcnt1_i32_b64 s14, s[34:35]
	v_cmp_ne_u32_e64 s[34:35], 0, v6
	v_cndmask_b32_e64 v6, 0, 1, s[28:29]
	s_bcnt1_i32_b64 s15, s[34:35]
	v_cmp_ne_u32_e64 s[34:35], 0, v6
	s_add_i32 s8, s8, s13
	s_add_i32 s9, s9, s17
	s_bcnt1_i32_b64 s17, s[34:35]
	s_add_i32 s8, s8, s14
	v_cmp_eq_u32_e64 s[34:35], 3, v3
	s_add_i32 s8, s8, s15
	s_and_b64 s[14:15], vcc, s[34:35]
	v_cmp_eq_u32_e32 vcc, 3, v4
	s_and_b64 s[6:7], s[6:7], vcc
	v_cmp_eq_u32_e32 vcc, 3, v1
	s_and_b64 s[18:19], s[26:27], vcc
	v_cmp_eq_u32_e32 vcc, 3, v2
	v_cndmask_b32_e64 v1, 0, 1, s[14:15]
	s_and_b64 s[24:25], s[30:31], vcc
	v_cmp_ne_u32_e32 vcc, 0, v1
	v_cndmask_b32_e64 v1, 0, 1, s[6:7]
	s_bcnt1_i32_b64 s13, vcc
	v_cmp_ne_u32_e32 vcc, 0, v1
	v_cndmask_b32_e64 v1, 0, 1, s[18:19]
	s_bcnt1_i32_b64 s6, vcc
	v_cmp_ne_u32_e32 vcc, 0, v1
	v_cndmask_b32_e64 v1, 0, 1, s[24:25]
	s_add_i32 s3, s3, s13
	s_bcnt1_i32_b64 s7, vcc
	v_cmp_ne_u32_e32 vcc, 0, v1
	s_add_i32 s3, s3, s6
	s_bcnt1_i32_b64 s14, vcc
	s_add_i32 s3, s3, s7
	s_add_i32 s8, s8, s17
	;; [unrolled: 1-line block ×3, first 2 shown]
	v_cmp_le_u32_e32 vcc, s2, v5
	s_or_b64 s[86:87], vcc, s[86:87]
	v_mov_b32_e32 v1, s12
	v_mov_b32_e32 v2, s9
	;; [unrolled: 1-line block ×4, first 2 shown]
	s_andn2_b64 exec, exec, s[86:87]
	s_cbranch_execnz .LBB7_74
; %bb.75:                               ;   in Loop: Header=BB7_6 Depth=1
	s_or_b64 exec, exec, s[86:87]
.LBB7_76:                               ;   in Loop: Header=BB7_6 Depth=1
	s_or_b64 exec, exec, s[84:85]
	v_add_u32_e32 v5, s2, v0
	v_cmp_gt_u32_e32 vcc, s16, v5
	s_and_saveexec_b64 s[12:13], vcc
	s_cbranch_execz .LBB7_80
; %bb.77:                               ;   in Loop: Header=BB7_6 Depth=1
	s_mov_b64 s[14:15], 0
.LBB7_78:                               ;   Parent Loop BB7_6 Depth=1
                                        ; =>  This Inner Loop Header: Depth=2
	ds_read_u8 v6, v5
	v_add_u32_e32 v5, s33, v5
	s_waitcnt lgkmcnt(0)
	v_and_b32_e32 v7, v38, v6
	v_bfe_u32 v6, v6, s10, 2
	v_cmp_eq_u32_e32 vcc, v7, v29
	v_cmp_eq_u32_e64 s[6:7], 0, v6
	s_and_b64 s[2:3], vcc, s[6:7]
	v_cndmask_b32_e64 v7, 0, 1, s[2:3]
	v_cmp_ne_u32_e64 s[6:7], 0, v7
	s_bcnt1_i32_b64 s2, s[6:7]
	v_cmp_eq_u32_e64 s[6:7], 1, v6
	v_add_u32_e32 v1, s2, v1
	s_and_b64 s[2:3], vcc, s[6:7]
	v_cndmask_b32_e64 v7, 0, 1, s[2:3]
	v_cmp_ne_u32_e64 s[6:7], 0, v7
	s_bcnt1_i32_b64 s2, s[6:7]
	v_cmp_eq_u32_e64 s[6:7], 2, v6
	v_add_u32_e32 v2, s2, v2
	;; [unrolled: 6-line block ×3, first 2 shown]
	s_and_b64 s[2:3], vcc, s[6:7]
	v_cndmask_b32_e64 v6, 0, 1, s[2:3]
	v_cmp_ne_u32_e32 vcc, 0, v6
	s_bcnt1_i32_b64 s2, vcc
	v_cmp_le_u32_e32 vcc, s16, v5
	v_add_u32_e32 v4, s2, v4
	s_or_b64 s[14:15], vcc, s[14:15]
	s_andn2_b64 exec, exec, s[14:15]
	s_cbranch_execnz .LBB7_78
; %bb.79:                               ;   in Loop: Header=BB7_6 Depth=1
	s_or_b64 exec, exec, s[14:15]
.LBB7_80:                               ;   in Loop: Header=BB7_6 Depth=1
	s_or_b64 exec, exec, s[12:13]
	s_lshl_b32 s8, s54, 6
	s_and_saveexec_b64 s[2:3], s[0:1]
	s_cbranch_execnz .LBB7_54
	s_branch .LBB7_55
.LBB7_81:                               ;   in Loop: Header=BB7_6 Depth=1
	v_mov_b32_e32 v1, 0
	s_mov_b32 s2, 0
.LBB7_82:                               ;   in Loop: Header=BB7_6 Depth=1
	v_readlane_b32 s12, v51, 48
	v_readlane_b32 s13, v51, 49
	s_andn2_b64 vcc, exec, s[12:13]
	s_cbranch_vccnz .LBB7_85
; %bb.83:                               ;   in Loop: Header=BB7_6 Depth=1
	s_lshl_b32 s3, s54, 8
	s_lshl_b32 s2, s2, 4
	s_add_i32 s3, s3, s2
	v_add_u32_e32 v2, s3, v36
	v_readlane_b32 s2, v51, 47
.LBB7_84:                               ;   Parent Loop BB7_6 Depth=1
                                        ; =>  This Inner Loop Header: Depth=2
	ds_read_b32 v3, v2
	s_add_i32 s2, s2, -1
	v_add_u32_e32 v2, 16, v2
	s_cmp_lg_u32 s2, 0
	s_waitcnt lgkmcnt(0)
	v_add_u32_e32 v1, v3, v1
	s_cbranch_scc1 .LBB7_84
.LBB7_85:                               ;   in Loop: Header=BB7_6 Depth=1
	v_add_lshl_u32 v2, s8, v21, 2
	ds_write_b32 v2, v1 offset:3072
.LBB7_86:                               ;   in Loop: Header=BB7_6 Depth=1
	s_or_b64 exec, exec, s[6:7]
	s_lshl_b32 s2, s8, 2
	v_mov_b32_e32 v1, s2
	s_waitcnt lgkmcnt(0)
	s_barrier
	ds_read_b128 v[1:4], v1 offset:3072
	v_readlane_b32 s2, v51, 19
	s_lshl_b32 s22, 3, s10
	v_readlane_b32 s3, v51, 20
	s_not_b32 s38, s22
	s_waitcnt lgkmcnt(0)
	v_readfirstlane_b32 s21, v1
	v_readfirstlane_b32 s39, v2
	;; [unrolled: 1-line block ×4, first 2 shown]
	v_cmp_eq_u32_e64 s[26:27], 1, v40
	s_mov_b64 s[90:91], -1
	s_mov_b64 s[30:31], 0
	s_andn2_b64 vcc, exec, s[2:3]
	s_mov_b64 s[84:85], 0
	s_mov_b64 s[34:35], 0
                                        ; implicit-def: $sgpr86_sgpr87
                                        ; implicit-def: $sgpr88_sgpr89
                                        ; implicit-def: $vgpr4
                                        ; implicit-def: $vgpr1
                                        ; implicit-def: $vgpr3
                                        ; implicit-def: $vgpr2
                                        ; implicit-def: $vgpr5
	s_cbranch_vccnz .LBB7_244
; %bb.87:                               ;   in Loop: Header=BB7_6 Depth=1
	s_cmp_eq_u32 s21, 1
	s_cselect_b64 s[2:3], -1, 0
	s_and_b64 s[6:7], s[2:3], s[26:27]
	s_mov_b64 s[2:3], -1
	v_mov_b32_e32 v3, v29
	v_mov_b32_e32 v2, v38
	;; [unrolled: 1-line block ×3, first 2 shown]
                                        ; implicit-def: $sgpr88_sgpr89
                                        ; implicit-def: $sgpr86_sgpr87
	s_and_saveexec_b64 s[12:13], s[6:7]
	s_cbranch_execz .LBB7_113
; %bb.88:                               ;   in Loop: Header=BB7_6 Depth=1
	ds_read_b32 v1, v23 offset:4096
	s_waitcnt lgkmcnt(0)
	s_barrier
	v_readfirstlane_b32 s8, v1
	s_mov_b64 s[2:3], exec
	v_readlane_b32 s14, v51, 29
	v_readlane_b32 s15, v51, 30
	s_and_b64 s[14:15], s[2:3], s[14:15]
	s_mov_b64 exec, s[14:15]
; %bb.89:                               ;   in Loop: Header=BB7_6 Depth=1
	ds_write_b8 v0, v23 offset:3072
; %bb.90:                               ;   in Loop: Header=BB7_6 Depth=1
	s_or_b64 exec, exec, s[2:3]
	v_and_b32_e32 v3, s38, v29
	v_or_b32_e32 v2, s22, v38
	s_mov_b64 s[86:87], -1
	s_mov_b64 s[88:89], 0
	s_cmp_eq_u32 s8, 0
	s_mov_b64 s[2:3], 0
	s_mov_b64 s[14:15], -1
	s_waitcnt lgkmcnt(0)
	s_barrier
                                        ; implicit-def: $vgpr5
	s_cbranch_scc1 .LBB7_101
; %bb.91:                               ;   in Loop: Header=BB7_6 Depth=1
	v_readlane_b32 s2, v51, 31
	s_add_i32 s2, s8, s2
	v_readlane_b32 s3, v51, 55
	s_mul_hi_u32 s3, s2, s3
	s_mul_i32 s3, s3, s33
	s_sub_i32 s3, s2, s3
	s_sub_i32 s9, s3, s33
	s_cmp_ge_u32 s3, s33
	s_cselect_b32 s3, s9, s3
	s_sub_i32 s9, s3, s33
	s_cmp_ge_u32 s3, s33
	s_cselect_b32 s3, s9, s3
	s_sub_i32 s9, s2, s3
	v_cmp_gt_u32_e32 vcc, s9, v0
	s_mov_b64 s[14:15], 0
	s_mov_b64 s[2:3], 0
                                        ; implicit-def: $vgpr5
	s_and_saveexec_b64 s[16:17], vcc
	s_cbranch_execz .LBB7_100
; %bb.92:                               ;   in Loop: Header=BB7_6 Depth=1
	v_mov_b32_e32 v1, v0
                                        ; implicit-def: $sgpr18_sgpr19
	s_branch .LBB7_95
.LBB7_93:                               ;   in Loop: Header=BB7_95 Depth=2
	s_or_b64 exec, exec, s[24:25]
	s_waitcnt lgkmcnt(0)
	s_barrier
	ds_read_u16 v4, v23 offset:3072
	s_mov_b64 s[24:25], -1
	s_waitcnt lgkmcnt(0)
	s_barrier
	v_cmp_ne_u32_sdwa s[28:29], v4, v23 src0_sel:BYTE_0 src1_sel:DWORD
	s_and_b64 vcc, exec, s[28:29]
	s_mov_b64 s[28:29], -1
	s_cbranch_vccz .LBB7_98
.LBB7_94:                               ;   in Loop: Header=BB7_95 Depth=2
	s_and_b64 s[24:25], exec, s[24:25]
	s_or_b64 s[2:3], s[24:25], s[2:3]
	s_andn2_b64 s[18:19], s[18:19], exec
	s_and_b64 s[24:25], s[28:29], exec
	s_or_b64 s[18:19], s[18:19], s[24:25]
	s_andn2_b64 exec, exec, s[2:3]
	s_cbranch_execz .LBB7_99
.LBB7_95:                               ;   Parent Loop BB7_6 Depth=1
                                        ; =>  This Inner Loop Header: Depth=2
	v_cmp_gt_u32_e32 vcc, s8, v1
	s_and_saveexec_b64 s[24:25], vcc
	s_cbranch_execz .LBB7_93
; %bb.96:                               ;   in Loop: Header=BB7_95 Depth=2
	ds_read_u8 v4, v1
	s_waitcnt lgkmcnt(0)
	v_and_b32_e32 v5, v4, v2
	v_cmp_eq_u32_sdwa s[28:29], v5, v3 src0_sel:BYTE_0 src1_sel:DWORD
	s_and_b64 exec, exec, s[28:29]
	s_cbranch_execz .LBB7_93
; %bb.97:                               ;   in Loop: Header=BB7_95 Depth=2
	v_lshlrev_b16_e32 v4, 8, v4
	v_or_b32_e32 v4, 1, v4
	ds_write_b16 v23, v4 offset:3072
	s_branch .LBB7_93
.LBB7_98:                               ;   in Loop: Header=BB7_95 Depth=2
	v_add_u32_e32 v1, s33, v1
	v_cmp_le_u32_e32 vcc, s9, v1
	s_mov_b64 s[28:29], 0
	s_orn2_b64 s[24:25], vcc, exec
	s_branch .LBB7_94
.LBB7_99:                               ;   in Loop: Header=BB7_6 Depth=1
	s_or_b64 exec, exec, s[2:3]
	v_lshrrev_b32_sdwa v5, v37, v4 dst_sel:DWORD dst_unused:UNUSED_PAD src0_sel:DWORD src1_sel:WORD_0
	s_and_b64 s[2:3], s[18:19], exec
.LBB7_100:                              ;   in Loop: Header=BB7_6 Depth=1
	s_or_b64 exec, exec, s[16:17]
.LBB7_101:                              ;   in Loop: Header=BB7_6 Depth=1
	s_and_b64 vcc, exec, s[14:15]
	s_cbranch_vccz .LBB7_112
; %bb.102:                              ;   in Loop: Header=BB7_6 Depth=1
                                        ; implicit-def: $vgpr5
	s_mov_b64 s[14:15], exec
	v_readlane_b32 s8, v51, 56
	v_readlane_b32 s9, v51, 57
	s_and_b64 s[8:9], s[14:15], s[8:9]
	s_mov_b64 exec, s[8:9]
	s_cbranch_execz .LBB7_111
; %bb.103:                              ;   in Loop: Header=BB7_6 Depth=1
	s_mov_b64 s[16:17], 0
	v_mov_b32_e32 v1, v22
	v_mov_b32_e32 v4, v0
                                        ; implicit-def: $sgpr18_sgpr19
	s_branch .LBB7_106
.LBB7_104:                              ;   in Loop: Header=BB7_106 Depth=2
	s_or_b64 exec, exec, s[24:25]
	s_waitcnt lgkmcnt(0)
	s_barrier
	ds_read_u16 v5, v23 offset:3072
	s_mov_b64 s[24:25], -1
	s_mov_b64 s[28:29], -1
	s_waitcnt lgkmcnt(0)
	s_barrier
	v_cmp_ne_u32_sdwa s[8:9], v5, v23 src0_sel:BYTE_0 src1_sel:DWORD
	s_and_b64 vcc, exec, s[8:9]
	s_cbranch_vccz .LBB7_109
.LBB7_105:                              ;   in Loop: Header=BB7_106 Depth=2
	s_and_b64 s[8:9], exec, s[24:25]
	s_or_b64 s[16:17], s[8:9], s[16:17]
	s_andn2_b64 s[8:9], s[18:19], exec
	s_and_b64 s[18:19], s[28:29], exec
	s_or_b64 s[18:19], s[8:9], s[18:19]
	s_andn2_b64 exec, exec, s[16:17]
	s_cbranch_execz .LBB7_110
.LBB7_106:                              ;   Parent Loop BB7_6 Depth=1
                                        ; =>  This Inner Loop Header: Depth=2
	v_cmp_gt_u32_e32 vcc, s36, v4
	s_and_saveexec_b64 s[24:25], vcc
	s_cbranch_execz .LBB7_104
; %bb.107:                              ;   in Loop: Header=BB7_106 Depth=2
	global_load_ubyte v5, v1, s[40:41]
	s_waitcnt vmcnt(0)
	v_and_b32_e32 v6, v5, v2
	v_cmp_eq_u32_sdwa s[8:9], v6, v3 src0_sel:BYTE_0 src1_sel:DWORD
	s_and_b64 exec, exec, s[8:9]
	s_cbranch_execz .LBB7_104
; %bb.108:                              ;   in Loop: Header=BB7_106 Depth=2
	v_lshlrev_b16_e32 v5, 8, v5
	v_or_b32_e32 v5, 1, v5
	ds_write_b16 v23, v5 offset:3072
	s_branch .LBB7_104
.LBB7_109:                              ;   in Loop: Header=BB7_106 Depth=2
	v_add_u32_e32 v4, s33, v4
	v_cmp_le_u32_e32 vcc, s4, v4
	v_add_u32_e32 v1, s53, v1
	s_mov_b64 s[28:29], 0
	s_orn2_b64 s[24:25], vcc, exec
	s_branch .LBB7_105
.LBB7_110:                              ;   in Loop: Header=BB7_6 Depth=1
	s_or_b64 exec, exec, s[16:17]
	s_andn2_b64 s[2:3], s[2:3], exec
	s_and_b64 s[8:9], s[18:19], exec
	v_lshrrev_b32_sdwa v5, v37, v5 dst_sel:DWORD dst_unused:UNUSED_PAD src0_sel:DWORD src1_sel:WORD_0
	s_or_b64 s[2:3], s[2:3], s[8:9]
.LBB7_111:                              ;   in Loop: Header=BB7_6 Depth=1
	s_or_b64 exec, exec, s[14:15]
	s_mov_b64 s[86:87], 0
	s_mov_b64 s[88:89], -1
.LBB7_112:                              ;   in Loop: Header=BB7_6 Depth=1
	s_orn2_b64 s[2:3], s[2:3], exec
.LBB7_113:                              ;   in Loop: Header=BB7_6 Depth=1
	s_or_b64 exec, exec, s[12:13]
	s_mov_b64 s[90:91], 0
	s_mov_b64 s[84:85], 0
	;; [unrolled: 1-line block ×3, first 2 shown]
                                        ; implicit-def: $vgpr4
                                        ; implicit-def: $vgpr1
	s_and_saveexec_b64 s[92:93], s[2:3]
	s_cbranch_execz .LBB7_243
; %bb.114:                              ;   in Loop: Header=BB7_6 Depth=1
	s_xor_b64 s[8:9], s[6:7], -1
	s_mov_b64 s[6:7], 0
	v_mov_b32_e32 v4, 1
	v_mov_b32_e32 v1, 1
	s_and_saveexec_b64 s[2:3], s[8:9]
	s_cbranch_execz .LBB7_123
; %bb.115:                              ;   in Loop: Header=BB7_6 Depth=1
	v_cmp_ge_u32_e32 vcc, s21, v40
	s_and_saveexec_b64 s[6:7], vcc
	s_xor_b64 s[6:7], exec, s[6:7]
	s_cbranch_execz .LBB7_120
; %bb.116:                              ;   in Loop: Header=BB7_6 Depth=1
	ds_read_b32 v1, v23 offset:4096
	v_and_b32_e32 v3, s38, v3
	v_or_b32_e32 v2, s22, v2
	s_waitcnt lgkmcnt(0)
	v_cmp_ne_u32_e32 vcc, 0, v1
	s_cbranch_vccnz .LBB7_120
; %bb.117:                              ;   in Loop: Header=BB7_6 Depth=1
	s_mov_b64 s[8:9], exec
	v_readlane_b32 s12, v51, 14
	v_readlane_b32 s13, v51, 15
	s_and_b64 s[12:13], s[8:9], s[12:13]
	s_mov_b64 exec, s[12:13]
; %bb.118:                              ;   in Loop: Header=BB7_6 Depth=1
	v_mov_b32_e32 v1, s21
	ds_write_b32 v23, v1 offset:4100
; %bb.119:                              ;   in Loop: Header=BB7_6 Depth=1
	s_or_b64 exec, exec, s[8:9]
	s_waitcnt lgkmcnt(0)
	s_barrier
.LBB7_120:                              ;   in Loop: Header=BB7_6 Depth=1
	s_or_saveexec_b64 s[6:7], s[6:7]
	s_mov_b64 s[12:13], 0
	v_mov_b32_e32 v1, 8
	v_mov_b32_e32 v4, v40
	s_xor_b64 exec, exec, s[6:7]
; %bb.121:                              ;   in Loop: Header=BB7_6 Depth=1
	s_mov_b64 s[12:13], exec
	v_subrev_u32_e32 v4, s21, v40
	v_mov_b32_e32 v1, 0
; %bb.122:                              ;   in Loop: Header=BB7_6 Depth=1
	s_or_b64 exec, exec, s[6:7]
	s_and_b64 s[6:7], s[12:13], exec
.LBB7_123:                              ;   in Loop: Header=BB7_6 Depth=1
	s_or_b64 exec, exec, s[2:3]
	s_mov_b64 s[2:3], -1
                                        ; implicit-def: $sgpr34_sgpr35
                                        ; implicit-def: $sgpr84_sgpr85
	s_and_saveexec_b64 s[8:9], s[6:7]
	s_xor_b64 s[6:7], exec, s[8:9]
	s_cbranch_execz .LBB7_240
; %bb.124:                              ;   in Loop: Header=BB7_6 Depth=1
	s_cmp_eq_u32 s39, 1
	s_cselect_b64 s[2:3], -1, 0
	v_cmp_eq_u32_e32 vcc, 1, v4
	s_and_b64 s[14:15], s[2:3], vcc
	s_mov_b64 s[2:3], -1
                                        ; implicit-def: $sgpr84_sgpr85
                                        ; implicit-def: $sgpr34_sgpr35
	s_and_saveexec_b64 s[12:13], s[14:15]
	s_cbranch_execz .LBB7_150
; %bb.125:                              ;   in Loop: Header=BB7_6 Depth=1
	ds_read_b32 v5, v23 offset:4096
	s_waitcnt lgkmcnt(0)
	s_barrier
	v_readfirstlane_b32 s8, v5
	s_mov_b64 s[2:3], exec
	v_readlane_b32 s16, v51, 29
	v_readlane_b32 s17, v51, 30
	s_and_b64 s[16:17], s[2:3], s[16:17]
	s_mov_b64 exec, s[16:17]
; %bb.126:                              ;   in Loop: Header=BB7_6 Depth=1
	ds_write_b8 v0, v23 offset:3072
; %bb.127:                              ;   in Loop: Header=BB7_6 Depth=1
	s_or_b64 exec, exec, s[2:3]
	v_and_b32_e32 v3, s38, v3
	v_lshl_or_b32 v3, 1, s10, v3
	v_or_b32_e32 v2, s22, v2
	s_mov_b64 s[34:35], -1
	s_mov_b64 s[84:85], 0
	s_cmp_eq_u32 s8, 0
	s_mov_b64 s[16:17], 0
	s_mov_b64 s[2:3], -1
	s_waitcnt lgkmcnt(0)
	s_barrier
                                        ; implicit-def: $vgpr5
	s_cbranch_scc1 .LBB7_138
; %bb.128:                              ;   in Loop: Header=BB7_6 Depth=1
	v_readlane_b32 s2, v51, 31
	s_add_i32 s2, s8, s2
	v_readlane_b32 s3, v51, 55
	s_mul_hi_u32 s3, s2, s3
	s_mul_i32 s3, s3, s33
	s_sub_i32 s3, s2, s3
	s_sub_i32 s9, s3, s33
	s_cmp_ge_u32 s3, s33
	s_cselect_b32 s3, s9, s3
	s_sub_i32 s9, s3, s33
	s_cmp_ge_u32 s3, s33
	s_cselect_b32 s3, s9, s3
	s_sub_i32 s9, s2, s3
	v_cmp_gt_u32_e32 vcc, s9, v0
	s_mov_b64 s[2:3], 0
                                        ; implicit-def: $vgpr5
	s_and_saveexec_b64 s[18:19], vcc
	s_cbranch_execz .LBB7_137
; %bb.129:                              ;   in Loop: Header=BB7_6 Depth=1
	v_mov_b32_e32 v5, v0
                                        ; implicit-def: $sgpr28_sgpr29
	s_branch .LBB7_132
.LBB7_130:                              ;   in Loop: Header=BB7_132 Depth=2
	s_or_b64 exec, exec, s[42:43]
	s_waitcnt lgkmcnt(0)
	s_barrier
	ds_read_u16 v6, v23 offset:3072
	s_mov_b64 s[24:25], -1
	s_waitcnt lgkmcnt(0)
	s_barrier
	v_cmp_ne_u32_sdwa s[42:43], v6, v23 src0_sel:BYTE_0 src1_sel:DWORD
	s_and_b64 vcc, exec, s[42:43]
	s_mov_b64 s[42:43], -1
	s_cbranch_vccz .LBB7_135
.LBB7_131:                              ;   in Loop: Header=BB7_132 Depth=2
	s_and_b64 s[24:25], exec, s[24:25]
	s_or_b64 s[16:17], s[24:25], s[16:17]
	s_andn2_b64 s[24:25], s[28:29], exec
	s_and_b64 s[28:29], s[42:43], exec
	s_or_b64 s[28:29], s[24:25], s[28:29]
	s_andn2_b64 exec, exec, s[16:17]
	s_cbranch_execz .LBB7_136
.LBB7_132:                              ;   Parent Loop BB7_6 Depth=1
                                        ; =>  This Inner Loop Header: Depth=2
	v_cmp_gt_u32_e32 vcc, s8, v5
	s_and_saveexec_b64 s[42:43], vcc
	s_cbranch_execz .LBB7_130
; %bb.133:                              ;   in Loop: Header=BB7_132 Depth=2
	ds_read_u8 v6, v5
	s_waitcnt lgkmcnt(0)
	v_and_b32_e32 v7, v6, v2
	v_cmp_eq_u32_sdwa s[24:25], v7, v3 src0_sel:BYTE_0 src1_sel:DWORD
	s_and_b64 exec, exec, s[24:25]
	s_cbranch_execz .LBB7_130
; %bb.134:                              ;   in Loop: Header=BB7_132 Depth=2
	v_lshlrev_b16_e32 v6, 8, v6
	v_or_b32_e32 v6, 1, v6
	ds_write_b16 v23, v6 offset:3072
	s_branch .LBB7_130
.LBB7_135:                              ;   in Loop: Header=BB7_132 Depth=2
	v_add_u32_e32 v5, s33, v5
	v_cmp_le_u32_e32 vcc, s9, v5
	s_mov_b64 s[42:43], 0
	s_orn2_b64 s[24:25], vcc, exec
	s_branch .LBB7_131
.LBB7_136:                              ;   in Loop: Header=BB7_6 Depth=1
	s_or_b64 exec, exec, s[16:17]
	v_lshrrev_b32_sdwa v5, v37, v6 dst_sel:DWORD dst_unused:UNUSED_PAD src0_sel:DWORD src1_sel:WORD_0
	s_and_b64 s[16:17], s[28:29], exec
.LBB7_137:                              ;   in Loop: Header=BB7_6 Depth=1
	s_or_b64 exec, exec, s[18:19]
.LBB7_138:                              ;   in Loop: Header=BB7_6 Depth=1
	s_and_b64 vcc, exec, s[2:3]
	s_cbranch_vccz .LBB7_149
; %bb.139:                              ;   in Loop: Header=BB7_6 Depth=1
                                        ; implicit-def: $vgpr5
	s_mov_b64 s[2:3], exec
	v_readlane_b32 s8, v51, 56
	v_readlane_b32 s9, v51, 57
	s_and_b64 s[8:9], s[2:3], s[8:9]
	s_mov_b64 exec, s[8:9]
	s_cbranch_execz .LBB7_148
; %bb.140:                              ;   in Loop: Header=BB7_6 Depth=1
	s_mov_b64 s[18:19], 0
	v_mov_b32_e32 v5, v22
	v_mov_b32_e32 v6, v0
                                        ; implicit-def: $sgpr28_sgpr29
	s_branch .LBB7_143
.LBB7_141:                              ;   in Loop: Header=BB7_143 Depth=2
	s_or_b64 exec, exec, s[34:35]
	s_waitcnt lgkmcnt(0)
	s_barrier
	ds_read_u16 v7, v23 offset:3072
	s_mov_b64 s[24:25], -1
	s_mov_b64 s[34:35], -1
	s_waitcnt lgkmcnt(0)
	s_barrier
	v_cmp_eq_u32_sdwa s[8:9], v7, v23 src0_sel:BYTE_0 src1_sel:DWORD
	s_and_b64 vcc, exec, s[8:9]
	s_cbranch_vccnz .LBB7_146
.LBB7_142:                              ;   in Loop: Header=BB7_143 Depth=2
	s_and_b64 s[8:9], exec, s[24:25]
	s_or_b64 s[18:19], s[8:9], s[18:19]
	s_andn2_b64 s[8:9], s[28:29], exec
	s_and_b64 s[24:25], s[34:35], exec
	s_or_b64 s[28:29], s[8:9], s[24:25]
	s_andn2_b64 exec, exec, s[18:19]
	s_cbranch_execz .LBB7_147
.LBB7_143:                              ;   Parent Loop BB7_6 Depth=1
                                        ; =>  This Inner Loop Header: Depth=2
	v_cmp_gt_u32_e32 vcc, s36, v6
	s_and_saveexec_b64 s[34:35], vcc
	s_cbranch_execz .LBB7_141
; %bb.144:                              ;   in Loop: Header=BB7_143 Depth=2
	global_load_ubyte v7, v5, s[40:41]
	s_waitcnt vmcnt(0)
	v_and_b32_e32 v8, v7, v2
	v_cmp_eq_u32_sdwa s[8:9], v8, v3 src0_sel:BYTE_0 src1_sel:DWORD
	s_and_b64 exec, exec, s[8:9]
	s_cbranch_execz .LBB7_141
; %bb.145:                              ;   in Loop: Header=BB7_143 Depth=2
	v_lshlrev_b16_e32 v7, 8, v7
	v_or_b32_e32 v7, 1, v7
	ds_write_b16 v23, v7 offset:3072
	s_branch .LBB7_141
.LBB7_146:                              ;   in Loop: Header=BB7_143 Depth=2
	v_add_u32_e32 v6, s33, v6
	v_cmp_le_u32_e32 vcc, s4, v6
	v_add_u32_e32 v5, s53, v5
	s_mov_b64 s[34:35], 0
	s_orn2_b64 s[24:25], vcc, exec
	s_branch .LBB7_142
.LBB7_147:                              ;   in Loop: Header=BB7_6 Depth=1
	s_or_b64 exec, exec, s[18:19]
	s_andn2_b64 s[8:9], s[16:17], exec
	s_and_b64 s[16:17], s[28:29], exec
	v_lshrrev_b32_sdwa v5, v37, v7 dst_sel:DWORD dst_unused:UNUSED_PAD src0_sel:DWORD src1_sel:WORD_0
	s_or_b64 s[16:17], s[8:9], s[16:17]
.LBB7_148:                              ;   in Loop: Header=BB7_6 Depth=1
	s_or_b64 exec, exec, s[2:3]
	s_mov_b64 s[34:35], 0
	s_mov_b64 s[84:85], -1
.LBB7_149:                              ;   in Loop: Header=BB7_6 Depth=1
	s_orn2_b64 s[2:3], s[16:17], exec
.LBB7_150:                              ;   in Loop: Header=BB7_6 Depth=1
	s_or_b64 exec, exec, s[12:13]
	s_mov_b64 s[12:13], 0
	s_and_saveexec_b64 s[94:95], s[2:3]
	s_cbranch_execz .LBB7_239
; %bb.151:                              ;   in Loop: Header=BB7_6 Depth=1
	s_xor_b64 s[8:9], s[14:15], -1
	v_mov_b32_e32 v6, 1
	v_mov_b32_e32 v1, 1
	s_and_saveexec_b64 s[2:3], s[8:9]
	s_cbranch_execz .LBB7_160
; %bb.152:                              ;   in Loop: Header=BB7_6 Depth=1
	v_cmp_ge_u32_e32 vcc, s39, v4
	s_and_saveexec_b64 s[8:9], vcc
	s_xor_b64 s[12:13], exec, s[8:9]
	s_cbranch_execz .LBB7_157
; %bb.153:                              ;   in Loop: Header=BB7_6 Depth=1
	v_and_b32_e32 v1, s38, v3
	v_lshl_or_b32 v3, 1, s10, v1
	ds_read_b32 v1, v23 offset:4096
	v_or_b32_e32 v2, s22, v2
	s_waitcnt lgkmcnt(0)
	v_cmp_ne_u32_e32 vcc, 0, v1
	s_cbranch_vccnz .LBB7_157
; %bb.154:                              ;   in Loop: Header=BB7_6 Depth=1
	s_mov_b64 s[8:9], exec
	v_readlane_b32 s14, v51, 14
	v_readlane_b32 s15, v51, 15
	s_and_b64 s[14:15], s[8:9], s[14:15]
	s_mov_b64 exec, s[14:15]
; %bb.155:                              ;   in Loop: Header=BB7_6 Depth=1
	v_mov_b32_e32 v1, s39
	ds_write_b32 v23, v1 offset:4100
; %bb.156:                              ;   in Loop: Header=BB7_6 Depth=1
	s_or_b64 exec, exec, s[8:9]
	s_waitcnt lgkmcnt(0)
	s_barrier
.LBB7_157:                              ;   in Loop: Header=BB7_6 Depth=1
	s_or_saveexec_b64 s[12:13], s[12:13]
	s_mov_b64 s[14:15], 0
	v_mov_b32_e32 v1, 8
	s_xor_b64 exec, exec, s[12:13]
; %bb.158:                              ;   in Loop: Header=BB7_6 Depth=1
	s_mov_b64 s[14:15], exec
	v_subrev_u32_e32 v4, s39, v4
	v_mov_b32_e32 v1, 0
; %bb.159:                              ;   in Loop: Header=BB7_6 Depth=1
	s_or_b64 exec, exec, s[12:13]
	s_and_b64 s[12:13], s[14:15], exec
	v_mov_b32_e32 v6, v4
.LBB7_160:                              ;   in Loop: Header=BB7_6 Depth=1
	s_or_b64 exec, exec, s[2:3]
	s_mov_b64 s[2:3], -1
                                        ; implicit-def: $sgpr44_sgpr45
                                        ; implicit-def: $sgpr46_sgpr47
	s_and_saveexec_b64 s[42:43], s[12:13]
	s_cbranch_execz .LBB7_238
; %bb.161:                              ;   in Loop: Header=BB7_6 Depth=1
	s_cmp_eq_u32 s50, 1
	s_cselect_b64 s[2:3], -1, 0
	v_cmp_eq_u32_e32 vcc, 1, v6
	s_and_b64 s[14:15], s[2:3], vcc
	s_mov_b64 s[2:3], -1
                                        ; implicit-def: $sgpr46_sgpr47
                                        ; implicit-def: $sgpr44_sgpr45
	s_and_saveexec_b64 s[12:13], s[14:15]
	s_cbranch_execz .LBB7_187
; %bb.162:                              ;   in Loop: Header=BB7_6 Depth=1
	ds_read_b32 v4, v23 offset:4096
	s_waitcnt lgkmcnt(0)
	s_barrier
	v_readfirstlane_b32 s8, v4
	s_mov_b64 s[2:3], exec
	v_readlane_b32 s16, v51, 29
	v_readlane_b32 s17, v51, 30
	s_and_b64 s[16:17], s[2:3], s[16:17]
	s_mov_b64 exec, s[16:17]
; %bb.163:                              ;   in Loop: Header=BB7_6 Depth=1
	ds_write_b8 v0, v23 offset:3072
; %bb.164:                              ;   in Loop: Header=BB7_6 Depth=1
	s_or_b64 exec, exec, s[2:3]
	v_and_b32_e32 v3, s38, v3
	v_lshl_or_b32 v3, 2, s10, v3
	v_or_b32_e32 v2, s22, v2
	s_mov_b64 s[44:45], -1
	s_mov_b64 s[46:47], 0
	s_cmp_eq_u32 s8, 0
	s_mov_b64 s[16:17], 0
	s_mov_b64 s[2:3], -1
	s_waitcnt lgkmcnt(0)
	s_barrier
                                        ; implicit-def: $vgpr5
	s_cbranch_scc1 .LBB7_175
; %bb.165:                              ;   in Loop: Header=BB7_6 Depth=1
	v_readlane_b32 s2, v51, 31
	s_add_i32 s2, s8, s2
	v_readlane_b32 s3, v51, 55
	s_mul_hi_u32 s3, s2, s3
	s_mul_i32 s3, s3, s33
	s_sub_i32 s3, s2, s3
	s_sub_i32 s9, s3, s33
	s_cmp_ge_u32 s3, s33
	s_cselect_b32 s3, s9, s3
	s_sub_i32 s9, s3, s33
	s_cmp_ge_u32 s3, s33
	s_cselect_b32 s3, s9, s3
	s_sub_i32 s9, s2, s3
	v_cmp_gt_u32_e32 vcc, s9, v0
	s_mov_b64 s[2:3], 0
                                        ; implicit-def: $vgpr5
	s_and_saveexec_b64 s[18:19], vcc
	s_cbranch_execz .LBB7_174
; %bb.166:                              ;   in Loop: Header=BB7_6 Depth=1
	v_mov_b32_e32 v4, v0
                                        ; implicit-def: $sgpr28_sgpr29
	s_branch .LBB7_169
.LBB7_167:                              ;   in Loop: Header=BB7_169 Depth=2
	s_or_b64 exec, exec, s[48:49]
	s_waitcnt lgkmcnt(0)
	s_barrier
	ds_read_u16 v5, v23 offset:3072
	s_mov_b64 s[24:25], -1
	s_waitcnt lgkmcnt(0)
	s_barrier
	v_cmp_ne_u32_sdwa s[48:49], v5, v23 src0_sel:BYTE_0 src1_sel:DWORD
	s_and_b64 vcc, exec, s[48:49]
	s_mov_b64 s[48:49], -1
	s_cbranch_vccz .LBB7_172
.LBB7_168:                              ;   in Loop: Header=BB7_169 Depth=2
	s_and_b64 s[24:25], exec, s[24:25]
	s_or_b64 s[16:17], s[24:25], s[16:17]
	s_andn2_b64 s[24:25], s[28:29], exec
	s_and_b64 s[28:29], s[48:49], exec
	s_or_b64 s[28:29], s[24:25], s[28:29]
	s_andn2_b64 exec, exec, s[16:17]
	s_cbranch_execz .LBB7_173
.LBB7_169:                              ;   Parent Loop BB7_6 Depth=1
                                        ; =>  This Inner Loop Header: Depth=2
	v_cmp_gt_u32_e32 vcc, s8, v4
	s_and_saveexec_b64 s[48:49], vcc
	s_cbranch_execz .LBB7_167
; %bb.170:                              ;   in Loop: Header=BB7_169 Depth=2
	ds_read_u8 v5, v4
	s_waitcnt lgkmcnt(0)
	v_and_b32_e32 v7, v5, v2
	v_cmp_eq_u32_sdwa s[24:25], v7, v3 src0_sel:BYTE_0 src1_sel:DWORD
	s_and_b64 exec, exec, s[24:25]
	s_cbranch_execz .LBB7_167
; %bb.171:                              ;   in Loop: Header=BB7_169 Depth=2
	v_lshlrev_b16_e32 v5, 8, v5
	v_or_b32_e32 v5, 1, v5
	ds_write_b16 v23, v5 offset:3072
	s_branch .LBB7_167
.LBB7_172:                              ;   in Loop: Header=BB7_169 Depth=2
	v_add_u32_e32 v4, s33, v4
	v_cmp_le_u32_e32 vcc, s9, v4
	s_mov_b64 s[48:49], 0
	s_orn2_b64 s[24:25], vcc, exec
	s_branch .LBB7_168
.LBB7_173:                              ;   in Loop: Header=BB7_6 Depth=1
	s_or_b64 exec, exec, s[16:17]
	v_lshrrev_b32_sdwa v5, v37, v5 dst_sel:DWORD dst_unused:UNUSED_PAD src0_sel:DWORD src1_sel:WORD_0
	s_and_b64 s[16:17], s[28:29], exec
.LBB7_174:                              ;   in Loop: Header=BB7_6 Depth=1
	s_or_b64 exec, exec, s[18:19]
.LBB7_175:                              ;   in Loop: Header=BB7_6 Depth=1
	s_and_b64 vcc, exec, s[2:3]
	s_cbranch_vccz .LBB7_186
; %bb.176:                              ;   in Loop: Header=BB7_6 Depth=1
                                        ; implicit-def: $vgpr5
	s_mov_b64 s[2:3], exec
	v_readlane_b32 s8, v51, 56
	v_readlane_b32 s9, v51, 57
	s_and_b64 s[8:9], s[2:3], s[8:9]
	s_mov_b64 exec, s[8:9]
	s_cbranch_execz .LBB7_185
; %bb.177:                              ;   in Loop: Header=BB7_6 Depth=1
	s_mov_b64 s[18:19], 0
	v_mov_b32_e32 v4, v22
	v_mov_b32_e32 v5, v0
                                        ; implicit-def: $sgpr28_sgpr29
	s_branch .LBB7_180
.LBB7_178:                              ;   in Loop: Header=BB7_180 Depth=2
	s_or_b64 exec, exec, s[44:45]
	s_waitcnt lgkmcnt(0)
	s_barrier
	ds_read_u16 v7, v23 offset:3072
	s_mov_b64 s[24:25], -1
	s_mov_b64 s[44:45], -1
	s_waitcnt lgkmcnt(0)
	s_barrier
	v_cmp_eq_u32_sdwa s[8:9], v7, v23 src0_sel:BYTE_0 src1_sel:DWORD
	s_and_b64 vcc, exec, s[8:9]
	s_cbranch_vccnz .LBB7_183
.LBB7_179:                              ;   in Loop: Header=BB7_180 Depth=2
	s_and_b64 s[8:9], exec, s[24:25]
	s_or_b64 s[18:19], s[8:9], s[18:19]
	s_andn2_b64 s[8:9], s[28:29], exec
	s_and_b64 s[24:25], s[44:45], exec
	s_or_b64 s[28:29], s[8:9], s[24:25]
	s_andn2_b64 exec, exec, s[18:19]
	s_cbranch_execz .LBB7_184
.LBB7_180:                              ;   Parent Loop BB7_6 Depth=1
                                        ; =>  This Inner Loop Header: Depth=2
	v_cmp_gt_u32_e32 vcc, s36, v5
	s_and_saveexec_b64 s[44:45], vcc
	s_cbranch_execz .LBB7_178
; %bb.181:                              ;   in Loop: Header=BB7_180 Depth=2
	global_load_ubyte v7, v4, s[40:41]
	s_waitcnt vmcnt(0)
	v_and_b32_e32 v8, v7, v2
	v_cmp_eq_u32_sdwa s[8:9], v8, v3 src0_sel:BYTE_0 src1_sel:DWORD
	s_and_b64 exec, exec, s[8:9]
	s_cbranch_execz .LBB7_178
; %bb.182:                              ;   in Loop: Header=BB7_180 Depth=2
	v_lshlrev_b16_e32 v7, 8, v7
	v_or_b32_e32 v7, 1, v7
	ds_write_b16 v23, v7 offset:3072
	s_branch .LBB7_178
.LBB7_183:                              ;   in Loop: Header=BB7_180 Depth=2
	v_add_u32_e32 v5, s33, v5
	v_cmp_le_u32_e32 vcc, s4, v5
	v_add_u32_e32 v4, s53, v4
	s_mov_b64 s[44:45], 0
	s_orn2_b64 s[24:25], vcc, exec
	s_branch .LBB7_179
.LBB7_184:                              ;   in Loop: Header=BB7_6 Depth=1
	s_or_b64 exec, exec, s[18:19]
	s_andn2_b64 s[8:9], s[16:17], exec
	s_and_b64 s[16:17], s[28:29], exec
	v_lshrrev_b32_sdwa v5, v37, v7 dst_sel:DWORD dst_unused:UNUSED_PAD src0_sel:DWORD src1_sel:WORD_0
	s_or_b64 s[16:17], s[8:9], s[16:17]
.LBB7_185:                              ;   in Loop: Header=BB7_6 Depth=1
	s_or_b64 exec, exec, s[2:3]
	s_mov_b64 s[44:45], 0
	s_mov_b64 s[46:47], -1
.LBB7_186:                              ;   in Loop: Header=BB7_6 Depth=1
	s_orn2_b64 s[2:3], s[16:17], exec
.LBB7_187:                              ;   in Loop: Header=BB7_6 Depth=1
	s_or_b64 exec, exec, s[12:13]
	s_mov_b64 s[12:13], 0
	s_and_saveexec_b64 s[48:49], s[2:3]
	s_cbranch_execz .LBB7_237
; %bb.188:                              ;   in Loop: Header=BB7_6 Depth=1
	s_xor_b64 s[8:9], s[14:15], -1
	v_mov_b32_e32 v4, 1
	v_mov_b32_e32 v1, 1
	s_and_saveexec_b64 s[2:3], s[8:9]
	s_cbranch_execz .LBB7_197
; %bb.189:                              ;   in Loop: Header=BB7_6 Depth=1
	v_cmp_ge_u32_e32 vcc, s50, v6
	s_and_saveexec_b64 s[8:9], vcc
	s_xor_b64 s[12:13], exec, s[8:9]
	s_cbranch_execz .LBB7_194
; %bb.190:                              ;   in Loop: Header=BB7_6 Depth=1
	v_and_b32_e32 v1, s38, v3
	v_lshl_or_b32 v3, 2, s10, v1
	ds_read_b32 v1, v23 offset:4096
	v_or_b32_e32 v2, s22, v2
	s_waitcnt lgkmcnt(0)
	v_cmp_ne_u32_e32 vcc, 0, v1
	s_cbranch_vccnz .LBB7_194
; %bb.191:                              ;   in Loop: Header=BB7_6 Depth=1
	s_mov_b64 s[8:9], exec
	v_readlane_b32 s14, v51, 14
	v_readlane_b32 s15, v51, 15
	s_and_b64 s[14:15], s[8:9], s[14:15]
	s_mov_b64 exec, s[14:15]
; %bb.192:                              ;   in Loop: Header=BB7_6 Depth=1
	v_mov_b32_e32 v1, s50
	ds_write_b32 v23, v1 offset:4100
; %bb.193:                              ;   in Loop: Header=BB7_6 Depth=1
	s_or_b64 exec, exec, s[8:9]
	s_waitcnt lgkmcnt(0)
	s_barrier
.LBB7_194:                              ;   in Loop: Header=BB7_6 Depth=1
	s_or_saveexec_b64 s[12:13], s[12:13]
	s_mov_b64 s[14:15], 0
	v_mov_b32_e32 v1, 8
	s_xor_b64 exec, exec, s[12:13]
; %bb.195:                              ;   in Loop: Header=BB7_6 Depth=1
	s_mov_b64 s[14:15], exec
	v_subrev_u32_e32 v6, s50, v6
	v_mov_b32_e32 v1, 0
; %bb.196:                              ;   in Loop: Header=BB7_6 Depth=1
	s_or_b64 exec, exec, s[12:13]
	s_and_b64 s[12:13], s[14:15], exec
	v_mov_b32_e32 v4, v6
.LBB7_197:                              ;   in Loop: Header=BB7_6 Depth=1
	s_or_b64 exec, exec, s[2:3]
	s_mov_b64 s[2:3], -1
                                        ; implicit-def: $sgpr18_sgpr19
                                        ; implicit-def: $sgpr16_sgpr17
	s_and_saveexec_b64 s[14:15], s[12:13]
	s_cbranch_execz .LBB7_236
; %bb.198:                              ;   in Loop: Header=BB7_6 Depth=1
	s_cmp_eq_u32 s51, 1
	s_cselect_b64 s[2:3], -1, 0
	v_cmp_eq_u32_e32 vcc, 1, v4
	s_and_b64 s[24:25], s[2:3], vcc
	s_mov_b64 s[56:57], -1
                                        ; implicit-def: $sgpr18_sgpr19
                                        ; implicit-def: $sgpr16_sgpr17
	s_and_saveexec_b64 s[28:29], s[24:25]
	s_cbranch_execz .LBB7_224
; %bb.199:                              ;   in Loop: Header=BB7_6 Depth=1
	ds_read_b32 v5, v23 offset:4096
	s_waitcnt lgkmcnt(0)
	s_barrier
	v_readfirstlane_b32 s12, v5
	s_mov_b64 s[2:3], exec
	v_readlane_b32 s8, v51, 29
	v_readlane_b32 s9, v51, 30
	s_and_b64 s[8:9], s[2:3], s[8:9]
	s_mov_b64 exec, s[8:9]
; %bb.200:                              ;   in Loop: Header=BB7_6 Depth=1
	ds_write_b8 v0, v23 offset:3072
; %bb.201:                              ;   in Loop: Header=BB7_6 Depth=1
	s_or_b64 exec, exec, s[2:3]
	v_or_b32_e32 v3, s22, v3
	v_or_b32_e32 v2, s22, v2
	s_mov_b64 s[16:17], -1
	s_mov_b64 s[18:19], 0
	s_cmp_eq_u32 s12, 0
	s_mov_b64 s[2:3], 0
	s_waitcnt lgkmcnt(0)
	s_barrier
                                        ; implicit-def: $vgpr5
	s_cbranch_scc1 .LBB7_212
; %bb.202:                              ;   in Loop: Header=BB7_6 Depth=1
	v_readlane_b32 s2, v51, 31
	s_add_i32 s2, s12, s2
	v_readlane_b32 s3, v51, 55
	s_mul_hi_u32 s3, s2, s3
	s_mul_i32 s3, s3, s33
	s_sub_i32 s3, s2, s3
	s_sub_i32 s8, s3, s33
	s_cmp_ge_u32 s3, s33
	s_cselect_b32 s3, s8, s3
	s_sub_i32 s8, s3, s33
	s_cmp_ge_u32 s3, s33
	s_cselect_b32 s3, s8, s3
	s_sub_i32 s13, s2, s3
	v_cmp_gt_u32_e32 vcc, s13, v0
	s_mov_b64 s[56:57], 0
	s_mov_b64 s[2:3], 0
                                        ; implicit-def: $vgpr5
	s_and_saveexec_b64 s[58:59], vcc
	s_cbranch_execz .LBB7_211
; %bb.203:                              ;   in Loop: Header=BB7_6 Depth=1
	v_writelane_b32 v51, s24, 58
	v_mov_b32_e32 v5, v0
	v_writelane_b32 v51, s25, 59
                                        ; implicit-def: $sgpr60_sgpr61
	s_branch .LBB7_206
.LBB7_204:                              ;   in Loop: Header=BB7_206 Depth=2
	s_or_b64 exec, exec, s[24:25]
	s_waitcnt lgkmcnt(0)
	s_barrier
	ds_read_u16 v6, v23 offset:3072
	s_mov_b64 s[24:25], -1
	s_waitcnt lgkmcnt(0)
	s_barrier
	v_cmp_ne_u32_sdwa s[8:9], v6, v23 src0_sel:BYTE_0 src1_sel:DWORD
	s_and_b64 vcc, exec, s[8:9]
	s_mov_b64 s[8:9], -1
	s_cbranch_vccz .LBB7_209
.LBB7_205:                              ;   in Loop: Header=BB7_206 Depth=2
	s_and_b64 s[24:25], exec, s[24:25]
	s_or_b64 s[2:3], s[24:25], s[2:3]
	s_andn2_b64 s[24:25], s[60:61], exec
	s_and_b64 s[8:9], s[8:9], exec
	s_or_b64 s[60:61], s[24:25], s[8:9]
	s_andn2_b64 exec, exec, s[2:3]
	s_cbranch_execz .LBB7_210
.LBB7_206:                              ;   Parent Loop BB7_6 Depth=1
                                        ; =>  This Inner Loop Header: Depth=2
	v_cmp_gt_u32_e32 vcc, s12, v5
	s_and_saveexec_b64 s[24:25], vcc
	s_cbranch_execz .LBB7_204
; %bb.207:                              ;   in Loop: Header=BB7_206 Depth=2
	ds_read_u8 v6, v5
	s_waitcnt lgkmcnt(0)
	v_and_b32_e32 v7, v6, v2
	v_cmp_eq_u32_sdwa s[8:9], v7, v3 src0_sel:BYTE_0 src1_sel:DWORD
	s_and_b64 exec, exec, s[8:9]
	s_cbranch_execz .LBB7_204
; %bb.208:                              ;   in Loop: Header=BB7_206 Depth=2
	v_lshlrev_b16_e32 v6, 8, v6
	v_or_b32_e32 v6, 1, v6
	ds_write_b16 v23, v6 offset:3072
	s_branch .LBB7_204
.LBB7_209:                              ;   in Loop: Header=BB7_206 Depth=2
	v_add_u32_e32 v5, s33, v5
	v_cmp_le_u32_e32 vcc, s13, v5
	s_mov_b64 s[8:9], 0
	s_orn2_b64 s[24:25], vcc, exec
	s_branch .LBB7_205
.LBB7_210:                              ;   in Loop: Header=BB7_6 Depth=1
	s_or_b64 exec, exec, s[2:3]
	v_readlane_b32 s24, v51, 58
	v_lshrrev_b32_sdwa v5, v37, v6 dst_sel:DWORD dst_unused:UNUSED_PAD src0_sel:DWORD src1_sel:WORD_0
	s_and_b64 s[2:3], s[60:61], exec
	v_readlane_b32 s25, v51, 59
.LBB7_211:                              ;   in Loop: Header=BB7_6 Depth=1
	s_or_b64 exec, exec, s[58:59]
.LBB7_212:                              ;   in Loop: Header=BB7_6 Depth=1
	s_and_b64 vcc, exec, s[56:57]
	s_cbranch_vccz .LBB7_223
; %bb.213:                              ;   in Loop: Header=BB7_6 Depth=1
                                        ; implicit-def: $vgpr5
	s_mov_b64 s[16:17], exec
	v_readlane_b32 s8, v51, 56
	v_readlane_b32 s9, v51, 57
	s_and_b64 s[8:9], s[16:17], s[8:9]
	s_mov_b64 exec, s[8:9]
	s_cbranch_execz .LBB7_222
; %bb.214:                              ;   in Loop: Header=BB7_6 Depth=1
	s_mov_b64 s[60:61], s[24:25]
	s_mov_b64 s[18:19], 0
	v_mov_b32_e32 v5, v22
	v_mov_b32_e32 v6, v0
                                        ; implicit-def: $sgpr56_sgpr57
	s_branch .LBB7_217
.LBB7_215:                              ;   in Loop: Header=BB7_217 Depth=2
	s_or_b64 exec, exec, s[24:25]
	s_waitcnt lgkmcnt(0)
	s_barrier
	ds_read_u16 v7, v23 offset:3072
	s_mov_b64 s[24:25], -1
	s_mov_b64 s[58:59], -1
	s_waitcnt lgkmcnt(0)
	s_barrier
	v_cmp_eq_u32_sdwa s[8:9], v7, v23 src0_sel:BYTE_0 src1_sel:DWORD
	s_and_b64 vcc, exec, s[8:9]
	s_cbranch_vccnz .LBB7_220
.LBB7_216:                              ;   in Loop: Header=BB7_217 Depth=2
	s_and_b64 s[8:9], exec, s[24:25]
	s_or_b64 s[18:19], s[8:9], s[18:19]
	s_andn2_b64 s[8:9], s[56:57], exec
	s_and_b64 s[12:13], s[58:59], exec
	s_or_b64 s[56:57], s[8:9], s[12:13]
	s_andn2_b64 exec, exec, s[18:19]
	s_cbranch_execz .LBB7_221
.LBB7_217:                              ;   Parent Loop BB7_6 Depth=1
                                        ; =>  This Inner Loop Header: Depth=2
	v_cmp_gt_u32_e32 vcc, s36, v6
	s_and_saveexec_b64 s[24:25], vcc
	s_cbranch_execz .LBB7_215
; %bb.218:                              ;   in Loop: Header=BB7_217 Depth=2
	global_load_ubyte v7, v5, s[40:41]
	s_waitcnt vmcnt(0)
	v_and_b32_e32 v8, v7, v2
	v_cmp_eq_u32_sdwa s[8:9], v8, v3 src0_sel:BYTE_0 src1_sel:DWORD
	s_and_b64 exec, exec, s[8:9]
	s_cbranch_execz .LBB7_215
; %bb.219:                              ;   in Loop: Header=BB7_217 Depth=2
	v_lshlrev_b16_e32 v7, 8, v7
	v_or_b32_e32 v7, 1, v7
	ds_write_b16 v23, v7 offset:3072
	s_branch .LBB7_215
.LBB7_220:                              ;   in Loop: Header=BB7_217 Depth=2
	v_add_u32_e32 v6, s33, v6
	v_cmp_le_u32_e32 vcc, s4, v6
	v_add_u32_e32 v5, s53, v5
	s_mov_b64 s[58:59], 0
	s_orn2_b64 s[24:25], vcc, exec
	s_branch .LBB7_216
.LBB7_221:                              ;   in Loop: Header=BB7_6 Depth=1
	s_or_b64 exec, exec, s[18:19]
	s_andn2_b64 s[2:3], s[2:3], exec
	s_and_b64 s[8:9], s[56:57], exec
	v_lshrrev_b32_sdwa v5, v37, v7 dst_sel:DWORD dst_unused:UNUSED_PAD src0_sel:DWORD src1_sel:WORD_0
	s_or_b64 s[2:3], s[2:3], s[8:9]
	s_mov_b64 s[24:25], s[60:61]
.LBB7_222:                              ;   in Loop: Header=BB7_6 Depth=1
	s_or_b64 exec, exec, s[16:17]
	s_mov_b64 s[16:17], 0
	s_mov_b64 s[18:19], -1
.LBB7_223:                              ;   in Loop: Header=BB7_6 Depth=1
	s_orn2_b64 s[56:57], s[2:3], exec
.LBB7_224:                              ;   in Loop: Header=BB7_6 Depth=1
	s_or_b64 exec, exec, s[28:29]
	s_mov_b64 s[28:29], 0
	s_and_saveexec_b64 s[2:3], s[56:57]
	s_cbranch_execz .LBB7_235
; %bb.225:                              ;   in Loop: Header=BB7_6 Depth=1
	s_xor_b64 s[8:9], s[24:25], -1
	v_mov_b32_e32 v1, 1
	v_mov_b32_e32 v6, 1
	s_and_saveexec_b64 s[12:13], s[8:9]
	s_cbranch_execz .LBB7_234
; %bb.226:                              ;   in Loop: Header=BB7_6 Depth=1
	v_cmp_ge_u32_e32 vcc, s51, v4
	s_and_saveexec_b64 s[8:9], vcc
	s_xor_b64 s[28:29], exec, s[8:9]
	s_cbranch_execz .LBB7_231
; %bb.227:                              ;   in Loop: Header=BB7_6 Depth=1
	ds_read_b32 v1, v23 offset:4096
	v_or_b32_e32 v3, s22, v3
	v_or_b32_e32 v2, s22, v2
	s_waitcnt lgkmcnt(0)
	v_cmp_ne_u32_e32 vcc, 0, v1
	s_cbranch_vccnz .LBB7_231
; %bb.228:                              ;   in Loop: Header=BB7_6 Depth=1
	s_mov_b64 s[8:9], exec
	v_readlane_b32 s24, v51, 14
	v_readlane_b32 s25, v51, 15
	s_and_b64 s[24:25], s[8:9], s[24:25]
	s_mov_b64 exec, s[24:25]
; %bb.229:                              ;   in Loop: Header=BB7_6 Depth=1
	v_mov_b32_e32 v1, s51
	ds_write_b32 v23, v1 offset:4100
; %bb.230:                              ;   in Loop: Header=BB7_6 Depth=1
	s_or_b64 exec, exec, s[8:9]
	s_waitcnt lgkmcnt(0)
	s_barrier
.LBB7_231:                              ;   in Loop: Header=BB7_6 Depth=1
	s_andn2_saveexec_b64 s[24:25], s[28:29]
; %bb.232:                              ;   in Loop: Header=BB7_6 Depth=1
	v_subrev_u32_e32 v4, s51, v4
; %bb.233:                              ;   in Loop: Header=BB7_6 Depth=1
	s_or_b64 exec, exec, s[24:25]
	v_mov_b32_e32 v1, 8
	v_mov_b32_e32 v6, v4
.LBB7_234:                              ;   in Loop: Header=BB7_6 Depth=1
	s_or_b64 exec, exec, s[12:13]
	s_mov_b64 s[28:29], exec
	v_mov_b32_e32 v4, v6
.LBB7_235:                              ;   in Loop: Header=BB7_6 Depth=1
	s_or_b64 exec, exec, s[2:3]
	s_orn2_b64 s[2:3], s[28:29], exec
.LBB7_236:                              ;   in Loop: Header=BB7_6 Depth=1
	s_or_b64 exec, exec, s[14:15]
	s_andn2_b64 s[8:9], s[46:47], exec
	s_and_b64 s[12:13], s[18:19], exec
	s_or_b64 s[46:47], s[8:9], s[12:13]
	s_andn2_b64 s[8:9], s[44:45], exec
	s_and_b64 s[12:13], s[16:17], exec
	s_or_b64 s[44:45], s[8:9], s[12:13]
	s_and_b64 s[12:13], s[2:3], exec
	v_mov_b32_e32 v6, v4
.LBB7_237:                              ;   in Loop: Header=BB7_6 Depth=1
	s_or_b64 exec, exec, s[48:49]
	s_orn2_b64 s[2:3], s[12:13], exec
.LBB7_238:                              ;   in Loop: Header=BB7_6 Depth=1
	s_or_b64 exec, exec, s[42:43]
	s_andn2_b64 s[8:9], s[84:85], exec
	s_and_b64 s[12:13], s[46:47], exec
	s_or_b64 s[84:85], s[8:9], s[12:13]
	s_andn2_b64 s[8:9], s[34:35], exec
	s_and_b64 s[12:13], s[44:45], exec
	s_or_b64 s[34:35], s[8:9], s[12:13]
	s_and_b64 s[12:13], s[2:3], exec
	v_mov_b32_e32 v4, v6
.LBB7_239:                              ;   in Loop: Header=BB7_6 Depth=1
	s_or_b64 exec, exec, s[94:95]
	s_orn2_b64 s[2:3], s[12:13], exec
.LBB7_240:                              ;   in Loop: Header=BB7_6 Depth=1
	s_or_b64 exec, exec, s[6:7]
	s_mov_b64 s[6:7], 0
	s_mov_b64 s[12:13], 0
	s_and_saveexec_b64 s[8:9], s[2:3]
	s_xor_b64 s[2:3], exec, s[8:9]
; %bb.241:                              ;   in Loop: Header=BB7_6 Depth=1
	v_cmp_eq_u32_e32 vcc, 8, v1
	v_cmp_ne_u32_e64 s[6:7], 8, v1
	s_and_b64 s[12:13], s[6:7], exec
	s_and_b64 s[6:7], vcc, exec
; %bb.242:                              ;   in Loop: Header=BB7_6 Depth=1
	s_or_b64 exec, exec, s[2:3]
	s_andn2_b64 s[2:3], s[88:89], exec
	s_and_b64 s[8:9], s[84:85], exec
	s_or_b64 s[88:89], s[2:3], s[8:9]
	s_andn2_b64 s[2:3], s[86:87], exec
	s_and_b64 s[8:9], s[34:35], exec
	s_or_b64 s[86:87], s[2:3], s[8:9]
	s_and_b64 s[34:35], s[12:13], exec
	s_and_b64 s[84:85], s[6:7], exec
.LBB7_243:                              ;   in Loop: Header=BB7_6 Depth=1
	s_or_b64 exec, exec, s[92:93]
.LBB7_244:                              ;   in Loop: Header=BB7_6 Depth=1
	s_and_b64 vcc, exec, s[90:91]
	s_cbranch_vccz .LBB7_257
; %bb.245:                              ;   in Loop: Header=BB7_6 Depth=1
	s_cmp_eq_u32 s51, 1
	s_cselect_b64 s[2:3], -1, 0
	s_and_b64 s[6:7], s[2:3], s[26:27]
	s_mov_b64 s[2:3], -1
                                        ; implicit-def: $sgpr26_sgpr27
                                        ; implicit-def: $sgpr30_sgpr31
	s_and_saveexec_b64 s[12:13], s[6:7]
	s_cbranch_execz .LBB7_272
; %bb.246:                              ;   in Loop: Header=BB7_6 Depth=1
	ds_read_b32 v1, v23 offset:4096
	s_waitcnt lgkmcnt(0)
	s_barrier
	v_readfirstlane_b32 s42, v1
	s_mov_b64 s[2:3], exec
	v_readlane_b32 s8, v51, 29
	v_readlane_b32 s9, v51, 30
	s_and_b64 s[8:9], s[2:3], s[8:9]
	s_mov_b64 exec, s[8:9]
; %bb.247:                              ;   in Loop: Header=BB7_6 Depth=1
	ds_write_b8 v0, v23 offset:3072
; %bb.248:                              ;   in Loop: Header=BB7_6 Depth=1
	s_or_b64 exec, exec, s[2:3]
	v_or_b32_e32 v29, s22, v29
	v_or_b32_e32 v38, s22, v38
	s_mov_b64 s[30:31], -1
	s_mov_b64 s[26:27], 0
	s_cmp_eq_u32 s42, 0
	s_mov_b64 s[14:15], 0
	s_mov_b64 s[2:3], -1
	s_waitcnt lgkmcnt(0)
	s_barrier
                                        ; implicit-def: $vgpr39
	s_cbranch_scc1 .LBB7_260
; %bb.249:                              ;   in Loop: Header=BB7_6 Depth=1
	v_readlane_b32 s2, v51, 31
	s_add_i32 s2, s42, s2
	v_readlane_b32 s3, v51, 55
	s_mul_hi_u32 s3, s2, s3
	s_mul_i32 s3, s3, s33
	s_sub_i32 s3, s2, s3
	s_sub_i32 s8, s3, s33
	s_cmp_ge_u32 s3, s33
	s_cselect_b32 s3, s8, s3
	s_sub_i32 s8, s3, s33
	s_cmp_ge_u32 s3, s33
	s_cselect_b32 s3, s8, s3
	s_sub_i32 s43, s2, s3
	v_cmp_gt_u32_e32 vcc, s43, v0
	s_mov_b64 s[2:3], 0
                                        ; implicit-def: $vgpr39
	s_and_saveexec_b64 s[16:17], vcc
	s_cbranch_execz .LBB7_259
; %bb.250:                              ;   in Loop: Header=BB7_6 Depth=1
	v_mov_b32_e32 v1, v0
                                        ; implicit-def: $sgpr18_sgpr19
	s_branch .LBB7_253
.LBB7_251:                              ;   in Loop: Header=BB7_253 Depth=2
	s_or_b64 exec, exec, s[28:29]
	s_waitcnt lgkmcnt(0)
	s_barrier
	ds_read_u16 v2, v23 offset:3072
	s_mov_b64 s[8:9], -1
	s_waitcnt lgkmcnt(0)
	s_barrier
	v_cmp_ne_u32_sdwa s[24:25], v2, v23 src0_sel:BYTE_0 src1_sel:DWORD
	s_and_b64 vcc, exec, s[24:25]
	s_mov_b64 s[24:25], -1
	s_cbranch_vccz .LBB7_256
.LBB7_252:                              ;   in Loop: Header=BB7_253 Depth=2
	s_and_b64 s[8:9], exec, s[8:9]
	s_or_b64 s[14:15], s[8:9], s[14:15]
	s_andn2_b64 s[8:9], s[18:19], exec
	s_and_b64 s[18:19], s[24:25], exec
	s_or_b64 s[18:19], s[8:9], s[18:19]
	s_andn2_b64 exec, exec, s[14:15]
	s_cbranch_execz .LBB7_258
.LBB7_253:                              ;   Parent Loop BB7_6 Depth=1
                                        ; =>  This Inner Loop Header: Depth=2
	v_cmp_gt_u32_e32 vcc, s42, v1
	s_and_saveexec_b64 s[28:29], vcc
	s_cbranch_execz .LBB7_251
; %bb.254:                              ;   in Loop: Header=BB7_253 Depth=2
	ds_read_u8 v2, v1
	s_waitcnt lgkmcnt(0)
	v_and_b32_e32 v3, v2, v38
	v_cmp_eq_u32_sdwa s[8:9], v3, v29 src0_sel:BYTE_0 src1_sel:DWORD
	s_and_b64 exec, exec, s[8:9]
	s_cbranch_execz .LBB7_251
; %bb.255:                              ;   in Loop: Header=BB7_253 Depth=2
	v_lshlrev_b16_e32 v2, 8, v2
	v_or_b32_e32 v2, 1, v2
	ds_write_b16 v23, v2 offset:3072
	s_branch .LBB7_251
.LBB7_256:                              ;   in Loop: Header=BB7_253 Depth=2
	v_add_u32_e32 v1, s33, v1
	v_cmp_le_u32_e32 vcc, s43, v1
	s_mov_b64 s[24:25], 0
	s_orn2_b64 s[8:9], vcc, exec
	s_branch .LBB7_252
.LBB7_257:                              ;   in Loop: Header=BB7_6 Depth=1
	s_mov_b64 s[26:27], 0
	v_mov_b32_e32 v29, v3
	v_mov_b32_e32 v38, v2
	;; [unrolled: 1-line block ×3, first 2 shown]
	s_and_saveexec_b64 s[2:3], s[84:85]
	s_cbranch_execnz .LBB7_403
	s_branch .LBB7_404
.LBB7_258:                              ;   in Loop: Header=BB7_6 Depth=1
	s_or_b64 exec, exec, s[14:15]
	v_lshrrev_b32_sdwa v39, v37, v2 dst_sel:DWORD dst_unused:UNUSED_PAD src0_sel:DWORD src1_sel:WORD_0
	s_and_b64 s[14:15], s[18:19], exec
.LBB7_259:                              ;   in Loop: Header=BB7_6 Depth=1
	s_or_b64 exec, exec, s[16:17]
.LBB7_260:                              ;   in Loop: Header=BB7_6 Depth=1
	s_and_b64 vcc, exec, s[2:3]
	s_cbranch_vccz .LBB7_271
; %bb.261:                              ;   in Loop: Header=BB7_6 Depth=1
                                        ; implicit-def: $vgpr39
	s_mov_b64 s[2:3], exec
	v_readlane_b32 s8, v51, 56
	v_readlane_b32 s9, v51, 57
	s_and_b64 s[8:9], s[2:3], s[8:9]
	s_mov_b64 exec, s[8:9]
	s_cbranch_execz .LBB7_270
; %bb.262:                              ;   in Loop: Header=BB7_6 Depth=1
	s_mov_b64 s[16:17], 0
	v_mov_b32_e32 v1, v22
	v_mov_b32_e32 v2, v0
                                        ; implicit-def: $sgpr18_sgpr19
	s_branch .LBB7_265
.LBB7_263:                              ;   in Loop: Header=BB7_265 Depth=2
	s_or_b64 exec, exec, s[26:27]
	s_waitcnt lgkmcnt(0)
	s_barrier
	ds_read_u16 v3, v23 offset:3072
	s_mov_b64 s[24:25], -1
	s_mov_b64 s[26:27], -1
	s_waitcnt lgkmcnt(0)
	s_barrier
	v_cmp_ne_u32_sdwa s[8:9], v3, v23 src0_sel:BYTE_0 src1_sel:DWORD
	s_and_b64 vcc, exec, s[8:9]
	s_cbranch_vccz .LBB7_268
.LBB7_264:                              ;   in Loop: Header=BB7_265 Depth=2
	s_and_b64 s[8:9], exec, s[24:25]
	s_or_b64 s[16:17], s[8:9], s[16:17]
	s_andn2_b64 s[8:9], s[18:19], exec
	s_and_b64 s[18:19], s[26:27], exec
	s_or_b64 s[18:19], s[8:9], s[18:19]
	s_andn2_b64 exec, exec, s[16:17]
	s_cbranch_execz .LBB7_269
.LBB7_265:                              ;   Parent Loop BB7_6 Depth=1
                                        ; =>  This Inner Loop Header: Depth=2
	v_cmp_gt_u32_e32 vcc, s36, v2
	s_and_saveexec_b64 s[26:27], vcc
	s_cbranch_execz .LBB7_263
; %bb.266:                              ;   in Loop: Header=BB7_265 Depth=2
	global_load_ubyte v3, v1, s[40:41]
	s_waitcnt vmcnt(0)
	v_and_b32_e32 v4, v3, v38
	v_cmp_eq_u32_sdwa s[8:9], v4, v29 src0_sel:BYTE_0 src1_sel:DWORD
	s_and_b64 exec, exec, s[8:9]
	s_cbranch_execz .LBB7_263
; %bb.267:                              ;   in Loop: Header=BB7_265 Depth=2
	v_lshlrev_b16_e32 v3, 8, v3
	v_or_b32_e32 v3, 1, v3
	ds_write_b16 v23, v3 offset:3072
	s_branch .LBB7_263
.LBB7_268:                              ;   in Loop: Header=BB7_265 Depth=2
	v_add_u32_e32 v2, s33, v2
	v_cmp_le_u32_e32 vcc, s4, v2
	v_add_u32_e32 v1, s53, v1
	s_mov_b64 s[26:27], 0
	s_orn2_b64 s[24:25], vcc, exec
	s_branch .LBB7_264
.LBB7_269:                              ;   in Loop: Header=BB7_6 Depth=1
	s_or_b64 exec, exec, s[16:17]
	s_andn2_b64 s[8:9], s[14:15], exec
	s_and_b64 s[14:15], s[18:19], exec
	v_lshrrev_b32_sdwa v39, v37, v3 dst_sel:DWORD dst_unused:UNUSED_PAD src0_sel:DWORD src1_sel:WORD_0
	s_or_b64 s[14:15], s[8:9], s[14:15]
.LBB7_270:                              ;   in Loop: Header=BB7_6 Depth=1
	s_or_b64 exec, exec, s[2:3]
	s_mov_b64 s[30:31], 0
	s_mov_b64 s[26:27], -1
.LBB7_271:                              ;   in Loop: Header=BB7_6 Depth=1
	s_orn2_b64 s[2:3], s[14:15], exec
.LBB7_272:                              ;   in Loop: Header=BB7_6 Depth=1
	s_or_b64 exec, exec, s[12:13]
                                        ; implicit-def: $vgpr4
                                        ; implicit-def: $vgpr1
	s_and_saveexec_b64 s[86:87], s[2:3]
	s_cbranch_execz .LBB7_402
; %bb.273:                              ;   in Loop: Header=BB7_6 Depth=1
	s_xor_b64 s[8:9], s[6:7], -1
	s_mov_b64 s[6:7], 0
	v_mov_b32_e32 v4, 1
	v_mov_b32_e32 v1, 1
	s_and_saveexec_b64 s[2:3], s[8:9]
	s_cbranch_execz .LBB7_282
; %bb.274:                              ;   in Loop: Header=BB7_6 Depth=1
	v_cmp_ge_u32_e32 vcc, s51, v40
	s_and_saveexec_b64 s[6:7], vcc
	s_xor_b64 s[6:7], exec, s[6:7]
	s_cbranch_execz .LBB7_279
; %bb.275:                              ;   in Loop: Header=BB7_6 Depth=1
	ds_read_b32 v1, v23 offset:4096
	v_or_b32_e32 v29, s22, v29
	v_or_b32_e32 v38, s22, v38
	s_waitcnt lgkmcnt(0)
	v_cmp_ne_u32_e32 vcc, 0, v1
	s_cbranch_vccnz .LBB7_279
; %bb.276:                              ;   in Loop: Header=BB7_6 Depth=1
	s_mov_b64 s[8:9], exec
	v_readlane_b32 s12, v51, 14
	v_readlane_b32 s13, v51, 15
	s_and_b64 s[12:13], s[8:9], s[12:13]
	s_mov_b64 exec, s[12:13]
; %bb.277:                              ;   in Loop: Header=BB7_6 Depth=1
	v_mov_b32_e32 v1, s51
	ds_write_b32 v23, v1 offset:4100
; %bb.278:                              ;   in Loop: Header=BB7_6 Depth=1
	s_or_b64 exec, exec, s[8:9]
	s_waitcnt lgkmcnt(0)
	s_barrier
.LBB7_279:                              ;   in Loop: Header=BB7_6 Depth=1
	s_or_saveexec_b64 s[6:7], s[6:7]
	s_mov_b64 s[12:13], 0
	v_mov_b32_e32 v1, 5
	s_xor_b64 exec, exec, s[6:7]
; %bb.280:                              ;   in Loop: Header=BB7_6 Depth=1
	v_subrev_u32_e32 v40, s51, v40
	v_mov_b32_e32 v1, 0
	s_mov_b64 s[12:13], exec
; %bb.281:                              ;   in Loop: Header=BB7_6 Depth=1
	s_or_b64 exec, exec, s[6:7]
	s_and_b64 s[6:7], s[12:13], exec
	v_mov_b32_e32 v4, v40
.LBB7_282:                              ;   in Loop: Header=BB7_6 Depth=1
	s_or_b64 exec, exec, s[2:3]
	s_mov_b64 s[2:3], -1
                                        ; implicit-def: $sgpr88_sgpr89
                                        ; implicit-def: $sgpr90_sgpr91
	s_and_saveexec_b64 s[8:9], s[6:7]
	s_xor_b64 s[6:7], exec, s[8:9]
	s_cbranch_execz .LBB7_399
; %bb.283:                              ;   in Loop: Header=BB7_6 Depth=1
	s_cmp_eq_u32 s50, 1
	s_cselect_b64 s[2:3], -1, 0
	v_cmp_eq_u32_e32 vcc, 1, v4
	s_and_b64 s[14:15], s[2:3], vcc
	s_mov_b64 s[2:3], -1
                                        ; implicit-def: $sgpr90_sgpr91
                                        ; implicit-def: $sgpr88_sgpr89
	s_and_saveexec_b64 s[12:13], s[14:15]
	s_cbranch_execz .LBB7_309
; %bb.284:                              ;   in Loop: Header=BB7_6 Depth=1
	ds_read_b32 v2, v23 offset:4096
	s_waitcnt lgkmcnt(0)
	s_barrier
	v_readfirstlane_b32 s44, v2
	s_mov_b64 s[2:3], exec
	v_readlane_b32 s8, v51, 29
	v_readlane_b32 s9, v51, 30
	s_and_b64 s[8:9], s[2:3], s[8:9]
	s_mov_b64 exec, s[8:9]
; %bb.285:                              ;   in Loop: Header=BB7_6 Depth=1
	ds_write_b8 v0, v23 offset:3072
; %bb.286:                              ;   in Loop: Header=BB7_6 Depth=1
	s_or_b64 exec, exec, s[2:3]
	v_and_b32_e32 v2, s38, v29
	v_lshl_or_b32 v29, 2, s10, v2
	v_or_b32_e32 v38, s22, v38
	s_mov_b64 s[88:89], -1
	s_mov_b64 s[90:91], 0
	s_cmp_eq_u32 s44, 0
	s_mov_b64 s[16:17], 0
	s_mov_b64 s[2:3], -1
	s_waitcnt lgkmcnt(0)
	s_barrier
                                        ; implicit-def: $vgpr39
	s_cbranch_scc1 .LBB7_297
; %bb.287:                              ;   in Loop: Header=BB7_6 Depth=1
	v_readlane_b32 s2, v51, 31
	s_add_i32 s2, s44, s2
	v_readlane_b32 s3, v51, 55
	s_mul_hi_u32 s3, s2, s3
	s_mul_i32 s3, s3, s33
	s_sub_i32 s3, s2, s3
	s_sub_i32 s8, s3, s33
	s_cmp_ge_u32 s3, s33
	s_cselect_b32 s3, s8, s3
	s_sub_i32 s8, s3, s33
	s_cmp_ge_u32 s3, s33
	s_cselect_b32 s3, s8, s3
	s_sub_i32 s45, s2, s3
	v_cmp_gt_u32_e32 vcc, s45, v0
	s_mov_b64 s[2:3], 0
                                        ; implicit-def: $vgpr39
	s_and_saveexec_b64 s[18:19], vcc
	s_cbranch_execz .LBB7_296
; %bb.288:                              ;   in Loop: Header=BB7_6 Depth=1
	v_mov_b32_e32 v2, v0
                                        ; implicit-def: $sgpr28_sgpr29
	s_branch .LBB7_291
.LBB7_289:                              ;   in Loop: Header=BB7_291 Depth=2
	s_or_b64 exec, exec, s[42:43]
	s_waitcnt lgkmcnt(0)
	s_barrier
	ds_read_u16 v3, v23 offset:3072
	s_mov_b64 s[8:9], -1
	s_waitcnt lgkmcnt(0)
	s_barrier
	v_cmp_ne_u32_sdwa s[24:25], v3, v23 src0_sel:BYTE_0 src1_sel:DWORD
	s_and_b64 vcc, exec, s[24:25]
	s_mov_b64 s[24:25], -1
	s_cbranch_vccz .LBB7_294
.LBB7_290:                              ;   in Loop: Header=BB7_291 Depth=2
	s_and_b64 s[8:9], exec, s[8:9]
	s_or_b64 s[16:17], s[8:9], s[16:17]
	s_andn2_b64 s[8:9], s[28:29], exec
	s_and_b64 s[24:25], s[24:25], exec
	s_or_b64 s[28:29], s[8:9], s[24:25]
	s_andn2_b64 exec, exec, s[16:17]
	s_cbranch_execz .LBB7_295
.LBB7_291:                              ;   Parent Loop BB7_6 Depth=1
                                        ; =>  This Inner Loop Header: Depth=2
	v_cmp_gt_u32_e32 vcc, s44, v2
	s_and_saveexec_b64 s[42:43], vcc
	s_cbranch_execz .LBB7_289
; %bb.292:                              ;   in Loop: Header=BB7_291 Depth=2
	ds_read_u8 v3, v2
	s_waitcnt lgkmcnt(0)
	v_and_b32_e32 v5, v3, v38
	v_cmp_eq_u32_sdwa s[8:9], v5, v29 src0_sel:BYTE_0 src1_sel:DWORD
	s_and_b64 exec, exec, s[8:9]
	s_cbranch_execz .LBB7_289
; %bb.293:                              ;   in Loop: Header=BB7_291 Depth=2
	v_lshlrev_b16_e32 v3, 8, v3
	v_or_b32_e32 v3, 1, v3
	ds_write_b16 v23, v3 offset:3072
	s_branch .LBB7_289
.LBB7_294:                              ;   in Loop: Header=BB7_291 Depth=2
	v_add_u32_e32 v2, s33, v2
	v_cmp_le_u32_e32 vcc, s45, v2
	s_mov_b64 s[24:25], 0
	s_orn2_b64 s[8:9], vcc, exec
	s_branch .LBB7_290
.LBB7_295:                              ;   in Loop: Header=BB7_6 Depth=1
	s_or_b64 exec, exec, s[16:17]
	v_lshrrev_b32_sdwa v39, v37, v3 dst_sel:DWORD dst_unused:UNUSED_PAD src0_sel:DWORD src1_sel:WORD_0
	s_and_b64 s[16:17], s[28:29], exec
.LBB7_296:                              ;   in Loop: Header=BB7_6 Depth=1
	s_or_b64 exec, exec, s[18:19]
.LBB7_297:                              ;   in Loop: Header=BB7_6 Depth=1
	s_and_b64 vcc, exec, s[2:3]
	s_cbranch_vccz .LBB7_308
; %bb.298:                              ;   in Loop: Header=BB7_6 Depth=1
                                        ; implicit-def: $vgpr39
	s_mov_b64 s[2:3], exec
	v_readlane_b32 s8, v51, 56
	v_readlane_b32 s9, v51, 57
	s_and_b64 s[8:9], s[2:3], s[8:9]
	s_mov_b64 exec, s[8:9]
	s_cbranch_execz .LBB7_307
; %bb.299:                              ;   in Loop: Header=BB7_6 Depth=1
	s_mov_b64 s[18:19], 0
	v_mov_b32_e32 v2, v22
	v_mov_b32_e32 v3, v0
                                        ; implicit-def: $sgpr28_sgpr29
	s_branch .LBB7_302
.LBB7_300:                              ;   in Loop: Header=BB7_302 Depth=2
	s_or_b64 exec, exec, s[42:43]
	s_waitcnt lgkmcnt(0)
	s_barrier
	ds_read_u16 v5, v23 offset:3072
	s_mov_b64 s[24:25], -1
	s_mov_b64 s[42:43], -1
	s_waitcnt lgkmcnt(0)
	s_barrier
	v_cmp_eq_u32_sdwa s[8:9], v5, v23 src0_sel:BYTE_0 src1_sel:DWORD
	s_and_b64 vcc, exec, s[8:9]
	s_cbranch_vccnz .LBB7_305
.LBB7_301:                              ;   in Loop: Header=BB7_302 Depth=2
	s_and_b64 s[8:9], exec, s[24:25]
	s_or_b64 s[18:19], s[8:9], s[18:19]
	s_andn2_b64 s[8:9], s[28:29], exec
	s_and_b64 s[24:25], s[42:43], exec
	s_or_b64 s[28:29], s[8:9], s[24:25]
	s_andn2_b64 exec, exec, s[18:19]
	s_cbranch_execz .LBB7_306
.LBB7_302:                              ;   Parent Loop BB7_6 Depth=1
                                        ; =>  This Inner Loop Header: Depth=2
	v_cmp_gt_u32_e32 vcc, s36, v3
	s_and_saveexec_b64 s[42:43], vcc
	s_cbranch_execz .LBB7_300
; %bb.303:                              ;   in Loop: Header=BB7_302 Depth=2
	global_load_ubyte v5, v2, s[40:41]
	s_waitcnt vmcnt(0)
	v_and_b32_e32 v6, v5, v38
	v_cmp_eq_u32_sdwa s[8:9], v6, v29 src0_sel:BYTE_0 src1_sel:DWORD
	s_and_b64 exec, exec, s[8:9]
	s_cbranch_execz .LBB7_300
; %bb.304:                              ;   in Loop: Header=BB7_302 Depth=2
	v_lshlrev_b16_e32 v5, 8, v5
	v_or_b32_e32 v5, 1, v5
	ds_write_b16 v23, v5 offset:3072
	s_branch .LBB7_300
.LBB7_305:                              ;   in Loop: Header=BB7_302 Depth=2
	v_add_u32_e32 v3, s33, v3
	v_cmp_le_u32_e32 vcc, s4, v3
	v_add_u32_e32 v2, s53, v2
	s_mov_b64 s[42:43], 0
	s_orn2_b64 s[24:25], vcc, exec
	s_branch .LBB7_301
.LBB7_306:                              ;   in Loop: Header=BB7_6 Depth=1
	s_or_b64 exec, exec, s[18:19]
	s_andn2_b64 s[8:9], s[16:17], exec
	s_and_b64 s[16:17], s[28:29], exec
	v_lshrrev_b32_sdwa v39, v37, v5 dst_sel:DWORD dst_unused:UNUSED_PAD src0_sel:DWORD src1_sel:WORD_0
	s_or_b64 s[16:17], s[8:9], s[16:17]
.LBB7_307:                              ;   in Loop: Header=BB7_6 Depth=1
	s_or_b64 exec, exec, s[2:3]
	s_mov_b64 s[88:89], 0
	s_mov_b64 s[90:91], -1
.LBB7_308:                              ;   in Loop: Header=BB7_6 Depth=1
	s_orn2_b64 s[2:3], s[16:17], exec
.LBB7_309:                              ;   in Loop: Header=BB7_6 Depth=1
	s_or_b64 exec, exec, s[12:13]
	s_mov_b64 s[12:13], 0
	s_and_saveexec_b64 s[92:93], s[2:3]
	s_cbranch_execz .LBB7_398
; %bb.310:                              ;   in Loop: Header=BB7_6 Depth=1
	s_xor_b64 s[8:9], s[14:15], -1
	v_mov_b32_e32 v2, 1
	v_mov_b32_e32 v1, 1
	s_and_saveexec_b64 s[2:3], s[8:9]
	s_cbranch_execz .LBB7_319
; %bb.311:                              ;   in Loop: Header=BB7_6 Depth=1
	v_cmp_ge_u32_e32 vcc, s50, v4
	s_and_saveexec_b64 s[8:9], vcc
	s_xor_b64 s[12:13], exec, s[8:9]
	s_cbranch_execz .LBB7_316
; %bb.312:                              ;   in Loop: Header=BB7_6 Depth=1
	v_and_b32_e32 v1, s38, v29
	v_lshl_or_b32 v29, 2, s10, v1
	ds_read_b32 v1, v23 offset:4096
	v_or_b32_e32 v38, s22, v38
	s_waitcnt lgkmcnt(0)
	v_cmp_ne_u32_e32 vcc, 0, v1
	s_cbranch_vccnz .LBB7_316
; %bb.313:                              ;   in Loop: Header=BB7_6 Depth=1
	s_mov_b64 s[8:9], exec
	v_readlane_b32 s14, v51, 14
	v_readlane_b32 s15, v51, 15
	s_and_b64 s[14:15], s[8:9], s[14:15]
	s_mov_b64 exec, s[14:15]
; %bb.314:                              ;   in Loop: Header=BB7_6 Depth=1
	v_mov_b32_e32 v1, s50
	ds_write_b32 v23, v1 offset:4100
; %bb.315:                              ;   in Loop: Header=BB7_6 Depth=1
	s_or_b64 exec, exec, s[8:9]
	s_waitcnt lgkmcnt(0)
	s_barrier
.LBB7_316:                              ;   in Loop: Header=BB7_6 Depth=1
	s_or_saveexec_b64 s[12:13], s[12:13]
	s_mov_b64 s[14:15], 0
	v_mov_b32_e32 v1, 5
	s_xor_b64 exec, exec, s[12:13]
; %bb.317:                              ;   in Loop: Header=BB7_6 Depth=1
	v_subrev_u32_e32 v4, s50, v4
	v_mov_b32_e32 v1, 0
	s_mov_b64 s[14:15], exec
; %bb.318:                              ;   in Loop: Header=BB7_6 Depth=1
	s_or_b64 exec, exec, s[12:13]
	s_and_b64 s[12:13], s[14:15], exec
	v_mov_b32_e32 v2, v4
.LBB7_319:                              ;   in Loop: Header=BB7_6 Depth=1
	s_or_b64 exec, exec, s[2:3]
	s_mov_b64 s[2:3], -1
                                        ; implicit-def: $sgpr42_sgpr43
                                        ; implicit-def: $sgpr44_sgpr45
	s_and_saveexec_b64 s[94:95], s[12:13]
	s_cbranch_execz .LBB7_397
; %bb.320:                              ;   in Loop: Header=BB7_6 Depth=1
	s_cmp_eq_u32 s39, 1
	s_cselect_b64 s[2:3], -1, 0
	v_cmp_eq_u32_e32 vcc, 1, v2
	s_and_b64 s[14:15], s[2:3], vcc
	s_mov_b64 s[2:3], -1
                                        ; implicit-def: $sgpr44_sgpr45
                                        ; implicit-def: $sgpr42_sgpr43
	s_and_saveexec_b64 s[12:13], s[14:15]
	s_cbranch_execz .LBB7_346
; %bb.321:                              ;   in Loop: Header=BB7_6 Depth=1
	ds_read_b32 v3, v23 offset:4096
	s_waitcnt lgkmcnt(0)
	s_barrier
	v_readfirstlane_b32 s48, v3
	s_mov_b64 s[2:3], exec
	v_readlane_b32 s8, v51, 29
	v_readlane_b32 s9, v51, 30
	s_and_b64 s[8:9], s[2:3], s[8:9]
	s_mov_b64 exec, s[8:9]
; %bb.322:                              ;   in Loop: Header=BB7_6 Depth=1
	ds_write_b8 v0, v23 offset:3072
; %bb.323:                              ;   in Loop: Header=BB7_6 Depth=1
	s_or_b64 exec, exec, s[2:3]
	v_and_b32_e32 v3, s38, v29
	v_lshl_or_b32 v29, 1, s10, v3
	v_or_b32_e32 v38, s22, v38
	s_mov_b64 s[42:43], -1
	s_mov_b64 s[44:45], 0
	s_cmp_eq_u32 s48, 0
	s_mov_b64 s[16:17], 0
	s_mov_b64 s[2:3], -1
	s_waitcnt lgkmcnt(0)
	s_barrier
                                        ; implicit-def: $vgpr39
	s_cbranch_scc1 .LBB7_334
; %bb.324:                              ;   in Loop: Header=BB7_6 Depth=1
	v_readlane_b32 s2, v51, 31
	s_add_i32 s2, s48, s2
	v_readlane_b32 s3, v51, 55
	s_mul_hi_u32 s3, s2, s3
	s_mul_i32 s3, s3, s33
	s_sub_i32 s3, s2, s3
	s_sub_i32 s8, s3, s33
	s_cmp_ge_u32 s3, s33
	s_cselect_b32 s3, s8, s3
	s_sub_i32 s8, s3, s33
	s_cmp_ge_u32 s3, s33
	s_cselect_b32 s3, s8, s3
	s_sub_i32 s49, s2, s3
	v_cmp_gt_u32_e32 vcc, s49, v0
	s_mov_b64 s[2:3], 0
                                        ; implicit-def: $vgpr39
	s_and_saveexec_b64 s[18:19], vcc
	s_cbranch_execz .LBB7_333
; %bb.325:                              ;   in Loop: Header=BB7_6 Depth=1
	v_mov_b32_e32 v3, v0
                                        ; implicit-def: $sgpr28_sgpr29
	s_branch .LBB7_328
.LBB7_326:                              ;   in Loop: Header=BB7_328 Depth=2
	s_or_b64 exec, exec, s[46:47]
	s_waitcnt lgkmcnt(0)
	s_barrier
	ds_read_u16 v4, v23 offset:3072
	s_mov_b64 s[8:9], -1
	s_waitcnt lgkmcnt(0)
	s_barrier
	v_cmp_ne_u32_sdwa s[24:25], v4, v23 src0_sel:BYTE_0 src1_sel:DWORD
	s_and_b64 vcc, exec, s[24:25]
	s_mov_b64 s[24:25], -1
	s_cbranch_vccz .LBB7_331
.LBB7_327:                              ;   in Loop: Header=BB7_328 Depth=2
	s_and_b64 s[8:9], exec, s[8:9]
	s_or_b64 s[16:17], s[8:9], s[16:17]
	s_andn2_b64 s[8:9], s[28:29], exec
	s_and_b64 s[24:25], s[24:25], exec
	s_or_b64 s[28:29], s[8:9], s[24:25]
	s_andn2_b64 exec, exec, s[16:17]
	s_cbranch_execz .LBB7_332
.LBB7_328:                              ;   Parent Loop BB7_6 Depth=1
                                        ; =>  This Inner Loop Header: Depth=2
	v_cmp_gt_u32_e32 vcc, s48, v3
	s_and_saveexec_b64 s[46:47], vcc
	s_cbranch_execz .LBB7_326
; %bb.329:                              ;   in Loop: Header=BB7_328 Depth=2
	ds_read_u8 v4, v3
	s_waitcnt lgkmcnt(0)
	v_and_b32_e32 v5, v4, v38
	v_cmp_eq_u32_sdwa s[8:9], v5, v29 src0_sel:BYTE_0 src1_sel:DWORD
	s_and_b64 exec, exec, s[8:9]
	s_cbranch_execz .LBB7_326
; %bb.330:                              ;   in Loop: Header=BB7_328 Depth=2
	v_lshlrev_b16_e32 v4, 8, v4
	v_or_b32_e32 v4, 1, v4
	ds_write_b16 v23, v4 offset:3072
	s_branch .LBB7_326
.LBB7_331:                              ;   in Loop: Header=BB7_328 Depth=2
	v_add_u32_e32 v3, s33, v3
	v_cmp_le_u32_e32 vcc, s49, v3
	s_mov_b64 s[24:25], 0
	s_orn2_b64 s[8:9], vcc, exec
	s_branch .LBB7_327
.LBB7_332:                              ;   in Loop: Header=BB7_6 Depth=1
	s_or_b64 exec, exec, s[16:17]
	v_lshrrev_b32_sdwa v39, v37, v4 dst_sel:DWORD dst_unused:UNUSED_PAD src0_sel:DWORD src1_sel:WORD_0
	s_and_b64 s[16:17], s[28:29], exec
.LBB7_333:                              ;   in Loop: Header=BB7_6 Depth=1
	s_or_b64 exec, exec, s[18:19]
.LBB7_334:                              ;   in Loop: Header=BB7_6 Depth=1
	s_and_b64 vcc, exec, s[2:3]
	s_cbranch_vccz .LBB7_345
; %bb.335:                              ;   in Loop: Header=BB7_6 Depth=1
                                        ; implicit-def: $vgpr39
	s_mov_b64 s[2:3], exec
	v_readlane_b32 s8, v51, 56
	v_readlane_b32 s9, v51, 57
	s_and_b64 s[8:9], s[2:3], s[8:9]
	s_mov_b64 exec, s[8:9]
	s_cbranch_execz .LBB7_344
; %bb.336:                              ;   in Loop: Header=BB7_6 Depth=1
	s_mov_b64 s[18:19], 0
	v_mov_b32_e32 v3, v22
	v_mov_b32_e32 v4, v0
                                        ; implicit-def: $sgpr28_sgpr29
	s_branch .LBB7_339
.LBB7_337:                              ;   in Loop: Header=BB7_339 Depth=2
	s_or_b64 exec, exec, s[42:43]
	s_waitcnt lgkmcnt(0)
	s_barrier
	ds_read_u16 v5, v23 offset:3072
	s_mov_b64 s[24:25], -1
	s_mov_b64 s[42:43], -1
	s_waitcnt lgkmcnt(0)
	s_barrier
	v_cmp_eq_u32_sdwa s[8:9], v5, v23 src0_sel:BYTE_0 src1_sel:DWORD
	s_and_b64 vcc, exec, s[8:9]
	s_cbranch_vccnz .LBB7_342
.LBB7_338:                              ;   in Loop: Header=BB7_339 Depth=2
	s_and_b64 s[8:9], exec, s[24:25]
	s_or_b64 s[18:19], s[8:9], s[18:19]
	s_andn2_b64 s[8:9], s[28:29], exec
	s_and_b64 s[24:25], s[42:43], exec
	s_or_b64 s[28:29], s[8:9], s[24:25]
	s_andn2_b64 exec, exec, s[18:19]
	s_cbranch_execz .LBB7_343
.LBB7_339:                              ;   Parent Loop BB7_6 Depth=1
                                        ; =>  This Inner Loop Header: Depth=2
	v_cmp_gt_u32_e32 vcc, s36, v4
	s_and_saveexec_b64 s[42:43], vcc
	s_cbranch_execz .LBB7_337
; %bb.340:                              ;   in Loop: Header=BB7_339 Depth=2
	global_load_ubyte v5, v3, s[40:41]
	s_waitcnt vmcnt(0)
	v_and_b32_e32 v6, v5, v38
	v_cmp_eq_u32_sdwa s[8:9], v6, v29 src0_sel:BYTE_0 src1_sel:DWORD
	s_and_b64 exec, exec, s[8:9]
	s_cbranch_execz .LBB7_337
; %bb.341:                              ;   in Loop: Header=BB7_339 Depth=2
	v_lshlrev_b16_e32 v5, 8, v5
	v_or_b32_e32 v5, 1, v5
	ds_write_b16 v23, v5 offset:3072
	s_branch .LBB7_337
.LBB7_342:                              ;   in Loop: Header=BB7_339 Depth=2
	v_add_u32_e32 v4, s33, v4
	v_cmp_le_u32_e32 vcc, s4, v4
	v_add_u32_e32 v3, s53, v3
	s_mov_b64 s[42:43], 0
	s_orn2_b64 s[24:25], vcc, exec
	s_branch .LBB7_338
.LBB7_343:                              ;   in Loop: Header=BB7_6 Depth=1
	s_or_b64 exec, exec, s[18:19]
	s_andn2_b64 s[8:9], s[16:17], exec
	s_and_b64 s[16:17], s[28:29], exec
	v_lshrrev_b32_sdwa v39, v37, v5 dst_sel:DWORD dst_unused:UNUSED_PAD src0_sel:DWORD src1_sel:WORD_0
	s_or_b64 s[16:17], s[8:9], s[16:17]
.LBB7_344:                              ;   in Loop: Header=BB7_6 Depth=1
	s_or_b64 exec, exec, s[2:3]
	s_mov_b64 s[42:43], 0
	s_mov_b64 s[44:45], -1
.LBB7_345:                              ;   in Loop: Header=BB7_6 Depth=1
	s_orn2_b64 s[2:3], s[16:17], exec
.LBB7_346:                              ;   in Loop: Header=BB7_6 Depth=1
	s_or_b64 exec, exec, s[12:13]
	s_mov_b64 s[12:13], 0
	s_and_saveexec_b64 s[46:47], s[2:3]
	s_cbranch_execz .LBB7_396
; %bb.347:                              ;   in Loop: Header=BB7_6 Depth=1
	s_xor_b64 s[8:9], s[14:15], -1
	v_mov_b32_e32 v3, 1
	v_mov_b32_e32 v1, 1
	s_and_saveexec_b64 s[2:3], s[8:9]
	s_cbranch_execz .LBB7_356
; %bb.348:                              ;   in Loop: Header=BB7_6 Depth=1
	v_cmp_ge_u32_e32 vcc, s39, v2
	s_and_saveexec_b64 s[8:9], vcc
	s_xor_b64 s[12:13], exec, s[8:9]
	s_cbranch_execz .LBB7_353
; %bb.349:                              ;   in Loop: Header=BB7_6 Depth=1
	v_and_b32_e32 v1, s38, v29
	v_lshl_or_b32 v29, 1, s10, v1
	ds_read_b32 v1, v23 offset:4096
	v_or_b32_e32 v38, s22, v38
	s_waitcnt lgkmcnt(0)
	v_cmp_ne_u32_e32 vcc, 0, v1
	s_cbranch_vccnz .LBB7_353
; %bb.350:                              ;   in Loop: Header=BB7_6 Depth=1
	s_mov_b64 s[8:9], exec
	v_readlane_b32 s14, v51, 14
	v_readlane_b32 s15, v51, 15
	s_and_b64 s[14:15], s[8:9], s[14:15]
	s_mov_b64 exec, s[14:15]
; %bb.351:                              ;   in Loop: Header=BB7_6 Depth=1
	v_mov_b32_e32 v1, s39
	ds_write_b32 v23, v1 offset:4100
; %bb.352:                              ;   in Loop: Header=BB7_6 Depth=1
	s_or_b64 exec, exec, s[8:9]
	s_waitcnt lgkmcnt(0)
	s_barrier
.LBB7_353:                              ;   in Loop: Header=BB7_6 Depth=1
	s_or_saveexec_b64 s[12:13], s[12:13]
	s_mov_b64 s[14:15], 0
	v_mov_b32_e32 v1, 5
	s_xor_b64 exec, exec, s[12:13]
; %bb.354:                              ;   in Loop: Header=BB7_6 Depth=1
	v_subrev_u32_e32 v2, s39, v2
	v_mov_b32_e32 v1, 0
	s_mov_b64 s[14:15], exec
; %bb.355:                              ;   in Loop: Header=BB7_6 Depth=1
	s_or_b64 exec, exec, s[12:13]
	s_and_b64 s[12:13], s[14:15], exec
	v_mov_b32_e32 v3, v2
.LBB7_356:                              ;   in Loop: Header=BB7_6 Depth=1
	s_or_b64 exec, exec, s[2:3]
	s_mov_b64 s[2:3], -1
                                        ; implicit-def: $sgpr16_sgpr17
                                        ; implicit-def: $sgpr14_sgpr15
	s_and_saveexec_b64 s[48:49], s[12:13]
	s_cbranch_execz .LBB7_395
; %bb.357:                              ;   in Loop: Header=BB7_6 Depth=1
	s_cmp_eq_u32 s21, 1
	s_cselect_b64 s[2:3], -1, 0
	v_cmp_eq_u32_e32 vcc, 1, v3
	s_and_b64 s[12:13], s[2:3], vcc
	s_mov_b64 s[28:29], -1
                                        ; implicit-def: $sgpr16_sgpr17
                                        ; implicit-def: $sgpr14_sgpr15
	s_and_saveexec_b64 s[18:19], s[12:13]
	s_cbranch_execz .LBB7_383
; %bb.358:                              ;   in Loop: Header=BB7_6 Depth=1
	ds_read_b32 v2, v23 offset:4096
	s_waitcnt lgkmcnt(0)
	s_barrier
	v_readfirstlane_b32 s39, v2
	s_mov_b64 s[2:3], exec
	v_readlane_b32 s8, v51, 29
	v_readlane_b32 s9, v51, 30
	s_and_b64 s[8:9], s[2:3], s[8:9]
	s_mov_b64 exec, s[8:9]
; %bb.359:                              ;   in Loop: Header=BB7_6 Depth=1
	ds_write_b8 v0, v23 offset:3072
; %bb.360:                              ;   in Loop: Header=BB7_6 Depth=1
	s_or_b64 exec, exec, s[2:3]
	v_and_b32_e32 v29, s38, v29
	v_or_b32_e32 v38, s22, v38
	s_mov_b64 s[14:15], -1
	s_mov_b64 s[16:17], 0
	s_cmp_eq_u32 s39, 0
	s_mov_b64 s[28:29], 0
	s_mov_b64 s[2:3], -1
	s_waitcnt lgkmcnt(0)
	s_barrier
                                        ; implicit-def: $vgpr39
	s_cbranch_scc1 .LBB7_371
; %bb.361:                              ;   in Loop: Header=BB7_6 Depth=1
	v_readlane_b32 s2, v51, 31
	s_add_i32 s2, s39, s2
	v_readlane_b32 s3, v51, 55
	s_mul_hi_u32 s3, s2, s3
	s_mul_i32 s3, s3, s33
	s_sub_i32 s3, s2, s3
	s_sub_i32 s8, s3, s33
	s_cmp_ge_u32 s3, s33
	s_cselect_b32 s3, s8, s3
	s_sub_i32 s8, s3, s33
	s_cmp_ge_u32 s3, s33
	s_cselect_b32 s3, s8, s3
	s_sub_i32 s50, s2, s3
	v_cmp_gt_u32_e32 vcc, s50, v0
	s_mov_b64 s[2:3], 0
                                        ; implicit-def: $vgpr39
	s_and_saveexec_b64 s[56:57], vcc
	s_cbranch_execz .LBB7_370
; %bb.362:                              ;   in Loop: Header=BB7_6 Depth=1
	v_mov_b32_e32 v2, v0
                                        ; implicit-def: $sgpr58_sgpr59
	s_branch .LBB7_365
.LBB7_363:                              ;   in Loop: Header=BB7_365 Depth=2
	s_or_b64 exec, exec, s[60:61]
	s_waitcnt lgkmcnt(0)
	s_barrier
	ds_read_u16 v4, v23 offset:3072
	s_mov_b64 s[8:9], -1
	s_waitcnt lgkmcnt(0)
	s_barrier
	v_cmp_ne_u32_sdwa s[24:25], v4, v23 src0_sel:BYTE_0 src1_sel:DWORD
	s_and_b64 vcc, exec, s[24:25]
	s_mov_b64 s[24:25], -1
	s_cbranch_vccz .LBB7_368
.LBB7_364:                              ;   in Loop: Header=BB7_365 Depth=2
	s_and_b64 s[8:9], exec, s[8:9]
	s_or_b64 s[28:29], s[8:9], s[28:29]
	s_andn2_b64 s[8:9], s[58:59], exec
	s_and_b64 s[24:25], s[24:25], exec
	s_or_b64 s[58:59], s[8:9], s[24:25]
	s_andn2_b64 exec, exec, s[28:29]
	s_cbranch_execz .LBB7_369
.LBB7_365:                              ;   Parent Loop BB7_6 Depth=1
                                        ; =>  This Inner Loop Header: Depth=2
	v_cmp_gt_u32_e32 vcc, s39, v2
	s_and_saveexec_b64 s[60:61], vcc
	s_cbranch_execz .LBB7_363
; %bb.366:                              ;   in Loop: Header=BB7_365 Depth=2
	ds_read_u8 v4, v2
	s_waitcnt lgkmcnt(0)
	v_and_b32_e32 v5, v4, v38
	v_cmp_eq_u32_sdwa s[8:9], v5, v29 src0_sel:BYTE_0 src1_sel:DWORD
	s_and_b64 exec, exec, s[8:9]
	s_cbranch_execz .LBB7_363
; %bb.367:                              ;   in Loop: Header=BB7_365 Depth=2
	v_lshlrev_b16_e32 v4, 8, v4
	v_or_b32_e32 v4, 1, v4
	ds_write_b16 v23, v4 offset:3072
	s_branch .LBB7_363
.LBB7_368:                              ;   in Loop: Header=BB7_365 Depth=2
	v_add_u32_e32 v2, s33, v2
	v_cmp_le_u32_e32 vcc, s50, v2
	s_mov_b64 s[24:25], 0
	s_orn2_b64 s[8:9], vcc, exec
	s_branch .LBB7_364
.LBB7_369:                              ;   in Loop: Header=BB7_6 Depth=1
	s_or_b64 exec, exec, s[28:29]
	v_lshrrev_b32_sdwa v39, v37, v4 dst_sel:DWORD dst_unused:UNUSED_PAD src0_sel:DWORD src1_sel:WORD_0
	s_and_b64 s[28:29], s[58:59], exec
.LBB7_370:                              ;   in Loop: Header=BB7_6 Depth=1
	s_or_b64 exec, exec, s[56:57]
.LBB7_371:                              ;   in Loop: Header=BB7_6 Depth=1
	s_and_b64 vcc, exec, s[2:3]
	s_cbranch_vccz .LBB7_382
; %bb.372:                              ;   in Loop: Header=BB7_6 Depth=1
                                        ; implicit-def: $vgpr39
	s_mov_b64 s[2:3], exec
	v_readlane_b32 s8, v51, 56
	v_readlane_b32 s9, v51, 57
	s_and_b64 s[8:9], s[2:3], s[8:9]
	s_mov_b64 exec, s[8:9]
	s_cbranch_execz .LBB7_381
; %bb.373:                              ;   in Loop: Header=BB7_6 Depth=1
	s_mov_b64 s[14:15], 0
	v_mov_b32_e32 v2, v22
	v_mov_b32_e32 v4, v0
                                        ; implicit-def: $sgpr16_sgpr17
	s_branch .LBB7_376
.LBB7_374:                              ;   in Loop: Header=BB7_376 Depth=2
	s_or_b64 exec, exec, s[56:57]
	s_waitcnt lgkmcnt(0)
	s_barrier
	ds_read_u16 v5, v23 offset:3072
	s_mov_b64 s[24:25], -1
	s_mov_b64 s[56:57], -1
	s_waitcnt lgkmcnt(0)
	s_barrier
	v_cmp_eq_u32_sdwa s[8:9], v5, v23 src0_sel:BYTE_0 src1_sel:DWORD
	s_and_b64 vcc, exec, s[8:9]
	s_cbranch_vccnz .LBB7_379
.LBB7_375:                              ;   in Loop: Header=BB7_376 Depth=2
	s_and_b64 s[8:9], exec, s[24:25]
	s_or_b64 s[14:15], s[8:9], s[14:15]
	s_andn2_b64 s[8:9], s[16:17], exec
	s_and_b64 s[16:17], s[56:57], exec
	s_or_b64 s[16:17], s[8:9], s[16:17]
	s_andn2_b64 exec, exec, s[14:15]
	s_cbranch_execz .LBB7_380
.LBB7_376:                              ;   Parent Loop BB7_6 Depth=1
                                        ; =>  This Inner Loop Header: Depth=2
	v_cmp_gt_u32_e32 vcc, s36, v4
	s_and_saveexec_b64 s[56:57], vcc
	s_cbranch_execz .LBB7_374
; %bb.377:                              ;   in Loop: Header=BB7_376 Depth=2
	global_load_ubyte v5, v2, s[40:41]
	s_waitcnt vmcnt(0)
	v_and_b32_e32 v6, v5, v38
	v_cmp_eq_u32_sdwa s[8:9], v6, v29 src0_sel:BYTE_0 src1_sel:DWORD
	s_and_b64 exec, exec, s[8:9]
	s_cbranch_execz .LBB7_374
; %bb.378:                              ;   in Loop: Header=BB7_376 Depth=2
	v_lshlrev_b16_e32 v5, 8, v5
	v_or_b32_e32 v5, 1, v5
	ds_write_b16 v23, v5 offset:3072
	s_branch .LBB7_374
.LBB7_379:                              ;   in Loop: Header=BB7_376 Depth=2
	v_add_u32_e32 v4, s33, v4
	v_cmp_le_u32_e32 vcc, s4, v4
	v_add_u32_e32 v2, s53, v2
	s_mov_b64 s[56:57], 0
	s_orn2_b64 s[24:25], vcc, exec
	s_branch .LBB7_375
.LBB7_380:                              ;   in Loop: Header=BB7_6 Depth=1
	s_or_b64 exec, exec, s[14:15]
	s_andn2_b64 s[8:9], s[28:29], exec
	s_and_b64 s[14:15], s[16:17], exec
	v_lshrrev_b32_sdwa v39, v37, v5 dst_sel:DWORD dst_unused:UNUSED_PAD src0_sel:DWORD src1_sel:WORD_0
	s_or_b64 s[28:29], s[8:9], s[14:15]
.LBB7_381:                              ;   in Loop: Header=BB7_6 Depth=1
	s_or_b64 exec, exec, s[2:3]
	s_mov_b64 s[14:15], 0
	s_mov_b64 s[16:17], -1
.LBB7_382:                              ;   in Loop: Header=BB7_6 Depth=1
	s_orn2_b64 s[28:29], s[28:29], exec
.LBB7_383:                              ;   in Loop: Header=BB7_6 Depth=1
	s_or_b64 exec, exec, s[18:19]
	s_mov_b64 s[18:19], 0
	s_and_saveexec_b64 s[2:3], s[28:29]
	s_cbranch_execz .LBB7_394
; %bb.384:                              ;   in Loop: Header=BB7_6 Depth=1
	s_xor_b64 s[8:9], s[12:13], -1
	v_mov_b32_e32 v1, 1
	v_mov_b32_e32 v2, 1
	s_and_saveexec_b64 s[12:13], s[8:9]
	s_cbranch_execz .LBB7_393
; %bb.385:                              ;   in Loop: Header=BB7_6 Depth=1
	v_cmp_ge_u32_e32 vcc, s21, v3
	s_and_saveexec_b64 s[8:9], vcc
	s_xor_b64 s[18:19], exec, s[8:9]
	s_cbranch_execz .LBB7_390
; %bb.386:                              ;   in Loop: Header=BB7_6 Depth=1
	ds_read_b32 v1, v23 offset:4096
	v_and_b32_e32 v29, s38, v29
	v_or_b32_e32 v38, s22, v38
	s_waitcnt lgkmcnt(0)
	v_cmp_ne_u32_e32 vcc, 0, v1
	s_cbranch_vccnz .LBB7_390
; %bb.387:                              ;   in Loop: Header=BB7_6 Depth=1
	s_mov_b64 s[8:9], exec
	v_readlane_b32 s24, v51, 14
	v_readlane_b32 s25, v51, 15
	s_and_b64 s[24:25], s[8:9], s[24:25]
	s_mov_b64 exec, s[24:25]
; %bb.388:                              ;   in Loop: Header=BB7_6 Depth=1
	v_mov_b32_e32 v1, s21
	ds_write_b32 v23, v1 offset:4100
; %bb.389:                              ;   in Loop: Header=BB7_6 Depth=1
	s_or_b64 exec, exec, s[8:9]
	s_waitcnt lgkmcnt(0)
	s_barrier
.LBB7_390:                              ;   in Loop: Header=BB7_6 Depth=1
	s_andn2_saveexec_b64 s[18:19], s[18:19]
; %bb.391:                              ;   in Loop: Header=BB7_6 Depth=1
	v_subrev_u32_e32 v3, s21, v3
; %bb.392:                              ;   in Loop: Header=BB7_6 Depth=1
	s_or_b64 exec, exec, s[18:19]
	v_mov_b32_e32 v1, 5
	v_mov_b32_e32 v2, v3
.LBB7_393:                              ;   in Loop: Header=BB7_6 Depth=1
	s_or_b64 exec, exec, s[12:13]
	s_mov_b64 s[18:19], exec
	v_mov_b32_e32 v3, v2
.LBB7_394:                              ;   in Loop: Header=BB7_6 Depth=1
	s_or_b64 exec, exec, s[2:3]
	s_orn2_b64 s[2:3], s[18:19], exec
.LBB7_395:                              ;   in Loop: Header=BB7_6 Depth=1
	s_or_b64 exec, exec, s[48:49]
	s_andn2_b64 s[8:9], s[44:45], exec
	s_and_b64 s[12:13], s[16:17], exec
	s_or_b64 s[44:45], s[8:9], s[12:13]
	s_andn2_b64 s[8:9], s[42:43], exec
	s_and_b64 s[12:13], s[14:15], exec
	s_or_b64 s[42:43], s[8:9], s[12:13]
	s_and_b64 s[12:13], s[2:3], exec
	v_mov_b32_e32 v2, v3
.LBB7_396:                              ;   in Loop: Header=BB7_6 Depth=1
	s_or_b64 exec, exec, s[46:47]
	s_orn2_b64 s[2:3], s[12:13], exec
.LBB7_397:                              ;   in Loop: Header=BB7_6 Depth=1
	s_or_b64 exec, exec, s[94:95]
	s_andn2_b64 s[8:9], s[90:91], exec
	s_and_b64 s[12:13], s[44:45], exec
	s_or_b64 s[90:91], s[8:9], s[12:13]
	s_andn2_b64 s[8:9], s[88:89], exec
	s_and_b64 s[12:13], s[42:43], exec
	s_or_b64 s[88:89], s[8:9], s[12:13]
	s_and_b64 s[12:13], s[2:3], exec
	v_mov_b32_e32 v4, v2
.LBB7_398:                              ;   in Loop: Header=BB7_6 Depth=1
	s_or_b64 exec, exec, s[92:93]
	s_orn2_b64 s[2:3], s[12:13], exec
.LBB7_399:                              ;   in Loop: Header=BB7_6 Depth=1
	s_or_b64 exec, exec, s[6:7]
	s_mov_b64 s[6:7], s[84:85]
	s_mov_b64 s[12:13], s[34:35]
	s_and_saveexec_b64 s[14:15], s[2:3]
; %bb.400:                              ;   in Loop: Header=BB7_6 Depth=1
	v_cmp_ne_u32_e64 s[6:7], 5, v1
	v_cmp_eq_u32_e32 vcc, 5, v1
	s_andn2_b64 s[2:3], s[34:35], exec
	s_and_b64 s[6:7], s[6:7], exec
	s_or_b64 s[12:13], s[2:3], s[6:7]
	s_andn2_b64 s[2:3], s[84:85], exec
	s_and_b64 s[6:7], vcc, exec
	s_or_b64 s[6:7], s[2:3], s[6:7]
; %bb.401:                              ;   in Loop: Header=BB7_6 Depth=1
	s_or_b64 exec, exec, s[14:15]
	s_andn2_b64 s[2:3], s[26:27], exec
	s_and_b64 s[8:9], s[90:91], exec
	s_or_b64 s[26:27], s[2:3], s[8:9]
	s_andn2_b64 s[2:3], s[30:31], exec
	s_and_b64 s[8:9], s[88:89], exec
	s_or_b64 s[30:31], s[2:3], s[8:9]
	;; [unrolled: 3-line block ×4, first 2 shown]
.LBB7_402:                              ;   in Loop: Header=BB7_6 Depth=1
	s_or_b64 exec, exec, s[86:87]
	s_mov_b64 s[86:87], 0
	s_mov_b64 s[88:89], 0
	s_and_saveexec_b64 s[2:3], s[84:85]
.LBB7_403:                              ;   in Loop: Header=BB7_6 Depth=1
	v_mov_b32_e32 v1, 0
	s_or_b64 s[34:35], s[34:35], exec
.LBB7_404:                              ;   in Loop: Header=BB7_6 Depth=1
	s_or_b64 exec, exec, s[2:3]
	s_andn2_b64 s[2:3], s[80:81], exec
	s_and_b64 s[8:9], s[26:27], exec
	s_or_b64 s[80:81], s[2:3], s[8:9]
	s_andn2_b64 s[2:3], s[78:79], exec
	s_and_b64 s[8:9], s[30:31], exec
	s_or_b64 s[78:79], s[2:3], s[8:9]
	;; [unrolled: 3-line block ×3, first 2 shown]
	s_andn2_b64 s[2:3], s[74:75], exec
	s_and_b64 s[8:9], s[86:87], exec
	s_mov_b64 s[6:7], -1
	s_andn2_b64 s[82:83], s[82:83], exec
	s_or_b64 s[74:75], s[2:3], s[8:9]
	v_mov_b32_e32 v40, v4
	s_and_saveexec_b64 s[2:3], s[34:35]
	s_xor_b64 s[2:3], exec, s[2:3]
	s_cbranch_execz .LBB7_5
; %bb.405:                              ;   in Loop: Header=BB7_6 Depth=1
	v_cmp_eq_u32_e32 vcc, 0, v1
	s_mov_b64 s[12:13], -1
	s_and_saveexec_b64 s[14:15], vcc
	s_cbranch_execz .LBB7_4
; %bb.406:                              ;   in Loop: Header=BB7_6 Depth=1
	s_xor_b32 s54, s54, 1
	s_add_i32 s8, s10, -2
	s_cmp_eq_u32 s10, 0
	s_cselect_b64 s[6:7], -1, 0
	s_xor_b64 s[12:13], exec, -1
	s_orn2_b64 s[6:7], s[6:7], exec
	s_mov_b32 s10, s8
	s_branch .LBB7_4
.LBB7_407:
	s_or_b64 exec, exec, s[62:63]
	s_xor_b64 s[6:7], s[72:73], -1
	s_xor_b64 s[18:19], s[70:71], -1
	s_xor_b64 s[8:9], s[66:67], -1
	s_xor_b64 s[4:5], s[64:65], -1
	s_xor_b64 s[2:3], s[68:69], -1
	s_mov_b64 s[12:13], 0
	s_and_saveexec_b64 s[10:11], s[4:5]
	s_xor_b64 s[10:11], exec, s[10:11]
	s_cbranch_execnz .LBB7_412
; %bb.408:
	s_andn2_saveexec_b64 s[0:1], s[10:11]
	s_cbranch_execnz .LBB7_431
.LBB7_409:
	s_or_b64 exec, exec, s[0:1]
	s_and_saveexec_b64 s[0:1], s[12:13]
.LBB7_410:
	; divergent unreachable
.LBB7_411:
	s_endpgm
.LBB7_412:
	s_mov_b64 s[14:15], 0
	s_and_saveexec_b64 s[4:5], s[8:9]
	s_xor_b64 s[12:13], exec, s[4:5]
	s_cbranch_execz .LBB7_429
; %bb.413:
	s_mov_b64 s[16:17], 0
	s_and_saveexec_b64 s[4:5], s[18:19]
	s_xor_b64 s[14:15], exec, s[4:5]
	s_cbranch_execz .LBB7_427
; %bb.414:
	;; [unrolled: 5-line block ×3, first 2 shown]
	s_and_saveexec_b64 s[4:5], s[2:3]
	s_xor_b64 s[2:3], exec, s[4:5]
; %bb.416:
	v_mov_b32_e32 v39, v29
; %bb.417:
	s_or_b64 exec, exec, s[2:3]
	s_mov_b64 s[2:3], exec
	v_readlane_b32 s4, v51, 14
	v_readlane_b32 s5, v51, 15
	;; [unrolled: 1-line block ×3, first 2 shown]
	s_and_b64 s[4:5], s[2:3], s[4:5]
	v_readlane_b32 s45, v51, 18
	v_readlane_b32 s6, v51, 16
	s_mov_b64 exec, s[4:5]
; %bb.418:
	v_mov_b32_e32 v1, 0
	ds_write_b32 v1, v1 offset:4108
; %bb.419:
	s_or_b64 exec, exec, s[2:3]
	v_mov_b32_e32 v3, 0
	s_waitcnt lgkmcnt(0)
	s_barrier
	s_mov_b64 s[2:3], exec
	v_readlane_b32 s4, v51, 25
	v_readlane_b32 s5, v51, 26
	s_and_b64 s[4:5], s[2:3], s[4:5]
	s_mov_b64 exec, s[4:5]
	s_cbranch_execz .LBB7_421
; %bb.420:
	global_load_ubyte v3, v[13:14], off
.LBB7_421:
	s_or_b64 exec, exec, s[2:3]
	v_readlane_b32 s5, v51, 10
	v_readlane_b32 s7, v51, 11
	s_mul_i32 s2, s7, s5
	s_add_i32 s34, s36, 63
	s_sub_i32 s2, s6, s2
	s_andn2_b32 s34, s34, 63
	s_add_i32 s3, s7, 1
	s_sub_i32 s4, s2, s5
	s_cmp_ge_u32 s2, s5
	s_cselect_b32 s3, s3, s7
	s_cselect_b32 s2, s4, s2
	s_add_i32 s4, s3, 1
	s_cmp_ge_u32 s2, s5
	s_cselect_b32 s2, s4, s3
	s_mul_i32 s3, s2, s5
	v_readlane_b32 s4, v51, 4
	s_sub_i32 s3, s6, s3
	v_readlane_b32 s5, v51, 5
	s_mul_i32 s3, s3, s5
	s_mul_i32 s2, s2, s4
	v_readlane_b32 s7, v51, 12
	v_readlane_b32 s8, v51, 13
	s_add_i32 s4, s2, s3
	s_mul_i32 s2, s8, s7
	s_sub_i32 s2, s6, s2
	s_add_i32 s3, s8, 1
	s_sub_i32 s5, s2, s7
	s_cmp_ge_u32 s2, s7
	s_cselect_b32 s3, s3, s8
	s_cselect_b32 s2, s5, s2
	s_add_i32 s5, s3, 1
	s_cmp_ge_u32 s2, s7
	s_cselect_b32 s2, s5, s3
	s_mul_i32 s3, s2, s7
	s_sub_i32 s3, s6, s3
	v_readlane_b32 s6, v51, 0
	v_readlane_b32 s7, v51, 1
	s_mul_i32 s3, s3, s7
	s_mul_i32 s2, s2, s6
	s_add_i32 s2, s2, s3
	v_readlane_b32 s6, v51, 8
	s_mov_b32 s3, 0
	v_readlane_b32 s7, v51, 9
	s_add_u32 s8, s6, s4
	s_addc_u32 s9, s7, 0
	s_lshl_b64 s[2:3], s[2:3], 3
	v_readlane_b32 s4, v51, 2
	v_readlane_b32 s5, v51, 3
	s_add_u32 s35, s4, s2
	s_addc_u32 s38, s5, s3
	v_readlane_b32 s2, v51, 6
	v_readlane_b32 s3, v51, 7
	s_load_dword s39, s[2:3], 0x1c8
	s_load_dword s42, s[2:3], 0x2a8
	v_cmp_gt_u32_e32 vcc, s34, v0
	s_mov_b64 s[2:3], -1
	s_mov_b64 s[4:5], 0
	s_and_saveexec_b64 s[20:21], vcc
	s_cbranch_execnz .LBB7_432
; %bb.422:
	s_or_b64 exec, exec, s[20:21]
	s_and_saveexec_b64 s[6:7], s[2:3]
	s_cbranch_execnz .LBB7_447
.LBB7_423:
	s_or_b64 exec, exec, s[6:7]
	s_and_saveexec_b64 s[0:1], s[4:5]
	s_xor_b64 s[0:1], exec, s[0:1]
	s_cbranch_execnz .LBB7_470
.LBB7_424:
	s_or_b64 exec, exec, s[0:1]
	s_and_b64 s[18:19], s[18:19], exec
.LBB7_425:
	s_andn2_saveexec_b64 s[0:1], s[16:17]
	s_cbranch_execnz .LBB7_472
.LBB7_426:
	s_or_b64 exec, exec, s[0:1]
	s_and_b64 s[16:17], s[18:19], exec
.LBB7_427:
	s_andn2_saveexec_b64 s[0:1], s[14:15]
	s_cbranch_execnz .LBB7_471
.LBB7_428:
	s_or_b64 exec, exec, s[0:1]
	s_and_b64 s[14:15], s[16:17], exec
.LBB7_429:
	s_andn2_saveexec_b64 s[0:1], s[12:13]
	s_cbranch_execnz .LBB7_466
.LBB7_430:
	s_or_b64 exec, exec, s[0:1]
	s_and_b64 s[12:13], s[14:15], exec
	s_andn2_saveexec_b64 s[0:1], s[10:11]
	s_cbranch_execz .LBB7_409
.LBB7_431:
	s_or_b64 s[12:13], s[12:13], exec
	s_trap 2
	s_or_b64 exec, exec, s[0:1]
	s_and_saveexec_b64 s[0:1], s[12:13]
	s_cbranch_execnz .LBB7_410
	s_branch .LBB7_411
.LBB7_432:
	v_add_u32_e32 v1, s33, v0
	v_mul_lo_u32 v4, s52, v1
	s_mov_b64 s[22:23], 0
	v_mov_b32_e32 v2, 0
	v_mov_b32_e32 v1, v0
                                        ; implicit-def: $sgpr24_sgpr25
                                        ; implicit-def: $vgpr7
	s_branch .LBB7_434
.LBB7_433:                              ;   in Loop: Header=BB7_434 Depth=1
	s_or_b64 exec, exec, s[26:27]
	s_xor_b64 s[4:5], s[6:7], -1
	s_and_b64 s[2:3], exec, s[2:3]
	s_or_b64 s[22:23], s[2:3], s[22:23]
	s_andn2_b64 s[2:3], s[24:25], exec
	s_and_b64 s[4:5], s[4:5], exec
	s_or_b64 s[24:25], s[2:3], s[4:5]
	v_mov_b32_e32 v3, v6
	v_mov_b32_e32 v1, v5
	s_andn2_b64 exec, exec, s[22:23]
	s_cbranch_execz .LBB7_446
.LBB7_434:                              ; =>This Inner Loop Header: Depth=1
	v_add_u32_e32 v5, s33, v1
	v_cmp_gt_u32_e64 s[4:5], s36, v5
	v_mov_b32_e32 v6, 0
	s_and_saveexec_b64 s[2:3], s[4:5]
	s_cbranch_execz .LBB7_436
; %bb.435:                              ;   in Loop: Header=BB7_434 Depth=1
	global_load_ubyte v6, v4, s[40:41]
.LBB7_436:                              ;   in Loop: Header=BB7_434 Depth=1
	s_or_b64 exec, exec, s[2:3]
	s_waitcnt vmcnt(0)
	v_cmp_gt_u16_sdwa s[2:3], v3, v39 src0_sel:BYTE_0 src1_sel:BYTE_0
	v_cndmask_b32_e64 v8, 0, 1, s[2:3]
	v_cmp_lt_u16_sdwa s[2:3], v3, v39 src0_sel:BYTE_0 src1_sel:BYTE_0
	v_cndmask_b32_e64 v9, 0, 1, s[2:3]
	v_cndmask_b32_e64 v8, v9, v8, s[44:45]
	v_and_b32_e32 v8, 1, v8
	v_cmp_gt_u32_e64 s[4:5], s36, v1
	v_cmp_eq_u32_e64 s[6:7], 1, v8
	s_and_b64 s[26:27], s[4:5], s[6:7]
	v_cndmask_b32_e64 v8, 0, 1, s[26:27]
	v_cmp_ne_u32_e64 s[4:5], 0, v8
	s_cmp_lg_u64 s[4:5], 0
	s_cselect_b64 s[2:3], -1, 0
	s_and_b64 s[6:7], s[0:1], s[2:3]
	s_and_saveexec_b64 s[2:3], s[6:7]
	s_cbranch_execz .LBB7_440
; %bb.437:                              ;   in Loop: Header=BB7_434 Depth=1
	s_mov_b64 s[30:31], exec
	s_waitcnt lgkmcnt(0)
	v_mbcnt_lo_u32_b32 v7, s30, 0
	v_mbcnt_hi_u32_b32 v7, s31, v7
	s_bcnt1_i32_b64 s43, s[4:5]
	v_cmp_eq_u32_e64 s[6:7], 0, v7
                                        ; implicit-def: $vgpr8
	s_and_saveexec_b64 s[28:29], s[6:7]
; %bb.438:                              ;   in Loop: Header=BB7_434 Depth=1
	s_bcnt1_i32_b64 s6, s[30:31]
	s_mul_i32 s6, s43, s6
	v_mov_b32_e32 v8, s6
	ds_add_rtn_u32 v8, v2, v8 offset:4108
; %bb.439:                              ;   in Loop: Header=BB7_434 Depth=1
	s_or_b64 exec, exec, s[28:29]
	s_waitcnt lgkmcnt(0)
	v_readfirstlane_b32 s6, v8
	v_mov_b32_e32 v8, s6
	v_mad_u32_u24 v7, s43, v7, v8
.LBB7_440:                              ;   in Loop: Header=BB7_434 Depth=1
	s_or_b64 exec, exec, s[2:3]
	s_waitcnt lgkmcnt(0)
	ds_bpermute_b32 v7, v17, v7
	s_mov_b64 s[2:3], -1
	s_mov_b64 s[28:29], -1
	s_and_saveexec_b64 s[6:7], s[26:27]
	s_cbranch_execz .LBB7_444
; %bb.441:                              ;   in Loop: Header=BB7_434 Depth=1
	v_and_b32_e32 v9, s4, v19
	v_and_b32_e32 v8, s5, v18
	v_bcnt_u32_b32 v9, v9, 0
	v_bcnt_u32_b32 v8, v8, v9
	s_waitcnt lgkmcnt(0)
	v_add_u32_e32 v8, v7, v8
	v_cmp_gt_u32_e64 s[4:5], s37, v8
	s_mov_b64 s[26:27], 0
	s_and_saveexec_b64 s[28:29], s[4:5]
; %bb.442:                              ;   in Loop: Header=BB7_434 Depth=1
	v_mul_lo_u32 v10, v8, s39
	v_mul_lo_u32 v8, v8, s42
	v_mov_b32_e32 v9, v2
	s_mov_b64 s[26:27], exec
	global_store_byte v10, v3, s[8:9]
	v_lshlrev_b64 v[8:9], 3, v[8:9]
	v_mov_b32_e32 v3, s38
	v_add_co_u32_e64 v8, s[4:5], s35, v8
	v_addc_co_u32_e64 v9, s[4:5], v3, v9, s[4:5]
	global_store_dwordx2 v[8:9], v[1:2], off
; %bb.443:                              ;   in Loop: Header=BB7_434 Depth=1
	s_or_b64 exec, exec, s[28:29]
	s_orn2_b64 s[28:29], s[26:27], exec
.LBB7_444:                              ;   in Loop: Header=BB7_434 Depth=1
	s_or_b64 exec, exec, s[6:7]
	s_mov_b64 s[6:7], -1
	s_and_saveexec_b64 s[26:27], s[28:29]
	s_cbranch_execz .LBB7_433
; %bb.445:                              ;   in Loop: Header=BB7_434 Depth=1
	v_cmp_le_u32_e64 s[4:5], s34, v5
	v_add_u32_e32 v4, s53, v4
	s_xor_b64 s[6:7], exec, -1
	s_orn2_b64 s[2:3], s[4:5], exec
	s_branch .LBB7_433
.LBB7_446:
	s_or_b64 exec, exec, s[22:23]
	s_mov_b64 s[4:5], exec
	s_orn2_b64 s[2:3], s[24:25], exec
	s_or_b64 exec, exec, s[20:21]
	s_and_saveexec_b64 s[6:7], s[2:3]
	s_cbranch_execz .LBB7_423
.LBB7_447:
	v_mov_b32_e32 v6, 0
	s_waitcnt vmcnt(0) lgkmcnt(0)
	s_barrier
	s_mov_b64 s[2:3], exec
	v_readlane_b32 s18, v51, 25
	v_readlane_b32 s19, v51, 26
	s_and_b64 s[18:19], s[2:3], s[18:19]
	s_mov_b64 exec, s[18:19]
	s_cbranch_execz .LBB7_449
; %bb.448:
	global_load_ubyte v6, v[13:14], off
.LBB7_449:
	s_or_b64 exec, exec, s[2:3]
	s_mov_b64 s[2:3], 0
	s_and_saveexec_b64 s[18:19], vcc
	s_cbranch_execz .LBB7_469
; %bb.450:
	v_add_u32_e32 v1, s33, v0
	v_mul_lo_u32 v2, s52, v1
	s_mov_b64 s[20:21], 0
	v_mov_b32_e32 v1, 0
                                        ; implicit-def: $sgpr22_sgpr23
                                        ; implicit-def: $vgpr5
	s_branch .LBB7_453
.LBB7_451:                              ;   in Loop: Header=BB7_453 Depth=1
	s_or_b64 exec, exec, s[26:27]
	s_orn2_b64 s[28:29], s[28:29], exec
	s_orn2_b64 s[26:27], s[24:25], exec
.LBB7_452:                              ;   in Loop: Header=BB7_453 Depth=1
	s_or_b64 exec, exec, s[2:3]
	s_xor_b64 s[2:3], s[28:29], -1
	s_and_b64 s[24:25], exec, s[26:27]
	s_or_b64 s[20:21], s[24:25], s[20:21]
	s_andn2_b64 s[22:23], s[22:23], exec
	s_and_b64 s[2:3], s[2:3], exec
	s_or_b64 s[22:23], s[22:23], s[2:3]
	v_mov_b32_e32 v0, v3
	v_mov_b32_e32 v6, v4
	s_andn2_b64 exec, exec, s[20:21]
	s_cbranch_execz .LBB7_467
.LBB7_453:                              ; =>This Inner Loop Header: Depth=1
	v_add_u32_e32 v3, s33, v0
	v_cmp_gt_u32_e32 vcc, s36, v3
	v_mov_b32_e32 v4, 0
	s_and_saveexec_b64 s[2:3], vcc
	s_cbranch_execz .LBB7_455
; %bb.454:                              ;   in Loop: Header=BB7_453 Depth=1
	global_load_ubyte v4, v2, s[40:41]
.LBB7_455:                              ;   in Loop: Header=BB7_453 Depth=1
	s_or_b64 exec, exec, s[2:3]
	v_cmp_gt_u32_e32 vcc, s36, v0
	s_waitcnt vmcnt(0)
	v_cmp_eq_u16_sdwa s[2:3], v6, v39 src0_sel:BYTE_0 src1_sel:BYTE_0
	s_and_b64 s[24:25], vcc, s[2:3]
	v_cndmask_b32_e64 v6, 0, 1, s[24:25]
	v_cmp_ne_u32_e32 vcc, 0, v6
	s_cmp_lg_u64 vcc, 0
	s_cselect_b64 s[2:3], -1, 0
	s_and_b64 s[2:3], s[0:1], s[2:3]
	s_and_saveexec_b64 s[26:27], s[2:3]
	s_cbranch_execz .LBB7_459
; %bb.456:                              ;   in Loop: Header=BB7_453 Depth=1
	s_mov_b64 s[30:31], exec
	v_mbcnt_lo_u32_b32 v5, s30, 0
	v_mbcnt_hi_u32_b32 v5, s31, v5
	s_bcnt1_i32_b64 s43, vcc
	v_cmp_eq_u32_e64 s[2:3], 0, v5
                                        ; implicit-def: $vgpr6
	s_and_saveexec_b64 s[28:29], s[2:3]
; %bb.457:                              ;   in Loop: Header=BB7_453 Depth=1
	s_bcnt1_i32_b64 s2, s[30:31]
	s_mul_i32 s2, s43, s2
	v_mov_b32_e32 v6, s2
	ds_add_rtn_u32 v6, v1, v6 offset:4108
; %bb.458:                              ;   in Loop: Header=BB7_453 Depth=1
	s_or_b64 exec, exec, s[28:29]
	s_waitcnt lgkmcnt(0)
	v_readfirstlane_b32 s2, v6
	v_mov_b32_e32 v6, s2
	v_mad_u32_u24 v5, s43, v5, v6
.LBB7_459:                              ;   in Loop: Header=BB7_453 Depth=1
	s_or_b64 exec, exec, s[26:27]
	ds_bpermute_b32 v5, v17, v5
	s_cmp_eq_u64 vcc, 0
	s_cselect_b64 s[28:29], -1, 0
	s_mov_b64 s[26:27], -1
	s_waitcnt lgkmcnt(0)
	v_cmp_gt_u32_e64 s[2:3], s37, v5
	s_or_b64 s[30:31], s[28:29], s[2:3]
	s_mov_b64 s[28:29], -1
	s_and_saveexec_b64 s[2:3], s[30:31]
	s_cbranch_execz .LBB7_452
; %bb.460:                              ;   in Loop: Header=BB7_453 Depth=1
	v_and_b32_e32 v7, vcc_lo, v19
	v_and_b32_e32 v6, vcc_hi, v18
	v_bcnt_u32_b32 v7, v7, 0
	v_bcnt_u32_b32 v6, v6, v7
	v_sub_u32_e32 v7, s37, v5
	v_cmp_gt_u32_e32 vcc, v7, v6
	s_and_b64 s[44:45], s[24:25], vcc
	s_mov_b64 s[24:25], -1
	s_mov_b64 s[30:31], -1
	s_and_saveexec_b64 s[26:27], s[44:45]
	s_cbranch_execz .LBB7_464
; %bb.461:                              ;   in Loop: Header=BB7_453 Depth=1
	v_add_u32_e32 v6, v5, v6
	v_cmp_gt_u32_e32 vcc, s37, v6
	s_mov_b64 s[30:31], 0
	s_and_saveexec_b64 s[28:29], vcc
; %bb.462:                              ;   in Loop: Header=BB7_453 Depth=1
	v_mul_lo_u32 v8, v6, s39
	v_mul_lo_u32 v6, v6, s42
	v_mov_b32_e32 v7, v1
	s_mov_b64 s[30:31], exec
	global_store_byte v8, v39, s[8:9]
	v_lshlrev_b64 v[6:7], 3, v[6:7]
	v_mov_b32_e32 v8, s38
	v_add_co_u32_e32 v6, vcc, s35, v6
	v_addc_co_u32_e32 v7, vcc, v8, v7, vcc
	global_store_dwordx2 v[6:7], v[0:1], off
; %bb.463:                              ;   in Loop: Header=BB7_453 Depth=1
	s_or_b64 exec, exec, s[28:29]
	s_xor_b64 s[28:29], exec, -1
	s_orn2_b64 s[30:31], s[30:31], exec
.LBB7_464:                              ;   in Loop: Header=BB7_453 Depth=1
	s_or_b64 exec, exec, s[26:27]
	s_and_saveexec_b64 s[26:27], s[30:31]
	s_cbranch_execz .LBB7_451
; %bb.465:                              ;   in Loop: Header=BB7_453 Depth=1
	v_cmp_le_u32_e32 vcc, s34, v3
	v_add_u32_e32 v2, s53, v2
	s_or_b64 s[28:29], s[28:29], exec
	s_orn2_b64 s[24:25], vcc, exec
	s_branch .LBB7_451
.LBB7_466:
	s_or_b64 s[14:15], s[14:15], exec
	s_trap 2
	s_branch .LBB7_430
.LBB7_467:
	s_or_b64 exec, exec, s[20:21]
	s_mov_b64 s[0:1], 0
	s_and_saveexec_b64 s[2:3], s[22:23]
	s_xor_b64 s[2:3], exec, s[2:3]
	s_cbranch_execnz .LBB7_473
.LBB7_468:
	s_or_b64 exec, exec, s[2:3]
	s_and_b64 s[2:3], s[0:1], exec
.LBB7_469:
	s_or_b64 exec, exec, s[18:19]
	s_and_b64 s[18:19], s[2:3], exec
	s_andn2_b64 s[4:5], s[4:5], exec
	s_or_b64 exec, exec, s[6:7]
	s_and_saveexec_b64 s[0:1], s[4:5]
	s_xor_b64 s[0:1], exec, s[0:1]
	s_cbranch_execz .LBB7_424
.LBB7_470:
	s_trap 2
	s_or_b64 s[18:19], s[18:19], exec
	s_branch .LBB7_424
.LBB7_471:
	s_or_b64 s[16:17], s[16:17], exec
	s_trap 2
	s_branch .LBB7_428
.LBB7_472:
	s_trap 2
	s_or_b64 s[18:19], s[18:19], exec
	s_branch .LBB7_426
.LBB7_473:
	s_mov_b64 s[0:1], exec
	s_trap 2
	s_branch .LBB7_468
	.section	.rodata,"a",@progbits
	.p2align	6, 0x0
	.amdhsa_kernel _ZN2at6native6sbtopk10gatherTopKIhjLi2ELb0EEEvNS_4cuda6detail10TensorInfoIKT_T0_EES8_S8_bS8_S8_NS5_IS6_S8_EES8_NS5_IlS8_EES8_PS6_
		.amdhsa_group_segment_fixed_size 4112
		.amdhsa_private_segment_fixed_size 0
		.amdhsa_kernarg_size 952
		.amdhsa_user_sgpr_count 6
		.amdhsa_user_sgpr_private_segment_buffer 1
		.amdhsa_user_sgpr_dispatch_ptr 0
		.amdhsa_user_sgpr_queue_ptr 0
		.amdhsa_user_sgpr_kernarg_segment_ptr 1
		.amdhsa_user_sgpr_dispatch_id 0
		.amdhsa_user_sgpr_flat_scratch_init 0
		.amdhsa_user_sgpr_private_segment_size 0
		.amdhsa_uses_dynamic_stack 0
		.amdhsa_system_sgpr_private_segment_wavefront_offset 0
		.amdhsa_system_sgpr_workgroup_id_x 1
		.amdhsa_system_sgpr_workgroup_id_y 1
		.amdhsa_system_sgpr_workgroup_id_z 1
		.amdhsa_system_sgpr_workgroup_info 0
		.amdhsa_system_vgpr_workitem_id 0
		.amdhsa_next_free_vgpr 52
		.amdhsa_next_free_sgpr 96
		.amdhsa_reserve_vcc 1
		.amdhsa_reserve_flat_scratch 0
		.amdhsa_float_round_mode_32 0
		.amdhsa_float_round_mode_16_64 0
		.amdhsa_float_denorm_mode_32 3
		.amdhsa_float_denorm_mode_16_64 3
		.amdhsa_dx10_clamp 1
		.amdhsa_ieee_mode 1
		.amdhsa_fp16_overflow 0
		.amdhsa_exception_fp_ieee_invalid_op 0
		.amdhsa_exception_fp_denorm_src 0
		.amdhsa_exception_fp_ieee_div_zero 0
		.amdhsa_exception_fp_ieee_overflow 0
		.amdhsa_exception_fp_ieee_underflow 0
		.amdhsa_exception_fp_ieee_inexact 0
		.amdhsa_exception_int_div_zero 0
	.end_amdhsa_kernel
	.section	.text._ZN2at6native6sbtopk10gatherTopKIhjLi2ELb0EEEvNS_4cuda6detail10TensorInfoIKT_T0_EES8_S8_bS8_S8_NS5_IS6_S8_EES8_NS5_IlS8_EES8_PS6_,"axG",@progbits,_ZN2at6native6sbtopk10gatherTopKIhjLi2ELb0EEEvNS_4cuda6detail10TensorInfoIKT_T0_EES8_S8_bS8_S8_NS5_IS6_S8_EES8_NS5_IlS8_EES8_PS6_,comdat
.Lfunc_end7:
	.size	_ZN2at6native6sbtopk10gatherTopKIhjLi2ELb0EEEvNS_4cuda6detail10TensorInfoIKT_T0_EES8_S8_bS8_S8_NS5_IS6_S8_EES8_NS5_IlS8_EES8_PS6_, .Lfunc_end7-_ZN2at6native6sbtopk10gatherTopKIhjLi2ELb0EEEvNS_4cuda6detail10TensorInfoIKT_T0_EES8_S8_bS8_S8_NS5_IS6_S8_EES8_NS5_IlS8_EES8_PS6_
                                        ; -- End function
	.set _ZN2at6native6sbtopk10gatherTopKIhjLi2ELb0EEEvNS_4cuda6detail10TensorInfoIKT_T0_EES8_S8_bS8_S8_NS5_IS6_S8_EES8_NS5_IlS8_EES8_PS6_.num_vgpr, 52
	.set _ZN2at6native6sbtopk10gatherTopKIhjLi2ELb0EEEvNS_4cuda6detail10TensorInfoIKT_T0_EES8_S8_bS8_S8_NS5_IS6_S8_EES8_NS5_IlS8_EES8_PS6_.num_agpr, 0
	.set _ZN2at6native6sbtopk10gatherTopKIhjLi2ELb0EEEvNS_4cuda6detail10TensorInfoIKT_T0_EES8_S8_bS8_S8_NS5_IS6_S8_EES8_NS5_IlS8_EES8_PS6_.numbered_sgpr, 96
	.set _ZN2at6native6sbtopk10gatherTopKIhjLi2ELb0EEEvNS_4cuda6detail10TensorInfoIKT_T0_EES8_S8_bS8_S8_NS5_IS6_S8_EES8_NS5_IlS8_EES8_PS6_.num_named_barrier, 0
	.set _ZN2at6native6sbtopk10gatherTopKIhjLi2ELb0EEEvNS_4cuda6detail10TensorInfoIKT_T0_EES8_S8_bS8_S8_NS5_IS6_S8_EES8_NS5_IlS8_EES8_PS6_.private_seg_size, 0
	.set _ZN2at6native6sbtopk10gatherTopKIhjLi2ELb0EEEvNS_4cuda6detail10TensorInfoIKT_T0_EES8_S8_bS8_S8_NS5_IS6_S8_EES8_NS5_IlS8_EES8_PS6_.uses_vcc, 1
	.set _ZN2at6native6sbtopk10gatherTopKIhjLi2ELb0EEEvNS_4cuda6detail10TensorInfoIKT_T0_EES8_S8_bS8_S8_NS5_IS6_S8_EES8_NS5_IlS8_EES8_PS6_.uses_flat_scratch, 0
	.set _ZN2at6native6sbtopk10gatherTopKIhjLi2ELb0EEEvNS_4cuda6detail10TensorInfoIKT_T0_EES8_S8_bS8_S8_NS5_IS6_S8_EES8_NS5_IlS8_EES8_PS6_.has_dyn_sized_stack, 0
	.set _ZN2at6native6sbtopk10gatherTopKIhjLi2ELb0EEEvNS_4cuda6detail10TensorInfoIKT_T0_EES8_S8_bS8_S8_NS5_IS6_S8_EES8_NS5_IlS8_EES8_PS6_.has_recursion, 0
	.set _ZN2at6native6sbtopk10gatherTopKIhjLi2ELb0EEEvNS_4cuda6detail10TensorInfoIKT_T0_EES8_S8_bS8_S8_NS5_IS6_S8_EES8_NS5_IlS8_EES8_PS6_.has_indirect_call, 0
	.section	.AMDGPU.csdata,"",@progbits
; Kernel info:
; codeLenInByte = 15856
; TotalNumSgprs: 100
; NumVgprs: 52
; ScratchSize: 0
; MemoryBound: 0
; FloatMode: 240
; IeeeMode: 1
; LDSByteSize: 4112 bytes/workgroup (compile time only)
; SGPRBlocks: 12
; VGPRBlocks: 12
; NumSGPRsForWavesPerEU: 100
; NumVGPRsForWavesPerEU: 52
; Occupancy: 4
; WaveLimiterHint : 1
; COMPUTE_PGM_RSRC2:SCRATCH_EN: 0
; COMPUTE_PGM_RSRC2:USER_SGPR: 6
; COMPUTE_PGM_RSRC2:TRAP_HANDLER: 0
; COMPUTE_PGM_RSRC2:TGID_X_EN: 1
; COMPUTE_PGM_RSRC2:TGID_Y_EN: 1
; COMPUTE_PGM_RSRC2:TGID_Z_EN: 1
; COMPUTE_PGM_RSRC2:TIDIG_COMP_CNT: 0
	.section	.text._ZN2at6native6mbtopk23computeBlockDigitCountsIhjjLi3EEEvNS_4cuda6detail10TensorInfoIKT_T0_EEjPjjS8_iijT1_PSB_Ps,"axG",@progbits,_ZN2at6native6mbtopk23computeBlockDigitCountsIhjjLi3EEEvNS_4cuda6detail10TensorInfoIKT_T0_EEjPjjS8_iijT1_PSB_Ps,comdat
	.protected	_ZN2at6native6mbtopk23computeBlockDigitCountsIhjjLi3EEEvNS_4cuda6detail10TensorInfoIKT_T0_EEjPjjS8_iijT1_PSB_Ps ; -- Begin function _ZN2at6native6mbtopk23computeBlockDigitCountsIhjjLi3EEEvNS_4cuda6detail10TensorInfoIKT_T0_EEjPjjS8_iijT1_PSB_Ps
	.globl	_ZN2at6native6mbtopk23computeBlockDigitCountsIhjjLi3EEEvNS_4cuda6detail10TensorInfoIKT_T0_EEjPjjS8_iijT1_PSB_Ps
	.p2align	8
	.type	_ZN2at6native6mbtopk23computeBlockDigitCountsIhjjLi3EEEvNS_4cuda6detail10TensorInfoIKT_T0_EEjPjjS8_iijT1_PSB_Ps,@function
_ZN2at6native6mbtopk23computeBlockDigitCountsIhjjLi3EEEvNS_4cuda6detail10TensorInfoIKT_T0_EEjPjjS8_iijT1_PSB_Ps: ; @_ZN2at6native6mbtopk23computeBlockDigitCountsIhjjLi3EEEvNS_4cuda6detail10TensorInfoIKT_T0_EEjPjjS8_iijT1_PSB_Ps
; %bb.0:
	s_load_dwordx2 s[10:11], s[4:5], 0xf8
	s_load_dwordx4 s[12:15], s[4:5], 0xe8
	s_load_dwordx2 s[0:1], s[4:5], 0x110
	s_mov_b32 s9, 0
	s_waitcnt lgkmcnt(0)
	v_cvt_f32_u32_e32 v1, s10
	s_sub_i32 s2, 0, s10
	s_mul_i32 s1, s1, s8
	s_add_i32 s1, s1, s7
	v_rcp_iflag_f32_e32 v1, v1
	s_mul_i32 s18, s1, s0
	s_add_i32 s18, s18, s6
	v_mul_f32_e32 v1, 0x4f7ffffe, v1
	v_cvt_u32_f32_e32 v1, v1
	v_readfirstlane_b32 s0, v1
	s_mul_i32 s2, s2, s0
	s_mul_hi_u32 s1, s0, s2
	s_add_i32 s0, s0, s1
	s_mul_hi_u32 s0, s18, s0
	s_mul_i32 s1, s0, s10
	s_sub_i32 s1, s18, s1
	s_add_i32 s2, s0, 1
	s_sub_i32 s3, s1, s10
	s_cmp_ge_u32 s1, s10
	s_cselect_b32 s0, s2, s0
	s_cselect_b32 s1, s3, s1
	s_add_i32 s2, s0, 1
	s_cmp_ge_u32 s1, s10
	s_cselect_b32 s8, s2, s0
	s_cmp_ge_u32 s8, s12
	s_cbranch_scc1 .LBB8_27
; %bb.1:
	s_load_dwordx2 s[6:7], s[4:5], 0xc
	s_load_dwordx4 s[0:3], s[4:5], 0x100
	s_lshl_b64 s[16:17], s[8:9], 2
	s_movk_i32 s9, 0x100
	v_cmp_gt_u32_e32 vcc, s9, v0
	s_waitcnt lgkmcnt(0)
	v_cvt_f32_u32_e32 v1, s7
	v_cvt_f32_u32_e32 v2, s6
	s_add_u32 s0, s0, s16
	s_addc_u32 s1, s1, s17
	v_rcp_iflag_f32_e32 v1, v1
	s_sub_i32 s12, 0, s7
	v_rcp_iflag_f32_e32 v2, v2
	v_mul_f32_e32 v1, 0x4f7ffffe, v1
	v_cvt_u32_f32_e32 v1, v1
	v_mul_f32_e32 v2, 0x4f7ffffe, v2
	v_cvt_u32_f32_e32 v2, v2
	v_readfirstlane_b32 s16, v1
	s_mul_i32 s12, s12, s16
	s_mul_hi_u32 s12, s16, s12
	s_add_i32 s16, s16, s12
	s_mul_hi_u32 s12, s8, s16
	s_mul_i32 s16, s12, s7
	s_sub_i32 s16, s8, s16
	s_add_i32 s17, s12, 1
	s_sub_i32 s19, s16, s7
	s_cmp_ge_u32 s16, s7
	s_cselect_b32 s12, s17, s12
	s_cselect_b32 s16, s19, s16
	s_add_i32 s17, s12, 1
	s_cmp_ge_u32 s16, s7
	v_readfirstlane_b32 s20, v2
	s_cselect_b32 s19, s17, s12
	v_lshlrev_b32_e32 v1, 2, v0
	s_and_saveexec_b64 s[16:17], vcc
; %bb.2:
	v_mov_b32_e32 v2, 0
	ds_write_b32 v1, v2
; %bb.3:
	s_or_b64 exec, exec, s[16:17]
	s_load_dword s9, s[4:5], 0xd8
	s_mul_i32 s12, s8, s10
	s_sub_i32 s12, s18, s12
	s_add_i32 s21, s12, 1
	s_mul_i32 s12, s15, s12
	s_lshl_b32 s12, s12, 8
	s_waitcnt lgkmcnt(0)
	s_sub_i32 s16, s9, s12
	s_add_u32 s16, s16, 0xff
	s_addc_u32 s17, 0, 0
	s_lshr_b64 s[16:17], s[16:17], 8
	s_cmp_lt_u32 s21, s10
	s_cselect_b32 s16, s15, s16
	s_cmp_lt_i32 s16, 1
	s_mov_b32 s15, 0
	s_barrier
	s_cbranch_scc1 .LBB8_25
; %bb.4:
	s_sub_i32 s10, 0, s6
	s_mul_i32 s10, s10, s20
	s_mul_hi_u32 s10, s20, s10
	s_add_i32 s10, s20, s10
	s_load_dwordx4 s[20:23], s[4:5], 0x6c
	s_load_dwordx2 s[24:25], s[4:5], 0x0
	s_mul_hi_u32 s4, s19, s10
	s_load_dword s10, s[0:1], 0x0
	s_mul_i32 s1, s4, s6
	s_mul_i32 s0, s19, s7
	s_sub_i32 s1, s19, s1
	s_sub_i32 s0, s8, s0
	s_add_i32 s5, s4, 1
	s_sub_i32 s7, s1, s6
	s_cmp_ge_u32 s1, s6
	s_cselect_b32 s4, s5, s4
	s_cselect_b32 s1, s7, s1
	s_add_i32 s5, s4, 1
	s_cmp_ge_u32 s1, s6
	s_cselect_b32 s1, s5, s4
	s_mul_i32 s4, s1, s6
	s_sub_i32 s4, s19, s4
	s_waitcnt lgkmcnt(0)
	s_mul_i32 s0, s0, s22
	s_mul_i32 s4, s4, s21
	s_add_i32 s0, s4, s0
	s_mul_i32 s1, s1, s20
	s_add_i32 s0, s0, s1
	s_add_u32 s4, s24, s0
	s_addc_u32 s5, s25, 0
	s_and_b32 s8, s14, 0xff
	s_cmp_lt_u32 s16, 4
	s_cbranch_scc1 .LBB8_19
; %bb.5:
	v_add_u32_e32 v6, s12, v0
	v_add_u32_e32 v2, 0x300, v6
	v_add_u32_e32 v4, 0x200, v6
	v_add_u32_e32 v5, 0x100, v6
	v_mul_lo_u32 v3, s13, v2
	v_mul_lo_u32 v4, s13, v4
	;; [unrolled: 1-line block ×4, first 2 shown]
	s_and_b32 s15, s16, 0x7ffffffc
	s_lshl_b32 s14, s13, 10
	s_mov_b32 s17, 0
	v_mov_b32_e32 v7, 1
	s_mov_b32 s19, 0
	s_branch .LBB8_7
.LBB8_6:                                ;   in Loop: Header=BB8_7 Depth=1
	s_or_b64 exec, exec, s[6:7]
	s_add_i32 s19, s19, 4
	s_add_i32 s17, s17, s14
	s_cmp_eq_u32 s15, s19
	v_add_u32_e32 v2, 0x400, v2
	s_cbranch_scc1 .LBB8_19
.LBB8_7:                                ; =>This Inner Loop Header: Depth=1
	v_add_u32_e32 v8, 0xfffffd00, v2
	v_cmp_gt_u32_e64 s[0:1], s9, v8
	s_and_saveexec_b64 s[6:7], s[0:1]
	s_cbranch_execz .LBB8_10
; %bb.8:                                ;   in Loop: Header=BB8_7 Depth=1
	v_add_u32_e32 v8, s17, v6
	global_load_ubyte v8, v8, s[4:5]
	s_waitcnt vmcnt(0)
	v_xor_b32_e32 v9, s10, v8
	v_and_b32_e32 v9, s11, v9
	v_cmp_eq_u32_e64 s[0:1], 0, v9
	s_and_b64 exec, exec, s[0:1]
; %bb.9:                                ;   in Loop: Header=BB8_7 Depth=1
	v_lshrrev_b32_e32 v8, s8, v8
	v_lshlrev_b32_e32 v8, 2, v8
	ds_add_u32 v8, v7
.LBB8_10:                               ;   in Loop: Header=BB8_7 Depth=1
	s_or_b64 exec, exec, s[6:7]
	v_add_u32_e32 v8, 0xfffffe00, v2
	v_cmp_gt_u32_e64 s[0:1], s9, v8
	s_and_saveexec_b64 s[6:7], s[0:1]
	s_cbranch_execz .LBB8_13
; %bb.11:                               ;   in Loop: Header=BB8_7 Depth=1
	v_add_u32_e32 v8, s17, v5
	global_load_ubyte v8, v8, s[4:5]
	s_waitcnt vmcnt(0)
	v_xor_b32_e32 v9, s10, v8
	v_and_b32_e32 v9, s11, v9
	v_cmp_eq_u32_e64 s[0:1], 0, v9
	s_and_b64 exec, exec, s[0:1]
; %bb.12:                               ;   in Loop: Header=BB8_7 Depth=1
	v_lshrrev_b32_e32 v8, s8, v8
	v_lshlrev_b32_e32 v8, 2, v8
	ds_add_u32 v8, v7
.LBB8_13:                               ;   in Loop: Header=BB8_7 Depth=1
	s_or_b64 exec, exec, s[6:7]
	v_add_u32_e32 v8, 0xffffff00, v2
	v_cmp_gt_u32_e64 s[0:1], s9, v8
	s_and_saveexec_b64 s[6:7], s[0:1]
	s_cbranch_execz .LBB8_16
; %bb.14:                               ;   in Loop: Header=BB8_7 Depth=1
	v_add_u32_e32 v8, s17, v4
	global_load_ubyte v8, v8, s[4:5]
	s_waitcnt vmcnt(0)
	v_xor_b32_e32 v9, s10, v8
	v_and_b32_e32 v9, s11, v9
	v_cmp_eq_u32_e64 s[0:1], 0, v9
	s_and_b64 exec, exec, s[0:1]
; %bb.15:                               ;   in Loop: Header=BB8_7 Depth=1
	v_lshrrev_b32_e32 v8, s8, v8
	v_lshlrev_b32_e32 v8, 2, v8
	ds_add_u32 v8, v7
.LBB8_16:                               ;   in Loop: Header=BB8_7 Depth=1
	s_or_b64 exec, exec, s[6:7]
	v_cmp_gt_u32_e64 s[0:1], s9, v2
	s_and_saveexec_b64 s[6:7], s[0:1]
	s_cbranch_execz .LBB8_6
; %bb.17:                               ;   in Loop: Header=BB8_7 Depth=1
	v_add_u32_e32 v8, s17, v3
	global_load_ubyte v8, v8, s[4:5]
	s_waitcnt vmcnt(0)
	v_xor_b32_e32 v9, s10, v8
	v_and_b32_e32 v9, s11, v9
	v_cmp_eq_u32_e64 s[0:1], 0, v9
	s_and_b64 exec, exec, s[0:1]
	s_cbranch_execz .LBB8_6
; %bb.18:                               ;   in Loop: Header=BB8_7 Depth=1
	v_lshrrev_b32_e32 v8, s8, v8
	v_lshlrev_b32_e32 v8, 2, v8
	ds_add_u32 v8, v7
	s_branch .LBB8_6
.LBB8_19:
	s_and_b32 s14, s16, 3
	s_cmp_eq_u32 s14, 0
	s_cbranch_scc1 .LBB8_25
; %bb.20:
	s_lshl_b32 s0, s15, 8
	s_add_i32 s0, s0, s12
	v_add_u32_e32 v2, s0, v0
	v_mul_lo_u32 v3, s13, v2
	s_lshl_b32 s12, s13, 8
	v_mov_b32_e32 v4, 1
	s_branch .LBB8_22
.LBB8_21:                               ;   in Loop: Header=BB8_22 Depth=1
	s_or_b64 exec, exec, s[6:7]
	s_add_i32 s14, s14, -1
	v_add_u32_e32 v3, s12, v3
	s_cmp_lg_u32 s14, 0
	v_add_u32_e32 v2, 0x100, v2
	s_cbranch_scc0 .LBB8_25
.LBB8_22:                               ; =>This Inner Loop Header: Depth=1
	v_cmp_gt_u32_e64 s[0:1], s9, v2
	s_and_saveexec_b64 s[6:7], s[0:1]
	s_cbranch_execz .LBB8_21
; %bb.23:                               ;   in Loop: Header=BB8_22 Depth=1
	global_load_ubyte v5, v3, s[4:5]
	s_waitcnt vmcnt(0)
	v_xor_b32_e32 v6, s10, v5
	v_and_b32_e32 v6, s11, v6
	v_cmp_eq_u32_e64 s[0:1], 0, v6
	s_and_b64 exec, exec, s[0:1]
	s_cbranch_execz .LBB8_21
; %bb.24:                               ;   in Loop: Header=BB8_22 Depth=1
	v_lshrrev_b32_e32 v5, s8, v5
	v_lshlrev_b32_e32 v5, 2, v5
	ds_add_u32 v5, v4
	s_branch .LBB8_21
.LBB8_25:
	s_waitcnt lgkmcnt(0)
	s_barrier
	s_and_saveexec_b64 s[0:1], vcc
	s_cbranch_execz .LBB8_27
; %bb.26:
	v_lshl_or_b32 v2, s18, 8, v0
	v_mov_b32_e32 v3, 0
	ds_read_b32 v5, v1
	v_lshlrev_b64 v[2:3], 1, v[2:3]
	v_mov_b32_e32 v4, s3
	v_add_co_u32_e32 v0, vcc, s2, v2
	v_addc_co_u32_e32 v1, vcc, v4, v3, vcc
	s_waitcnt lgkmcnt(0)
	global_store_short v[0:1], v5, off
.LBB8_27:
	s_endpgm
	.section	.rodata,"a",@progbits
	.p2align	6, 0x0
	.amdhsa_kernel _ZN2at6native6mbtopk23computeBlockDigitCountsIhjjLi3EEEvNS_4cuda6detail10TensorInfoIKT_T0_EEjPjjS8_iijT1_PSB_Ps
		.amdhsa_group_segment_fixed_size 1024
		.amdhsa_private_segment_fixed_size 0
		.amdhsa_kernarg_size 528
		.amdhsa_user_sgpr_count 6
		.amdhsa_user_sgpr_private_segment_buffer 1
		.amdhsa_user_sgpr_dispatch_ptr 0
		.amdhsa_user_sgpr_queue_ptr 0
		.amdhsa_user_sgpr_kernarg_segment_ptr 1
		.amdhsa_user_sgpr_dispatch_id 0
		.amdhsa_user_sgpr_flat_scratch_init 0
		.amdhsa_user_sgpr_private_segment_size 0
		.amdhsa_uses_dynamic_stack 0
		.amdhsa_system_sgpr_private_segment_wavefront_offset 0
		.amdhsa_system_sgpr_workgroup_id_x 1
		.amdhsa_system_sgpr_workgroup_id_y 1
		.amdhsa_system_sgpr_workgroup_id_z 1
		.amdhsa_system_sgpr_workgroup_info 0
		.amdhsa_system_vgpr_workitem_id 0
		.amdhsa_next_free_vgpr 10
		.amdhsa_next_free_sgpr 26
		.amdhsa_reserve_vcc 1
		.amdhsa_reserve_flat_scratch 0
		.amdhsa_float_round_mode_32 0
		.amdhsa_float_round_mode_16_64 0
		.amdhsa_float_denorm_mode_32 3
		.amdhsa_float_denorm_mode_16_64 3
		.amdhsa_dx10_clamp 1
		.amdhsa_ieee_mode 1
		.amdhsa_fp16_overflow 0
		.amdhsa_exception_fp_ieee_invalid_op 0
		.amdhsa_exception_fp_denorm_src 0
		.amdhsa_exception_fp_ieee_div_zero 0
		.amdhsa_exception_fp_ieee_overflow 0
		.amdhsa_exception_fp_ieee_underflow 0
		.amdhsa_exception_fp_ieee_inexact 0
		.amdhsa_exception_int_div_zero 0
	.end_amdhsa_kernel
	.section	.text._ZN2at6native6mbtopk23computeBlockDigitCountsIhjjLi3EEEvNS_4cuda6detail10TensorInfoIKT_T0_EEjPjjS8_iijT1_PSB_Ps,"axG",@progbits,_ZN2at6native6mbtopk23computeBlockDigitCountsIhjjLi3EEEvNS_4cuda6detail10TensorInfoIKT_T0_EEjPjjS8_iijT1_PSB_Ps,comdat
.Lfunc_end8:
	.size	_ZN2at6native6mbtopk23computeBlockDigitCountsIhjjLi3EEEvNS_4cuda6detail10TensorInfoIKT_T0_EEjPjjS8_iijT1_PSB_Ps, .Lfunc_end8-_ZN2at6native6mbtopk23computeBlockDigitCountsIhjjLi3EEEvNS_4cuda6detail10TensorInfoIKT_T0_EEjPjjS8_iijT1_PSB_Ps
                                        ; -- End function
	.set _ZN2at6native6mbtopk23computeBlockDigitCountsIhjjLi3EEEvNS_4cuda6detail10TensorInfoIKT_T0_EEjPjjS8_iijT1_PSB_Ps.num_vgpr, 10
	.set _ZN2at6native6mbtopk23computeBlockDigitCountsIhjjLi3EEEvNS_4cuda6detail10TensorInfoIKT_T0_EEjPjjS8_iijT1_PSB_Ps.num_agpr, 0
	.set _ZN2at6native6mbtopk23computeBlockDigitCountsIhjjLi3EEEvNS_4cuda6detail10TensorInfoIKT_T0_EEjPjjS8_iijT1_PSB_Ps.numbered_sgpr, 26
	.set _ZN2at6native6mbtopk23computeBlockDigitCountsIhjjLi3EEEvNS_4cuda6detail10TensorInfoIKT_T0_EEjPjjS8_iijT1_PSB_Ps.num_named_barrier, 0
	.set _ZN2at6native6mbtopk23computeBlockDigitCountsIhjjLi3EEEvNS_4cuda6detail10TensorInfoIKT_T0_EEjPjjS8_iijT1_PSB_Ps.private_seg_size, 0
	.set _ZN2at6native6mbtopk23computeBlockDigitCountsIhjjLi3EEEvNS_4cuda6detail10TensorInfoIKT_T0_EEjPjjS8_iijT1_PSB_Ps.uses_vcc, 1
	.set _ZN2at6native6mbtopk23computeBlockDigitCountsIhjjLi3EEEvNS_4cuda6detail10TensorInfoIKT_T0_EEjPjjS8_iijT1_PSB_Ps.uses_flat_scratch, 0
	.set _ZN2at6native6mbtopk23computeBlockDigitCountsIhjjLi3EEEvNS_4cuda6detail10TensorInfoIKT_T0_EEjPjjS8_iijT1_PSB_Ps.has_dyn_sized_stack, 0
	.set _ZN2at6native6mbtopk23computeBlockDigitCountsIhjjLi3EEEvNS_4cuda6detail10TensorInfoIKT_T0_EEjPjjS8_iijT1_PSB_Ps.has_recursion, 0
	.set _ZN2at6native6mbtopk23computeBlockDigitCountsIhjjLi3EEEvNS_4cuda6detail10TensorInfoIKT_T0_EEjPjjS8_iijT1_PSB_Ps.has_indirect_call, 0
	.section	.AMDGPU.csdata,"",@progbits
; Kernel info:
; codeLenInByte = 1184
; TotalNumSgprs: 30
; NumVgprs: 10
; ScratchSize: 0
; MemoryBound: 0
; FloatMode: 240
; IeeeMode: 1
; LDSByteSize: 1024 bytes/workgroup (compile time only)
; SGPRBlocks: 3
; VGPRBlocks: 2
; NumSGPRsForWavesPerEU: 30
; NumVGPRsForWavesPerEU: 10
; Occupancy: 10
; WaveLimiterHint : 1
; COMPUTE_PGM_RSRC2:SCRATCH_EN: 0
; COMPUTE_PGM_RSRC2:USER_SGPR: 6
; COMPUTE_PGM_RSRC2:TRAP_HANDLER: 0
; COMPUTE_PGM_RSRC2:TGID_X_EN: 1
; COMPUTE_PGM_RSRC2:TGID_Y_EN: 1
; COMPUTE_PGM_RSRC2:TGID_Z_EN: 1
; COMPUTE_PGM_RSRC2:TIDIG_COMP_CNT: 0
	.section	.text._ZN2at6native6mbtopk10gatherTopKIhjLi3EEEvNS_4cuda6detail10TensorInfoIKT_T0_EES8_S8_bjS8_NS5_IS6_S8_EES8_NS5_IlS8_EES8_jjPS6_PjSD_j,"axG",@progbits,_ZN2at6native6mbtopk10gatherTopKIhjLi3EEEvNS_4cuda6detail10TensorInfoIKT_T0_EES8_S8_bjS8_NS5_IS6_S8_EES8_NS5_IlS8_EES8_jjPS6_PjSD_j,comdat
	.protected	_ZN2at6native6mbtopk10gatherTopKIhjLi3EEEvNS_4cuda6detail10TensorInfoIKT_T0_EES8_S8_bjS8_NS5_IS6_S8_EES8_NS5_IlS8_EES8_jjPS6_PjSD_j ; -- Begin function _ZN2at6native6mbtopk10gatherTopKIhjLi3EEEvNS_4cuda6detail10TensorInfoIKT_T0_EES8_S8_bjS8_NS5_IS6_S8_EES8_NS5_IlS8_EES8_jjPS6_PjSD_j
	.globl	_ZN2at6native6mbtopk10gatherTopKIhjLi3EEEvNS_4cuda6detail10TensorInfoIKT_T0_EES8_S8_bjS8_NS5_IS6_S8_EES8_NS5_IlS8_EES8_jjPS6_PjSD_j
	.p2align	8
	.type	_ZN2at6native6mbtopk10gatherTopKIhjLi3EEEvNS_4cuda6detail10TensorInfoIKT_T0_EES8_S8_bjS8_NS5_IS6_S8_EES8_NS5_IlS8_EES8_jjPS6_PjSD_j,@function
_ZN2at6native6mbtopk10gatherTopKIhjLi3EEEvNS_4cuda6detail10TensorInfoIKT_T0_EES8_S8_bjS8_NS5_IS6_S8_EES8_NS5_IlS8_EES8_jjPS6_PjSD_j: ; @_ZN2at6native6mbtopk10gatherTopKIhjLi3EEEvNS_4cuda6detail10TensorInfoIKT_T0_EES8_S8_bjS8_NS5_IS6_S8_EES8_NS5_IlS8_EES8_jjPS6_PjSD_j
; %bb.0:
	s_load_dwordx2 s[0:1], s[4:5], 0x2d8
	s_load_dword s2, s[4:5], 0x2d0
	s_waitcnt lgkmcnt(0)
	s_mul_i32 s1, s1, s8
	s_add_i32 s1, s1, s7
	s_mul_i32 s0, s1, s0
	s_add_i32 s0, s0, s6
	s_cmp_ge_u32 s0, s2
	s_cbranch_scc1 .LBB9_40
; %bb.1:
	s_load_dwordx8 s[8:15], s[4:5], 0x2a8
	s_load_dwordx4 s[16:19], s[4:5], 0x23c
	s_load_dwordx2 s[36:37], s[4:5], 0x1dc
	s_load_dwordx2 s[6:7], s[4:5], 0x1d0
	s_load_dwordx4 s[20:23], s[4:5], 0x15c
	s_load_dwordx2 s[40:41], s[4:5], 0xfc
	s_load_dwordx2 s[34:35], s[4:5], 0xf0
	;; [unrolled: 3-line block ×3, first 2 shown]
	s_mov_b32 s45, 0
	s_waitcnt lgkmcnt(0)
	v_cvt_f32_u32_e32 v1, s10
	s_sub_i32 s1, 0, s10
	v_cvt_f32_u32_e32 v2, s43
	v_rcp_iflag_f32_e32 v1, v1
	v_mul_f32_e32 v1, 0x4f7ffffe, v1
	v_cvt_u32_f32_e32 v1, v1
	v_readfirstlane_b32 s2, v1
	s_mul_i32 s1, s1, s2
	s_mul_hi_u32 s1, s2, s1
	s_add_i32 s2, s2, s1
	s_mul_hi_u32 s1, s0, s2
	v_rcp_iflag_f32_e32 v1, v2
	s_mul_i32 s2, s1, s10
	s_sub_i32 s2, s0, s2
	s_add_i32 s3, s1, 1
	s_sub_i32 s11, s2, s10
	s_cmp_ge_u32 s2, s10
	v_mul_f32_e32 v1, 0x4f7ffffe, v1
	s_cselect_b32 s1, s3, s1
	v_cvt_u32_f32_e32 v1, v1
	s_cselect_b32 s2, s11, s2
	s_add_i32 s3, s1, 1
	s_cmp_ge_u32 s2, s10
	s_cselect_b32 s11, s3, s1
	v_readfirstlane_b32 s1, v1
	v_mov_b32_e32 v1, s11
	global_load_ubyte v6, v1, s[12:13]
	v_cvt_f32_u32_e32 v1, s42
	s_mul_i32 s44, s11, s10
	s_sub_i32 s19, s0, s44
	s_sub_i32 s0, 0, s43
	s_mul_i32 s0, s0, s1
	s_mul_hi_u32 s0, s1, s0
	v_rcp_iflag_f32_e32 v1, v1
	s_add_i32 s1, s1, s0
	v_cvt_f32_u32_e32 v2, s41
	s_mul_hi_u32 s0, s11, s1
	s_mul_i32 s1, s0, s43
	s_sub_i32 s1, s11, s1
	v_mul_f32_e32 v1, 0x4f7ffffe, v1
	s_add_i32 s2, s0, 1
	s_sub_i32 s3, s1, s43
	v_cvt_u32_f32_e32 v1, v1
	v_rcp_iflag_f32_e32 v2, v2
	s_cmp_ge_u32 s1, s43
	s_cselect_b32 s0, s2, s0
	s_cselect_b32 s1, s3, s1
	s_add_i32 s2, s0, 1
	s_cmp_ge_u32 s1, s43
	v_readfirstlane_b32 s1, v1
	v_mul_f32_e32 v1, 0x4f7ffffe, v2
	s_cselect_b32 s23, s2, s0
	s_sub_i32 s0, 0, s42
	v_cvt_u32_f32_e32 v1, v1
	s_mul_i32 s0, s0, s1
	s_mul_hi_u32 s0, s1, s0
	s_add_i32 s1, s1, s0
	s_mul_hi_u32 s33, s23, s1
	v_readfirstlane_b32 s1, v1
	v_cvt_f32_u32_e32 v1, s40
	s_sub_i32 s0, 0, s41
	s_mul_i32 s0, s0, s1
	s_mul_hi_u32 s0, s1, s0
	v_rcp_iflag_f32_e32 v1, v1
	s_add_i32 s1, s1, s0
	v_cvt_f32_u32_e32 v2, s37
	s_mul_hi_u32 s0, s11, s1
	s_mul_i32 s1, s0, s41
	s_sub_i32 s1, s11, s1
	v_mul_f32_e32 v1, 0x4f7ffffe, v1
	s_add_i32 s2, s0, 1
	s_sub_i32 s3, s1, s41
	v_cvt_u32_f32_e32 v1, v1
	v_rcp_iflag_f32_e32 v2, v2
	s_cmp_ge_u32 s1, s41
	s_cselect_b32 s0, s2, s0
	s_cselect_b32 s1, s3, s1
	s_add_i32 s2, s0, 1
	s_cmp_ge_u32 s1, s41
	v_readfirstlane_b32 s1, v1
	v_mul_f32_e32 v1, 0x4f7ffffe, v2
	s_cselect_b32 s27, s2, s0
	s_sub_i32 s0, 0, s40
	v_cvt_u32_f32_e32 v1, v1
	s_mul_i32 s0, s0, s1
	s_mul_hi_u32 s0, s1, s0
	s_add_i32 s1, s1, s0
	s_mul_hi_u32 s53, s27, s1
	v_readfirstlane_b32 s1, v1
	v_cvt_f32_u32_e32 v1, s36
	s_sub_i32 s0, 0, s37
	s_mul_i32 s0, s0, s1
	s_mul_hi_u32 s0, s1, s0
	s_add_i32 s1, s1, s0
	v_rcp_iflag_f32_e32 v1, v1
	s_mul_hi_u32 s0, s11, s1
	s_mul_i32 s1, s0, s37
	s_sub_i32 s1, s11, s1
	s_add_i32 s2, s0, 1
	s_sub_i32 s3, s1, s37
	v_mul_f32_e32 v1, 0x4f7ffffe, v1
	s_cmp_ge_u32 s1, s37
	v_cvt_u32_f32_e32 v1, v1
	s_cselect_b32 s0, s2, s0
	s_cselect_b32 s1, s3, s1
	s_add_i32 s2, s0, 1
	s_cmp_ge_u32 s1, s37
	s_cselect_b32 s52, s2, s0
	s_sub_i32 s0, 0, s36
	v_readfirstlane_b32 s1, v1
	s_mul_i32 s0, s0, s1
	s_mul_hi_u32 s0, s1, s0
	s_add_i32 s1, s1, s0
	s_mul_hi_u32 s54, s52, s1
	v_cmp_ne_u32_e64 s[0:1], 0, v0
	v_cmp_eq_u32_e64 s[2:3], 0, v0
	s_and_saveexec_b64 s[12:13], s[2:3]
	s_cbranch_execz .LBB9_17
; %bb.2:
	s_load_dwordx2 s[46:47], s[4:5], 0x2c8
	s_lshl_b64 s[48:49], s[44:45], 2
	s_add_u32 s28, s14, s48
	s_addc_u32 s29, s15, s49
	s_mov_b32 s44, 0
	s_waitcnt lgkmcnt(0)
	s_add_u32 s30, s46, s48
	s_addc_u32 s31, s47, s49
	s_mov_b32 s55, 0
	s_cmp_lt_u32 s10, 4
	s_cbranch_scc1 .LBB9_14
; %bb.3:
	s_mov_b32 s56, 0
.LBB9_4:                                ; =>This Inner Loop Header: Depth=1
	s_add_u32 s50, s14, s48
	s_addc_u32 s51, s15, s49
	s_load_dwordx4 s[28:31], s[50:51], 0x0
	s_add_u32 s50, s46, s48
	s_addc_u32 s51, s47, s49
	s_cmp_ge_u32 s56, s19
	s_cbranch_scc0 .LBB9_11
; %bb.5:                                ;   in Loop: Header=BB9_4 Depth=1
	s_add_i32 s57, s56, 1
	s_cmp_ge_u32 s57, s19
	s_cbranch_scc0 .LBB9_12
.LBB9_6:                                ;   in Loop: Header=BB9_4 Depth=1
	s_add_i32 s57, s57, 1
	s_cmp_ge_u32 s57, s19
	s_cbranch_scc0 .LBB9_13
.LBB9_7:                                ;   in Loop: Header=BB9_4 Depth=1
	s_add_i32 s57, s57, 1
	s_cmp_ge_u32 s57, s19
	s_cbranch_scc1 .LBB9_9
.LBB9_8:                                ;   in Loop: Header=BB9_4 Depth=1
	s_load_dword s50, s[50:51], 0xc
	s_waitcnt lgkmcnt(0)
	s_add_i32 s45, s45, s31
	s_add_i32 s44, s50, s44
.LBB9_9:                                ;   in Loop: Header=BB9_4 Depth=1
	s_waitcnt lgkmcnt(0)
	s_add_i32 s28, s28, s55
	s_add_i32 s28, s28, s29
	;; [unrolled: 1-line block ×4, first 2 shown]
	s_add_u32 s14, s14, 16
	s_addc_u32 s15, s15, 0
	s_add_u32 s46, s46, 16
	s_addc_u32 s47, s47, 0
	s_add_i32 s51, s57, 4
	s_add_u32 s30, s46, s48
	s_addc_u32 s31, s47, s49
	s_add_u32 s28, s14, s48
	s_addc_u32 s29, s15, s49
	s_add_i32 s50, s57, 1
	s_cmp_ge_u32 s51, s10
	s_cbranch_scc1 .LBB9_15
; %bb.10:                               ;   in Loop: Header=BB9_4 Depth=1
	s_mov_b32 s56, s50
	s_branch .LBB9_4
.LBB9_11:                               ;   in Loop: Header=BB9_4 Depth=1
	s_load_dword s57, s[50:51], 0x0
	s_waitcnt lgkmcnt(0)
	s_add_i32 s45, s28, s45
	s_add_i32 s44, s57, s44
	;; [unrolled: 1-line block ×3, first 2 shown]
	s_cmp_ge_u32 s57, s19
	s_cbranch_scc1 .LBB9_6
.LBB9_12:                               ;   in Loop: Header=BB9_4 Depth=1
	s_load_dword s58, s[50:51], 0x4
	s_waitcnt lgkmcnt(0)
	s_add_i32 s45, s45, s29
	s_add_i32 s44, s58, s44
	;; [unrolled: 1-line block ×3, first 2 shown]
	s_cmp_ge_u32 s57, s19
	s_cbranch_scc1 .LBB9_7
.LBB9_13:                               ;   in Loop: Header=BB9_4 Depth=1
	s_load_dword s58, s[50:51], 0x8
	s_waitcnt lgkmcnt(0)
	s_add_i32 s45, s45, s30
	s_add_i32 s44, s58, s44
	;; [unrolled: 1-line block ×3, first 2 shown]
	s_cmp_ge_u32 s57, s19
	s_cbranch_scc0 .LBB9_8
	s_branch .LBB9_9
.LBB9_14:
	s_mov_b32 s14, 0
	s_cmp_ge_u32 s14, s10
	s_cbranch_scc0 .LBB9_38
	s_branch .LBB9_16
.LBB9_15:
	s_add_i32 s14, s56, 4
	s_cmp_ge_u32 s14, s10
	s_cbranch_scc0 .LBB9_38
.LBB9_16:
	v_mov_b32_e32 v1, s44
	v_mov_b32_e32 v2, s55
	;; [unrolled: 1-line block ×4, first 2 shown]
	ds_write_b96 v4, v[1:3] offset:1056
.LBB9_17:
	s_or_b64 exec, exec, s[12:13]
	s_load_dwordx4 s[12:15], s[4:5], 0xd8
	s_waitcnt lgkmcnt(0)
	s_mul_i32 s15, s9, s19
	s_lshl_b32 s15, s15, 8
	s_add_i32 s30, s19, 1
	s_mov_b32 s19, 0
	s_sub_i32 s28, s12, s15
	s_add_u32 s28, s28, 0xff
	s_addc_u32 s29, 0, 0
	s_lshr_b64 s[28:29], s[28:29], 8
	s_cmp_lt_u32 s30, s10
	s_cselect_b32 s9, s9, s28
	s_cmp_eq_u32 s9, 0
	s_waitcnt vmcnt(0)
	s_barrier
	s_cbranch_scc1 .LBB9_40
; %bb.18:
	s_mul_i32 s10, s23, s43
	s_sub_i32 s10, s11, s10
	s_mul_i32 s10, s10, s26
	s_mul_i32 s26, s33, s42
	s_sub_i32 s26, s23, s26
	s_add_i32 s28, s33, 1
	s_sub_i32 s29, s26, s42
	s_cmp_ge_u32 s26, s42
	s_cselect_b32 s28, s28, s33
	s_cselect_b32 s26, s29, s26
	s_add_i32 s29, s28, 1
	s_cmp_ge_u32 s26, s42
	s_cselect_b32 s26, s29, s28
	s_mul_i32 s28, s26, s42
	s_sub_i32 s23, s23, s28
	s_mul_i32 s23, s23, s25
	s_add_i32 s10, s23, s10
	s_mul_i32 s23, s27, s41
	s_sub_i32 s23, s11, s23
	s_mul_i32 s23, s23, s22
	s_mul_i32 s22, s53, s40
	;; [unrolled: 1-line block ×3, first 2 shown]
	s_sub_i32 s22, s27, s22
	s_add_i32 s10, s10, s26
	s_add_i32 s24, s53, 1
	s_sub_i32 s25, s22, s40
	s_cmp_ge_u32 s22, s40
	s_cselect_b32 s24, s24, s53
	s_cselect_b32 s22, s25, s22
	s_add_i32 s25, s24, 1
	s_cmp_ge_u32 s22, s40
	s_cselect_b32 s22, s25, s24
	s_mul_i32 s24, s22, s40
	s_mul_i32 s22, s22, s20
	;; [unrolled: 1-line block ×3, first 2 shown]
	s_sub_i32 s24, s27, s24
	s_sub_i32 s11, s11, s20
	s_mul_i32 s21, s24, s21
	s_mul_i32 s11, s11, s18
	;; [unrolled: 1-line block ×3, first 2 shown]
	s_add_i32 s21, s21, s23
	s_sub_i32 s18, s52, s18
	s_add_i32 s21, s21, s22
	s_add_i32 s20, s54, 1
	s_sub_i32 s22, s18, s36
	s_cmp_ge_u32 s18, s36
	s_cselect_b32 s20, s20, s54
	s_cselect_b32 s18, s22, s18
	s_add_i32 s22, s20, 1
	s_cmp_ge_u32 s18, s36
	s_cselect_b32 s18, s22, s20
	s_mul_i32 s20, s18, s36
	s_sub_i32 s20, s52, s20
	s_mul_i32 s17, s20, s17
	s_add_i32 s11, s17, s11
	s_mul_i32 s18, s18, s16
	s_add_i32 s18, s11, s18
	s_add_u32 s10, s38, s10
	s_addc_u32 s11, s39, 0
	s_add_u32 s16, s34, s21
	v_mov_b32_e32 v5, 0
	s_addc_u32 s17, s35, 0
	s_lshl_b64 s[18:19], s[18:19], 3
	ds_read_b96 v[1:3], v5 offset:1056
	s_add_u32 s18, s6, s18
	s_addc_u32 s19, s7, s19
	v_lshrrev_b32_e32 v4, 1, v0
	s_bitcmp1_b32 s14, 0
	s_load_dword s14, s[4:5], 0xe8
	s_load_dword s20, s[4:5], 0x1c8
	v_and_b32_e32 v7, 0x7c, v4
	v_add_u32_e32 v4, -1, v0
	v_lshrrev_b32_e32 v9, 3, v4
	s_waitcnt lgkmcnt(0)
	v_add_u32_e32 v1, v1, v2
	v_lshrrev_b32_e32 v2, 3, v0
	v_and_b32_e32 v9, 0x1ffffffc, v9
	v_and_b32_e32 v2, 28, v2
	v_lshl_add_u32 v9, v4, 2, v9
	v_add_u32_e32 v4, s15, v0
	v_lshl_add_u32 v2, v0, 2, v2
	v_cmp_gt_u32_e64 s[4:5], 64, v0
	v_lshlrev_b32_e32 v8, 4, v0
	v_mul_lo_u32 v0, s14, v4
	v_mbcnt_lo_u32_b32 v10, -1, 0
	s_cselect_b64 s[6:7], -1, 0
	s_lshl_b32 s21, s14, 8
	v_mbcnt_hi_u32_b32 v10, -1, v10
                                        ; implicit-def: $vgpr11
	s_branch .LBB9_21
.LBB9_19:                               ;   in Loop: Header=BB9_21 Depth=1
	s_or_b64 exec, exec, s[14:15]
	v_add_u32_e32 v1, v14, v1
.LBB9_20:                               ;   in Loop: Header=BB9_21 Depth=1
	s_add_i32 s9, s9, -1
	v_add_u32_e32 v3, v13, v3
	v_add_u32_e32 v0, s21, v0
	s_cmp_lg_u32 s9, 0
	v_add_u32_e32 v4, 0x100, v4
	s_cbranch_scc0 .LBB9_40
.LBB9_21:                               ; =>This Inner Loop Header: Depth=1
	v_cmp_gt_u32_e32 vcc, s12, v4
	v_mov_b32_e32 v14, 0
	v_mov_b32_e32 v12, 0
	s_and_saveexec_b64 s[14:15], vcc
	s_cbranch_execz .LBB9_23
; %bb.22:                               ;   in Loop: Header=BB9_21 Depth=1
	global_load_ubyte v11, v0, s[10:11]
	s_waitcnt vmcnt(0)
	v_cmp_gt_u16_sdwa s[22:23], v11, v6 src0_sel:DWORD src1_sel:BYTE_0
	v_cndmask_b32_e64 v12, 0, 1, s[22:23]
	v_cmp_lt_u16_sdwa s[22:23], v11, v6 src0_sel:DWORD src1_sel:BYTE_0
	v_cndmask_b32_e64 v13, 0, 1, s[22:23]
	v_cndmask_b32_e64 v12, v13, v12, s[6:7]
	v_cmp_eq_u16_sdwa s[22:23], v11, v6 src0_sel:DWORD src1_sel:BYTE_0
	v_and_b32_e32 v14, 1, v12
	v_cndmask_b32_e64 v12, 0, 1, s[22:23]
.LBB9_23:                               ;   in Loop: Header=BB9_21 Depth=1
	s_or_b64 exec, exec, s[14:15]
	ds_write_b32 v2, v14
	s_waitcnt vmcnt(0) lgkmcnt(0)
	s_barrier
	s_and_saveexec_b64 s[14:15], s[4:5]
	s_cbranch_execz .LBB9_25
; %bb.24:                               ;   in Loop: Header=BB9_21 Depth=1
	v_add_u32_e32 v13, v7, v8
	ds_read2_b32 v[15:16], v13 offset1:1
	ds_read2_b32 v[17:18], v13 offset0:2 offset1:3
	v_and_b32_e32 v19, 15, v10
	v_cmp_ne_u32_e32 vcc, 0, v19
	s_waitcnt lgkmcnt(1)
	v_add_u32_e32 v16, v16, v15
	s_waitcnt lgkmcnt(0)
	v_add3_u32 v16, v16, v17, v18
	v_bfe_i32 v18, v10, 4, 1
	; wave barrier
	s_nop 0
	v_mov_b32_dpp v17, v16 row_shr:1 row_mask:0xf bank_mask:0xf
	v_cndmask_b32_e32 v17, 0, v17, vcc
	v_add_u32_e32 v16, v17, v16
	v_cmp_lt_u32_e32 vcc, 1, v19
	s_nop 0
	v_mov_b32_dpp v17, v16 row_shr:2 row_mask:0xf bank_mask:0xf
	v_cndmask_b32_e32 v17, 0, v17, vcc
	v_add_u32_e32 v16, v16, v17
	v_cmp_lt_u32_e32 vcc, 3, v19
	;; [unrolled: 5-line block ×4, first 2 shown]
	s_nop 0
	v_mov_b32_dpp v17, v16 row_bcast:15 row_mask:0xf bank_mask:0xf
	v_and_b32_e32 v17, v18, v17
	v_add_u32_e32 v16, v16, v17
	v_and_b32_e32 v18, 64, v10
	s_nop 0
	v_mov_b32_dpp v17, v16 row_bcast:31 row_mask:0xf bank_mask:0xf
	v_cndmask_b32_e32 v17, 0, v17, vcc
	v_add_u32_e32 v16, v16, v17
	v_add_u32_e32 v17, -1, v10
	v_cmp_lt_i32_e32 vcc, v17, v18
	v_cndmask_b32_e32 v17, v17, v10, vcc
	v_lshlrev_b32_e32 v17, 2, v17
	ds_bpermute_b32 v16, v17, v16
	s_waitcnt lgkmcnt(0)
	v_add_u32_e32 v15, v16, v15
	v_cndmask_b32_e64 v17, v15, v14, s[2:3]
	ds_write_b32 v13, v17
	; wave barrier
	ds_read2_b32 v[15:16], v13 offset0:1 offset1:2
	ds_read_b32 v18, v13 offset:12
	s_waitcnt lgkmcnt(1)
	v_add_u32_e32 v15, v15, v17
	v_add_u32_e32 v16, v16, v15
	ds_write2_b32 v13, v15, v16 offset0:1 offset1:2
	s_waitcnt lgkmcnt(1)
	v_add_u32_e32 v15, v18, v16
	ds_write_b32 v13, v15 offset:12
.LBB9_25:                               ;   in Loop: Header=BB9_21 Depth=1
	s_or_b64 exec, exec, s[14:15]
	v_mov_b32_e32 v15, 0
	s_waitcnt lgkmcnt(0)
	s_barrier
	s_and_saveexec_b64 s[14:15], s[0:1]
; %bb.26:                               ;   in Loop: Header=BB9_21 Depth=1
	ds_read_b32 v15, v9
; %bb.27:                               ;   in Loop: Header=BB9_21 Depth=1
	s_or_b64 exec, exec, s[14:15]
	ds_read_b32 v13, v5 offset:1048
	v_cmp_ne_u32_e32 vcc, 0, v14
	s_waitcnt lgkmcnt(0)
	s_barrier
	s_and_saveexec_b64 s[14:15], vcc
	s_cbranch_execz .LBB9_29
; %bb.28:                               ;   in Loop: Header=BB9_21 Depth=1
	v_add_u32_e32 v14, v15, v3
	v_mul_lo_u32 v16, v14, s20
	v_mul_lo_u32 v14, v14, s8
	v_mov_b32_e32 v15, v5
	global_store_byte v16, v11, s[16:17]
	v_lshlrev_b64 v[14:15], 3, v[14:15]
	v_mov_b32_e32 v16, s19
	v_add_co_u32_e32 v14, vcc, s18, v14
	v_addc_co_u32_e32 v15, vcc, v16, v15, vcc
	global_store_dwordx2 v[14:15], v[4:5], off
.LBB9_29:                               ;   in Loop: Header=BB9_21 Depth=1
	s_or_b64 exec, exec, s[14:15]
	v_cmp_le_u32_e32 vcc, s13, v1
	s_cbranch_vccnz .LBB9_20
; %bb.30:                               ;   in Loop: Header=BB9_21 Depth=1
	ds_write_b32 v2, v12
	s_waitcnt vmcnt(0) lgkmcnt(0)
	s_barrier
	s_and_saveexec_b64 s[14:15], s[4:5]
	s_cbranch_execz .LBB9_32
; %bb.31:                               ;   in Loop: Header=BB9_21 Depth=1
	v_add_u32_e32 v18, v7, v8
	ds_read2_b32 v[14:15], v18 offset1:1
	ds_read2_b32 v[16:17], v18 offset0:2 offset1:3
	v_and_b32_e32 v19, 15, v10
	v_cmp_ne_u32_e32 vcc, 0, v19
	s_waitcnt lgkmcnt(1)
	v_add_u32_e32 v15, v15, v14
	s_waitcnt lgkmcnt(0)
	v_add3_u32 v15, v15, v16, v17
	v_bfe_i32 v17, v10, 4, 1
	; wave barrier
	s_nop 0
	v_mov_b32_dpp v16, v15 row_shr:1 row_mask:0xf bank_mask:0xf
	v_cndmask_b32_e32 v16, 0, v16, vcc
	v_add_u32_e32 v15, v16, v15
	v_cmp_lt_u32_e32 vcc, 1, v19
	s_nop 0
	v_mov_b32_dpp v16, v15 row_shr:2 row_mask:0xf bank_mask:0xf
	v_cndmask_b32_e32 v16, 0, v16, vcc
	v_add_u32_e32 v15, v15, v16
	v_cmp_lt_u32_e32 vcc, 3, v19
	s_nop 0
	v_mov_b32_dpp v16, v15 row_shr:4 row_mask:0xf bank_mask:0xf
	v_cndmask_b32_e32 v16, 0, v16, vcc
	v_add_u32_e32 v15, v15, v16
	v_cmp_lt_u32_e32 vcc, 7, v19
	s_nop 0
	v_mov_b32_dpp v16, v15 row_shr:8 row_mask:0xf bank_mask:0xf
	v_cndmask_b32_e32 v16, 0, v16, vcc
	v_add_u32_e32 v15, v15, v16
	v_cmp_lt_u32_e32 vcc, 31, v10
	s_nop 0
	v_mov_b32_dpp v16, v15 row_bcast:15 row_mask:0xf bank_mask:0xf
	v_and_b32_e32 v16, v17, v16
	v_add_u32_e32 v15, v15, v16
	v_and_b32_e32 v17, 64, v10
	s_nop 0
	v_mov_b32_dpp v16, v15 row_bcast:31 row_mask:0xf bank_mask:0xf
	v_cndmask_b32_e32 v16, 0, v16, vcc
	v_add_u32_e32 v15, v15, v16
	v_add_u32_e32 v16, -1, v10
	v_cmp_lt_i32_e32 vcc, v16, v17
	v_cndmask_b32_e32 v16, v16, v10, vcc
	v_lshlrev_b32_e32 v16, 2, v16
	ds_bpermute_b32 v15, v16, v15
	s_waitcnt lgkmcnt(0)
	v_add_u32_e32 v14, v15, v14
	v_cndmask_b32_e64 v16, v14, v12, s[2:3]
	ds_write_b32 v18, v16
	; wave barrier
	ds_read2_b32 v[14:15], v18 offset0:1 offset1:2
	ds_read_b32 v17, v18 offset:12
	s_waitcnt lgkmcnt(1)
	v_add_u32_e32 v14, v14, v16
	v_add_u32_e32 v15, v15, v14
	ds_write2_b32 v18, v14, v15 offset0:1 offset1:2
	s_waitcnt lgkmcnt(1)
	v_add_u32_e32 v14, v17, v15
	ds_write_b32 v18, v14 offset:12
.LBB9_32:                               ;   in Loop: Header=BB9_21 Depth=1
	s_or_b64 exec, exec, s[14:15]
	v_mov_b32_e32 v15, 0
	s_waitcnt lgkmcnt(0)
	s_barrier
	s_and_saveexec_b64 s[14:15], s[0:1]
; %bb.33:                               ;   in Loop: Header=BB9_21 Depth=1
	ds_read_b32 v15, v9
; %bb.34:                               ;   in Loop: Header=BB9_21 Depth=1
	s_or_b64 exec, exec, s[14:15]
	ds_read_b32 v14, v5 offset:1048
	v_cmp_ne_u32_e32 vcc, 0, v12
	s_waitcnt lgkmcnt(0)
	s_barrier
	s_and_saveexec_b64 s[14:15], vcc
	s_cbranch_execz .LBB9_19
; %bb.35:                               ;   in Loop: Header=BB9_21 Depth=1
	v_add_u32_e32 v12, v15, v1
	v_cmp_gt_u32_e32 vcc, s13, v12
	s_and_b64 exec, exec, vcc
	s_cbranch_execz .LBB9_19
; %bb.36:                               ;   in Loop: Header=BB9_21 Depth=1
	v_mul_lo_u32 v15, v12, s8
	v_mov_b32_e32 v16, v5
	v_mul_lo_u32 v17, v12, s20
	v_mov_b32_e32 v12, s19
	v_lshlrev_b64 v[15:16], 3, v[15:16]
	global_store_byte v17, v11, s[16:17]
	v_add_co_u32_e32 v15, vcc, s18, v15
	v_addc_co_u32_e32 v16, vcc, v12, v16, vcc
	global_store_dwordx2 v[15:16], v[4:5], off
	s_branch .LBB9_19
.LBB9_37:                               ;   in Loop: Header=BB9_38 Depth=1
	s_add_u32 s28, s28, 4
	s_addc_u32 s29, s29, 0
	s_waitcnt lgkmcnt(0)
	s_add_i32 s55, s15, s55
	s_add_u32 s30, s30, 4
	s_addc_u32 s31, s31, 0
	s_add_i32 s14, s14, 1
	s_cmp_lt_u32 s14, s10
	s_cbranch_scc0 .LBB9_16
.LBB9_38:                               ; =>This Inner Loop Header: Depth=1
	s_load_dword s15, s[28:29], 0x0
	s_cmp_ge_u32 s14, s19
	s_cbranch_scc1 .LBB9_37
; %bb.39:                               ;   in Loop: Header=BB9_38 Depth=1
	s_load_dword s46, s[30:31], 0x0
	s_waitcnt lgkmcnt(0)
	s_add_i32 s45, s15, s45
	s_add_i32 s44, s46, s44
	s_branch .LBB9_37
.LBB9_40:
	s_endpgm
	.section	.rodata,"a",@progbits
	.p2align	6, 0x0
	.amdhsa_kernel _ZN2at6native6mbtopk10gatherTopKIhjLi3EEEvNS_4cuda6detail10TensorInfoIKT_T0_EES8_S8_bjS8_NS5_IS6_S8_EES8_NS5_IlS8_EES8_jjPS6_PjSD_j
		.amdhsa_group_segment_fixed_size 1068
		.amdhsa_private_segment_fixed_size 0
		.amdhsa_kernarg_size 984
		.amdhsa_user_sgpr_count 6
		.amdhsa_user_sgpr_private_segment_buffer 1
		.amdhsa_user_sgpr_dispatch_ptr 0
		.amdhsa_user_sgpr_queue_ptr 0
		.amdhsa_user_sgpr_kernarg_segment_ptr 1
		.amdhsa_user_sgpr_dispatch_id 0
		.amdhsa_user_sgpr_flat_scratch_init 0
		.amdhsa_user_sgpr_private_segment_size 0
		.amdhsa_uses_dynamic_stack 0
		.amdhsa_system_sgpr_private_segment_wavefront_offset 0
		.amdhsa_system_sgpr_workgroup_id_x 1
		.amdhsa_system_sgpr_workgroup_id_y 1
		.amdhsa_system_sgpr_workgroup_id_z 1
		.amdhsa_system_sgpr_workgroup_info 0
		.amdhsa_system_vgpr_workitem_id 0
		.amdhsa_next_free_vgpr 20
		.amdhsa_next_free_sgpr 59
		.amdhsa_reserve_vcc 1
		.amdhsa_reserve_flat_scratch 0
		.amdhsa_float_round_mode_32 0
		.amdhsa_float_round_mode_16_64 0
		.amdhsa_float_denorm_mode_32 3
		.amdhsa_float_denorm_mode_16_64 3
		.amdhsa_dx10_clamp 1
		.amdhsa_ieee_mode 1
		.amdhsa_fp16_overflow 0
		.amdhsa_exception_fp_ieee_invalid_op 0
		.amdhsa_exception_fp_denorm_src 0
		.amdhsa_exception_fp_ieee_div_zero 0
		.amdhsa_exception_fp_ieee_overflow 0
		.amdhsa_exception_fp_ieee_underflow 0
		.amdhsa_exception_fp_ieee_inexact 0
		.amdhsa_exception_int_div_zero 0
	.end_amdhsa_kernel
	.section	.text._ZN2at6native6mbtopk10gatherTopKIhjLi3EEEvNS_4cuda6detail10TensorInfoIKT_T0_EES8_S8_bjS8_NS5_IS6_S8_EES8_NS5_IlS8_EES8_jjPS6_PjSD_j,"axG",@progbits,_ZN2at6native6mbtopk10gatherTopKIhjLi3EEEvNS_4cuda6detail10TensorInfoIKT_T0_EES8_S8_bjS8_NS5_IS6_S8_EES8_NS5_IlS8_EES8_jjPS6_PjSD_j,comdat
.Lfunc_end9:
	.size	_ZN2at6native6mbtopk10gatherTopKIhjLi3EEEvNS_4cuda6detail10TensorInfoIKT_T0_EES8_S8_bjS8_NS5_IS6_S8_EES8_NS5_IlS8_EES8_jjPS6_PjSD_j, .Lfunc_end9-_ZN2at6native6mbtopk10gatherTopKIhjLi3EEEvNS_4cuda6detail10TensorInfoIKT_T0_EES8_S8_bjS8_NS5_IS6_S8_EES8_NS5_IlS8_EES8_jjPS6_PjSD_j
                                        ; -- End function
	.set _ZN2at6native6mbtopk10gatherTopKIhjLi3EEEvNS_4cuda6detail10TensorInfoIKT_T0_EES8_S8_bjS8_NS5_IS6_S8_EES8_NS5_IlS8_EES8_jjPS6_PjSD_j.num_vgpr, 20
	.set _ZN2at6native6mbtopk10gatherTopKIhjLi3EEEvNS_4cuda6detail10TensorInfoIKT_T0_EES8_S8_bjS8_NS5_IS6_S8_EES8_NS5_IlS8_EES8_jjPS6_PjSD_j.num_agpr, 0
	.set _ZN2at6native6mbtopk10gatherTopKIhjLi3EEEvNS_4cuda6detail10TensorInfoIKT_T0_EES8_S8_bjS8_NS5_IS6_S8_EES8_NS5_IlS8_EES8_jjPS6_PjSD_j.numbered_sgpr, 59
	.set _ZN2at6native6mbtopk10gatherTopKIhjLi3EEEvNS_4cuda6detail10TensorInfoIKT_T0_EES8_S8_bjS8_NS5_IS6_S8_EES8_NS5_IlS8_EES8_jjPS6_PjSD_j.num_named_barrier, 0
	.set _ZN2at6native6mbtopk10gatherTopKIhjLi3EEEvNS_4cuda6detail10TensorInfoIKT_T0_EES8_S8_bjS8_NS5_IS6_S8_EES8_NS5_IlS8_EES8_jjPS6_PjSD_j.private_seg_size, 0
	.set _ZN2at6native6mbtopk10gatherTopKIhjLi3EEEvNS_4cuda6detail10TensorInfoIKT_T0_EES8_S8_bjS8_NS5_IS6_S8_EES8_NS5_IlS8_EES8_jjPS6_PjSD_j.uses_vcc, 1
	.set _ZN2at6native6mbtopk10gatherTopKIhjLi3EEEvNS_4cuda6detail10TensorInfoIKT_T0_EES8_S8_bjS8_NS5_IS6_S8_EES8_NS5_IlS8_EES8_jjPS6_PjSD_j.uses_flat_scratch, 0
	.set _ZN2at6native6mbtopk10gatherTopKIhjLi3EEEvNS_4cuda6detail10TensorInfoIKT_T0_EES8_S8_bjS8_NS5_IS6_S8_EES8_NS5_IlS8_EES8_jjPS6_PjSD_j.has_dyn_sized_stack, 0
	.set _ZN2at6native6mbtopk10gatherTopKIhjLi3EEEvNS_4cuda6detail10TensorInfoIKT_T0_EES8_S8_bjS8_NS5_IS6_S8_EES8_NS5_IlS8_EES8_jjPS6_PjSD_j.has_recursion, 0
	.set _ZN2at6native6mbtopk10gatherTopKIhjLi3EEEvNS_4cuda6detail10TensorInfoIKT_T0_EES8_S8_bjS8_NS5_IS6_S8_EES8_NS5_IlS8_EES8_jjPS6_PjSD_j.has_indirect_call, 0
	.section	.AMDGPU.csdata,"",@progbits
; Kernel info:
; codeLenInByte = 2608
; TotalNumSgprs: 63
; NumVgprs: 20
; ScratchSize: 0
; MemoryBound: 0
; FloatMode: 240
; IeeeMode: 1
; LDSByteSize: 1068 bytes/workgroup (compile time only)
; SGPRBlocks: 7
; VGPRBlocks: 4
; NumSGPRsForWavesPerEU: 63
; NumVGPRsForWavesPerEU: 20
; Occupancy: 10
; WaveLimiterHint : 1
; COMPUTE_PGM_RSRC2:SCRATCH_EN: 0
; COMPUTE_PGM_RSRC2:USER_SGPR: 6
; COMPUTE_PGM_RSRC2:TRAP_HANDLER: 0
; COMPUTE_PGM_RSRC2:TGID_X_EN: 1
; COMPUTE_PGM_RSRC2:TGID_Y_EN: 1
; COMPUTE_PGM_RSRC2:TGID_Z_EN: 1
; COMPUTE_PGM_RSRC2:TIDIG_COMP_CNT: 0
	.section	.text._ZN2at6native6sbtopk10gatherTopKIhjLi3ELb0EEEvNS_4cuda6detail10TensorInfoIKT_T0_EES8_S8_bS8_S8_NS5_IS6_S8_EES8_NS5_IlS8_EES8_PS6_,"axG",@progbits,_ZN2at6native6sbtopk10gatherTopKIhjLi3ELb0EEEvNS_4cuda6detail10TensorInfoIKT_T0_EES8_S8_bS8_S8_NS5_IS6_S8_EES8_NS5_IlS8_EES8_PS6_,comdat
	.protected	_ZN2at6native6sbtopk10gatherTopKIhjLi3ELb0EEEvNS_4cuda6detail10TensorInfoIKT_T0_EES8_S8_bS8_S8_NS5_IS6_S8_EES8_NS5_IlS8_EES8_PS6_ ; -- Begin function _ZN2at6native6sbtopk10gatherTopKIhjLi3ELb0EEEvNS_4cuda6detail10TensorInfoIKT_T0_EES8_S8_bS8_S8_NS5_IS6_S8_EES8_NS5_IlS8_EES8_PS6_
	.globl	_ZN2at6native6sbtopk10gatherTopKIhjLi3ELb0EEEvNS_4cuda6detail10TensorInfoIKT_T0_EES8_S8_bS8_S8_NS5_IS6_S8_EES8_NS5_IlS8_EES8_PS6_
	.p2align	8
	.type	_ZN2at6native6sbtopk10gatherTopKIhjLi3ELb0EEEvNS_4cuda6detail10TensorInfoIKT_T0_EES8_S8_bS8_S8_NS5_IS6_S8_EES8_NS5_IlS8_EES8_PS6_,@function
_ZN2at6native6sbtopk10gatherTopKIhjLi3ELb0EEEvNS_4cuda6detail10TensorInfoIKT_T0_EES8_S8_bS8_S8_NS5_IS6_S8_EES8_NS5_IlS8_EES8_PS6_: ; @_ZN2at6native6sbtopk10gatherTopKIhjLi3ELb0EEEvNS_4cuda6detail10TensorInfoIKT_T0_EES8_S8_bS8_S8_NS5_IS6_S8_EES8_NS5_IlS8_EES8_PS6_
; %bb.0:
	s_load_dwordx2 s[14:15], s[4:5], 0x2b8
	s_load_dwordx4 s[36:39], s[4:5], 0xd8
	s_add_u32 s12, s4, 0x2b8
	s_addc_u32 s13, s5, 0
	s_waitcnt lgkmcnt(0)
	s_mul_i32 s0, s15, s8
	s_add_i32 s0, s0, s7
	s_mul_i32 s0, s0, s14
	s_add_i32 s15, s0, s6
	s_cmp_ge_u32 s15, s39
	s_cbranch_scc1 .LBB10_411
; %bb.1:
	s_load_dwordx4 s[0:3], s[4:5], 0x23c
                                        ; implicit-def: $vgpr52 : SGPR spill to VGPR lane
	s_load_dwordx2 s[16:17], s[4:5], 0xc
	s_load_dwordx2 s[10:11], s[4:5], 0x0
	s_mov_b32 s62, 0
	s_load_dword s24, s[4:5], 0xe8
	s_waitcnt lgkmcnt(0)
	v_writelane_b32 v52, s0, 0
	v_writelane_b32 v52, s1, 1
	;; [unrolled: 1-line block ×4, first 2 shown]
	s_load_dwordx2 s[18:19], s[4:5], 0x1dc
	s_load_dwordx2 s[0:1], s[4:5], 0x1d0
	v_cvt_f32_u32_e32 v1, s17
	v_cvt_f32_u32_e32 v2, s16
	s_waitcnt lgkmcnt(0)
	v_writelane_b32 v52, s0, 4
	v_writelane_b32 v52, s1, 5
	s_load_dwordx4 s[0:3], s[4:5], 0x15c
	v_rcp_iflag_f32_e32 v1, v1
	v_mul_f32_e32 v1, 0x4f7ffffe, v1
	s_waitcnt lgkmcnt(0)
	v_writelane_b32 v52, s0, 6
	v_writelane_b32 v52, s1, 7
	;; [unrolled: 1-line block ×4, first 2 shown]
	s_load_dwordx2 s[20:21], s[4:5], 0xfc
	s_load_dwordx2 s[0:1], s[4:5], 0xf0
	v_cvt_u32_f32_e32 v1, v1
	s_waitcnt lgkmcnt(0)
	v_writelane_b32 v52, s0, 10
	v_writelane_b32 v52, s1, 11
	;; [unrolled: 1-line block ×3, first 2 shown]
	s_load_dwordx4 s[0:3], s[4:5], 0x6c
	v_writelane_b32 v52, s5, 13
	s_waitcnt lgkmcnt(0)
	s_sub_i32 s3, 0, s17
	v_readfirstlane_b32 s4, v1
	s_mul_i32 s3, s3, s4
	s_mul_hi_u32 s3, s4, s3
	s_add_i32 s4, s4, s3
	v_rcp_iflag_f32_e32 v1, v2
	s_mul_hi_u32 s3, s15, s4
	v_cvt_f32_u32_e32 v2, s21
	s_mul_i32 s4, s3, s17
	s_sub_i32 s4, s15, s4
	s_add_i32 s5, s3, 1
	s_sub_i32 s7, s4, s17
	v_mul_f32_e32 v1, 0x4f7ffffe, v1
	s_cmp_ge_u32 s4, s17
	v_cvt_u32_f32_e32 v1, v1
	v_rcp_iflag_f32_e32 v2, v2
	s_cselect_b32 s3, s5, s3
	s_cselect_b32 s4, s7, s4
	s_add_i32 s5, s3, 1
	s_cmp_ge_u32 s4, s17
	s_cselect_b32 s3, s5, s3
	v_readfirstlane_b32 s5, v1
	v_mul_f32_e32 v1, 0x4f7ffffe, v2
	v_cvt_u32_f32_e32 v1, v1
	s_sub_i32 s4, 0, s16
	s_mul_i32 s4, s4, s5
	s_mul_hi_u32 s4, s5, s4
	v_readfirstlane_b32 s7, v1
	v_cvt_f32_u32_e32 v1, s20
	s_add_i32 s5, s5, s4
	s_mul_hi_u32 s4, s3, s5
	s_sub_i32 s5, 0, s21
	s_mul_i32 s5, s5, s7
	s_mul_hi_u32 s5, s7, s5
	v_rcp_iflag_f32_e32 v1, v1
	s_add_i32 s7, s7, s5
	v_cvt_f32_u32_e32 v2, s19
	s_mul_hi_u32 s5, s15, s7
	s_mul_i32 s7, s5, s21
	s_sub_i32 s7, s15, s7
	v_mul_f32_e32 v1, 0x4f7ffffe, v1
	s_add_i32 s8, s5, 1
	s_sub_i32 s9, s7, s21
	v_cvt_u32_f32_e32 v1, v1
	v_rcp_iflag_f32_e32 v2, v2
	s_cmp_ge_u32 s7, s21
	s_cselect_b32 s5, s8, s5
	s_cselect_b32 s7, s9, s7
	s_add_i32 s8, s5, 1
	s_cmp_ge_u32 s7, s21
	v_readfirstlane_b32 s7, v1
	v_mul_f32_e32 v1, 0x4f7ffffe, v2
	s_cselect_b32 s8, s8, s5
	v_writelane_b32 v52, s20, 14
	s_sub_i32 s5, 0, s20
	v_cvt_u32_f32_e32 v1, v1
	s_mul_i32 s5, s5, s7
	s_mul_hi_u32 s5, s7, s5
	v_writelane_b32 v52, s21, 15
	s_add_i32 s7, s7, s5
	v_writelane_b32 v52, s8, 16
	s_mul_hi_u32 s5, s8, s7
	v_readfirstlane_b32 s7, v1
	v_cvt_f32_u32_e32 v1, s18
	v_writelane_b32 v52, s5, 17
	s_sub_i32 s5, 0, s19
	s_mul_i32 s5, s5, s7
	s_mul_hi_u32 s5, s7, s5
	s_add_i32 s7, s7, s5
	v_rcp_iflag_f32_e32 v1, v1
	s_mul_hi_u32 s5, s15, s7
	s_mul_i32 s7, s5, s19
	s_sub_i32 s7, s15, s7
	s_add_i32 s8, s5, 1
	s_sub_i32 s9, s7, s19
	v_mul_f32_e32 v1, 0x4f7ffffe, v1
	s_cmp_ge_u32 s7, s19
	v_cvt_u32_f32_e32 v1, v1
	s_cselect_b32 s5, s8, s5
	s_cselect_b32 s7, s9, s7
	s_add_i32 s8, s5, 1
	s_cmp_ge_u32 s7, s19
	s_cselect_b32 s8, s8, s5
	v_writelane_b32 v52, s18, 18
	s_sub_i32 s5, 0, s18
	v_readfirstlane_b32 s7, v1
	s_mul_i32 s5, s5, s7
	s_mul_hi_u32 s5, s7, s5
	v_writelane_b32 v52, s19, 19
	s_add_i32 s7, s7, s5
	v_writelane_b32 v52, s8, 20
	s_mul_hi_u32 s5, s8, s7
	v_writelane_b32 v52, s5, 21
	v_cmp_eq_u32_e64 s[18:19], 0, v0
	s_mov_b64 s[8:9], exec
	v_writelane_b32 v52, s18, 22
	v_writelane_b32 v52, s19, 23
	s_and_b64 s[18:19], s[8:9], s[18:19]
	s_mov_b64 exec, s[18:19]
; %bb.2:
	v_mov_b32_e32 v1, 0
	v_mov_b32_e32 v2, s36
	;; [unrolled: 1-line block ×3, first 2 shown]
	ds_write_b96 v1, v[1:3] offset:4096
; %bb.3:
	s_or_b64 exec, exec, s[8:9]
	s_mul_i32 s5, s3, s17
	s_sub_i32 s5, s15, s5
	s_mul_i32 s5, s5, s2
	s_mul_i32 s2, s4, s16
	s_sub_i32 s2, s3, s2
	s_add_i32 s7, s4, 1
	s_sub_i32 s8, s2, s16
	s_cmp_ge_u32 s2, s16
	s_cselect_b32 s4, s7, s4
	s_cselect_b32 s2, s8, s2
	s_add_i32 s7, s4, 1
	s_cmp_ge_u32 s2, s16
	s_cselect_b32 s2, s7, s4
	s_mul_i32 s4, s2, s16
	s_sub_i32 s3, s3, s4
	s_mul_i32 s1, s3, s1
	s_add_i32 s1, s1, s5
	s_mul_i32 s2, s2, s0
	s_add_i32 s1, s1, s2
	s_add_u32 s48, s10, s1
	s_addc_u32 s49, s11, 0
	s_waitcnt lgkmcnt(0)
	s_barrier
	s_load_dword s0, s[12:13], 0xc
	s_bitcmp1_b32 s38, 0
	v_writelane_b32 v52, s15, 24
	s_cselect_b64 s[2:3], -1, 0
	v_writelane_b32 v52, s2, 25
	v_writelane_b32 v52, s3, 26
	s_xor_b64 s[2:3], s[2:3], -1
	v_mbcnt_lo_u32_b32 v1, -1, 0
	v_writelane_b32 v52, s2, 27
	v_mbcnt_hi_u32_b32 v21, -1, v1
	v_writelane_b32 v52, s3, 28
	s_waitcnt lgkmcnt(0)
	s_and_b32 s33, s0, 0xffff
	v_cmp_gt_u32_e32 vcc, 64, v0
	v_cmp_gt_i32_e64 s[2:3], 4, v21
	s_lshl_b32 s63, s33, 2
	s_bfe_u32 s4, s0, 0xa0006
	s_and_b64 s[2:3], vcc, s[2:3]
	v_writelane_b32 v52, s2, 29
	s_cmpk_gt_u32 s36, 0xc00
	v_writelane_b32 v52, s3, 30
	s_cselect_b64 s[2:3], -1, 0
	v_writelane_b32 v52, s2, 31
	v_writelane_b32 v52, s3, 32
	v_cmp_gt_u32_e64 s[2:3], s36, v0
	v_writelane_b32 v52, s2, 33
	s_cmp_gt_u32 s33, 63
	v_writelane_b32 v52, s3, 34
	s_cselect_b64 s[2:3], -1, 0
	v_writelane_b32 v52, s2, 35
	v_writelane_b32 v52, s3, 36
	v_cmp_gt_u32_e64 s[2:3], 2, v0
	v_writelane_b32 v52, s2, 37
	v_writelane_b32 v52, s3, 38
	s_add_i32 s2, s33, -1
	v_lshlrev_b64 v[2:3], v21, -1
	v_writelane_b32 v52, s2, 39
	s_add_i32 s2, s2, s36
	v_not_b32_e32 v19, v2
	v_lshrrev_b32_e32 v2, 2, v0
	s_cmp_lt_u32 s6, s14
	v_and_b32_e32 v2, 0xf0, v2
	s_cselect_b32 s3, 12, 18
	v_or_b32_e32 v24, 0xc00, v2
	s_add_u32 s6, s12, s3
	v_add_u32_e32 v2, 2, v0
	s_addc_u32 s7, s13, 0
	v_max_u32_e32 v2, s36, v2
	v_writelane_b32 v52, s6, 40
	v_xad_u32 v2, v0, -1, v2
	v_writelane_b32 v52, s7, 41
	v_cmp_lt_u32_e64 s[6:7], 31, v2
	v_not_b32_e32 v18, v3
	v_add_u32_e32 v3, -4, v2
	v_writelane_b32 v52, s6, 42
	v_lshrrev_b32_e32 v4, 2, v3
	v_writelane_b32 v52, s7, 43
	v_add_u32_e32 v4, 1, v4
	v_writelane_b32 v52, s24, 44
	v_cmp_lt_u32_e64 s[6:7], 11, v3
	v_and_b32_e32 v5, 3, v4
	v_writelane_b32 v52, s6, 45
	v_writelane_b32 v52, s7, 46
	v_cmp_ne_u32_e64 s[6:7], 0, v5
	v_and_b32_e32 v25, -4, v2
	v_writelane_b32 v52, s6, 47
	v_writelane_b32 v52, s7, 48
	v_cmp_ne_u32_e64 s[6:7], v2, v25
	v_cvt_f32_u32_e32 v2, s63
	s_add_i32 s3, s4, -1
	s_bfe_u32 s5, s33, 0x30006
	s_and_b32 s3, s3, 0xffff
	v_rcp_iflag_f32_e32 v2, v2
	v_writelane_b32 v52, s6, 49
	s_cmp_gt_u32 s3, 6
	v_writelane_b32 v52, s7, 50
	s_cselect_b64 s[6:7], -1, 0
	v_mul_f32_e32 v2, 0x4f7ffffe, v2
	v_writelane_b32 v52, s6, 51
	s_and_b32 s23, s4, 0x3f8
	v_cvt_u32_f32_e32 v2, v2
	v_writelane_b32 v52, s7, 52
	s_cmp_lg_u32 s5, 0
	v_writelane_b32 v52, s5, 53
	s_cselect_b64 s[4:5], -1, 0
	v_writelane_b32 v52, s4, 54
	v_writelane_b32 v52, s5, 55
	s_sub_i32 s3, 0, s63
	v_readfirstlane_b32 s4, v2
	s_mul_i32 s3, s3, s4
	s_mul_hi_u32 s3, s4, s3
	s_add_i32 s3, s4, s3
	v_writelane_b32 v52, s3, 56
	s_mul_hi_u32 s3, s36, s3
	s_mul_i32 s3, s3, s63
	v_cvt_f32_u32_e32 v2, s33
	s_sub_i32 s3, s36, s3
	s_sub_i32 s4, s3, s63
	s_cmp_ge_u32 s3, s63
	s_cselect_b32 s3, s4, s3
	v_rcp_iflag_f32_e32 v2, v2
	s_sub_i32 s4, s3, s63
	s_cmp_ge_u32 s3, s63
	s_cselect_b32 s3, s4, s3
	v_lshlrev_b32_e32 v20, 2, v0
	s_sub_i32 s11, s36, s3
	v_mul_f32_e32 v2, 0x4f7ffffe, v2
	v_cmp_gt_u32_e64 s[4:5], s11, v20
	v_cvt_u32_f32_e32 v2, v2
	v_writelane_b32 v52, s4, 57
	v_add_u32_e32 v28, s11, v0
	v_writelane_b32 v52, s5, 58
	v_cmp_gt_u32_e64 s[4:5], s36, v28
	v_writelane_b32 v52, s4, 59
	v_writelane_b32 v52, s5, 60
	s_sub_i32 s4, 0, s33
	v_readfirstlane_b32 s5, v2
	s_mul_i32 s4, s4, s5
	s_mul_hi_u32 s4, s5, s4
	s_add_i32 s4, s5, s4
	v_writelane_b32 v52, s4, 61
	s_mul_hi_u32 s4, s2, s4
	s_mul_i32 s4, s4, s33
	s_sub_i32 s4, s2, s4
	s_sub_i32 s5, s4, s33
	s_cmp_ge_u32 s4, s33
	v_mul_lo_u32 v2, s24, v20
	s_cselect_b32 s4, s5, s4
	s_sub_i32 s5, s4, s33
	s_cmp_ge_u32 s4, s33
	v_mul_lo_u32 v22, s24, v0
	s_cselect_b32 s4, s5, s4
	v_add_u32_e32 v31, s24, v2
	v_or_b32_e32 v2, 2, v20
	s_sub_i32 s4, s2, s4
	v_mul_lo_u32 v32, s24, v2
	v_or_b32_e32 v2, 3, v20
	s_add_i32 s2, s33, s36
	v_mul_lo_u32 v3, v28, s24
	v_mul_lo_u32 v33, s24, v2
	v_add_u32_e32 v2, s2, v0
	v_subrev_u32_e32 v2, s3, v2
	v_mov_b32_e32 v1, s49
	v_add_co_u32_e32 v13, vcc, s48, v22
	v_mul_lo_u32 v35, s24, v2
	v_addc_co_u32_e32 v14, vcc, 0, v1, vcc
	v_lshlrev_b32_e32 v1, 2, v21
	v_and_b32_e32 v27, 0x7ffffffc, v4
	v_mov_b32_e32 v4, s49
	v_add_co_u32_e32 v15, vcc, s48, v3
	v_cmp_gt_u32_e64 s[6:7], s4, v0
	s_mul_i32 s61, s24, s33
                                        ; implicit-def: $vgpr51 : SGPR spill to VGPR lane
	v_cmp_eq_u32_e64 s[0:1], 0, v21
	v_mov_b32_e32 v23, 0
	v_and_b32_e32 v17, 0x100, v1
	v_add_u32_e32 v26, v0, v25
	s_mov_b32 s22, s24
	s_mov_b32 s60, s24
	;; [unrolled: 1-line block ×3, first 2 shown]
	v_addc_co_u32_e32 v16, vcc, 0, v4, vcc
	v_writelane_b32 v52, s6, 62
	v_lshlrev_b32_e32 v30, 2, v5
	s_lshl_b32 s5, s61, 2
	v_lshlrev_b32_e32 v34, 2, v22
	v_writelane_b32 v51, s24, 0
	v_or_b32_e32 v36, 0xc00, v1
	s_mov_b64 s[70:71], 0
	v_mov_b32_e32 v40, s37
	s_mov_b32 s24, 0xc0c0004
	s_mov_b32 s25, 0xc0c0007
	v_mov_b32_e32 v37, 8
	v_mov_b32_e32 v39, 0
	;; [unrolled: 1-line block ×4, first 2 shown]
	v_writelane_b32 v52, s7, 63
                                        ; implicit-def: $sgpr72_sgpr73
                                        ; implicit-def: $sgpr74_sgpr75
                                        ; implicit-def: $sgpr78_sgpr79
                                        ; implicit-def: $sgpr80_sgpr81
                                        ; implicit-def: $sgpr76_sgpr77
                                        ; implicit-def: $sgpr82_sgpr83
                                        ; implicit-def: $sgpr84_sgpr85
                                        ; implicit-def: $sgpr86_sgpr87
                                        ; implicit-def: $sgpr88_sgpr89
                                        ; implicit-def: $sgpr90_sgpr91
	s_branch .LBB10_6
.LBB10_4:                               ;   in Loop: Header=BB10_6 Depth=1
	s_or_b64 exec, exec, s[14:15]
	s_andn2_b64 s[8:9], s[90:91], exec
	s_and_b64 s[12:13], s[12:13], exec
	s_or_b64 s[90:91], s[8:9], s[12:13]
	s_andn2_b64 s[88:89], s[88:89], exec
	s_andn2_b64 s[86:87], s[86:87], exec
	;; [unrolled: 1-line block ×4, first 2 shown]
	s_orn2_b64 s[6:7], s[6:7], exec
	v_mov_b32_e32 v40, v4
.LBB10_5:                               ;   in Loop: Header=BB10_6 Depth=1
	s_or_b64 exec, exec, s[2:3]
	s_and_b64 s[2:3], exec, s[6:7]
	s_or_b64 s[70:71], s[2:3], s[70:71]
	s_andn2_b64 s[2:3], s[76:77], exec
	s_and_b64 s[6:7], s[90:91], exec
	s_or_b64 s[76:77], s[2:3], s[6:7]
	s_andn2_b64 s[2:3], s[80:81], exec
	s_and_b64 s[6:7], s[88:89], exec
	;; [unrolled: 3-line block ×5, first 2 shown]
	s_or_b64 s[72:73], s[2:3], s[6:7]
	s_andn2_b64 exec, exec, s[70:71]
	s_cbranch_execz .LBB10_407
.LBB10_6:                               ; =>This Loop Header: Depth=1
                                        ;     Child Loop BB10_11 Depth 2
                                        ;     Child Loop BB10_32 Depth 2
	;; [unrolled: 1-line block ×26, first 2 shown]
	ds_read_b64 v[1:2], v23 offset:4096
	s_waitcnt lgkmcnt(0)
	v_readfirstlane_b32 s16, v1
	s_cmp_lg_u32 s16, 0
	s_cbranch_scc1 .LBB10_51
; %bb.7:                                ;   in Loop: Header=BB10_6 Depth=1
	v_readlane_b32 s2, v52, 31
	v_readlane_b32 s3, v52, 32
	s_and_b64 vcc, exec, s[2:3]
	s_cbranch_vccz .LBB10_19
; %bb.8:                                ;   in Loop: Header=BB10_6 Depth=1
	s_movk_i32 s6, 0xc01
	v_cmp_gt_u32_e32 vcc, s6, v2
	s_mov_b64 s[2:3], 0
	s_mov_b64 s[6:7], 0
	s_cbranch_vccz .LBB10_20
; %bb.9:                                ;   in Loop: Header=BB10_6 Depth=1
	v_readlane_b32 s6, v52, 40
	v_readlane_b32 s7, v52, 41
	s_nop 4
	global_load_ushort v1, v23, s[6:7]
	global_load_ubyte v4, v[13:14], off
	v_readlane_b32 s6, v51, 0
	s_mov_b64 s[12:13], 0
	v_mov_b32_e32 v5, v0
	s_waitcnt vmcnt(1)
	v_add_u32_e32 v2, v0, v1
	v_mul_lo_u32 v2, s6, v2
	v_mul_lo_u32 v3, s6, v1
	s_branch .LBB10_11
.LBB10_10:                              ;   in Loop: Header=BB10_11 Depth=2
	s_or_b64 exec, exec, s[6:7]
	v_add_u32_e32 v2, v2, v3
	v_mov_b32_e32 v4, v6
	s_andn2_b64 exec, exec, s[12:13]
	s_cbranch_execz .LBB10_26
.LBB10_11:                              ;   Parent Loop BB10_6 Depth=1
                                        ; =>  This Inner Loop Header: Depth=2
	v_add_u32_e32 v5, v5, v1
	v_cmp_gt_u32_e64 s[6:7], s36, v5
	v_cmp_le_u32_e32 vcc, s36, v5
	s_waitcnt lgkmcnt(0)
	v_mov_b32_e32 v7, 0
	v_mov_b32_e32 v6, 0
	s_and_saveexec_b64 s[8:9], s[6:7]
	s_cbranch_execz .LBB10_13
; %bb.12:                               ;   in Loop: Header=BB10_11 Depth=2
	global_load_ubyte v6, v2, s[48:49]
.LBB10_13:                              ;   in Loop: Header=BB10_11 Depth=2
	s_or_b64 exec, exec, s[8:9]
	s_waitcnt vmcnt(0)
	v_and_b32_e32 v8, v4, v38
	v_cmp_eq_u32_sdwa s[14:15], v8, v29 src0_sel:BYTE_0 src1_sel:DWORD
	s_cmp_lg_u64 s[14:15], 0
	s_cselect_b64 s[6:7], -1, 0
	s_and_b64 s[6:7], s[0:1], s[6:7]
	s_and_saveexec_b64 s[16:17], s[6:7]
	s_cbranch_execz .LBB10_17
; %bb.14:                               ;   in Loop: Header=BB10_11 Depth=2
	s_mov_b64 s[18:19], exec
	v_mbcnt_lo_u32_b32 v7, s18, 0
	v_mbcnt_hi_u32_b32 v7, s19, v7
	s_bcnt1_i32_b64 s21, s[14:15]
	v_cmp_eq_u32_e64 s[6:7], 0, v7
                                        ; implicit-def: $vgpr8
	s_and_saveexec_b64 s[8:9], s[6:7]
; %bb.15:                               ;   in Loop: Header=BB10_11 Depth=2
	s_bcnt1_i32_b64 s6, s[18:19]
	s_mul_i32 s6, s21, s6
	v_mov_b32_e32 v8, s6
	ds_add_rtn_u32 v8, v23, v8 offset:4104
; %bb.16:                               ;   in Loop: Header=BB10_11 Depth=2
	s_or_b64 exec, exec, s[8:9]
	s_waitcnt lgkmcnt(0)
	v_readfirstlane_b32 s6, v8
	v_mov_b32_e32 v8, s6
	v_mad_u32_u24 v7, s21, v7, v8
.LBB10_17:                              ;   in Loop: Header=BB10_11 Depth=2
	s_or_b64 exec, exec, s[16:17]
	ds_bpermute_b32 v7, v17, v7
	s_and_b64 s[6:7], exec, vcc
	s_or_b64 s[12:13], s[6:7], s[12:13]
	s_and_saveexec_b64 s[6:7], s[14:15]
	s_cbranch_execz .LBB10_10
; %bb.18:                               ;   in Loop: Header=BB10_11 Depth=2
	v_and_b32_e32 v9, s14, v19
	v_and_b32_e32 v8, s15, v18
	v_bcnt_u32_b32 v9, v9, 0
	v_bcnt_u32_b32 v8, v8, v9
	s_waitcnt lgkmcnt(0)
	v_add_u32_e32 v7, v7, v8
	ds_write_b8 v7, v4
	s_branch .LBB10_10
.LBB10_19:                              ;   in Loop: Header=BB10_6 Depth=1
	s_mov_b64 s[2:3], -1
	s_mov_b64 s[6:7], 0
.LBB10_20:                              ;   in Loop: Header=BB10_6 Depth=1
	s_and_b64 vcc, exec, s[2:3]
	s_cbranch_vccz .LBB10_49
.LBB10_21:                              ;   in Loop: Header=BB10_6 Depth=1
	s_mov_b64 s[26:27], exec
	v_readlane_b32 s2, v52, 33
	v_readlane_b32 s3, v52, 34
	s_and_b64 s[2:3], s[26:27], s[2:3]
	s_mov_b64 exec, s[2:3]
	s_cbranch_execz .LBB10_46
; %bb.22:                               ;   in Loop: Header=BB10_6 Depth=1
	v_readlane_b32 s2, v52, 40
	v_readlane_b32 s3, v52, 41
	s_nop 4
	global_load_ushort v1, v23, s[2:3]
	global_load_ubyte v42, v[13:14], off
	v_mov_b32_e32 v2, v0
	s_waitcnt vmcnt(1)
	v_readfirstlane_b32 s8, v1
	v_add_u32_e32 v1, v0, v1
	v_cmp_gt_u32_e32 vcc, s36, v1
	s_and_saveexec_b64 s[30:31], vcc
	s_cbranch_execz .LBB10_45
; %bb.23:                               ;   in Loop: Header=BB10_6 Depth=1
	v_readlane_b32 s2, v51, 0
	s_mov_b64 s[6:7], 0
	s_mul_i32 s9, s2, s8
                                        ; implicit-def: $vgpr2
                                        ; implicit-def: $vgpr5
                                        ; implicit-def: $vgpr4
                                        ; implicit-def: $vgpr3
	s_mov_b64 s[2:3], exec
	v_readlane_b32 s12, v52, 42
	v_readlane_b32 s13, v52, 43
	s_and_b64 s[12:13], s[2:3], s[12:13]
	s_xor_b64 s[34:35], s[12:13], s[2:3]
	s_mov_b64 exec, s[12:13]
	s_cbranch_execnz .LBB10_29
; %bb.24:                               ;   in Loop: Header=BB10_6 Depth=1
	s_andn2_saveexec_b64 s[2:3], s[34:35]
	s_cbranch_execnz .LBB10_40
.LBB10_25:                              ;   in Loop: Header=BB10_6 Depth=1
	s_or_b64 exec, exec, s[2:3]
	s_and_saveexec_b64 s[2:3], s[6:7]
	s_cbranch_execnz .LBB10_41
	s_branch .LBB10_44
.LBB10_26:                              ;   in Loop: Header=BB10_6 Depth=1
	s_or_b64 exec, exec, s[12:13]
	s_waitcnt lgkmcnt(0)
	s_barrier
	s_mov_b64 s[6:7], exec
	v_readlane_b32 s8, v52, 22
	v_readlane_b32 s9, v52, 23
	s_and_b64 s[8:9], s[6:7], s[8:9]
	s_mov_b64 exec, s[8:9]
	s_cbranch_execz .LBB10_28
; %bb.27:                               ;   in Loop: Header=BB10_6 Depth=1
	ds_read_b32 v1, v23 offset:4104
	s_waitcnt lgkmcnt(0)
	ds_write_b32 v23, v1 offset:4096
.LBB10_28:                              ;   in Loop: Header=BB10_6 Depth=1
	s_or_b64 exec, exec, s[6:7]
	s_waitcnt lgkmcnt(0)
	s_barrier
	s_mov_b64 s[6:7], -1
	s_and_b64 vcc, exec, s[2:3]
	s_cbranch_vccnz .LBB10_21
	s_branch .LBB10_49
.LBB10_29:                              ;   in Loop: Header=BB10_6 Depth=1
	v_cvt_f32_u32_e32 v2, s8
	s_sub_i32 s3, 0, s8
	v_add_u32_e32 v3, s8, v1
	v_max_u32_e32 v3, s36, v3
	v_rcp_iflag_f32_e32 v2, v2
	s_lshl_b32 s2, s8, 1
	v_sub_u32_e32 v3, v3, v0
	v_cmp_ne_u32_e32 vcc, s2, v3
	v_mul_f32_e32 v2, 0x4f7ffffe, v2
	v_cvt_u32_f32_e32 v2, v2
	v_cndmask_b32_e64 v6, 0, 1, vcc
	v_or_b32_e32 v6, s2, v6
	v_sub_u32_e32 v3, v3, v6
	v_mul_lo_u32 v4, s3, v2
	s_not_b32 s6, s9
	s_ashr_i32 s14, s6, 31
	v_readlane_b32 s3, v51, 0
	v_mul_hi_u32 v4, v2, v4
	s_abs_i32 s12, s9
	v_mul_lo_u32 v5, s3, v1
	s_cmp_eq_u32 s8, 1
	v_add_u32_e32 v2, v2, v4
	v_mul_hi_u32 v4, v3, v2
	v_xor_b32_e32 v5, s14, v5
	s_mov_b64 s[2:3], -1
                                        ; implicit-def: $vgpr2
	v_mul_lo_u32 v6, v4, s8
	v_add_u32_e32 v7, 1, v4
	v_sub_u32_e32 v3, v3, v6
	v_subrev_u32_e32 v6, s8, v3
	v_cmp_le_u32_e64 s[6:7], s8, v3
	v_cndmask_b32_e64 v4, v4, v7, s[6:7]
	v_cndmask_b32_e64 v3, v3, v6, s[6:7]
	v_add_u32_e32 v6, 1, v4
	v_cmp_le_u32_e64 s[6:7], s8, v3
	v_cndmask_b32_e64 v3, v4, v6, s[6:7]
	v_addc_co_u32_e32 v3, vcc, 0, v3, vcc
	v_mul_hi_u32 v4, s12, v3
	v_mul_lo_u32 v3, s12, v3
	s_cselect_b64 s[12:13], -1, 0
	v_cmp_eq_u32_e32 vcc, 0, v4
	v_cmp_le_u32_e64 s[6:7], v3, v5
	s_and_b64 s[12:13], vcc, s[12:13]
	s_and_b64 s[12:13], s[12:13], s[6:7]
	v_mov_b32_e32 v4, v0
	s_and_saveexec_b64 s[6:7], s[12:13]
	s_cbranch_execz .LBB10_39
; %bb.30:                               ;   in Loop: Header=BB10_6 Depth=1
	v_add_u32_e32 v4, 3, v1
	v_add_u32_e32 v3, 2, v1
	;; [unrolled: 1-line block ×3, first 2 shown]
	v_mov_b32_e32 v8, v4
	s_waitcnt vmcnt(0)
	v_lshlrev_b32_e32 v43, 24, v42
	v_mov_b32_e32 v9, 0
	v_mov_b32_e32 v7, v3
	v_mov_b32_e32 v6, v2
	v_mov_b32_e32 v5, v1
                                        ; implicit-def: $vgpr42
	s_mov_b64 s[14:15], exec
	v_readlane_b32 s2, v52, 45
	v_readlane_b32 s3, v52, 46
	s_and_b64 s[2:3], s[14:15], s[2:3]
	s_mov_b64 exec, s[2:3]
	s_cbranch_execz .LBB10_34
; %bb.31:                               ;   in Loop: Header=BB10_6 Depth=1
	v_mov_b32_e32 v8, v4
	s_mov_b32 s2, 0
	s_mov_b64 s[40:41], 0
	v_mov_b32_e32 v41, v27
	v_mov_b32_e32 v7, v3
	;; [unrolled: 1-line block ×4, first 2 shown]
	v_readlane_b32 s3, v52, 44
	v_readlane_b32 s12, v51, 0
.LBB10_32:                              ;   Parent Loop BB10_6 Depth=1
                                        ; =>  This Inner Loop Header: Depth=2
	v_mul_lo_u32 v2, v5, s12
	v_mul_lo_u32 v9, v6, s3
	;; [unrolled: 1-line block ×3, first 2 shown]
	v_mov_b32_e32 v12, s49
	v_add_co_u32_e32 v2, vcc, s48, v2
	v_addc_co_u32_e32 v3, vcc, 0, v12, vcc
	v_mul_lo_u32 v4, v8, s60
	v_add_co_u32_e32 v9, vcc, s48, v9
	v_addc_co_u32_e32 v10, vcc, 0, v12, vcc
	v_add_co_u32_e32 v44, vcc, s48, v11
	v_addc_co_u32_e32 v45, vcc, 0, v12, vcc
	v_add_co_u32_e32 v46, vcc, s48, v4
	global_load_ubyte v4, v[44:45], off
	s_nop 0
	global_load_ubyte v9, v[9:10], off
	v_add_u32_e32 v10, 4, v7
	global_load_ubyte v2, v[2:3], off
	v_add_u32_e32 v3, 4, v6
	v_mul_lo_u32 v42, v10, s22
	v_mul_lo_u32 v10, v3, s3
	v_addc_co_u32_e32 v47, vcc, 0, v12, vcc
	v_add_u32_e32 v11, 4, v8
	v_mul_lo_u32 v44, v11, s60
	v_add_u32_e32 v41, -4, v41
	s_waitcnt vmcnt(1)
	v_perm_b32 v4, v9, v4, s24
	s_waitcnt vmcnt(0)
	v_perm_b32 v2, v43, v2, s25
	v_lshl_or_b32 v9, v4, 16, v2
	v_add_u32_e32 v2, 4, v5
	v_mul_lo_u32 v2, v2, s12
	v_add_u32_e32 v4, s2, v0
	s_add_i32 s2, s2, 16
	v_add_co_u32_e32 v2, vcc, s48, v2
	v_addc_co_u32_e32 v3, vcc, 0, v12, vcc
	v_add_co_u32_e32 v10, vcc, s48, v10
	v_addc_co_u32_e32 v11, vcc, 0, v12, vcc
	v_add_co_u32_e32 v42, vcc, s48, v42
	v_addc_co_u32_e32 v43, vcc, 0, v12, vcc
	global_load_ubyte v46, v[46:47], off
	s_nop 0
	global_load_ubyte v2, v[2:3], off
	s_nop 0
	;; [unrolled: 2-line block ×3, first 2 shown]
	global_load_ubyte v10, v[10:11], off
	v_add_co_u32_e32 v44, vcc, s48, v44
	v_addc_co_u32_e32 v45, vcc, 0, v12, vcc
	v_add_u32_e32 v11, 8, v7
	v_add_u32_e32 v42, 8, v8
	v_mul_lo_u32 v50, v42, s60
	v_mul_lo_u32 v11, v11, s22
	s_waitcnt vmcnt(2)
	v_perm_b32 v2, v46, v2, s24
	s_waitcnt vmcnt(0)
	v_perm_b32 v3, v10, v3, s24
	v_lshl_or_b32 v10, v3, 16, v2
	v_add_u32_e32 v2, 8, v5
	v_mul_lo_u32 v2, v2, s12
	v_add_u32_e32 v3, 8, v6
	v_mul_lo_u32 v3, v3, s3
	v_add_co_u32_e32 v42, vcc, s48, v2
	v_addc_co_u32_e32 v43, vcc, 0, v12, vcc
	v_add_co_u32_e32 v46, vcc, s48, v3
	v_addc_co_u32_e32 v47, vcc, 0, v12, vcc
	v_add_co_u32_e32 v48, vcc, s48, v11
	global_load_ubyte v11, v[42:43], off
	s_nop 0
	global_load_ubyte v42, v[44:45], off
	v_addc_co_u32_e32 v49, vcc, 0, v12, vcc
	v_add_u32_e32 v45, 12, v8
	v_add_co_u32_e32 v2, vcc, s48, v50
	v_addc_co_u32_e32 v3, vcc, 0, v12, vcc
	v_add_u32_e32 v44, 12, v7
	v_add_u32_e32 v8, 16, v8
	;; [unrolled: 1-line block ×3, first 2 shown]
	s_waitcnt vmcnt(0)
	v_perm_b32 v11, v42, v11, s24
	global_load_ubyte v42, v[48:49], off
	global_load_ubyte v43, v[46:47], off
	v_mul_lo_u32 v49, v45, s60
	v_mul_lo_u32 v47, v44, s22
	s_waitcnt vmcnt(0)
	v_perm_b32 v42, v43, v42, s24
	v_lshl_or_b32 v11, v42, 16, v11
	v_add_u32_e32 v42, 12, v5
	v_mul_lo_u32 v42, v42, s12
	v_add_u32_e32 v43, 12, v6
	v_mul_lo_u32 v45, v43, s3
	v_add_u32_e32 v6, 16, v6
	v_add_co_u32_e32 v43, vcc, s48, v42
	v_addc_co_u32_e32 v44, vcc, 0, v12, vcc
	v_add_co_u32_e32 v45, vcc, s48, v45
	v_addc_co_u32_e32 v46, vcc, 0, v12, vcc
	v_add_co_u32_e32 v47, vcc, s48, v47
	v_addc_co_u32_e32 v48, vcc, 0, v12, vcc
	v_add_co_u32_e32 v49, vcc, s48, v49
	v_addc_co_u32_e32 v50, vcc, 0, v12, vcc
	global_load_ubyte v42, v[49:50], off
	global_load_ubyte v12, v[45:46], off
	s_nop 0
	global_load_ubyte v44, v[43:44], off
	v_cmp_eq_u32_e32 vcc, 0, v41
	global_load_ubyte v45, v[47:48], off
	v_add_u32_e32 v5, 16, v5
	global_load_ubyte v2, v[2:3], off
	s_or_b64 s[40:41], vcc, s[40:41]
	s_waitcnt vmcnt(2)
	v_perm_b32 v43, v44, v12, s24
	s_waitcnt vmcnt(1)
	v_perm_b32 v3, v12, v45, s24
	v_perm_b32 v46, v45, v42, s24
	s_waitcnt vmcnt(0)
	v_perm_b32 v2, v2, v44, s24
	v_lshl_or_b32 v12, v3, 16, v2
	v_lshl_or_b32 v43, v46, 16, v43
	ds_write_b128 v4, v[9:12]
	v_mov_b32_e32 v9, s2
	s_andn2_b64 exec, exec, s[40:41]
	s_cbranch_execnz .LBB10_32
; %bb.33:                               ;   in Loop: Header=BB10_6 Depth=1
	s_or_b64 exec, exec, s[40:41]
.LBB10_34:                              ;   in Loop: Header=BB10_6 Depth=1
	s_or_b64 exec, exec, s[14:15]
	s_mov_b64 s[2:3], exec
	v_readlane_b32 s12, v52, 47
	v_readlane_b32 s13, v52, 48
	s_and_b64 s[12:13], s[2:3], s[12:13]
	s_mov_b64 exec, s[12:13]
	s_cbranch_execz .LBB10_38
; %bb.35:                               ;   in Loop: Header=BB10_6 Depth=1
	v_add_u32_e32 v2, v0, v9
	s_mov_b64 s[12:13], 0
	v_mov_b32_e32 v3, v30
	v_readlane_b32 s14, v52, 44
	v_readlane_b32 s15, v51, 0
.LBB10_36:                              ;   Parent Loop BB10_6 Depth=1
                                        ; =>  This Inner Loop Header: Depth=2
	v_mul_lo_u32 v9, v5, s15
	v_mul_lo_u32 v11, v6, s14
	;; [unrolled: 1-line block ×3, first 2 shown]
	v_mov_b32_e32 v45, s49
	v_add_co_u32_e32 v9, vcc, s48, v9
	v_addc_co_u32_e32 v10, vcc, 0, v45, vcc
	v_mul_lo_u32 v4, v8, s60
	v_add_co_u32_e32 v11, vcc, s48, v11
	v_addc_co_u32_e32 v12, vcc, 0, v45, vcc
	v_add_co_u32_e32 v41, vcc, s48, v41
	v_addc_co_u32_e32 v42, vcc, 0, v45, vcc
	;; [unrolled: 2-line block ×3, first 2 shown]
	global_load_ubyte v4, v[11:12], off
	s_nop 0
	global_load_ubyte v11, v[41:42], off
	s_nop 0
	global_load_ubyte v42, v[44:45], off
	s_nop 0
	global_load_ubyte v9, v[9:10], off
	v_add_u32_e32 v3, -4, v3
	v_cmp_eq_u32_e32 vcc, 0, v3
	v_add_u32_e32 v8, 4, v8
	v_add_u32_e32 v7, 4, v7
	;; [unrolled: 1-line block ×4, first 2 shown]
	s_or_b64 s[12:13], vcc, s[12:13]
	s_waitcnt vmcnt(1)
	v_perm_b32 v12, v11, v42, s24
	s_waitcnt vmcnt(0)
	v_perm_b32 v10, v9, v4, s24
	v_perm_b32 v4, v4, v11, s24
	v_perm_b32 v9, v43, v9, s25
	v_lshl_or_b32 v4, v4, 16, v9
	v_lshl_or_b32 v43, v12, 16, v10
	ds_write_b32 v2, v4
	v_add_u32_e32 v2, 4, v2
	s_andn2_b64 exec, exec, s[12:13]
	s_cbranch_execnz .LBB10_36
; %bb.37:                               ;   in Loop: Header=BB10_6 Depth=1
	s_or_b64 exec, exec, s[12:13]
.LBB10_38:                              ;   in Loop: Header=BB10_6 Depth=1
	s_or_b64 exec, exec, s[2:3]
	v_readlane_b32 s2, v52, 49
	v_add_u32_e32 v1, v1, v25
	v_readlane_b32 s3, v52, 50
	v_add_u32_e32 v2, -1, v1
	s_orn2_b64 s[2:3], s[2:3], exec
	v_mov_b32_e32 v4, v26
.LBB10_39:                              ;   in Loop: Header=BB10_6 Depth=1
	s_or_b64 exec, exec, s[6:7]
	v_mov_b32_e32 v3, s9
	s_and_b64 s[6:7], s[2:3], exec
	s_waitcnt vmcnt(0)
	v_mov_b32_e32 v5, v42
	s_andn2_saveexec_b64 s[2:3], s[34:35]
	s_cbranch_execz .LBB10_25
.LBB10_40:                              ;   in Loop: Header=BB10_6 Depth=1
	v_mov_b32_e32 v3, s9
	s_or_b64 s[6:7], s[6:7], exec
	s_waitcnt vmcnt(0)
	v_mov_b32_e32 v5, v42
	v_mov_b32_e32 v4, v0
	s_or_b64 exec, exec, s[2:3]
	s_and_saveexec_b64 s[2:3], s[6:7]
	s_cbranch_execz .LBB10_44
.LBB10_41:                              ;   in Loop: Header=BB10_6 Depth=1
	v_readlane_b32 s6, v51, 0
	v_mul_lo_u32 v2, s6, v1
	s_sub_i32 s9, 0, s8
	s_mov_b64 s[6:7], 0
.LBB10_42:                              ;   Parent Loop BB10_6 Depth=1
                                        ; =>  This Inner Loop Header: Depth=2
	global_load_ubyte v42, v2, s[48:49]
	v_mov_b32_e32 v6, v1
	v_add_u32_e32 v1, s8, v6
	v_cmp_le_u32_e32 vcc, s36, v1
	ds_write_b8 v4, v5
	v_add_u32_e32 v2, v2, v3
	s_or_b64 s[6:7], vcc, s[6:7]
	v_mov_b32_e32 v4, v6
	s_waitcnt vmcnt(0)
	v_mov_b32_e32 v5, v42
	s_andn2_b64 exec, exec, s[6:7]
	s_cbranch_execnz .LBB10_42
; %bb.43:                               ;   in Loop: Header=BB10_6 Depth=1
	s_or_b64 exec, exec, s[6:7]
	v_add_u32_e32 v2, s9, v1
.LBB10_44:                              ;   in Loop: Header=BB10_6 Depth=1
	s_or_b64 exec, exec, s[2:3]
.LBB10_45:                              ;   in Loop: Header=BB10_6 Depth=1
	s_or_b64 exec, exec, s[30:31]
	s_waitcnt vmcnt(0)
	ds_write_b8 v2, v42
.LBB10_46:                              ;   in Loop: Header=BB10_6 Depth=1
	s_or_b64 exec, exec, s[26:27]
	s_waitcnt lgkmcnt(0)
	s_barrier
	s_mov_b64 s[2:3], exec
	v_readlane_b32 s6, v52, 22
	v_readlane_b32 s7, v52, 23
	s_and_b64 s[6:7], s[2:3], s[6:7]
	s_mov_b64 exec, s[6:7]
; %bb.47:                               ;   in Loop: Header=BB10_6 Depth=1
	v_mov_b32_e32 v1, s36
	ds_write_b32 v23, v1 offset:4096
; %bb.48:                               ;   in Loop: Header=BB10_6 Depth=1
	s_or_b64 exec, exec, s[2:3]
	s_mov_b64 s[6:7], -1
	s_waitcnt lgkmcnt(0)
	s_barrier
.LBB10_49:                              ;   in Loop: Header=BB10_6 Depth=1
	s_mov_b32 s16, 0
	s_and_b64 vcc, exec, s[6:7]
	s_cbranch_vccz .LBB10_51
; %bb.50:                               ;   in Loop: Header=BB10_6 Depth=1
	ds_read_b32 v1, v23 offset:4096
	s_waitcnt lgkmcnt(0)
	v_readfirstlane_b32 s16, v1
.LBB10_51:                              ;   in Loop: Header=BB10_6 Depth=1
	s_cmp_lt_i32 s16, 1
	s_mov_b64 s[2:3], -1
                                        ; implicit-def: $vgpr4
	s_cbranch_scc1 .LBB10_61
; %bb.52:                               ;   in Loop: Header=BB10_6 Depth=1
	s_and_b64 vcc, exec, s[2:3]
	s_cbranch_vccnz .LBB10_72
.LBB10_53:                              ;   in Loop: Header=BB10_6 Depth=1
	s_lshl_b32 s8, s62, 6
	s_and_saveexec_b64 s[2:3], s[0:1]
.LBB10_54:                              ;   in Loop: Header=BB10_6 Depth=1
	v_lshl_add_u32 v5, s8, 2, v24
	ds_write_b128 v5, v[1:4]
.LBB10_55:                              ;   in Loop: Header=BB10_6 Depth=1
	s_or_b64 exec, exec, s[2:3]
	s_waitcnt lgkmcnt(0)
	s_barrier
	s_mov_b64 s[6:7], exec
	v_readlane_b32 s2, v52, 29
	v_readlane_b32 s3, v52, 30
	s_and_b64 s[2:3], s[6:7], s[2:3]
	s_mov_b64 exec, s[2:3]
	s_cbranch_execz .LBB10_86
; %bb.56:                               ;   in Loop: Header=BB10_6 Depth=1
	v_readlane_b32 s2, v52, 35
	v_readlane_b32 s3, v52, 36
	v_mov_b32_e32 v1, 0
	s_andn2_b64 vcc, exec, s[2:3]
	s_cbranch_vccnz .LBB10_85
; %bb.57:                               ;   in Loop: Header=BB10_6 Depth=1
	v_readlane_b32 s2, v52, 51
	v_readlane_b32 s3, v52, 52
	s_andn2_b64 vcc, exec, s[2:3]
	s_cbranch_vccnz .LBB10_81
; %bb.58:                               ;   in Loop: Header=BB10_6 Depth=1
	v_lshl_add_u32 v2, s62, 8, v36
	s_mov_b32 s2, 0
	v_mov_b32_e32 v1, 0
.LBB10_59:                              ;   Parent Loop BB10_6 Depth=1
                                        ; =>  This Inner Loop Header: Depth=2
	ds_read2_b32 v[3:4], v2 offset1:4
	ds_read2_b32 v[5:6], v2 offset0:8 offset1:12
	s_add_i32 s2, s2, 8
	s_cmp_eq_u32 s23, s2
	s_waitcnt lgkmcnt(1)
	v_add3_u32 v1, v3, v1, v4
	ds_read2_b32 v[3:4], v2 offset0:16 offset1:20
	s_waitcnt lgkmcnt(1)
	v_add3_u32 v1, v5, v1, v6
	s_waitcnt lgkmcnt(0)
	v_add3_u32 v1, v3, v1, v4
	ds_read2_b32 v[3:4], v2 offset0:24 offset1:28
	v_add_u32_e32 v2, 0x80, v2
	s_waitcnt lgkmcnt(0)
	v_add3_u32 v1, v3, v1, v4
	s_cbranch_scc0 .LBB10_59
; %bb.60:                               ;   in Loop: Header=BB10_6 Depth=1
	s_mov_b32 s2, s23
	s_branch .LBB10_82
.LBB10_61:                              ;   in Loop: Header=BB10_6 Depth=1
	v_mov_b32_e32 v1, 0
	v_mov_b32_e32 v2, 0
	;; [unrolled: 1-line block ×4, first 2 shown]
	s_mov_b64 s[40:41], exec
	v_readlane_b32 s2, v52, 57
	v_readlane_b32 s3, v52, 58
	s_and_b64 s[2:3], s[40:41], s[2:3]
	s_mov_b64 exec, s[2:3]
	s_cbranch_execz .LBB10_65
; %bb.62:                               ;   in Loop: Header=BB10_6 Depth=1
	s_mov_b32 s2, 0
	s_mov_b64 s[42:43], 0
	s_mov_b32 s3, 0
	s_mov_b32 s8, 0
	;; [unrolled: 1-line block ×4, first 2 shown]
	v_mov_b32_e32 v5, v20
.LBB10_63:                              ;   Parent Loop BB10_6 Depth=1
                                        ; =>  This Inner Loop Header: Depth=2
	v_add_u32_e32 v1, s2, v34
	global_load_ubyte v1, v1, s[48:49]
	v_add_u32_e32 v2, s2, v31
	global_load_ubyte v2, v2, s[48:49]
	;; [unrolled: 2-line block ×4, first 2 shown]
	v_add_u32_e32 v5, s63, v5
	s_add_i32 s2, s2, s5
	s_waitcnt vmcnt(3)
	v_and_b32_e32 v6, v38, v1
	v_bfe_u32 v1, v1, s10, 2
	v_cmp_eq_u32_e32 vcc, v6, v29
	s_waitcnt vmcnt(2)
	v_and_b32_e32 v6, v38, v2
	v_bfe_u32 v2, v2, s10, 2
	v_cmp_eq_u32_e64 s[34:35], 0, v1
	v_cmp_eq_u32_e64 s[6:7], v6, v29
	s_waitcnt vmcnt(1)
	v_and_b32_e32 v6, v38, v3
	v_bfe_u32 v3, v3, s10, 2
	s_and_b64 s[14:15], vcc, s[34:35]
	v_cmp_eq_u32_e64 s[34:35], 0, v2
	v_cmp_eq_u32_e64 s[26:27], v6, v29
	s_waitcnt vmcnt(0)
	v_and_b32_e32 v6, v38, v4
	v_bfe_u32 v4, v4, s10, 2
	s_and_b64 s[18:19], s[6:7], s[34:35]
	v_cmp_eq_u32_e64 s[34:35], 0, v3
	v_cmp_eq_u32_e64 s[30:31], v6, v29
	s_and_b64 s[24:25], s[26:27], s[34:35]
	v_cmp_eq_u32_e64 s[34:35], 0, v4
	v_cndmask_b32_e64 v6, 0, 1, s[14:15]
	s_and_b64 s[28:29], s[30:31], s[34:35]
	v_cmp_ne_u32_e64 s[34:35], 0, v6
	v_cndmask_b32_e64 v6, 0, 1, s[18:19]
	s_bcnt1_i32_b64 s13, s[34:35]
	v_cmp_ne_u32_e64 s[34:35], 0, v6
	v_cndmask_b32_e64 v6, 0, 1, s[24:25]
	s_bcnt1_i32_b64 s14, s[34:35]
	v_cmp_ne_u32_e64 s[34:35], 0, v6
	v_cndmask_b32_e64 v6, 0, 1, s[28:29]
	s_bcnt1_i32_b64 s15, s[34:35]
	v_cmp_ne_u32_e64 s[34:35], 0, v6
	s_add_i32 s12, s12, s13
	s_bcnt1_i32_b64 s17, s[34:35]
	s_add_i32 s12, s12, s14
	v_cmp_eq_u32_e64 s[34:35], 1, v1
	s_add_i32 s12, s12, s15
	s_and_b64 s[14:15], vcc, s[34:35]
	v_cmp_eq_u32_e64 s[34:35], 1, v2
	s_and_b64 s[18:19], s[6:7], s[34:35]
	v_cmp_eq_u32_e64 s[34:35], 1, v3
	s_and_b64 s[24:25], s[26:27], s[34:35]
	v_cmp_eq_u32_e64 s[34:35], 1, v4
	v_cndmask_b32_e64 v6, 0, 1, s[14:15]
	s_and_b64 s[28:29], s[30:31], s[34:35]
	v_cmp_ne_u32_e64 s[34:35], 0, v6
	v_cndmask_b32_e64 v6, 0, 1, s[18:19]
	s_bcnt1_i32_b64 s13, s[34:35]
	v_cmp_ne_u32_e64 s[34:35], 0, v6
	v_cndmask_b32_e64 v6, 0, 1, s[24:25]
	s_bcnt1_i32_b64 s14, s[34:35]
	;; [unrolled: 3-line block ×3, first 2 shown]
	v_cmp_ne_u32_e64 s[34:35], 0, v6
	s_add_i32 s9, s9, s13
	s_add_i32 s12, s12, s17
	s_bcnt1_i32_b64 s17, s[34:35]
	s_add_i32 s9, s9, s14
	v_cmp_eq_u32_e64 s[34:35], 2, v1
	s_add_i32 s9, s9, s15
	s_and_b64 s[14:15], vcc, s[34:35]
	v_cmp_eq_u32_e64 s[34:35], 2, v2
	s_and_b64 s[18:19], s[6:7], s[34:35]
	v_cmp_eq_u32_e64 s[34:35], 2, v3
	s_and_b64 s[24:25], s[26:27], s[34:35]
	v_cmp_eq_u32_e64 s[34:35], 2, v4
	v_cndmask_b32_e64 v6, 0, 1, s[14:15]
	s_and_b64 s[28:29], s[30:31], s[34:35]
	v_cmp_ne_u32_e64 s[34:35], 0, v6
	v_cndmask_b32_e64 v6, 0, 1, s[18:19]
	s_bcnt1_i32_b64 s13, s[34:35]
	v_cmp_ne_u32_e64 s[34:35], 0, v6
	v_cndmask_b32_e64 v6, 0, 1, s[24:25]
	s_bcnt1_i32_b64 s14, s[34:35]
	;; [unrolled: 3-line block ×3, first 2 shown]
	v_cmp_ne_u32_e64 s[34:35], 0, v6
	s_add_i32 s8, s8, s13
	s_add_i32 s9, s9, s17
	s_bcnt1_i32_b64 s17, s[34:35]
	s_add_i32 s8, s8, s14
	v_cmp_eq_u32_e64 s[34:35], 3, v1
	s_add_i32 s8, s8, s15
	s_and_b64 s[14:15], vcc, s[34:35]
	v_cmp_eq_u32_e32 vcc, 3, v2
	s_and_b64 s[6:7], s[6:7], vcc
	v_cmp_eq_u32_e32 vcc, 3, v3
	s_and_b64 s[18:19], s[26:27], vcc
	v_cmp_eq_u32_e32 vcc, 3, v4
	v_cndmask_b32_e64 v1, 0, 1, s[14:15]
	s_and_b64 s[24:25], s[30:31], vcc
	v_cmp_ne_u32_e32 vcc, 0, v1
	v_cndmask_b32_e64 v1, 0, 1, s[6:7]
	s_bcnt1_i32_b64 s13, vcc
	v_cmp_ne_u32_e32 vcc, 0, v1
	v_cndmask_b32_e64 v1, 0, 1, s[18:19]
	s_bcnt1_i32_b64 s6, vcc
	v_cmp_ne_u32_e32 vcc, 0, v1
	v_cndmask_b32_e64 v1, 0, 1, s[24:25]
	s_add_i32 s3, s3, s13
	s_bcnt1_i32_b64 s7, vcc
	v_cmp_ne_u32_e32 vcc, 0, v1
	s_add_i32 s3, s3, s6
	s_bcnt1_i32_b64 s14, vcc
	s_add_i32 s3, s3, s7
	s_add_i32 s8, s8, s17
	;; [unrolled: 1-line block ×3, first 2 shown]
	v_cmp_le_u32_e32 vcc, s11, v5
	s_or_b64 s[42:43], vcc, s[42:43]
	v_mov_b32_e32 v1, s12
	v_mov_b32_e32 v2, s9
	;; [unrolled: 1-line block ×4, first 2 shown]
	s_andn2_b64 exec, exec, s[42:43]
	s_cbranch_execnz .LBB10_63
; %bb.64:                               ;   in Loop: Header=BB10_6 Depth=1
	s_or_b64 exec, exec, s[42:43]
.LBB10_65:                              ;   in Loop: Header=BB10_6 Depth=1
	s_or_b64 exec, exec, s[40:41]
	s_mov_b64 s[2:3], exec
	v_readlane_b32 s6, v52, 59
	v_readlane_b32 s7, v52, 60
	s_and_b64 s[6:7], s[2:3], s[6:7]
	s_mov_b64 exec, s[6:7]
	s_cbranch_execz .LBB10_71
; %bb.66:                               ;   in Loop: Header=BB10_6 Depth=1
	global_load_ubyte v8, v[15:16], off
	s_mov_b64 s[12:13], 0
	v_mov_b32_e32 v5, v35
	v_mov_b32_e32 v6, v28
	s_branch .LBB10_68
.LBB10_67:                              ;   in Loop: Header=BB10_68 Depth=2
	s_or_b64 exec, exec, s[8:9]
	s_waitcnt vmcnt(0)
	v_and_b32_e32 v8, 0xff, v8
	s_and_b64 s[6:7], exec, vcc
	v_and_b32_e32 v9, v38, v8
	v_bfe_u32 v8, v8, s10, 2
	s_or_b64 s[12:13], s[6:7], s[12:13]
	v_cmp_eq_u32_e32 vcc, v9, v29
	v_cmp_eq_u32_e64 s[6:7], 0, v8
	s_and_b64 s[6:7], vcc, s[6:7]
	v_cndmask_b32_e64 v9, 0, 1, s[6:7]
	v_cmp_ne_u32_e64 s[6:7], 0, v9
	s_bcnt1_i32_b64 s6, s[6:7]
	v_add_u32_e32 v1, s6, v1
	v_cmp_eq_u32_e64 s[6:7], 1, v8
	s_and_b64 s[6:7], vcc, s[6:7]
	v_cndmask_b32_e64 v9, 0, 1, s[6:7]
	v_cmp_ne_u32_e64 s[6:7], 0, v9
	s_bcnt1_i32_b64 s6, s[6:7]
	v_add_u32_e32 v2, s6, v2
	;; [unrolled: 6-line block ×3, first 2 shown]
	v_cmp_eq_u32_e64 s[6:7], 3, v8
	s_and_b64 s[6:7], vcc, s[6:7]
	v_cndmask_b32_e64 v8, 0, 1, s[6:7]
	v_cmp_ne_u32_e32 vcc, 0, v8
	s_bcnt1_i32_b64 s6, vcc
	v_add_u32_e32 v4, s6, v4
	v_add_u32_e32 v5, s61, v5
	v_mov_b32_e32 v8, v7
	s_andn2_b64 exec, exec, s[12:13]
	s_cbranch_execz .LBB10_70
.LBB10_68:                              ;   Parent Loop BB10_6 Depth=1
                                        ; =>  This Inner Loop Header: Depth=2
	v_add_u32_e32 v6, s33, v6
	v_cmp_gt_u32_e64 s[6:7], s36, v6
	v_cmp_le_u32_e32 vcc, s36, v6
	v_mov_b32_e32 v7, 0
	s_and_saveexec_b64 s[8:9], s[6:7]
	s_cbranch_execz .LBB10_67
; %bb.69:                               ;   in Loop: Header=BB10_68 Depth=2
	global_load_ubyte v7, v5, s[48:49]
	s_branch .LBB10_67
.LBB10_70:                              ;   in Loop: Header=BB10_6 Depth=1
	s_or_b64 exec, exec, s[12:13]
.LBB10_71:                              ;   in Loop: Header=BB10_6 Depth=1
	s_or_b64 exec, exec, s[2:3]
	s_branch .LBB10_53
.LBB10_72:                              ;   in Loop: Header=BB10_6 Depth=1
	v_readlane_b32 s2, v52, 56
	s_mul_hi_u32 s2, s16, s2
	s_mul_i32 s2, s2, s63
	s_sub_i32 s2, s16, s2
	s_sub_i32 s3, s2, s63
	s_cmp_ge_u32 s2, s63
	s_cselect_b32 s2, s3, s2
	s_sub_i32 s3, s2, s63
	s_cmp_ge_u32 s2, s63
	s_cselect_b32 s2, s3, s2
	s_sub_i32 s2, s16, s2
	v_cmp_gt_u32_e32 vcc, s2, v20
	v_mov_b32_e32 v1, 0
	v_mov_b32_e32 v2, 0
	;; [unrolled: 1-line block ×4, first 2 shown]
	s_and_saveexec_b64 s[40:41], vcc
	s_cbranch_execz .LBB10_76
; %bb.73:                               ;   in Loop: Header=BB10_6 Depth=1
	s_mov_b32 s3, 0
	s_mov_b64 s[42:43], 0
	s_mov_b32 s8, 0
	s_mov_b32 s9, 0
	;; [unrolled: 1-line block ×3, first 2 shown]
	v_mov_b32_e32 v5, v20
.LBB10_74:                              ;   Parent Loop BB10_6 Depth=1
                                        ; =>  This Inner Loop Header: Depth=2
	ds_read_b32 v1, v5
	v_add_u32_e32 v5, s63, v5
	s_waitcnt lgkmcnt(0)
	v_and_b32_e32 v3, 0xff, v1
	v_bfe_u32 v4, v1, 8, 8
	v_and_b32_e32 v6, v38, v3
	v_bfe_u32 v3, v3, s10, 2
	v_lshrrev_b32_e32 v2, 24, v1
	v_bfe_u32 v1, v1, 16, 8
	v_cmp_eq_u32_e32 vcc, v6, v29
	v_and_b32_e32 v6, v38, v4
	v_bfe_u32 v4, v4, s10, 2
	v_cmp_eq_u32_e64 s[34:35], 0, v3
	v_cmp_eq_u32_e64 s[6:7], v6, v29
	v_and_b32_e32 v6, v38, v1
	v_bfe_u32 v1, v1, s10, 2
	s_and_b64 s[14:15], vcc, s[34:35]
	v_cmp_eq_u32_e64 s[34:35], 0, v4
	v_cmp_eq_u32_e64 s[26:27], v6, v29
	v_and_b32_e32 v6, v38, v2
	v_bfe_u32 v2, v2, s10, 2
	s_and_b64 s[18:19], s[6:7], s[34:35]
	v_cmp_eq_u32_e64 s[34:35], 0, v1
	v_cmp_eq_u32_e64 s[30:31], v6, v29
	s_and_b64 s[24:25], s[26:27], s[34:35]
	v_cmp_eq_u32_e64 s[34:35], 0, v2
	v_cndmask_b32_e64 v6, 0, 1, s[14:15]
	s_and_b64 s[28:29], s[30:31], s[34:35]
	v_cmp_ne_u32_e64 s[34:35], 0, v6
	v_cndmask_b32_e64 v6, 0, 1, s[18:19]
	s_bcnt1_i32_b64 s13, s[34:35]
	v_cmp_ne_u32_e64 s[34:35], 0, v6
	v_cndmask_b32_e64 v6, 0, 1, s[24:25]
	s_bcnt1_i32_b64 s14, s[34:35]
	;; [unrolled: 3-line block ×3, first 2 shown]
	v_cmp_ne_u32_e64 s[34:35], 0, v6
	s_add_i32 s12, s12, s13
	s_bcnt1_i32_b64 s17, s[34:35]
	s_add_i32 s12, s12, s14
	v_cmp_eq_u32_e64 s[34:35], 1, v3
	s_add_i32 s12, s12, s15
	s_and_b64 s[14:15], vcc, s[34:35]
	v_cmp_eq_u32_e64 s[34:35], 1, v4
	s_and_b64 s[18:19], s[6:7], s[34:35]
	v_cmp_eq_u32_e64 s[34:35], 1, v1
	s_and_b64 s[24:25], s[26:27], s[34:35]
	v_cmp_eq_u32_e64 s[34:35], 1, v2
	v_cndmask_b32_e64 v6, 0, 1, s[14:15]
	s_and_b64 s[28:29], s[30:31], s[34:35]
	v_cmp_ne_u32_e64 s[34:35], 0, v6
	v_cndmask_b32_e64 v6, 0, 1, s[18:19]
	s_bcnt1_i32_b64 s13, s[34:35]
	v_cmp_ne_u32_e64 s[34:35], 0, v6
	v_cndmask_b32_e64 v6, 0, 1, s[24:25]
	s_bcnt1_i32_b64 s14, s[34:35]
	;; [unrolled: 3-line block ×3, first 2 shown]
	v_cmp_ne_u32_e64 s[34:35], 0, v6
	s_add_i32 s9, s9, s13
	s_add_i32 s12, s12, s17
	s_bcnt1_i32_b64 s17, s[34:35]
	s_add_i32 s9, s9, s14
	v_cmp_eq_u32_e64 s[34:35], 2, v3
	s_add_i32 s9, s9, s15
	s_and_b64 s[14:15], vcc, s[34:35]
	v_cmp_eq_u32_e64 s[34:35], 2, v4
	s_and_b64 s[18:19], s[6:7], s[34:35]
	v_cmp_eq_u32_e64 s[34:35], 2, v1
	s_and_b64 s[24:25], s[26:27], s[34:35]
	v_cmp_eq_u32_e64 s[34:35], 2, v2
	v_cndmask_b32_e64 v6, 0, 1, s[14:15]
	s_and_b64 s[28:29], s[30:31], s[34:35]
	v_cmp_ne_u32_e64 s[34:35], 0, v6
	v_cndmask_b32_e64 v6, 0, 1, s[18:19]
	s_bcnt1_i32_b64 s13, s[34:35]
	v_cmp_ne_u32_e64 s[34:35], 0, v6
	v_cndmask_b32_e64 v6, 0, 1, s[24:25]
	s_bcnt1_i32_b64 s14, s[34:35]
	;; [unrolled: 3-line block ×3, first 2 shown]
	v_cmp_ne_u32_e64 s[34:35], 0, v6
	s_add_i32 s8, s8, s13
	s_add_i32 s9, s9, s17
	s_bcnt1_i32_b64 s17, s[34:35]
	s_add_i32 s8, s8, s14
	v_cmp_eq_u32_e64 s[34:35], 3, v3
	s_add_i32 s8, s8, s15
	s_and_b64 s[14:15], vcc, s[34:35]
	v_cmp_eq_u32_e32 vcc, 3, v4
	s_and_b64 s[6:7], s[6:7], vcc
	v_cmp_eq_u32_e32 vcc, 3, v1
	s_and_b64 s[18:19], s[26:27], vcc
	v_cmp_eq_u32_e32 vcc, 3, v2
	v_cndmask_b32_e64 v1, 0, 1, s[14:15]
	s_and_b64 s[24:25], s[30:31], vcc
	v_cmp_ne_u32_e32 vcc, 0, v1
	v_cndmask_b32_e64 v1, 0, 1, s[6:7]
	s_bcnt1_i32_b64 s13, vcc
	v_cmp_ne_u32_e32 vcc, 0, v1
	v_cndmask_b32_e64 v1, 0, 1, s[18:19]
	s_bcnt1_i32_b64 s6, vcc
	v_cmp_ne_u32_e32 vcc, 0, v1
	v_cndmask_b32_e64 v1, 0, 1, s[24:25]
	s_add_i32 s3, s3, s13
	s_bcnt1_i32_b64 s7, vcc
	v_cmp_ne_u32_e32 vcc, 0, v1
	s_add_i32 s3, s3, s6
	s_bcnt1_i32_b64 s14, vcc
	s_add_i32 s3, s3, s7
	s_add_i32 s8, s8, s17
	;; [unrolled: 1-line block ×3, first 2 shown]
	v_cmp_le_u32_e32 vcc, s2, v5
	s_or_b64 s[42:43], vcc, s[42:43]
	v_mov_b32_e32 v1, s12
	v_mov_b32_e32 v2, s9
	v_mov_b32_e32 v3, s8
	v_mov_b32_e32 v4, s3
	s_andn2_b64 exec, exec, s[42:43]
	s_cbranch_execnz .LBB10_74
; %bb.75:                               ;   in Loop: Header=BB10_6 Depth=1
	s_or_b64 exec, exec, s[42:43]
.LBB10_76:                              ;   in Loop: Header=BB10_6 Depth=1
	s_or_b64 exec, exec, s[40:41]
	v_add_u32_e32 v5, s2, v0
	v_cmp_gt_u32_e32 vcc, s16, v5
	s_and_saveexec_b64 s[12:13], vcc
	s_cbranch_execz .LBB10_80
; %bb.77:                               ;   in Loop: Header=BB10_6 Depth=1
	s_mov_b64 s[14:15], 0
.LBB10_78:                              ;   Parent Loop BB10_6 Depth=1
                                        ; =>  This Inner Loop Header: Depth=2
	ds_read_u8 v6, v5
	v_add_u32_e32 v5, s33, v5
	s_waitcnt lgkmcnt(0)
	v_and_b32_e32 v7, v38, v6
	v_bfe_u32 v6, v6, s10, 2
	v_cmp_eq_u32_e32 vcc, v7, v29
	v_cmp_eq_u32_e64 s[6:7], 0, v6
	s_and_b64 s[2:3], vcc, s[6:7]
	v_cndmask_b32_e64 v7, 0, 1, s[2:3]
	v_cmp_ne_u32_e64 s[6:7], 0, v7
	s_bcnt1_i32_b64 s2, s[6:7]
	v_cmp_eq_u32_e64 s[6:7], 1, v6
	v_add_u32_e32 v1, s2, v1
	s_and_b64 s[2:3], vcc, s[6:7]
	v_cndmask_b32_e64 v7, 0, 1, s[2:3]
	v_cmp_ne_u32_e64 s[6:7], 0, v7
	s_bcnt1_i32_b64 s2, s[6:7]
	v_cmp_eq_u32_e64 s[6:7], 2, v6
	v_add_u32_e32 v2, s2, v2
	;; [unrolled: 6-line block ×3, first 2 shown]
	s_and_b64 s[2:3], vcc, s[6:7]
	v_cndmask_b32_e64 v6, 0, 1, s[2:3]
	v_cmp_ne_u32_e32 vcc, 0, v6
	s_bcnt1_i32_b64 s2, vcc
	v_cmp_le_u32_e32 vcc, s16, v5
	v_add_u32_e32 v4, s2, v4
	s_or_b64 s[14:15], vcc, s[14:15]
	s_andn2_b64 exec, exec, s[14:15]
	s_cbranch_execnz .LBB10_78
; %bb.79:                               ;   in Loop: Header=BB10_6 Depth=1
	s_or_b64 exec, exec, s[14:15]
.LBB10_80:                              ;   in Loop: Header=BB10_6 Depth=1
	s_or_b64 exec, exec, s[12:13]
	s_lshl_b32 s8, s62, 6
	s_and_saveexec_b64 s[2:3], s[0:1]
	s_cbranch_execnz .LBB10_54
	s_branch .LBB10_55
.LBB10_81:                              ;   in Loop: Header=BB10_6 Depth=1
	v_mov_b32_e32 v1, 0
	s_mov_b32 s2, 0
.LBB10_82:                              ;   in Loop: Header=BB10_6 Depth=1
	v_readlane_b32 s12, v52, 54
	v_readlane_b32 s13, v52, 55
	s_andn2_b64 vcc, exec, s[12:13]
	s_cbranch_vccnz .LBB10_85
; %bb.83:                               ;   in Loop: Header=BB10_6 Depth=1
	s_lshl_b32 s3, s62, 8
	s_lshl_b32 s2, s2, 4
	s_add_i32 s3, s3, s2
	v_add_u32_e32 v2, s3, v36
	v_readlane_b32 s2, v52, 53
.LBB10_84:                              ;   Parent Loop BB10_6 Depth=1
                                        ; =>  This Inner Loop Header: Depth=2
	ds_read_b32 v3, v2
	s_add_i32 s2, s2, -1
	v_add_u32_e32 v2, 16, v2
	s_cmp_lg_u32 s2, 0
	s_waitcnt lgkmcnt(0)
	v_add_u32_e32 v1, v3, v1
	s_cbranch_scc1 .LBB10_84
.LBB10_85:                              ;   in Loop: Header=BB10_6 Depth=1
	v_add_lshl_u32 v2, s8, v21, 2
	ds_write_b32 v2, v1 offset:3072
.LBB10_86:                              ;   in Loop: Header=BB10_6 Depth=1
	s_or_b64 exec, exec, s[6:7]
	s_lshl_b32 s2, s8, 2
	v_mov_b32_e32 v1, s2
	s_waitcnt lgkmcnt(0)
	s_barrier
	ds_read_b128 v[1:4], v1 offset:3072
	v_readlane_b32 s2, v52, 27
	s_mov_b32 s20, s22
	s_lshl_b32 s22, 3, s10
	v_readlane_b32 s3, v52, 28
	s_waitcnt lgkmcnt(0)
	v_readfirstlane_b32 s21, v1
	v_readfirstlane_b32 s39, v2
	v_readfirstlane_b32 s58, v3
	v_readfirstlane_b32 s59, v4
	s_not_b32 s38, s22
	v_cmp_eq_u32_e64 s[26:27], 1, v40
	s_mov_b64 s[52:53], -1
	s_mov_b64 s[30:31], 0
	s_andn2_b64 vcc, exec, s[2:3]
	s_mov_b64 s[92:93], 0
	s_mov_b64 s[34:35], 0
                                        ; implicit-def: $sgpr94_sgpr95
                                        ; implicit-def: $sgpr50_sgpr51
                                        ; implicit-def: $vgpr4
                                        ; implicit-def: $vgpr1
                                        ; implicit-def: $vgpr3
                                        ; implicit-def: $vgpr2
                                        ; implicit-def: $vgpr5
	s_cbranch_vccnz .LBB10_244
; %bb.87:                               ;   in Loop: Header=BB10_6 Depth=1
	s_cmp_eq_u32 s21, 1
	s_cselect_b64 s[2:3], -1, 0
	s_and_b64 s[6:7], s[2:3], s[26:27]
	s_mov_b64 s[2:3], -1
	v_mov_b32_e32 v3, v29
	v_mov_b32_e32 v2, v38
	;; [unrolled: 1-line block ×3, first 2 shown]
                                        ; implicit-def: $sgpr50_sgpr51
                                        ; implicit-def: $sgpr94_sgpr95
	s_and_saveexec_b64 s[12:13], s[6:7]
	s_cbranch_execz .LBB10_113
; %bb.88:                               ;   in Loop: Header=BB10_6 Depth=1
	ds_read_b32 v1, v23 offset:4096
	s_waitcnt lgkmcnt(0)
	s_barrier
	v_readfirstlane_b32 s8, v1
	s_mov_b64 s[2:3], exec
	v_readlane_b32 s14, v52, 37
	v_readlane_b32 s15, v52, 38
	s_and_b64 s[14:15], s[2:3], s[14:15]
	s_mov_b64 exec, s[14:15]
; %bb.89:                               ;   in Loop: Header=BB10_6 Depth=1
	ds_write_b8 v0, v23 offset:3072
; %bb.90:                               ;   in Loop: Header=BB10_6 Depth=1
	s_or_b64 exec, exec, s[2:3]
	v_and_b32_e32 v3, s38, v29
	v_or_b32_e32 v2, s22, v38
	s_mov_b64 s[94:95], -1
	s_mov_b64 s[50:51], 0
	s_cmp_eq_u32 s8, 0
	s_mov_b64 s[2:3], 0
	s_mov_b64 s[14:15], -1
	s_waitcnt lgkmcnt(0)
	s_barrier
                                        ; implicit-def: $vgpr5
	s_cbranch_scc1 .LBB10_101
; %bb.91:                               ;   in Loop: Header=BB10_6 Depth=1
	v_readlane_b32 s2, v52, 39
	s_add_i32 s2, s8, s2
	v_readlane_b32 s3, v52, 61
	s_mul_hi_u32 s3, s2, s3
	s_mul_i32 s3, s3, s33
	s_sub_i32 s3, s2, s3
	s_sub_i32 s9, s3, s33
	s_cmp_ge_u32 s3, s33
	s_cselect_b32 s3, s9, s3
	s_sub_i32 s9, s3, s33
	s_cmp_ge_u32 s3, s33
	s_cselect_b32 s3, s9, s3
	s_sub_i32 s9, s2, s3
	v_cmp_gt_u32_e32 vcc, s9, v0
	s_mov_b64 s[14:15], 0
	s_mov_b64 s[2:3], 0
                                        ; implicit-def: $vgpr5
	s_and_saveexec_b64 s[16:17], vcc
	s_cbranch_execz .LBB10_100
; %bb.92:                               ;   in Loop: Header=BB10_6 Depth=1
	v_mov_b32_e32 v1, v0
                                        ; implicit-def: $sgpr18_sgpr19
	s_branch .LBB10_95
.LBB10_93:                              ;   in Loop: Header=BB10_95 Depth=2
	s_or_b64 exec, exec, s[24:25]
	s_waitcnt lgkmcnt(0)
	s_barrier
	ds_read_u16 v4, v23 offset:3072
	s_mov_b64 s[24:25], -1
	s_waitcnt lgkmcnt(0)
	s_barrier
	v_cmp_ne_u32_sdwa s[28:29], v4, v23 src0_sel:BYTE_0 src1_sel:DWORD
	s_and_b64 vcc, exec, s[28:29]
	s_mov_b64 s[28:29], -1
	s_cbranch_vccz .LBB10_98
.LBB10_94:                              ;   in Loop: Header=BB10_95 Depth=2
	s_and_b64 s[24:25], exec, s[24:25]
	s_or_b64 s[2:3], s[24:25], s[2:3]
	s_andn2_b64 s[18:19], s[18:19], exec
	s_and_b64 s[24:25], s[28:29], exec
	s_or_b64 s[18:19], s[18:19], s[24:25]
	s_andn2_b64 exec, exec, s[2:3]
	s_cbranch_execz .LBB10_99
.LBB10_95:                              ;   Parent Loop BB10_6 Depth=1
                                        ; =>  This Inner Loop Header: Depth=2
	v_cmp_gt_u32_e32 vcc, s8, v1
	s_and_saveexec_b64 s[24:25], vcc
	s_cbranch_execz .LBB10_93
; %bb.96:                               ;   in Loop: Header=BB10_95 Depth=2
	ds_read_u8 v4, v1
	s_waitcnt lgkmcnt(0)
	v_and_b32_e32 v5, v4, v2
	v_cmp_eq_u32_sdwa s[28:29], v5, v3 src0_sel:BYTE_0 src1_sel:DWORD
	s_and_b64 exec, exec, s[28:29]
	s_cbranch_execz .LBB10_93
; %bb.97:                               ;   in Loop: Header=BB10_95 Depth=2
	v_lshlrev_b16_e32 v4, 8, v4
	v_or_b32_e32 v4, 1, v4
	ds_write_b16 v23, v4 offset:3072
	s_branch .LBB10_93
.LBB10_98:                              ;   in Loop: Header=BB10_95 Depth=2
	v_add_u32_e32 v1, s33, v1
	v_cmp_le_u32_e32 vcc, s9, v1
	s_mov_b64 s[28:29], 0
	s_orn2_b64 s[24:25], vcc, exec
	s_branch .LBB10_94
.LBB10_99:                              ;   in Loop: Header=BB10_6 Depth=1
	s_or_b64 exec, exec, s[2:3]
	v_lshrrev_b32_sdwa v5, v37, v4 dst_sel:DWORD dst_unused:UNUSED_PAD src0_sel:DWORD src1_sel:WORD_0
	s_and_b64 s[2:3], s[18:19], exec
.LBB10_100:                             ;   in Loop: Header=BB10_6 Depth=1
	s_or_b64 exec, exec, s[16:17]
.LBB10_101:                             ;   in Loop: Header=BB10_6 Depth=1
	s_and_b64 vcc, exec, s[14:15]
	s_cbranch_vccz .LBB10_112
; %bb.102:                              ;   in Loop: Header=BB10_6 Depth=1
                                        ; implicit-def: $vgpr5
	s_mov_b64 s[14:15], exec
	v_readlane_b32 s8, v52, 62
	v_readlane_b32 s9, v52, 63
	s_and_b64 s[8:9], s[14:15], s[8:9]
	s_mov_b64 exec, s[8:9]
	s_cbranch_execz .LBB10_111
; %bb.103:                              ;   in Loop: Header=BB10_6 Depth=1
	s_mov_b64 s[16:17], 0
	v_mov_b32_e32 v1, v22
	v_mov_b32_e32 v4, v0
                                        ; implicit-def: $sgpr18_sgpr19
	s_branch .LBB10_106
.LBB10_104:                             ;   in Loop: Header=BB10_106 Depth=2
	s_or_b64 exec, exec, s[24:25]
	s_waitcnt lgkmcnt(0)
	s_barrier
	ds_read_u16 v5, v23 offset:3072
	s_mov_b64 s[24:25], -1
	s_mov_b64 s[28:29], -1
	s_waitcnt lgkmcnt(0)
	s_barrier
	v_cmp_ne_u32_sdwa s[8:9], v5, v23 src0_sel:BYTE_0 src1_sel:DWORD
	s_and_b64 vcc, exec, s[8:9]
	s_cbranch_vccz .LBB10_109
.LBB10_105:                             ;   in Loop: Header=BB10_106 Depth=2
	s_and_b64 s[8:9], exec, s[24:25]
	s_or_b64 s[16:17], s[8:9], s[16:17]
	s_andn2_b64 s[8:9], s[18:19], exec
	s_and_b64 s[18:19], s[28:29], exec
	s_or_b64 s[18:19], s[8:9], s[18:19]
	s_andn2_b64 exec, exec, s[16:17]
	s_cbranch_execz .LBB10_110
.LBB10_106:                             ;   Parent Loop BB10_6 Depth=1
                                        ; =>  This Inner Loop Header: Depth=2
	v_cmp_gt_u32_e32 vcc, s36, v4
	s_and_saveexec_b64 s[24:25], vcc
	s_cbranch_execz .LBB10_104
; %bb.107:                              ;   in Loop: Header=BB10_106 Depth=2
	global_load_ubyte v5, v1, s[48:49]
	s_waitcnt vmcnt(0)
	v_and_b32_e32 v6, v5, v2
	v_cmp_eq_u32_sdwa s[8:9], v6, v3 src0_sel:BYTE_0 src1_sel:DWORD
	s_and_b64 exec, exec, s[8:9]
	s_cbranch_execz .LBB10_104
; %bb.108:                              ;   in Loop: Header=BB10_106 Depth=2
	v_lshlrev_b16_e32 v5, 8, v5
	v_or_b32_e32 v5, 1, v5
	ds_write_b16 v23, v5 offset:3072
	s_branch .LBB10_104
.LBB10_109:                             ;   in Loop: Header=BB10_106 Depth=2
	v_add_u32_e32 v4, s33, v4
	v_cmp_le_u32_e32 vcc, s4, v4
	v_add_u32_e32 v1, s61, v1
	s_mov_b64 s[28:29], 0
	s_orn2_b64 s[24:25], vcc, exec
	s_branch .LBB10_105
.LBB10_110:                             ;   in Loop: Header=BB10_6 Depth=1
	s_or_b64 exec, exec, s[16:17]
	s_andn2_b64 s[2:3], s[2:3], exec
	s_and_b64 s[8:9], s[18:19], exec
	v_lshrrev_b32_sdwa v5, v37, v5 dst_sel:DWORD dst_unused:UNUSED_PAD src0_sel:DWORD src1_sel:WORD_0
	s_or_b64 s[2:3], s[2:3], s[8:9]
.LBB10_111:                             ;   in Loop: Header=BB10_6 Depth=1
	s_or_b64 exec, exec, s[14:15]
	s_mov_b64 s[94:95], 0
	s_mov_b64 s[50:51], -1
.LBB10_112:                             ;   in Loop: Header=BB10_6 Depth=1
	s_orn2_b64 s[2:3], s[2:3], exec
.LBB10_113:                             ;   in Loop: Header=BB10_6 Depth=1
	s_or_b64 exec, exec, s[12:13]
	s_mov_b64 s[52:53], 0
	s_mov_b64 s[92:93], 0
	;; [unrolled: 1-line block ×3, first 2 shown]
                                        ; implicit-def: $vgpr4
                                        ; implicit-def: $vgpr1
	s_and_saveexec_b64 s[40:41], s[2:3]
	s_cbranch_execz .LBB10_243
; %bb.114:                              ;   in Loop: Header=BB10_6 Depth=1
	s_xor_b64 s[8:9], s[6:7], -1
	s_mov_b64 s[6:7], 0
	v_mov_b32_e32 v4, 1
	v_mov_b32_e32 v1, 1
	s_and_saveexec_b64 s[2:3], s[8:9]
	s_cbranch_execz .LBB10_123
; %bb.115:                              ;   in Loop: Header=BB10_6 Depth=1
	v_cmp_ge_u32_e32 vcc, s21, v40
	s_and_saveexec_b64 s[6:7], vcc
	s_xor_b64 s[6:7], exec, s[6:7]
	s_cbranch_execz .LBB10_120
; %bb.116:                              ;   in Loop: Header=BB10_6 Depth=1
	ds_read_b32 v1, v23 offset:4096
	v_and_b32_e32 v3, s38, v3
	v_or_b32_e32 v2, s22, v2
	s_waitcnt lgkmcnt(0)
	v_cmp_ne_u32_e32 vcc, 0, v1
	s_cbranch_vccnz .LBB10_120
; %bb.117:                              ;   in Loop: Header=BB10_6 Depth=1
	s_mov_b64 s[8:9], exec
	v_readlane_b32 s12, v52, 22
	v_readlane_b32 s13, v52, 23
	s_and_b64 s[12:13], s[8:9], s[12:13]
	s_mov_b64 exec, s[12:13]
; %bb.118:                              ;   in Loop: Header=BB10_6 Depth=1
	v_mov_b32_e32 v1, s21
	ds_write_b32 v23, v1 offset:4100
; %bb.119:                              ;   in Loop: Header=BB10_6 Depth=1
	s_or_b64 exec, exec, s[8:9]
	s_waitcnt lgkmcnt(0)
	s_barrier
.LBB10_120:                             ;   in Loop: Header=BB10_6 Depth=1
	s_or_saveexec_b64 s[6:7], s[6:7]
	s_mov_b64 s[12:13], 0
	v_mov_b32_e32 v1, 8
	v_mov_b32_e32 v4, v40
	s_xor_b64 exec, exec, s[6:7]
; %bb.121:                              ;   in Loop: Header=BB10_6 Depth=1
	s_mov_b64 s[12:13], exec
	v_subrev_u32_e32 v4, s21, v40
	v_mov_b32_e32 v1, 0
; %bb.122:                              ;   in Loop: Header=BB10_6 Depth=1
	s_or_b64 exec, exec, s[6:7]
	s_and_b64 s[6:7], s[12:13], exec
.LBB10_123:                             ;   in Loop: Header=BB10_6 Depth=1
	s_or_b64 exec, exec, s[2:3]
	s_mov_b64 s[2:3], -1
                                        ; implicit-def: $sgpr34_sgpr35
                                        ; implicit-def: $sgpr42_sgpr43
	s_and_saveexec_b64 s[8:9], s[6:7]
	s_xor_b64 s[6:7], exec, s[8:9]
	s_cbranch_execz .LBB10_240
; %bb.124:                              ;   in Loop: Header=BB10_6 Depth=1
	s_cmp_eq_u32 s39, 1
	s_cselect_b64 s[2:3], -1, 0
	v_cmp_eq_u32_e32 vcc, 1, v4
	s_and_b64 s[12:13], s[2:3], vcc
	s_mov_b64 s[2:3], -1
                                        ; implicit-def: $sgpr42_sgpr43
                                        ; implicit-def: $sgpr34_sgpr35
	s_and_saveexec_b64 s[14:15], s[12:13]
	s_cbranch_execz .LBB10_150
; %bb.125:                              ;   in Loop: Header=BB10_6 Depth=1
	ds_read_b32 v5, v23 offset:4096
	s_waitcnt lgkmcnt(0)
	s_barrier
	v_readfirstlane_b32 s8, v5
	s_mov_b64 s[2:3], exec
	v_readlane_b32 s16, v52, 37
	v_readlane_b32 s17, v52, 38
	s_and_b64 s[16:17], s[2:3], s[16:17]
	s_mov_b64 exec, s[16:17]
; %bb.126:                              ;   in Loop: Header=BB10_6 Depth=1
	ds_write_b8 v0, v23 offset:3072
; %bb.127:                              ;   in Loop: Header=BB10_6 Depth=1
	s_or_b64 exec, exec, s[2:3]
	v_and_b32_e32 v3, s38, v3
	v_lshl_or_b32 v3, 1, s10, v3
	v_or_b32_e32 v2, s22, v2
	s_mov_b64 s[34:35], -1
	s_mov_b64 s[42:43], 0
	s_cmp_eq_u32 s8, 0
	s_mov_b64 s[16:17], 0
	s_mov_b64 s[2:3], -1
	s_waitcnt lgkmcnt(0)
	s_barrier
                                        ; implicit-def: $vgpr5
	s_cbranch_scc1 .LBB10_138
; %bb.128:                              ;   in Loop: Header=BB10_6 Depth=1
	v_readlane_b32 s2, v52, 39
	s_add_i32 s2, s8, s2
	v_readlane_b32 s3, v52, 61
	s_mul_hi_u32 s3, s2, s3
	s_mul_i32 s3, s3, s33
	s_sub_i32 s3, s2, s3
	s_sub_i32 s9, s3, s33
	s_cmp_ge_u32 s3, s33
	s_cselect_b32 s3, s9, s3
	s_sub_i32 s9, s3, s33
	s_cmp_ge_u32 s3, s33
	s_cselect_b32 s3, s9, s3
	s_sub_i32 s9, s2, s3
	v_cmp_gt_u32_e32 vcc, s9, v0
	s_mov_b64 s[2:3], 0
                                        ; implicit-def: $vgpr5
	s_and_saveexec_b64 s[18:19], vcc
	s_cbranch_execz .LBB10_137
; %bb.129:                              ;   in Loop: Header=BB10_6 Depth=1
	v_mov_b32_e32 v5, v0
                                        ; implicit-def: $sgpr28_sgpr29
	s_branch .LBB10_132
.LBB10_130:                             ;   in Loop: Header=BB10_132 Depth=2
	s_or_b64 exec, exec, s[44:45]
	s_waitcnt lgkmcnt(0)
	s_barrier
	ds_read_u16 v6, v23 offset:3072
	s_mov_b64 s[24:25], -1
	s_waitcnt lgkmcnt(0)
	s_barrier
	v_cmp_ne_u32_sdwa s[44:45], v6, v23 src0_sel:BYTE_0 src1_sel:DWORD
	s_and_b64 vcc, exec, s[44:45]
	s_mov_b64 s[44:45], -1
	s_cbranch_vccz .LBB10_135
.LBB10_131:                             ;   in Loop: Header=BB10_132 Depth=2
	s_and_b64 s[24:25], exec, s[24:25]
	s_or_b64 s[16:17], s[24:25], s[16:17]
	s_andn2_b64 s[24:25], s[28:29], exec
	s_and_b64 s[28:29], s[44:45], exec
	s_or_b64 s[28:29], s[24:25], s[28:29]
	s_andn2_b64 exec, exec, s[16:17]
	s_cbranch_execz .LBB10_136
.LBB10_132:                             ;   Parent Loop BB10_6 Depth=1
                                        ; =>  This Inner Loop Header: Depth=2
	v_cmp_gt_u32_e32 vcc, s8, v5
	s_and_saveexec_b64 s[44:45], vcc
	s_cbranch_execz .LBB10_130
; %bb.133:                              ;   in Loop: Header=BB10_132 Depth=2
	ds_read_u8 v6, v5
	s_waitcnt lgkmcnt(0)
	v_and_b32_e32 v7, v6, v2
	v_cmp_eq_u32_sdwa s[24:25], v7, v3 src0_sel:BYTE_0 src1_sel:DWORD
	s_and_b64 exec, exec, s[24:25]
	s_cbranch_execz .LBB10_130
; %bb.134:                              ;   in Loop: Header=BB10_132 Depth=2
	v_lshlrev_b16_e32 v6, 8, v6
	v_or_b32_e32 v6, 1, v6
	ds_write_b16 v23, v6 offset:3072
	s_branch .LBB10_130
.LBB10_135:                             ;   in Loop: Header=BB10_132 Depth=2
	v_add_u32_e32 v5, s33, v5
	v_cmp_le_u32_e32 vcc, s9, v5
	s_mov_b64 s[44:45], 0
	s_orn2_b64 s[24:25], vcc, exec
	s_branch .LBB10_131
.LBB10_136:                             ;   in Loop: Header=BB10_6 Depth=1
	s_or_b64 exec, exec, s[16:17]
	v_lshrrev_b32_sdwa v5, v37, v6 dst_sel:DWORD dst_unused:UNUSED_PAD src0_sel:DWORD src1_sel:WORD_0
	s_and_b64 s[16:17], s[28:29], exec
.LBB10_137:                             ;   in Loop: Header=BB10_6 Depth=1
	s_or_b64 exec, exec, s[18:19]
.LBB10_138:                             ;   in Loop: Header=BB10_6 Depth=1
	s_and_b64 vcc, exec, s[2:3]
	s_cbranch_vccz .LBB10_149
; %bb.139:                              ;   in Loop: Header=BB10_6 Depth=1
                                        ; implicit-def: $vgpr5
	s_mov_b64 s[2:3], exec
	v_readlane_b32 s8, v52, 62
	v_readlane_b32 s9, v52, 63
	s_and_b64 s[8:9], s[2:3], s[8:9]
	s_mov_b64 exec, s[8:9]
	s_cbranch_execz .LBB10_148
; %bb.140:                              ;   in Loop: Header=BB10_6 Depth=1
	s_mov_b64 s[18:19], 0
	v_mov_b32_e32 v5, v22
	v_mov_b32_e32 v6, v0
                                        ; implicit-def: $sgpr28_sgpr29
	s_branch .LBB10_143
.LBB10_141:                             ;   in Loop: Header=BB10_143 Depth=2
	s_or_b64 exec, exec, s[34:35]
	s_waitcnt lgkmcnt(0)
	s_barrier
	ds_read_u16 v7, v23 offset:3072
	s_mov_b64 s[24:25], -1
	s_mov_b64 s[34:35], -1
	s_waitcnt lgkmcnt(0)
	s_barrier
	v_cmp_eq_u32_sdwa s[8:9], v7, v23 src0_sel:BYTE_0 src1_sel:DWORD
	s_and_b64 vcc, exec, s[8:9]
	s_cbranch_vccnz .LBB10_146
.LBB10_142:                             ;   in Loop: Header=BB10_143 Depth=2
	s_and_b64 s[8:9], exec, s[24:25]
	s_or_b64 s[18:19], s[8:9], s[18:19]
	s_andn2_b64 s[8:9], s[28:29], exec
	s_and_b64 s[24:25], s[34:35], exec
	s_or_b64 s[28:29], s[8:9], s[24:25]
	s_andn2_b64 exec, exec, s[18:19]
	s_cbranch_execz .LBB10_147
.LBB10_143:                             ;   Parent Loop BB10_6 Depth=1
                                        ; =>  This Inner Loop Header: Depth=2
	v_cmp_gt_u32_e32 vcc, s36, v6
	s_and_saveexec_b64 s[34:35], vcc
	s_cbranch_execz .LBB10_141
; %bb.144:                              ;   in Loop: Header=BB10_143 Depth=2
	global_load_ubyte v7, v5, s[48:49]
	s_waitcnt vmcnt(0)
	v_and_b32_e32 v8, v7, v2
	v_cmp_eq_u32_sdwa s[8:9], v8, v3 src0_sel:BYTE_0 src1_sel:DWORD
	s_and_b64 exec, exec, s[8:9]
	s_cbranch_execz .LBB10_141
; %bb.145:                              ;   in Loop: Header=BB10_143 Depth=2
	v_lshlrev_b16_e32 v7, 8, v7
	v_or_b32_e32 v7, 1, v7
	ds_write_b16 v23, v7 offset:3072
	s_branch .LBB10_141
.LBB10_146:                             ;   in Loop: Header=BB10_143 Depth=2
	v_add_u32_e32 v6, s33, v6
	v_cmp_le_u32_e32 vcc, s4, v6
	v_add_u32_e32 v5, s61, v5
	s_mov_b64 s[34:35], 0
	s_orn2_b64 s[24:25], vcc, exec
	s_branch .LBB10_142
.LBB10_147:                             ;   in Loop: Header=BB10_6 Depth=1
	s_or_b64 exec, exec, s[18:19]
	s_andn2_b64 s[8:9], s[16:17], exec
	s_and_b64 s[16:17], s[28:29], exec
	v_lshrrev_b32_sdwa v5, v37, v7 dst_sel:DWORD dst_unused:UNUSED_PAD src0_sel:DWORD src1_sel:WORD_0
	s_or_b64 s[16:17], s[8:9], s[16:17]
.LBB10_148:                             ;   in Loop: Header=BB10_6 Depth=1
	s_or_b64 exec, exec, s[2:3]
	s_mov_b64 s[34:35], 0
	s_mov_b64 s[42:43], -1
.LBB10_149:                             ;   in Loop: Header=BB10_6 Depth=1
	s_orn2_b64 s[2:3], s[16:17], exec
.LBB10_150:                             ;   in Loop: Header=BB10_6 Depth=1
	s_or_b64 exec, exec, s[14:15]
	s_mov_b64 s[14:15], 0
	s_and_saveexec_b64 s[92:93], s[2:3]
	s_cbranch_execz .LBB10_239
; %bb.151:                              ;   in Loop: Header=BB10_6 Depth=1
	s_xor_b64 s[8:9], s[12:13], -1
	s_mov_b64 s[12:13], 0
	v_mov_b32_e32 v6, 1
	v_mov_b32_e32 v1, 1
	s_and_saveexec_b64 s[2:3], s[8:9]
	s_cbranch_execz .LBB10_160
; %bb.152:                              ;   in Loop: Header=BB10_6 Depth=1
	v_cmp_ge_u32_e32 vcc, s39, v4
	s_and_saveexec_b64 s[8:9], vcc
	s_xor_b64 s[12:13], exec, s[8:9]
	s_cbranch_execz .LBB10_157
; %bb.153:                              ;   in Loop: Header=BB10_6 Depth=1
	v_and_b32_e32 v1, s38, v3
	v_lshl_or_b32 v3, 1, s10, v1
	ds_read_b32 v1, v23 offset:4096
	v_or_b32_e32 v2, s22, v2
	s_waitcnt lgkmcnt(0)
	v_cmp_ne_u32_e32 vcc, 0, v1
	s_cbranch_vccnz .LBB10_157
; %bb.154:                              ;   in Loop: Header=BB10_6 Depth=1
	s_mov_b64 s[8:9], exec
	v_readlane_b32 s14, v52, 22
	v_readlane_b32 s15, v52, 23
	s_and_b64 s[14:15], s[8:9], s[14:15]
	s_mov_b64 exec, s[14:15]
; %bb.155:                              ;   in Loop: Header=BB10_6 Depth=1
	v_mov_b32_e32 v1, s39
	ds_write_b32 v23, v1 offset:4100
; %bb.156:                              ;   in Loop: Header=BB10_6 Depth=1
	s_or_b64 exec, exec, s[8:9]
	s_waitcnt lgkmcnt(0)
	s_barrier
.LBB10_157:                             ;   in Loop: Header=BB10_6 Depth=1
	s_or_saveexec_b64 s[12:13], s[12:13]
	s_mov_b64 s[14:15], 0
	v_mov_b32_e32 v1, 8
	s_xor_b64 exec, exec, s[12:13]
; %bb.158:                              ;   in Loop: Header=BB10_6 Depth=1
	s_mov_b64 s[14:15], exec
	v_subrev_u32_e32 v4, s39, v4
	v_mov_b32_e32 v1, 0
; %bb.159:                              ;   in Loop: Header=BB10_6 Depth=1
	s_or_b64 exec, exec, s[12:13]
	s_and_b64 s[12:13], s[14:15], exec
	v_mov_b32_e32 v6, v4
.LBB10_160:                             ;   in Loop: Header=BB10_6 Depth=1
	s_or_b64 exec, exec, s[2:3]
	s_mov_b64 s[2:3], -1
                                        ; implicit-def: $sgpr46_sgpr47
                                        ; implicit-def: $sgpr14_sgpr15
	s_and_saveexec_b64 s[44:45], s[12:13]
	s_cbranch_execz .LBB10_238
; %bb.161:                              ;   in Loop: Header=BB10_6 Depth=1
	s_cmp_eq_u32 s58, 1
	s_cselect_b64 s[2:3], -1, 0
	v_cmp_eq_u32_e32 vcc, 1, v6
	s_and_b64 s[12:13], s[2:3], vcc
	s_mov_b64 s[2:3], -1
                                        ; implicit-def: $sgpr14_sgpr15
                                        ; implicit-def: $sgpr46_sgpr47
	s_and_saveexec_b64 s[16:17], s[12:13]
	s_cbranch_execz .LBB10_187
; %bb.162:                              ;   in Loop: Header=BB10_6 Depth=1
	ds_read_b32 v4, v23 offset:4096
	s_waitcnt lgkmcnt(0)
	s_barrier
	v_readfirstlane_b32 s8, v4
	s_mov_b64 s[2:3], exec
	v_readlane_b32 s14, v52, 37
	v_readlane_b32 s15, v52, 38
	s_and_b64 s[14:15], s[2:3], s[14:15]
	s_mov_b64 exec, s[14:15]
; %bb.163:                              ;   in Loop: Header=BB10_6 Depth=1
	ds_write_b8 v0, v23 offset:3072
; %bb.164:                              ;   in Loop: Header=BB10_6 Depth=1
	s_or_b64 exec, exec, s[2:3]
	v_and_b32_e32 v3, s38, v3
	v_lshl_or_b32 v3, 2, s10, v3
	v_or_b32_e32 v2, s22, v2
	s_mov_b64 s[46:47], -1
	s_mov_b64 s[14:15], 0
	s_cmp_eq_u32 s8, 0
	s_mov_b64 s[18:19], 0
	s_mov_b64 s[2:3], -1
	s_waitcnt lgkmcnt(0)
	s_barrier
                                        ; implicit-def: $vgpr5
	s_cbranch_scc1 .LBB10_175
; %bb.165:                              ;   in Loop: Header=BB10_6 Depth=1
	v_readlane_b32 s2, v52, 39
	s_add_i32 s2, s8, s2
	v_readlane_b32 s3, v52, 61
	s_mul_hi_u32 s3, s2, s3
	s_mul_i32 s3, s3, s33
	s_sub_i32 s3, s2, s3
	s_sub_i32 s9, s3, s33
	s_cmp_ge_u32 s3, s33
	s_cselect_b32 s3, s9, s3
	s_sub_i32 s9, s3, s33
	s_cmp_ge_u32 s3, s33
	s_cselect_b32 s3, s9, s3
	s_sub_i32 s9, s2, s3
	v_cmp_gt_u32_e32 vcc, s9, v0
	s_mov_b64 s[2:3], 0
                                        ; implicit-def: $vgpr5
	s_and_saveexec_b64 s[28:29], vcc
	s_cbranch_execz .LBB10_174
; %bb.166:                              ;   in Loop: Header=BB10_6 Depth=1
	v_mov_b32_e32 v4, v0
                                        ; implicit-def: $sgpr54_sgpr55
	s_branch .LBB10_169
.LBB10_167:                             ;   in Loop: Header=BB10_169 Depth=2
	s_or_b64 exec, exec, s[56:57]
	s_waitcnt lgkmcnt(0)
	s_barrier
	ds_read_u16 v5, v23 offset:3072
	s_mov_b64 s[24:25], -1
	s_waitcnt lgkmcnt(0)
	s_barrier
	v_cmp_ne_u32_sdwa s[56:57], v5, v23 src0_sel:BYTE_0 src1_sel:DWORD
	s_and_b64 vcc, exec, s[56:57]
	s_mov_b64 s[56:57], -1
	s_cbranch_vccz .LBB10_172
.LBB10_168:                             ;   in Loop: Header=BB10_169 Depth=2
	s_and_b64 s[24:25], exec, s[24:25]
	s_or_b64 s[18:19], s[24:25], s[18:19]
	s_andn2_b64 s[24:25], s[54:55], exec
	s_and_b64 s[54:55], s[56:57], exec
	s_or_b64 s[54:55], s[24:25], s[54:55]
	s_andn2_b64 exec, exec, s[18:19]
	s_cbranch_execz .LBB10_173
.LBB10_169:                             ;   Parent Loop BB10_6 Depth=1
                                        ; =>  This Inner Loop Header: Depth=2
	v_cmp_gt_u32_e32 vcc, s8, v4
	s_and_saveexec_b64 s[56:57], vcc
	s_cbranch_execz .LBB10_167
; %bb.170:                              ;   in Loop: Header=BB10_169 Depth=2
	ds_read_u8 v5, v4
	s_waitcnt lgkmcnt(0)
	v_and_b32_e32 v7, v5, v2
	v_cmp_eq_u32_sdwa s[24:25], v7, v3 src0_sel:BYTE_0 src1_sel:DWORD
	s_and_b64 exec, exec, s[24:25]
	s_cbranch_execz .LBB10_167
; %bb.171:                              ;   in Loop: Header=BB10_169 Depth=2
	v_lshlrev_b16_e32 v5, 8, v5
	v_or_b32_e32 v5, 1, v5
	ds_write_b16 v23, v5 offset:3072
	s_branch .LBB10_167
.LBB10_172:                             ;   in Loop: Header=BB10_169 Depth=2
	v_add_u32_e32 v4, s33, v4
	v_cmp_le_u32_e32 vcc, s9, v4
	s_mov_b64 s[56:57], 0
	s_orn2_b64 s[24:25], vcc, exec
	s_branch .LBB10_168
.LBB10_173:                             ;   in Loop: Header=BB10_6 Depth=1
	s_or_b64 exec, exec, s[18:19]
	v_lshrrev_b32_sdwa v5, v37, v5 dst_sel:DWORD dst_unused:UNUSED_PAD src0_sel:DWORD src1_sel:WORD_0
	s_and_b64 s[18:19], s[54:55], exec
.LBB10_174:                             ;   in Loop: Header=BB10_6 Depth=1
	s_or_b64 exec, exec, s[28:29]
.LBB10_175:                             ;   in Loop: Header=BB10_6 Depth=1
	s_and_b64 vcc, exec, s[2:3]
	s_cbranch_vccz .LBB10_186
; %bb.176:                              ;   in Loop: Header=BB10_6 Depth=1
                                        ; implicit-def: $vgpr5
	s_mov_b64 s[2:3], exec
	v_readlane_b32 s8, v52, 62
	v_readlane_b32 s9, v52, 63
	s_and_b64 s[8:9], s[2:3], s[8:9]
	s_mov_b64 exec, s[8:9]
	s_cbranch_execz .LBB10_185
; %bb.177:                              ;   in Loop: Header=BB10_6 Depth=1
	s_mov_b64 s[14:15], 0
	v_mov_b32_e32 v4, v22
	v_mov_b32_e32 v5, v0
                                        ; implicit-def: $sgpr28_sgpr29
	s_branch .LBB10_180
.LBB10_178:                             ;   in Loop: Header=BB10_180 Depth=2
	s_or_b64 exec, exec, s[46:47]
	s_waitcnt lgkmcnt(0)
	s_barrier
	ds_read_u16 v7, v23 offset:3072
	s_mov_b64 s[24:25], -1
	s_mov_b64 s[46:47], -1
	s_waitcnt lgkmcnt(0)
	s_barrier
	v_cmp_eq_u32_sdwa s[8:9], v7, v23 src0_sel:BYTE_0 src1_sel:DWORD
	s_and_b64 vcc, exec, s[8:9]
	s_cbranch_vccnz .LBB10_183
.LBB10_179:                             ;   in Loop: Header=BB10_180 Depth=2
	s_and_b64 s[8:9], exec, s[24:25]
	s_or_b64 s[14:15], s[8:9], s[14:15]
	s_andn2_b64 s[8:9], s[28:29], exec
	s_and_b64 s[24:25], s[46:47], exec
	s_or_b64 s[28:29], s[8:9], s[24:25]
	s_andn2_b64 exec, exec, s[14:15]
	s_cbranch_execz .LBB10_184
.LBB10_180:                             ;   Parent Loop BB10_6 Depth=1
                                        ; =>  This Inner Loop Header: Depth=2
	v_cmp_gt_u32_e32 vcc, s36, v5
	s_and_saveexec_b64 s[46:47], vcc
	s_cbranch_execz .LBB10_178
; %bb.181:                              ;   in Loop: Header=BB10_180 Depth=2
	global_load_ubyte v7, v4, s[48:49]
	s_waitcnt vmcnt(0)
	v_and_b32_e32 v8, v7, v2
	v_cmp_eq_u32_sdwa s[8:9], v8, v3 src0_sel:BYTE_0 src1_sel:DWORD
	s_and_b64 exec, exec, s[8:9]
	s_cbranch_execz .LBB10_178
; %bb.182:                              ;   in Loop: Header=BB10_180 Depth=2
	v_lshlrev_b16_e32 v7, 8, v7
	v_or_b32_e32 v7, 1, v7
	ds_write_b16 v23, v7 offset:3072
	s_branch .LBB10_178
.LBB10_183:                             ;   in Loop: Header=BB10_180 Depth=2
	v_add_u32_e32 v5, s33, v5
	v_cmp_le_u32_e32 vcc, s4, v5
	v_add_u32_e32 v4, s61, v4
	s_mov_b64 s[46:47], 0
	s_orn2_b64 s[24:25], vcc, exec
	s_branch .LBB10_179
.LBB10_184:                             ;   in Loop: Header=BB10_6 Depth=1
	s_or_b64 exec, exec, s[14:15]
	s_andn2_b64 s[8:9], s[18:19], exec
	s_and_b64 s[14:15], s[28:29], exec
	v_lshrrev_b32_sdwa v5, v37, v7 dst_sel:DWORD dst_unused:UNUSED_PAD src0_sel:DWORD src1_sel:WORD_0
	s_or_b64 s[18:19], s[8:9], s[14:15]
.LBB10_185:                             ;   in Loop: Header=BB10_6 Depth=1
	s_or_b64 exec, exec, s[2:3]
	s_mov_b64 s[46:47], 0
	s_mov_b64 s[14:15], -1
.LBB10_186:                             ;   in Loop: Header=BB10_6 Depth=1
	s_orn2_b64 s[2:3], s[18:19], exec
.LBB10_187:                             ;   in Loop: Header=BB10_6 Depth=1
	s_or_b64 exec, exec, s[16:17]
	s_mov_b64 s[18:19], 0
	s_and_saveexec_b64 s[16:17], s[2:3]
	s_cbranch_execz .LBB10_237
; %bb.188:                              ;   in Loop: Header=BB10_6 Depth=1
	s_xor_b64 s[8:9], s[12:13], -1
	s_mov_b64 s[54:55], 0
	v_mov_b32_e32 v4, 1
	v_mov_b32_e32 v1, 1
	s_and_saveexec_b64 s[2:3], s[8:9]
	s_cbranch_execz .LBB10_197
; %bb.189:                              ;   in Loop: Header=BB10_6 Depth=1
	v_cmp_ge_u32_e32 vcc, s58, v6
	s_and_saveexec_b64 s[8:9], vcc
	s_xor_b64 s[12:13], exec, s[8:9]
	s_cbranch_execz .LBB10_194
; %bb.190:                              ;   in Loop: Header=BB10_6 Depth=1
	v_and_b32_e32 v1, s38, v3
	v_lshl_or_b32 v3, 2, s10, v1
	ds_read_b32 v1, v23 offset:4096
	v_or_b32_e32 v2, s22, v2
	s_waitcnt lgkmcnt(0)
	v_cmp_ne_u32_e32 vcc, 0, v1
	s_cbranch_vccnz .LBB10_194
; %bb.191:                              ;   in Loop: Header=BB10_6 Depth=1
	s_mov_b64 s[8:9], exec
	v_readlane_b32 s18, v52, 22
	v_readlane_b32 s19, v52, 23
	s_and_b64 s[18:19], s[8:9], s[18:19]
	s_mov_b64 exec, s[18:19]
; %bb.192:                              ;   in Loop: Header=BB10_6 Depth=1
	v_mov_b32_e32 v1, s58
	ds_write_b32 v23, v1 offset:4100
; %bb.193:                              ;   in Loop: Header=BB10_6 Depth=1
	s_or_b64 exec, exec, s[8:9]
	s_waitcnt lgkmcnt(0)
	s_barrier
.LBB10_194:                             ;   in Loop: Header=BB10_6 Depth=1
	s_or_saveexec_b64 s[12:13], s[12:13]
	s_mov_b64 s[18:19], 0
	v_mov_b32_e32 v1, 8
	s_xor_b64 exec, exec, s[12:13]
; %bb.195:                              ;   in Loop: Header=BB10_6 Depth=1
	s_mov_b64 s[18:19], exec
	v_subrev_u32_e32 v6, s58, v6
	v_mov_b32_e32 v1, 0
; %bb.196:                              ;   in Loop: Header=BB10_6 Depth=1
	s_or_b64 exec, exec, s[12:13]
	s_and_b64 s[54:55], s[18:19], exec
	v_mov_b32_e32 v4, v6
.LBB10_197:                             ;   in Loop: Header=BB10_6 Depth=1
	s_or_b64 exec, exec, s[2:3]
	s_mov_b64 s[2:3], -1
                                        ; implicit-def: $sgpr28_sgpr29
                                        ; implicit-def: $sgpr12_sgpr13
	s_and_saveexec_b64 s[18:19], s[54:55]
	s_cbranch_execz .LBB10_236
; %bb.198:                              ;   in Loop: Header=BB10_6 Depth=1
	s_cmp_eq_u32 s59, 1
	s_cselect_b64 s[2:3], -1, 0
	v_cmp_eq_u32_e32 vcc, 1, v4
	s_and_b64 s[24:25], s[2:3], vcc
	s_mov_b64 s[64:65], -1
                                        ; implicit-def: $sgpr28_sgpr29
                                        ; implicit-def: $sgpr12_sgpr13
	s_and_saveexec_b64 s[56:57], s[24:25]
	s_cbranch_execz .LBB10_224
; %bb.199:                              ;   in Loop: Header=BB10_6 Depth=1
	ds_read_b32 v5, v23 offset:4096
	s_waitcnt lgkmcnt(0)
	s_barrier
	v_readfirstlane_b32 s54, v5
	s_mov_b64 s[2:3], exec
	v_readlane_b32 s8, v52, 37
	v_readlane_b32 s9, v52, 38
	s_and_b64 s[8:9], s[2:3], s[8:9]
	s_mov_b64 exec, s[8:9]
; %bb.200:                              ;   in Loop: Header=BB10_6 Depth=1
	ds_write_b8 v0, v23 offset:3072
; %bb.201:                              ;   in Loop: Header=BB10_6 Depth=1
	s_or_b64 exec, exec, s[2:3]
	v_or_b32_e32 v3, s22, v3
	v_or_b32_e32 v2, s22, v2
	s_mov_b64 s[12:13], -1
	s_mov_b64 s[28:29], 0
	s_cmp_eq_u32 s54, 0
	s_mov_b64 s[2:3], 0
	s_waitcnt lgkmcnt(0)
	s_barrier
                                        ; implicit-def: $vgpr5
	s_cbranch_scc1 .LBB10_212
; %bb.202:                              ;   in Loop: Header=BB10_6 Depth=1
	v_readlane_b32 s2, v52, 39
	s_add_i32 s2, s54, s2
	v_readlane_b32 s3, v52, 61
	s_mul_hi_u32 s3, s2, s3
	s_mul_i32 s3, s3, s33
	s_sub_i32 s3, s2, s3
	s_sub_i32 s8, s3, s33
	s_cmp_ge_u32 s3, s33
	s_cselect_b32 s3, s8, s3
	s_sub_i32 s8, s3, s33
	s_cmp_ge_u32 s3, s33
	s_cselect_b32 s3, s8, s3
	s_sub_i32 s55, s2, s3
	v_cmp_gt_u32_e32 vcc, s55, v0
	s_mov_b64 s[64:65], 0
	s_mov_b64 s[2:3], 0
                                        ; implicit-def: $vgpr5
	s_and_saveexec_b64 s[66:67], vcc
	s_cbranch_execz .LBB10_211
; %bb.203:                              ;   in Loop: Header=BB10_6 Depth=1
	v_writelane_b32 v51, s24, 1
	v_mov_b32_e32 v5, v0
	v_writelane_b32 v51, s25, 2
                                        ; implicit-def: $sgpr68_sgpr69
	s_branch .LBB10_206
.LBB10_204:                             ;   in Loop: Header=BB10_206 Depth=2
	s_or_b64 exec, exec, s[24:25]
	s_waitcnt lgkmcnt(0)
	s_barrier
	ds_read_u16 v6, v23 offset:3072
	s_mov_b64 s[24:25], -1
	s_waitcnt lgkmcnt(0)
	s_barrier
	v_cmp_ne_u32_sdwa s[8:9], v6, v23 src0_sel:BYTE_0 src1_sel:DWORD
	s_and_b64 vcc, exec, s[8:9]
	s_mov_b64 s[8:9], -1
	s_cbranch_vccz .LBB10_209
.LBB10_205:                             ;   in Loop: Header=BB10_206 Depth=2
	s_and_b64 s[24:25], exec, s[24:25]
	s_or_b64 s[2:3], s[24:25], s[2:3]
	s_andn2_b64 s[24:25], s[68:69], exec
	s_and_b64 s[8:9], s[8:9], exec
	s_or_b64 s[68:69], s[24:25], s[8:9]
	s_andn2_b64 exec, exec, s[2:3]
	s_cbranch_execz .LBB10_210
.LBB10_206:                             ;   Parent Loop BB10_6 Depth=1
                                        ; =>  This Inner Loop Header: Depth=2
	v_cmp_gt_u32_e32 vcc, s54, v5
	s_and_saveexec_b64 s[24:25], vcc
	s_cbranch_execz .LBB10_204
; %bb.207:                              ;   in Loop: Header=BB10_206 Depth=2
	ds_read_u8 v6, v5
	s_waitcnt lgkmcnt(0)
	v_and_b32_e32 v7, v6, v2
	v_cmp_eq_u32_sdwa s[8:9], v7, v3 src0_sel:BYTE_0 src1_sel:DWORD
	s_and_b64 exec, exec, s[8:9]
	s_cbranch_execz .LBB10_204
; %bb.208:                              ;   in Loop: Header=BB10_206 Depth=2
	v_lshlrev_b16_e32 v6, 8, v6
	v_or_b32_e32 v6, 1, v6
	ds_write_b16 v23, v6 offset:3072
	s_branch .LBB10_204
.LBB10_209:                             ;   in Loop: Header=BB10_206 Depth=2
	v_add_u32_e32 v5, s33, v5
	v_cmp_le_u32_e32 vcc, s55, v5
	s_mov_b64 s[8:9], 0
	s_orn2_b64 s[24:25], vcc, exec
	s_branch .LBB10_205
.LBB10_210:                             ;   in Loop: Header=BB10_6 Depth=1
	s_or_b64 exec, exec, s[2:3]
	v_readlane_b32 s24, v51, 1
	v_lshrrev_b32_sdwa v5, v37, v6 dst_sel:DWORD dst_unused:UNUSED_PAD src0_sel:DWORD src1_sel:WORD_0
	s_and_b64 s[2:3], s[68:69], exec
	v_readlane_b32 s25, v51, 2
.LBB10_211:                             ;   in Loop: Header=BB10_6 Depth=1
	s_or_b64 exec, exec, s[66:67]
.LBB10_212:                             ;   in Loop: Header=BB10_6 Depth=1
	s_and_b64 vcc, exec, s[64:65]
	s_cbranch_vccz .LBB10_223
; %bb.213:                              ;   in Loop: Header=BB10_6 Depth=1
                                        ; implicit-def: $vgpr5
	s_mov_b64 s[12:13], exec
	v_readlane_b32 s8, v52, 62
	v_readlane_b32 s9, v52, 63
	s_and_b64 s[8:9], s[12:13], s[8:9]
	s_mov_b64 exec, s[8:9]
	s_cbranch_execz .LBB10_222
; %bb.214:                              ;   in Loop: Header=BB10_6 Depth=1
	s_mov_b64 s[54:55], s[24:25]
	s_mov_b64 s[28:29], 0
	v_mov_b32_e32 v5, v22
	v_mov_b32_e32 v6, v0
                                        ; implicit-def: $sgpr64_sgpr65
	s_branch .LBB10_217
.LBB10_215:                             ;   in Loop: Header=BB10_217 Depth=2
	s_or_b64 exec, exec, s[24:25]
	s_waitcnt lgkmcnt(0)
	s_barrier
	ds_read_u16 v7, v23 offset:3072
	s_mov_b64 s[24:25], -1
	s_mov_b64 s[66:67], -1
	s_waitcnt lgkmcnt(0)
	s_barrier
	v_cmp_eq_u32_sdwa s[8:9], v7, v23 src0_sel:BYTE_0 src1_sel:DWORD
	s_and_b64 vcc, exec, s[8:9]
	s_cbranch_vccnz .LBB10_220
.LBB10_216:                             ;   in Loop: Header=BB10_217 Depth=2
	s_and_b64 s[8:9], exec, s[24:25]
	s_or_b64 s[28:29], s[8:9], s[28:29]
	s_andn2_b64 s[8:9], s[64:65], exec
	s_and_b64 s[24:25], s[66:67], exec
	s_or_b64 s[64:65], s[8:9], s[24:25]
	s_andn2_b64 exec, exec, s[28:29]
	s_cbranch_execz .LBB10_221
.LBB10_217:                             ;   Parent Loop BB10_6 Depth=1
                                        ; =>  This Inner Loop Header: Depth=2
	v_cmp_gt_u32_e32 vcc, s36, v6
	s_and_saveexec_b64 s[24:25], vcc
	s_cbranch_execz .LBB10_215
; %bb.218:                              ;   in Loop: Header=BB10_217 Depth=2
	global_load_ubyte v7, v5, s[48:49]
	s_waitcnt vmcnt(0)
	v_and_b32_e32 v8, v7, v2
	v_cmp_eq_u32_sdwa s[8:9], v8, v3 src0_sel:BYTE_0 src1_sel:DWORD
	s_and_b64 exec, exec, s[8:9]
	s_cbranch_execz .LBB10_215
; %bb.219:                              ;   in Loop: Header=BB10_217 Depth=2
	v_lshlrev_b16_e32 v7, 8, v7
	v_or_b32_e32 v7, 1, v7
	ds_write_b16 v23, v7 offset:3072
	s_branch .LBB10_215
.LBB10_220:                             ;   in Loop: Header=BB10_217 Depth=2
	v_add_u32_e32 v6, s33, v6
	v_cmp_le_u32_e32 vcc, s4, v6
	v_add_u32_e32 v5, s61, v5
	s_mov_b64 s[66:67], 0
	s_orn2_b64 s[24:25], vcc, exec
	s_branch .LBB10_216
.LBB10_221:                             ;   in Loop: Header=BB10_6 Depth=1
	s_or_b64 exec, exec, s[28:29]
	s_andn2_b64 s[2:3], s[2:3], exec
	s_and_b64 s[8:9], s[64:65], exec
	v_lshrrev_b32_sdwa v5, v37, v7 dst_sel:DWORD dst_unused:UNUSED_PAD src0_sel:DWORD src1_sel:WORD_0
	s_or_b64 s[2:3], s[2:3], s[8:9]
	s_mov_b64 s[24:25], s[54:55]
.LBB10_222:                             ;   in Loop: Header=BB10_6 Depth=1
	s_or_b64 exec, exec, s[12:13]
	s_mov_b64 s[12:13], 0
	s_mov_b64 s[28:29], -1
.LBB10_223:                             ;   in Loop: Header=BB10_6 Depth=1
	s_orn2_b64 s[64:65], s[2:3], exec
.LBB10_224:                             ;   in Loop: Header=BB10_6 Depth=1
	s_or_b64 exec, exec, s[56:57]
	s_mov_b64 s[56:57], 0
	s_and_saveexec_b64 s[2:3], s[64:65]
	s_cbranch_execz .LBB10_235
; %bb.225:                              ;   in Loop: Header=BB10_6 Depth=1
	s_xor_b64 s[8:9], s[24:25], -1
	v_mov_b32_e32 v1, 1
	v_mov_b32_e32 v6, 1
	s_and_saveexec_b64 s[54:55], s[8:9]
	s_cbranch_execz .LBB10_234
; %bb.226:                              ;   in Loop: Header=BB10_6 Depth=1
	v_cmp_ge_u32_e32 vcc, s59, v4
	s_and_saveexec_b64 s[8:9], vcc
	s_xor_b64 s[56:57], exec, s[8:9]
	s_cbranch_execz .LBB10_231
; %bb.227:                              ;   in Loop: Header=BB10_6 Depth=1
	ds_read_b32 v1, v23 offset:4096
	v_or_b32_e32 v3, s22, v3
	v_or_b32_e32 v2, s22, v2
	s_waitcnt lgkmcnt(0)
	v_cmp_ne_u32_e32 vcc, 0, v1
	s_cbranch_vccnz .LBB10_231
; %bb.228:                              ;   in Loop: Header=BB10_6 Depth=1
	s_mov_b64 s[8:9], exec
	v_readlane_b32 s24, v52, 22
	v_readlane_b32 s25, v52, 23
	s_and_b64 s[24:25], s[8:9], s[24:25]
	s_mov_b64 exec, s[24:25]
; %bb.229:                              ;   in Loop: Header=BB10_6 Depth=1
	v_mov_b32_e32 v1, s59
	ds_write_b32 v23, v1 offset:4100
; %bb.230:                              ;   in Loop: Header=BB10_6 Depth=1
	s_or_b64 exec, exec, s[8:9]
	s_waitcnt lgkmcnt(0)
	s_barrier
.LBB10_231:                             ;   in Loop: Header=BB10_6 Depth=1
	s_andn2_saveexec_b64 s[24:25], s[56:57]
; %bb.232:                              ;   in Loop: Header=BB10_6 Depth=1
	v_subrev_u32_e32 v4, s59, v4
; %bb.233:                              ;   in Loop: Header=BB10_6 Depth=1
	s_or_b64 exec, exec, s[24:25]
	v_mov_b32_e32 v1, 8
	v_mov_b32_e32 v6, v4
.LBB10_234:                             ;   in Loop: Header=BB10_6 Depth=1
	s_or_b64 exec, exec, s[54:55]
	s_mov_b64 s[56:57], exec
	v_mov_b32_e32 v4, v6
.LBB10_235:                             ;   in Loop: Header=BB10_6 Depth=1
	s_or_b64 exec, exec, s[2:3]
	s_orn2_b64 s[2:3], s[56:57], exec
.LBB10_236:                             ;   in Loop: Header=BB10_6 Depth=1
	s_or_b64 exec, exec, s[18:19]
	s_andn2_b64 s[8:9], s[14:15], exec
	s_and_b64 s[14:15], s[28:29], exec
	s_or_b64 s[14:15], s[8:9], s[14:15]
	s_andn2_b64 s[8:9], s[46:47], exec
	s_and_b64 s[12:13], s[12:13], exec
	s_or_b64 s[46:47], s[8:9], s[12:13]
	s_and_b64 s[18:19], s[2:3], exec
	v_mov_b32_e32 v6, v4
.LBB10_237:                             ;   in Loop: Header=BB10_6 Depth=1
	s_or_b64 exec, exec, s[16:17]
	s_orn2_b64 s[2:3], s[18:19], exec
.LBB10_238:                             ;   in Loop: Header=BB10_6 Depth=1
	s_or_b64 exec, exec, s[44:45]
	s_andn2_b64 s[8:9], s[42:43], exec
	s_and_b64 s[12:13], s[14:15], exec
	s_or_b64 s[42:43], s[8:9], s[12:13]
	s_andn2_b64 s[8:9], s[34:35], exec
	s_and_b64 s[12:13], s[46:47], exec
	s_or_b64 s[34:35], s[8:9], s[12:13]
	s_and_b64 s[14:15], s[2:3], exec
	v_mov_b32_e32 v4, v6
.LBB10_239:                             ;   in Loop: Header=BB10_6 Depth=1
	s_or_b64 exec, exec, s[92:93]
	s_orn2_b64 s[2:3], s[14:15], exec
.LBB10_240:                             ;   in Loop: Header=BB10_6 Depth=1
	s_or_b64 exec, exec, s[6:7]
	s_mov_b64 s[6:7], 0
	s_mov_b64 s[12:13], 0
	s_and_saveexec_b64 s[8:9], s[2:3]
	s_xor_b64 s[2:3], exec, s[8:9]
; %bb.241:                              ;   in Loop: Header=BB10_6 Depth=1
	v_cmp_eq_u32_e32 vcc, 8, v1
	v_cmp_ne_u32_e64 s[6:7], 8, v1
	s_and_b64 s[12:13], s[6:7], exec
	s_and_b64 s[6:7], vcc, exec
; %bb.242:                              ;   in Loop: Header=BB10_6 Depth=1
	s_or_b64 exec, exec, s[2:3]
	s_andn2_b64 s[2:3], s[50:51], exec
	s_and_b64 s[8:9], s[42:43], exec
	s_or_b64 s[50:51], s[2:3], s[8:9]
	s_andn2_b64 s[2:3], s[94:95], exec
	s_and_b64 s[8:9], s[34:35], exec
	s_or_b64 s[94:95], s[2:3], s[8:9]
	s_and_b64 s[34:35], s[12:13], exec
	s_and_b64 s[92:93], s[6:7], exec
.LBB10_243:                             ;   in Loop: Header=BB10_6 Depth=1
	s_or_b64 exec, exec, s[40:41]
.LBB10_244:                             ;   in Loop: Header=BB10_6 Depth=1
	s_and_b64 vcc, exec, s[52:53]
	s_cbranch_vccz .LBB10_257
; %bb.245:                              ;   in Loop: Header=BB10_6 Depth=1
	s_cmp_eq_u32 s59, 1
	s_cselect_b64 s[2:3], -1, 0
	s_and_b64 s[6:7], s[2:3], s[26:27]
	s_mov_b64 s[2:3], -1
                                        ; implicit-def: $sgpr26_sgpr27
                                        ; implicit-def: $sgpr30_sgpr31
	s_and_saveexec_b64 s[12:13], s[6:7]
	s_cbranch_execz .LBB10_272
; %bb.246:                              ;   in Loop: Header=BB10_6 Depth=1
	ds_read_b32 v1, v23 offset:4096
	s_waitcnt lgkmcnt(0)
	s_barrier
	v_readfirstlane_b32 s40, v1
	s_mov_b64 s[2:3], exec
	v_readlane_b32 s8, v52, 37
	v_readlane_b32 s9, v52, 38
	s_and_b64 s[8:9], s[2:3], s[8:9]
	s_mov_b64 exec, s[8:9]
; %bb.247:                              ;   in Loop: Header=BB10_6 Depth=1
	ds_write_b8 v0, v23 offset:3072
; %bb.248:                              ;   in Loop: Header=BB10_6 Depth=1
	s_or_b64 exec, exec, s[2:3]
	v_or_b32_e32 v29, s22, v29
	v_or_b32_e32 v38, s22, v38
	s_mov_b64 s[30:31], -1
	s_mov_b64 s[26:27], 0
	s_cmp_eq_u32 s40, 0
	s_mov_b64 s[14:15], 0
	s_mov_b64 s[2:3], -1
	s_waitcnt lgkmcnt(0)
	s_barrier
                                        ; implicit-def: $vgpr39
	s_cbranch_scc1 .LBB10_260
; %bb.249:                              ;   in Loop: Header=BB10_6 Depth=1
	v_readlane_b32 s2, v52, 39
	s_add_i32 s2, s40, s2
	v_readlane_b32 s3, v52, 61
	s_mul_hi_u32 s3, s2, s3
	s_mul_i32 s3, s3, s33
	s_sub_i32 s3, s2, s3
	s_sub_i32 s8, s3, s33
	s_cmp_ge_u32 s3, s33
	s_cselect_b32 s3, s8, s3
	s_sub_i32 s8, s3, s33
	s_cmp_ge_u32 s3, s33
	s_cselect_b32 s3, s8, s3
	s_sub_i32 s41, s2, s3
	v_cmp_gt_u32_e32 vcc, s41, v0
	s_mov_b64 s[2:3], 0
                                        ; implicit-def: $vgpr39
	s_and_saveexec_b64 s[16:17], vcc
	s_cbranch_execz .LBB10_259
; %bb.250:                              ;   in Loop: Header=BB10_6 Depth=1
	v_mov_b32_e32 v1, v0
                                        ; implicit-def: $sgpr18_sgpr19
	s_branch .LBB10_253
.LBB10_251:                             ;   in Loop: Header=BB10_253 Depth=2
	s_or_b64 exec, exec, s[28:29]
	s_waitcnt lgkmcnt(0)
	s_barrier
	ds_read_u16 v2, v23 offset:3072
	s_mov_b64 s[8:9], -1
	s_waitcnt lgkmcnt(0)
	s_barrier
	v_cmp_ne_u32_sdwa s[24:25], v2, v23 src0_sel:BYTE_0 src1_sel:DWORD
	s_and_b64 vcc, exec, s[24:25]
	s_mov_b64 s[24:25], -1
	s_cbranch_vccz .LBB10_256
.LBB10_252:                             ;   in Loop: Header=BB10_253 Depth=2
	s_and_b64 s[8:9], exec, s[8:9]
	s_or_b64 s[14:15], s[8:9], s[14:15]
	s_andn2_b64 s[8:9], s[18:19], exec
	s_and_b64 s[18:19], s[24:25], exec
	s_or_b64 s[18:19], s[8:9], s[18:19]
	s_andn2_b64 exec, exec, s[14:15]
	s_cbranch_execz .LBB10_258
.LBB10_253:                             ;   Parent Loop BB10_6 Depth=1
                                        ; =>  This Inner Loop Header: Depth=2
	v_cmp_gt_u32_e32 vcc, s40, v1
	s_and_saveexec_b64 s[28:29], vcc
	s_cbranch_execz .LBB10_251
; %bb.254:                              ;   in Loop: Header=BB10_253 Depth=2
	ds_read_u8 v2, v1
	s_waitcnt lgkmcnt(0)
	v_and_b32_e32 v3, v2, v38
	v_cmp_eq_u32_sdwa s[8:9], v3, v29 src0_sel:BYTE_0 src1_sel:DWORD
	s_and_b64 exec, exec, s[8:9]
	s_cbranch_execz .LBB10_251
; %bb.255:                              ;   in Loop: Header=BB10_253 Depth=2
	v_lshlrev_b16_e32 v2, 8, v2
	v_or_b32_e32 v2, 1, v2
	ds_write_b16 v23, v2 offset:3072
	s_branch .LBB10_251
.LBB10_256:                             ;   in Loop: Header=BB10_253 Depth=2
	v_add_u32_e32 v1, s33, v1
	v_cmp_le_u32_e32 vcc, s41, v1
	s_mov_b64 s[24:25], 0
	s_orn2_b64 s[8:9], vcc, exec
	s_branch .LBB10_252
.LBB10_257:                             ;   in Loop: Header=BB10_6 Depth=1
	s_mov_b64 s[26:27], 0
	v_mov_b32_e32 v29, v3
	v_mov_b32_e32 v38, v2
	v_mov_b32_e32 v39, v5
	s_and_saveexec_b64 s[2:3], s[92:93]
	s_cbranch_execnz .LBB10_403
	s_branch .LBB10_404
.LBB10_258:                             ;   in Loop: Header=BB10_6 Depth=1
	s_or_b64 exec, exec, s[14:15]
	v_lshrrev_b32_sdwa v39, v37, v2 dst_sel:DWORD dst_unused:UNUSED_PAD src0_sel:DWORD src1_sel:WORD_0
	s_and_b64 s[14:15], s[18:19], exec
.LBB10_259:                             ;   in Loop: Header=BB10_6 Depth=1
	s_or_b64 exec, exec, s[16:17]
.LBB10_260:                             ;   in Loop: Header=BB10_6 Depth=1
	s_and_b64 vcc, exec, s[2:3]
	s_cbranch_vccz .LBB10_271
; %bb.261:                              ;   in Loop: Header=BB10_6 Depth=1
                                        ; implicit-def: $vgpr39
	s_mov_b64 s[2:3], exec
	v_readlane_b32 s8, v52, 62
	v_readlane_b32 s9, v52, 63
	s_and_b64 s[8:9], s[2:3], s[8:9]
	s_mov_b64 exec, s[8:9]
	s_cbranch_execz .LBB10_270
; %bb.262:                              ;   in Loop: Header=BB10_6 Depth=1
	s_mov_b64 s[16:17], 0
	v_mov_b32_e32 v1, v22
	v_mov_b32_e32 v2, v0
                                        ; implicit-def: $sgpr18_sgpr19
	s_branch .LBB10_265
.LBB10_263:                             ;   in Loop: Header=BB10_265 Depth=2
	s_or_b64 exec, exec, s[26:27]
	s_waitcnt lgkmcnt(0)
	s_barrier
	ds_read_u16 v3, v23 offset:3072
	s_mov_b64 s[24:25], -1
	s_mov_b64 s[26:27], -1
	s_waitcnt lgkmcnt(0)
	s_barrier
	v_cmp_ne_u32_sdwa s[8:9], v3, v23 src0_sel:BYTE_0 src1_sel:DWORD
	s_and_b64 vcc, exec, s[8:9]
	s_cbranch_vccz .LBB10_268
.LBB10_264:                             ;   in Loop: Header=BB10_265 Depth=2
	s_and_b64 s[8:9], exec, s[24:25]
	s_or_b64 s[16:17], s[8:9], s[16:17]
	s_andn2_b64 s[8:9], s[18:19], exec
	s_and_b64 s[18:19], s[26:27], exec
	s_or_b64 s[18:19], s[8:9], s[18:19]
	s_andn2_b64 exec, exec, s[16:17]
	s_cbranch_execz .LBB10_269
.LBB10_265:                             ;   Parent Loop BB10_6 Depth=1
                                        ; =>  This Inner Loop Header: Depth=2
	v_cmp_gt_u32_e32 vcc, s36, v2
	s_and_saveexec_b64 s[26:27], vcc
	s_cbranch_execz .LBB10_263
; %bb.266:                              ;   in Loop: Header=BB10_265 Depth=2
	global_load_ubyte v3, v1, s[48:49]
	s_waitcnt vmcnt(0)
	v_and_b32_e32 v4, v3, v38
	v_cmp_eq_u32_sdwa s[8:9], v4, v29 src0_sel:BYTE_0 src1_sel:DWORD
	s_and_b64 exec, exec, s[8:9]
	s_cbranch_execz .LBB10_263
; %bb.267:                              ;   in Loop: Header=BB10_265 Depth=2
	v_lshlrev_b16_e32 v3, 8, v3
	v_or_b32_e32 v3, 1, v3
	ds_write_b16 v23, v3 offset:3072
	s_branch .LBB10_263
.LBB10_268:                             ;   in Loop: Header=BB10_265 Depth=2
	v_add_u32_e32 v2, s33, v2
	v_cmp_le_u32_e32 vcc, s4, v2
	v_add_u32_e32 v1, s61, v1
	s_mov_b64 s[26:27], 0
	s_orn2_b64 s[24:25], vcc, exec
	s_branch .LBB10_264
.LBB10_269:                             ;   in Loop: Header=BB10_6 Depth=1
	s_or_b64 exec, exec, s[16:17]
	s_andn2_b64 s[8:9], s[14:15], exec
	s_and_b64 s[14:15], s[18:19], exec
	v_lshrrev_b32_sdwa v39, v37, v3 dst_sel:DWORD dst_unused:UNUSED_PAD src0_sel:DWORD src1_sel:WORD_0
	s_or_b64 s[14:15], s[8:9], s[14:15]
.LBB10_270:                             ;   in Loop: Header=BB10_6 Depth=1
	s_or_b64 exec, exec, s[2:3]
	s_mov_b64 s[30:31], 0
	s_mov_b64 s[26:27], -1
.LBB10_271:                             ;   in Loop: Header=BB10_6 Depth=1
	s_orn2_b64 s[2:3], s[14:15], exec
.LBB10_272:                             ;   in Loop: Header=BB10_6 Depth=1
	s_or_b64 exec, exec, s[12:13]
                                        ; implicit-def: $vgpr4
                                        ; implicit-def: $vgpr1
	s_and_saveexec_b64 s[50:51], s[2:3]
	s_cbranch_execz .LBB10_402
; %bb.273:                              ;   in Loop: Header=BB10_6 Depth=1
	s_xor_b64 s[8:9], s[6:7], -1
	s_mov_b64 s[6:7], 0
	v_mov_b32_e32 v4, 1
	v_mov_b32_e32 v1, 1
	s_and_saveexec_b64 s[2:3], s[8:9]
	s_cbranch_execz .LBB10_282
; %bb.274:                              ;   in Loop: Header=BB10_6 Depth=1
	v_cmp_ge_u32_e32 vcc, s59, v40
	s_and_saveexec_b64 s[6:7], vcc
	s_xor_b64 s[6:7], exec, s[6:7]
	s_cbranch_execz .LBB10_279
; %bb.275:                              ;   in Loop: Header=BB10_6 Depth=1
	ds_read_b32 v1, v23 offset:4096
	v_or_b32_e32 v29, s22, v29
	v_or_b32_e32 v38, s22, v38
	s_waitcnt lgkmcnt(0)
	v_cmp_ne_u32_e32 vcc, 0, v1
	s_cbranch_vccnz .LBB10_279
; %bb.276:                              ;   in Loop: Header=BB10_6 Depth=1
	s_mov_b64 s[8:9], exec
	v_readlane_b32 s12, v52, 22
	v_readlane_b32 s13, v52, 23
	s_and_b64 s[12:13], s[8:9], s[12:13]
	s_mov_b64 exec, s[12:13]
; %bb.277:                              ;   in Loop: Header=BB10_6 Depth=1
	v_mov_b32_e32 v1, s59
	ds_write_b32 v23, v1 offset:4100
; %bb.278:                              ;   in Loop: Header=BB10_6 Depth=1
	s_or_b64 exec, exec, s[8:9]
	s_waitcnt lgkmcnt(0)
	s_barrier
.LBB10_279:                             ;   in Loop: Header=BB10_6 Depth=1
	s_or_saveexec_b64 s[6:7], s[6:7]
	s_mov_b64 s[12:13], 0
	v_mov_b32_e32 v1, 5
	s_xor_b64 exec, exec, s[6:7]
; %bb.280:                              ;   in Loop: Header=BB10_6 Depth=1
	v_subrev_u32_e32 v40, s59, v40
	v_mov_b32_e32 v1, 0
	s_mov_b64 s[12:13], exec
; %bb.281:                              ;   in Loop: Header=BB10_6 Depth=1
	s_or_b64 exec, exec, s[6:7]
	s_and_b64 s[6:7], s[12:13], exec
	v_mov_b32_e32 v4, v40
.LBB10_282:                             ;   in Loop: Header=BB10_6 Depth=1
	s_or_b64 exec, exec, s[2:3]
	s_mov_b64 s[2:3], -1
                                        ; implicit-def: $sgpr40_sgpr41
                                        ; implicit-def: $sgpr42_sgpr43
	s_and_saveexec_b64 s[8:9], s[6:7]
	s_xor_b64 s[6:7], exec, s[8:9]
	s_cbranch_execz .LBB10_399
; %bb.283:                              ;   in Loop: Header=BB10_6 Depth=1
	s_cmp_eq_u32 s58, 1
	s_cselect_b64 s[2:3], -1, 0
	v_cmp_eq_u32_e32 vcc, 1, v4
	s_and_b64 s[12:13], s[2:3], vcc
	s_mov_b64 s[2:3], -1
                                        ; implicit-def: $sgpr42_sgpr43
                                        ; implicit-def: $sgpr40_sgpr41
	s_and_saveexec_b64 s[14:15], s[12:13]
	s_cbranch_execz .LBB10_309
; %bb.284:                              ;   in Loop: Header=BB10_6 Depth=1
	ds_read_b32 v2, v23 offset:4096
	s_waitcnt lgkmcnt(0)
	s_barrier
	v_readfirstlane_b32 s46, v2
	s_mov_b64 s[2:3], exec
	v_readlane_b32 s8, v52, 37
	v_readlane_b32 s9, v52, 38
	s_and_b64 s[8:9], s[2:3], s[8:9]
	s_mov_b64 exec, s[8:9]
; %bb.285:                              ;   in Loop: Header=BB10_6 Depth=1
	ds_write_b8 v0, v23 offset:3072
; %bb.286:                              ;   in Loop: Header=BB10_6 Depth=1
	s_or_b64 exec, exec, s[2:3]
	v_and_b32_e32 v2, s38, v29
	v_lshl_or_b32 v29, 2, s10, v2
	v_or_b32_e32 v38, s22, v38
	s_mov_b64 s[40:41], -1
	s_mov_b64 s[42:43], 0
	s_cmp_eq_u32 s46, 0
	s_mov_b64 s[16:17], 0
	s_mov_b64 s[2:3], -1
	s_waitcnt lgkmcnt(0)
	s_barrier
                                        ; implicit-def: $vgpr39
	s_cbranch_scc1 .LBB10_297
; %bb.287:                              ;   in Loop: Header=BB10_6 Depth=1
	v_readlane_b32 s2, v52, 39
	s_add_i32 s2, s46, s2
	v_readlane_b32 s3, v52, 61
	s_mul_hi_u32 s3, s2, s3
	s_mul_i32 s3, s3, s33
	s_sub_i32 s3, s2, s3
	s_sub_i32 s8, s3, s33
	s_cmp_ge_u32 s3, s33
	s_cselect_b32 s3, s8, s3
	s_sub_i32 s8, s3, s33
	s_cmp_ge_u32 s3, s33
	s_cselect_b32 s3, s8, s3
	s_sub_i32 s47, s2, s3
	v_cmp_gt_u32_e32 vcc, s47, v0
	s_mov_b64 s[2:3], 0
                                        ; implicit-def: $vgpr39
	s_and_saveexec_b64 s[18:19], vcc
	s_cbranch_execz .LBB10_296
; %bb.288:                              ;   in Loop: Header=BB10_6 Depth=1
	v_mov_b32_e32 v2, v0
                                        ; implicit-def: $sgpr28_sgpr29
	s_branch .LBB10_291
.LBB10_289:                             ;   in Loop: Header=BB10_291 Depth=2
	s_or_b64 exec, exec, s[44:45]
	s_waitcnt lgkmcnt(0)
	s_barrier
	ds_read_u16 v3, v23 offset:3072
	s_mov_b64 s[8:9], -1
	s_waitcnt lgkmcnt(0)
	s_barrier
	v_cmp_ne_u32_sdwa s[24:25], v3, v23 src0_sel:BYTE_0 src1_sel:DWORD
	s_and_b64 vcc, exec, s[24:25]
	s_mov_b64 s[24:25], -1
	s_cbranch_vccz .LBB10_294
.LBB10_290:                             ;   in Loop: Header=BB10_291 Depth=2
	s_and_b64 s[8:9], exec, s[8:9]
	s_or_b64 s[16:17], s[8:9], s[16:17]
	s_andn2_b64 s[8:9], s[28:29], exec
	s_and_b64 s[24:25], s[24:25], exec
	s_or_b64 s[28:29], s[8:9], s[24:25]
	s_andn2_b64 exec, exec, s[16:17]
	s_cbranch_execz .LBB10_295
.LBB10_291:                             ;   Parent Loop BB10_6 Depth=1
                                        ; =>  This Inner Loop Header: Depth=2
	v_cmp_gt_u32_e32 vcc, s46, v2
	s_and_saveexec_b64 s[44:45], vcc
	s_cbranch_execz .LBB10_289
; %bb.292:                              ;   in Loop: Header=BB10_291 Depth=2
	ds_read_u8 v3, v2
	s_waitcnt lgkmcnt(0)
	v_and_b32_e32 v5, v3, v38
	v_cmp_eq_u32_sdwa s[8:9], v5, v29 src0_sel:BYTE_0 src1_sel:DWORD
	s_and_b64 exec, exec, s[8:9]
	s_cbranch_execz .LBB10_289
; %bb.293:                              ;   in Loop: Header=BB10_291 Depth=2
	v_lshlrev_b16_e32 v3, 8, v3
	v_or_b32_e32 v3, 1, v3
	ds_write_b16 v23, v3 offset:3072
	s_branch .LBB10_289
.LBB10_294:                             ;   in Loop: Header=BB10_291 Depth=2
	v_add_u32_e32 v2, s33, v2
	v_cmp_le_u32_e32 vcc, s47, v2
	s_mov_b64 s[24:25], 0
	s_orn2_b64 s[8:9], vcc, exec
	s_branch .LBB10_290
.LBB10_295:                             ;   in Loop: Header=BB10_6 Depth=1
	s_or_b64 exec, exec, s[16:17]
	v_lshrrev_b32_sdwa v39, v37, v3 dst_sel:DWORD dst_unused:UNUSED_PAD src0_sel:DWORD src1_sel:WORD_0
	s_and_b64 s[16:17], s[28:29], exec
.LBB10_296:                             ;   in Loop: Header=BB10_6 Depth=1
	s_or_b64 exec, exec, s[18:19]
.LBB10_297:                             ;   in Loop: Header=BB10_6 Depth=1
	s_and_b64 vcc, exec, s[2:3]
	s_cbranch_vccz .LBB10_308
; %bb.298:                              ;   in Loop: Header=BB10_6 Depth=1
                                        ; implicit-def: $vgpr39
	s_mov_b64 s[2:3], exec
	v_readlane_b32 s8, v52, 62
	v_readlane_b32 s9, v52, 63
	s_and_b64 s[8:9], s[2:3], s[8:9]
	s_mov_b64 exec, s[8:9]
	s_cbranch_execz .LBB10_307
; %bb.299:                              ;   in Loop: Header=BB10_6 Depth=1
	s_mov_b64 s[18:19], 0
	v_mov_b32_e32 v2, v22
	v_mov_b32_e32 v3, v0
                                        ; implicit-def: $sgpr28_sgpr29
	s_branch .LBB10_302
.LBB10_300:                             ;   in Loop: Header=BB10_302 Depth=2
	s_or_b64 exec, exec, s[40:41]
	s_waitcnt lgkmcnt(0)
	s_barrier
	ds_read_u16 v5, v23 offset:3072
	s_mov_b64 s[24:25], -1
	s_mov_b64 s[40:41], -1
	s_waitcnt lgkmcnt(0)
	s_barrier
	v_cmp_eq_u32_sdwa s[8:9], v5, v23 src0_sel:BYTE_0 src1_sel:DWORD
	s_and_b64 vcc, exec, s[8:9]
	s_cbranch_vccnz .LBB10_305
.LBB10_301:                             ;   in Loop: Header=BB10_302 Depth=2
	s_and_b64 s[8:9], exec, s[24:25]
	s_or_b64 s[18:19], s[8:9], s[18:19]
	s_andn2_b64 s[8:9], s[28:29], exec
	s_and_b64 s[24:25], s[40:41], exec
	s_or_b64 s[28:29], s[8:9], s[24:25]
	s_andn2_b64 exec, exec, s[18:19]
	s_cbranch_execz .LBB10_306
.LBB10_302:                             ;   Parent Loop BB10_6 Depth=1
                                        ; =>  This Inner Loop Header: Depth=2
	v_cmp_gt_u32_e32 vcc, s36, v3
	s_and_saveexec_b64 s[40:41], vcc
	s_cbranch_execz .LBB10_300
; %bb.303:                              ;   in Loop: Header=BB10_302 Depth=2
	global_load_ubyte v5, v2, s[48:49]
	s_waitcnt vmcnt(0)
	v_and_b32_e32 v6, v5, v38
	v_cmp_eq_u32_sdwa s[8:9], v6, v29 src0_sel:BYTE_0 src1_sel:DWORD
	s_and_b64 exec, exec, s[8:9]
	s_cbranch_execz .LBB10_300
; %bb.304:                              ;   in Loop: Header=BB10_302 Depth=2
	v_lshlrev_b16_e32 v5, 8, v5
	v_or_b32_e32 v5, 1, v5
	ds_write_b16 v23, v5 offset:3072
	s_branch .LBB10_300
.LBB10_305:                             ;   in Loop: Header=BB10_302 Depth=2
	v_add_u32_e32 v3, s33, v3
	v_cmp_le_u32_e32 vcc, s4, v3
	v_add_u32_e32 v2, s61, v2
	s_mov_b64 s[40:41], 0
	s_orn2_b64 s[24:25], vcc, exec
	s_branch .LBB10_301
.LBB10_306:                             ;   in Loop: Header=BB10_6 Depth=1
	s_or_b64 exec, exec, s[18:19]
	s_andn2_b64 s[8:9], s[16:17], exec
	s_and_b64 s[16:17], s[28:29], exec
	v_lshrrev_b32_sdwa v39, v37, v5 dst_sel:DWORD dst_unused:UNUSED_PAD src0_sel:DWORD src1_sel:WORD_0
	s_or_b64 s[16:17], s[8:9], s[16:17]
.LBB10_307:                             ;   in Loop: Header=BB10_6 Depth=1
	s_or_b64 exec, exec, s[2:3]
	s_mov_b64 s[40:41], 0
	s_mov_b64 s[42:43], -1
.LBB10_308:                             ;   in Loop: Header=BB10_6 Depth=1
	s_orn2_b64 s[2:3], s[16:17], exec
.LBB10_309:                             ;   in Loop: Header=BB10_6 Depth=1
	s_or_b64 exec, exec, s[14:15]
	s_mov_b64 s[14:15], 0
	s_and_saveexec_b64 s[52:53], s[2:3]
	s_cbranch_execz .LBB10_398
; %bb.310:                              ;   in Loop: Header=BB10_6 Depth=1
	s_xor_b64 s[8:9], s[12:13], -1
	s_mov_b64 s[12:13], 0
	v_mov_b32_e32 v2, 1
	v_mov_b32_e32 v1, 1
	s_and_saveexec_b64 s[2:3], s[8:9]
	s_cbranch_execz .LBB10_319
; %bb.311:                              ;   in Loop: Header=BB10_6 Depth=1
	v_cmp_ge_u32_e32 vcc, s58, v4
	s_and_saveexec_b64 s[8:9], vcc
	s_xor_b64 s[12:13], exec, s[8:9]
	s_cbranch_execz .LBB10_316
; %bb.312:                              ;   in Loop: Header=BB10_6 Depth=1
	v_and_b32_e32 v1, s38, v29
	v_lshl_or_b32 v29, 2, s10, v1
	ds_read_b32 v1, v23 offset:4096
	v_or_b32_e32 v38, s22, v38
	s_waitcnt lgkmcnt(0)
	v_cmp_ne_u32_e32 vcc, 0, v1
	s_cbranch_vccnz .LBB10_316
; %bb.313:                              ;   in Loop: Header=BB10_6 Depth=1
	s_mov_b64 s[8:9], exec
	v_readlane_b32 s14, v52, 22
	v_readlane_b32 s15, v52, 23
	s_and_b64 s[14:15], s[8:9], s[14:15]
	s_mov_b64 exec, s[14:15]
; %bb.314:                              ;   in Loop: Header=BB10_6 Depth=1
	v_mov_b32_e32 v1, s58
	ds_write_b32 v23, v1 offset:4100
; %bb.315:                              ;   in Loop: Header=BB10_6 Depth=1
	s_or_b64 exec, exec, s[8:9]
	s_waitcnt lgkmcnt(0)
	s_barrier
.LBB10_316:                             ;   in Loop: Header=BB10_6 Depth=1
	s_or_saveexec_b64 s[12:13], s[12:13]
	s_mov_b64 s[14:15], 0
	v_mov_b32_e32 v1, 5
	s_xor_b64 exec, exec, s[12:13]
; %bb.317:                              ;   in Loop: Header=BB10_6 Depth=1
	v_subrev_u32_e32 v4, s58, v4
	v_mov_b32_e32 v1, 0
	s_mov_b64 s[14:15], exec
; %bb.318:                              ;   in Loop: Header=BB10_6 Depth=1
	s_or_b64 exec, exec, s[12:13]
	s_and_b64 s[12:13], s[14:15], exec
	v_mov_b32_e32 v2, v4
.LBB10_319:                             ;   in Loop: Header=BB10_6 Depth=1
	s_or_b64 exec, exec, s[2:3]
	s_mov_b64 s[2:3], -1
                                        ; implicit-def: $sgpr44_sgpr45
                                        ; implicit-def: $sgpr46_sgpr47
	s_and_saveexec_b64 s[94:95], s[12:13]
	s_cbranch_execz .LBB10_397
; %bb.320:                              ;   in Loop: Header=BB10_6 Depth=1
	s_cmp_eq_u32 s39, 1
	s_cselect_b64 s[2:3], -1, 0
	v_cmp_eq_u32_e32 vcc, 1, v2
	s_and_b64 s[12:13], s[2:3], vcc
	s_mov_b64 s[2:3], -1
                                        ; implicit-def: $sgpr46_sgpr47
                                        ; implicit-def: $sgpr44_sgpr45
	s_and_saveexec_b64 s[14:15], s[12:13]
	s_cbranch_execz .LBB10_346
; %bb.321:                              ;   in Loop: Header=BB10_6 Depth=1
	ds_read_b32 v3, v23 offset:4096
	s_waitcnt lgkmcnt(0)
	s_barrier
	v_readfirstlane_b32 s56, v3
	s_mov_b64 s[2:3], exec
	v_readlane_b32 s8, v52, 37
	v_readlane_b32 s9, v52, 38
	s_and_b64 s[8:9], s[2:3], s[8:9]
	s_mov_b64 exec, s[8:9]
; %bb.322:                              ;   in Loop: Header=BB10_6 Depth=1
	ds_write_b8 v0, v23 offset:3072
; %bb.323:                              ;   in Loop: Header=BB10_6 Depth=1
	s_or_b64 exec, exec, s[2:3]
	v_and_b32_e32 v3, s38, v29
	v_lshl_or_b32 v29, 1, s10, v3
	v_or_b32_e32 v38, s22, v38
	s_mov_b64 s[44:45], -1
	s_mov_b64 s[46:47], 0
	s_cmp_eq_u32 s56, 0
	s_mov_b64 s[16:17], 0
	s_mov_b64 s[2:3], -1
	s_waitcnt lgkmcnt(0)
	s_barrier
                                        ; implicit-def: $vgpr39
	s_cbranch_scc1 .LBB10_334
; %bb.324:                              ;   in Loop: Header=BB10_6 Depth=1
	v_readlane_b32 s2, v52, 39
	s_add_i32 s2, s56, s2
	v_readlane_b32 s3, v52, 61
	s_mul_hi_u32 s3, s2, s3
	s_mul_i32 s3, s3, s33
	s_sub_i32 s3, s2, s3
	s_sub_i32 s8, s3, s33
	s_cmp_ge_u32 s3, s33
	s_cselect_b32 s3, s8, s3
	s_sub_i32 s8, s3, s33
	s_cmp_ge_u32 s3, s33
	s_cselect_b32 s3, s8, s3
	s_sub_i32 s57, s2, s3
	v_cmp_gt_u32_e32 vcc, s57, v0
	s_mov_b64 s[2:3], 0
                                        ; implicit-def: $vgpr39
	s_and_saveexec_b64 s[18:19], vcc
	s_cbranch_execz .LBB10_333
; %bb.325:                              ;   in Loop: Header=BB10_6 Depth=1
	v_mov_b32_e32 v3, v0
                                        ; implicit-def: $sgpr28_sgpr29
	s_branch .LBB10_328
.LBB10_326:                             ;   in Loop: Header=BB10_328 Depth=2
	s_or_b64 exec, exec, s[54:55]
	s_waitcnt lgkmcnt(0)
	s_barrier
	ds_read_u16 v4, v23 offset:3072
	s_mov_b64 s[8:9], -1
	s_waitcnt lgkmcnt(0)
	s_barrier
	v_cmp_ne_u32_sdwa s[24:25], v4, v23 src0_sel:BYTE_0 src1_sel:DWORD
	s_and_b64 vcc, exec, s[24:25]
	s_mov_b64 s[24:25], -1
	s_cbranch_vccz .LBB10_331
.LBB10_327:                             ;   in Loop: Header=BB10_328 Depth=2
	s_and_b64 s[8:9], exec, s[8:9]
	s_or_b64 s[16:17], s[8:9], s[16:17]
	s_andn2_b64 s[8:9], s[28:29], exec
	s_and_b64 s[24:25], s[24:25], exec
	s_or_b64 s[28:29], s[8:9], s[24:25]
	s_andn2_b64 exec, exec, s[16:17]
	s_cbranch_execz .LBB10_332
.LBB10_328:                             ;   Parent Loop BB10_6 Depth=1
                                        ; =>  This Inner Loop Header: Depth=2
	v_cmp_gt_u32_e32 vcc, s56, v3
	s_and_saveexec_b64 s[54:55], vcc
	s_cbranch_execz .LBB10_326
; %bb.329:                              ;   in Loop: Header=BB10_328 Depth=2
	ds_read_u8 v4, v3
	s_waitcnt lgkmcnt(0)
	v_and_b32_e32 v5, v4, v38
	v_cmp_eq_u32_sdwa s[8:9], v5, v29 src0_sel:BYTE_0 src1_sel:DWORD
	s_and_b64 exec, exec, s[8:9]
	s_cbranch_execz .LBB10_326
; %bb.330:                              ;   in Loop: Header=BB10_328 Depth=2
	v_lshlrev_b16_e32 v4, 8, v4
	v_or_b32_e32 v4, 1, v4
	ds_write_b16 v23, v4 offset:3072
	s_branch .LBB10_326
.LBB10_331:                             ;   in Loop: Header=BB10_328 Depth=2
	v_add_u32_e32 v3, s33, v3
	v_cmp_le_u32_e32 vcc, s57, v3
	s_mov_b64 s[24:25], 0
	s_orn2_b64 s[8:9], vcc, exec
	s_branch .LBB10_327
.LBB10_332:                             ;   in Loop: Header=BB10_6 Depth=1
	s_or_b64 exec, exec, s[16:17]
	v_lshrrev_b32_sdwa v39, v37, v4 dst_sel:DWORD dst_unused:UNUSED_PAD src0_sel:DWORD src1_sel:WORD_0
	s_and_b64 s[16:17], s[28:29], exec
.LBB10_333:                             ;   in Loop: Header=BB10_6 Depth=1
	s_or_b64 exec, exec, s[18:19]
.LBB10_334:                             ;   in Loop: Header=BB10_6 Depth=1
	s_and_b64 vcc, exec, s[2:3]
	s_cbranch_vccz .LBB10_345
; %bb.335:                              ;   in Loop: Header=BB10_6 Depth=1
                                        ; implicit-def: $vgpr39
	s_mov_b64 s[2:3], exec
	v_readlane_b32 s8, v52, 62
	v_readlane_b32 s9, v52, 63
	s_and_b64 s[8:9], s[2:3], s[8:9]
	s_mov_b64 exec, s[8:9]
	s_cbranch_execz .LBB10_344
; %bb.336:                              ;   in Loop: Header=BB10_6 Depth=1
	s_mov_b64 s[18:19], 0
	v_mov_b32_e32 v3, v22
	v_mov_b32_e32 v4, v0
                                        ; implicit-def: $sgpr28_sgpr29
	s_branch .LBB10_339
.LBB10_337:                             ;   in Loop: Header=BB10_339 Depth=2
	s_or_b64 exec, exec, s[44:45]
	s_waitcnt lgkmcnt(0)
	s_barrier
	ds_read_u16 v5, v23 offset:3072
	s_mov_b64 s[24:25], -1
	s_mov_b64 s[44:45], -1
	s_waitcnt lgkmcnt(0)
	s_barrier
	v_cmp_eq_u32_sdwa s[8:9], v5, v23 src0_sel:BYTE_0 src1_sel:DWORD
	s_and_b64 vcc, exec, s[8:9]
	s_cbranch_vccnz .LBB10_342
.LBB10_338:                             ;   in Loop: Header=BB10_339 Depth=2
	s_and_b64 s[8:9], exec, s[24:25]
	s_or_b64 s[18:19], s[8:9], s[18:19]
	s_andn2_b64 s[8:9], s[28:29], exec
	s_and_b64 s[24:25], s[44:45], exec
	s_or_b64 s[28:29], s[8:9], s[24:25]
	s_andn2_b64 exec, exec, s[18:19]
	s_cbranch_execz .LBB10_343
.LBB10_339:                             ;   Parent Loop BB10_6 Depth=1
                                        ; =>  This Inner Loop Header: Depth=2
	v_cmp_gt_u32_e32 vcc, s36, v4
	s_and_saveexec_b64 s[44:45], vcc
	s_cbranch_execz .LBB10_337
; %bb.340:                              ;   in Loop: Header=BB10_339 Depth=2
	global_load_ubyte v5, v3, s[48:49]
	s_waitcnt vmcnt(0)
	v_and_b32_e32 v6, v5, v38
	v_cmp_eq_u32_sdwa s[8:9], v6, v29 src0_sel:BYTE_0 src1_sel:DWORD
	s_and_b64 exec, exec, s[8:9]
	s_cbranch_execz .LBB10_337
; %bb.341:                              ;   in Loop: Header=BB10_339 Depth=2
	v_lshlrev_b16_e32 v5, 8, v5
	v_or_b32_e32 v5, 1, v5
	ds_write_b16 v23, v5 offset:3072
	s_branch .LBB10_337
.LBB10_342:                             ;   in Loop: Header=BB10_339 Depth=2
	v_add_u32_e32 v4, s33, v4
	v_cmp_le_u32_e32 vcc, s4, v4
	v_add_u32_e32 v3, s61, v3
	s_mov_b64 s[44:45], 0
	s_orn2_b64 s[24:25], vcc, exec
	s_branch .LBB10_338
.LBB10_343:                             ;   in Loop: Header=BB10_6 Depth=1
	s_or_b64 exec, exec, s[18:19]
	s_andn2_b64 s[8:9], s[16:17], exec
	s_and_b64 s[16:17], s[28:29], exec
	v_lshrrev_b32_sdwa v39, v37, v5 dst_sel:DWORD dst_unused:UNUSED_PAD src0_sel:DWORD src1_sel:WORD_0
	s_or_b64 s[16:17], s[8:9], s[16:17]
.LBB10_344:                             ;   in Loop: Header=BB10_6 Depth=1
	s_or_b64 exec, exec, s[2:3]
	s_mov_b64 s[44:45], 0
	s_mov_b64 s[46:47], -1
.LBB10_345:                             ;   in Loop: Header=BB10_6 Depth=1
	s_orn2_b64 s[2:3], s[16:17], exec
.LBB10_346:                             ;   in Loop: Header=BB10_6 Depth=1
	s_or_b64 exec, exec, s[14:15]
	s_mov_b64 s[16:17], 0
	s_and_saveexec_b64 s[14:15], s[2:3]
	s_cbranch_execz .LBB10_396
; %bb.347:                              ;   in Loop: Header=BB10_6 Depth=1
	s_xor_b64 s[8:9], s[12:13], -1
	s_mov_b64 s[28:29], 0
	v_mov_b32_e32 v3, 1
	v_mov_b32_e32 v1, 1
	s_and_saveexec_b64 s[2:3], s[8:9]
	s_cbranch_execz .LBB10_356
; %bb.348:                              ;   in Loop: Header=BB10_6 Depth=1
	v_cmp_ge_u32_e32 vcc, s39, v2
	s_and_saveexec_b64 s[8:9], vcc
	s_xor_b64 s[12:13], exec, s[8:9]
	s_cbranch_execz .LBB10_353
; %bb.349:                              ;   in Loop: Header=BB10_6 Depth=1
	v_and_b32_e32 v1, s38, v29
	v_lshl_or_b32 v29, 1, s10, v1
	ds_read_b32 v1, v23 offset:4096
	v_or_b32_e32 v38, s22, v38
	s_waitcnt lgkmcnt(0)
	v_cmp_ne_u32_e32 vcc, 0, v1
	s_cbranch_vccnz .LBB10_353
; %bb.350:                              ;   in Loop: Header=BB10_6 Depth=1
	s_mov_b64 s[8:9], exec
	v_readlane_b32 s16, v52, 22
	v_readlane_b32 s17, v52, 23
	s_and_b64 s[16:17], s[8:9], s[16:17]
	s_mov_b64 exec, s[16:17]
; %bb.351:                              ;   in Loop: Header=BB10_6 Depth=1
	v_mov_b32_e32 v1, s39
	ds_write_b32 v23, v1 offset:4100
; %bb.352:                              ;   in Loop: Header=BB10_6 Depth=1
	s_or_b64 exec, exec, s[8:9]
	s_waitcnt lgkmcnt(0)
	s_barrier
.LBB10_353:                             ;   in Loop: Header=BB10_6 Depth=1
	s_or_saveexec_b64 s[12:13], s[12:13]
	s_mov_b64 s[16:17], 0
	v_mov_b32_e32 v1, 5
	s_xor_b64 exec, exec, s[12:13]
; %bb.354:                              ;   in Loop: Header=BB10_6 Depth=1
	v_subrev_u32_e32 v2, s39, v2
	v_mov_b32_e32 v1, 0
	s_mov_b64 s[16:17], exec
; %bb.355:                              ;   in Loop: Header=BB10_6 Depth=1
	s_or_b64 exec, exec, s[12:13]
	s_and_b64 s[28:29], s[16:17], exec
	v_mov_b32_e32 v3, v2
.LBB10_356:                             ;   in Loop: Header=BB10_6 Depth=1
	s_or_b64 exec, exec, s[2:3]
	s_mov_b64 s[2:3], -1
                                        ; implicit-def: $sgpr12_sgpr13
                                        ; implicit-def: $sgpr18_sgpr19
	s_and_saveexec_b64 s[16:17], s[28:29]
	s_cbranch_execz .LBB10_395
; %bb.357:                              ;   in Loop: Header=BB10_6 Depth=1
	s_cmp_eq_u32 s21, 1
	s_cselect_b64 s[2:3], -1, 0
	v_cmp_eq_u32_e32 vcc, 1, v3
	s_and_b64 s[28:29], s[2:3], vcc
	s_mov_b64 s[56:57], -1
                                        ; implicit-def: $sgpr12_sgpr13
                                        ; implicit-def: $sgpr18_sgpr19
	s_and_saveexec_b64 s[54:55], s[28:29]
	s_cbranch_execz .LBB10_383
; %bb.358:                              ;   in Loop: Header=BB10_6 Depth=1
	ds_read_b32 v2, v23 offset:4096
	s_waitcnt lgkmcnt(0)
	s_barrier
	v_readfirstlane_b32 s39, v2
	s_mov_b64 s[2:3], exec
	v_readlane_b32 s8, v52, 37
	v_readlane_b32 s9, v52, 38
	s_and_b64 s[8:9], s[2:3], s[8:9]
	s_mov_b64 exec, s[8:9]
; %bb.359:                              ;   in Loop: Header=BB10_6 Depth=1
	ds_write_b8 v0, v23 offset:3072
; %bb.360:                              ;   in Loop: Header=BB10_6 Depth=1
	s_or_b64 exec, exec, s[2:3]
	v_and_b32_e32 v29, s38, v29
	v_or_b32_e32 v38, s22, v38
	s_mov_b64 s[18:19], -1
	s_mov_b64 s[12:13], 0
	s_cmp_eq_u32 s39, 0
	s_mov_b64 s[56:57], 0
	s_mov_b64 s[2:3], -1
	s_waitcnt lgkmcnt(0)
	s_barrier
                                        ; implicit-def: $vgpr39
	s_cbranch_scc1 .LBB10_371
; %bb.361:                              ;   in Loop: Header=BB10_6 Depth=1
	v_readlane_b32 s2, v52, 39
	s_add_i32 s2, s39, s2
	v_readlane_b32 s3, v52, 61
	s_mul_hi_u32 s3, s2, s3
	s_mul_i32 s3, s3, s33
	s_sub_i32 s3, s2, s3
	s_sub_i32 s8, s3, s33
	s_cmp_ge_u32 s3, s33
	s_cselect_b32 s3, s8, s3
	s_sub_i32 s8, s3, s33
	s_cmp_ge_u32 s3, s33
	s_cselect_b32 s3, s8, s3
	s_sub_i32 s58, s2, s3
	v_cmp_gt_u32_e32 vcc, s58, v0
	s_mov_b64 s[2:3], 0
                                        ; implicit-def: $vgpr39
	s_and_saveexec_b64 s[64:65], vcc
	s_cbranch_execz .LBB10_370
; %bb.362:                              ;   in Loop: Header=BB10_6 Depth=1
	v_mov_b32_e32 v2, v0
                                        ; implicit-def: $sgpr66_sgpr67
	s_branch .LBB10_365
.LBB10_363:                             ;   in Loop: Header=BB10_365 Depth=2
	s_or_b64 exec, exec, s[68:69]
	s_waitcnt lgkmcnt(0)
	s_barrier
	ds_read_u16 v4, v23 offset:3072
	s_mov_b64 s[8:9], -1
	s_waitcnt lgkmcnt(0)
	s_barrier
	v_cmp_ne_u32_sdwa s[24:25], v4, v23 src0_sel:BYTE_0 src1_sel:DWORD
	s_and_b64 vcc, exec, s[24:25]
	s_mov_b64 s[24:25], -1
	s_cbranch_vccz .LBB10_368
.LBB10_364:                             ;   in Loop: Header=BB10_365 Depth=2
	s_and_b64 s[8:9], exec, s[8:9]
	s_or_b64 s[56:57], s[8:9], s[56:57]
	s_andn2_b64 s[8:9], s[66:67], exec
	s_and_b64 s[24:25], s[24:25], exec
	s_or_b64 s[66:67], s[8:9], s[24:25]
	s_andn2_b64 exec, exec, s[56:57]
	s_cbranch_execz .LBB10_369
.LBB10_365:                             ;   Parent Loop BB10_6 Depth=1
                                        ; =>  This Inner Loop Header: Depth=2
	v_cmp_gt_u32_e32 vcc, s39, v2
	s_and_saveexec_b64 s[68:69], vcc
	s_cbranch_execz .LBB10_363
; %bb.366:                              ;   in Loop: Header=BB10_365 Depth=2
	ds_read_u8 v4, v2
	s_waitcnt lgkmcnt(0)
	v_and_b32_e32 v5, v4, v38
	v_cmp_eq_u32_sdwa s[8:9], v5, v29 src0_sel:BYTE_0 src1_sel:DWORD
	s_and_b64 exec, exec, s[8:9]
	s_cbranch_execz .LBB10_363
; %bb.367:                              ;   in Loop: Header=BB10_365 Depth=2
	v_lshlrev_b16_e32 v4, 8, v4
	v_or_b32_e32 v4, 1, v4
	ds_write_b16 v23, v4 offset:3072
	s_branch .LBB10_363
.LBB10_368:                             ;   in Loop: Header=BB10_365 Depth=2
	v_add_u32_e32 v2, s33, v2
	v_cmp_le_u32_e32 vcc, s58, v2
	s_mov_b64 s[24:25], 0
	s_orn2_b64 s[8:9], vcc, exec
	s_branch .LBB10_364
.LBB10_369:                             ;   in Loop: Header=BB10_6 Depth=1
	s_or_b64 exec, exec, s[56:57]
	v_lshrrev_b32_sdwa v39, v37, v4 dst_sel:DWORD dst_unused:UNUSED_PAD src0_sel:DWORD src1_sel:WORD_0
	s_and_b64 s[56:57], s[66:67], exec
.LBB10_370:                             ;   in Loop: Header=BB10_6 Depth=1
	s_or_b64 exec, exec, s[64:65]
.LBB10_371:                             ;   in Loop: Header=BB10_6 Depth=1
	s_and_b64 vcc, exec, s[2:3]
	s_cbranch_vccz .LBB10_382
; %bb.372:                              ;   in Loop: Header=BB10_6 Depth=1
                                        ; implicit-def: $vgpr39
	s_mov_b64 s[2:3], exec
	v_readlane_b32 s8, v52, 62
	v_readlane_b32 s9, v52, 63
	s_and_b64 s[8:9], s[2:3], s[8:9]
	s_mov_b64 exec, s[8:9]
	s_cbranch_execz .LBB10_381
; %bb.373:                              ;   in Loop: Header=BB10_6 Depth=1
	s_mov_b64 s[12:13], 0
	v_mov_b32_e32 v2, v22
	v_mov_b32_e32 v4, v0
                                        ; implicit-def: $sgpr18_sgpr19
	s_branch .LBB10_376
.LBB10_374:                             ;   in Loop: Header=BB10_376 Depth=2
	s_or_b64 exec, exec, s[64:65]
	s_waitcnt lgkmcnt(0)
	s_barrier
	ds_read_u16 v5, v23 offset:3072
	s_mov_b64 s[24:25], -1
	s_mov_b64 s[64:65], -1
	s_waitcnt lgkmcnt(0)
	s_barrier
	v_cmp_eq_u32_sdwa s[8:9], v5, v23 src0_sel:BYTE_0 src1_sel:DWORD
	s_and_b64 vcc, exec, s[8:9]
	s_cbranch_vccnz .LBB10_379
.LBB10_375:                             ;   in Loop: Header=BB10_376 Depth=2
	s_and_b64 s[8:9], exec, s[24:25]
	s_or_b64 s[12:13], s[8:9], s[12:13]
	s_andn2_b64 s[8:9], s[18:19], exec
	s_and_b64 s[18:19], s[64:65], exec
	s_or_b64 s[18:19], s[8:9], s[18:19]
	s_andn2_b64 exec, exec, s[12:13]
	s_cbranch_execz .LBB10_380
.LBB10_376:                             ;   Parent Loop BB10_6 Depth=1
                                        ; =>  This Inner Loop Header: Depth=2
	v_cmp_gt_u32_e32 vcc, s36, v4
	s_and_saveexec_b64 s[64:65], vcc
	s_cbranch_execz .LBB10_374
; %bb.377:                              ;   in Loop: Header=BB10_376 Depth=2
	global_load_ubyte v5, v2, s[48:49]
	s_waitcnt vmcnt(0)
	v_and_b32_e32 v6, v5, v38
	v_cmp_eq_u32_sdwa s[8:9], v6, v29 src0_sel:BYTE_0 src1_sel:DWORD
	s_and_b64 exec, exec, s[8:9]
	s_cbranch_execz .LBB10_374
; %bb.378:                              ;   in Loop: Header=BB10_376 Depth=2
	v_lshlrev_b16_e32 v5, 8, v5
	v_or_b32_e32 v5, 1, v5
	ds_write_b16 v23, v5 offset:3072
	s_branch .LBB10_374
.LBB10_379:                             ;   in Loop: Header=BB10_376 Depth=2
	v_add_u32_e32 v4, s33, v4
	v_cmp_le_u32_e32 vcc, s4, v4
	v_add_u32_e32 v2, s61, v2
	s_mov_b64 s[64:65], 0
	s_orn2_b64 s[24:25], vcc, exec
	s_branch .LBB10_375
.LBB10_380:                             ;   in Loop: Header=BB10_6 Depth=1
	s_or_b64 exec, exec, s[12:13]
	s_andn2_b64 s[8:9], s[56:57], exec
	s_and_b64 s[12:13], s[18:19], exec
	v_lshrrev_b32_sdwa v39, v37, v5 dst_sel:DWORD dst_unused:UNUSED_PAD src0_sel:DWORD src1_sel:WORD_0
	s_or_b64 s[56:57], s[8:9], s[12:13]
.LBB10_381:                             ;   in Loop: Header=BB10_6 Depth=1
	s_or_b64 exec, exec, s[2:3]
	s_mov_b64 s[18:19], 0
	s_mov_b64 s[12:13], -1
.LBB10_382:                             ;   in Loop: Header=BB10_6 Depth=1
	s_orn2_b64 s[56:57], s[56:57], exec
.LBB10_383:                             ;   in Loop: Header=BB10_6 Depth=1
	s_or_b64 exec, exec, s[54:55]
	s_mov_b64 s[54:55], 0
	s_and_saveexec_b64 s[2:3], s[56:57]
	s_cbranch_execz .LBB10_394
; %bb.384:                              ;   in Loop: Header=BB10_6 Depth=1
	s_xor_b64 s[8:9], s[28:29], -1
	v_mov_b32_e32 v1, 1
	v_mov_b32_e32 v2, 1
	s_and_saveexec_b64 s[28:29], s[8:9]
	s_cbranch_execz .LBB10_393
; %bb.385:                              ;   in Loop: Header=BB10_6 Depth=1
	v_cmp_ge_u32_e32 vcc, s21, v3
	s_and_saveexec_b64 s[8:9], vcc
	s_xor_b64 s[54:55], exec, s[8:9]
	s_cbranch_execz .LBB10_390
; %bb.386:                              ;   in Loop: Header=BB10_6 Depth=1
	ds_read_b32 v1, v23 offset:4096
	v_and_b32_e32 v29, s38, v29
	v_or_b32_e32 v38, s22, v38
	s_waitcnt lgkmcnt(0)
	v_cmp_ne_u32_e32 vcc, 0, v1
	s_cbranch_vccnz .LBB10_390
; %bb.387:                              ;   in Loop: Header=BB10_6 Depth=1
	s_mov_b64 s[8:9], exec
	v_readlane_b32 s24, v52, 22
	v_readlane_b32 s25, v52, 23
	s_and_b64 s[24:25], s[8:9], s[24:25]
	s_mov_b64 exec, s[24:25]
; %bb.388:                              ;   in Loop: Header=BB10_6 Depth=1
	v_mov_b32_e32 v1, s21
	ds_write_b32 v23, v1 offset:4100
; %bb.389:                              ;   in Loop: Header=BB10_6 Depth=1
	s_or_b64 exec, exec, s[8:9]
	s_waitcnt lgkmcnt(0)
	s_barrier
.LBB10_390:                             ;   in Loop: Header=BB10_6 Depth=1
	s_andn2_saveexec_b64 s[54:55], s[54:55]
; %bb.391:                              ;   in Loop: Header=BB10_6 Depth=1
	v_subrev_u32_e32 v3, s21, v3
; %bb.392:                              ;   in Loop: Header=BB10_6 Depth=1
	s_or_b64 exec, exec, s[54:55]
	v_mov_b32_e32 v1, 5
	v_mov_b32_e32 v2, v3
.LBB10_393:                             ;   in Loop: Header=BB10_6 Depth=1
	s_or_b64 exec, exec, s[28:29]
	s_mov_b64 s[54:55], exec
	v_mov_b32_e32 v3, v2
.LBB10_394:                             ;   in Loop: Header=BB10_6 Depth=1
	s_or_b64 exec, exec, s[2:3]
	s_orn2_b64 s[2:3], s[54:55], exec
.LBB10_395:                             ;   in Loop: Header=BB10_6 Depth=1
	s_or_b64 exec, exec, s[16:17]
	s_andn2_b64 s[8:9], s[46:47], exec
	s_and_b64 s[12:13], s[12:13], exec
	s_or_b64 s[46:47], s[8:9], s[12:13]
	s_andn2_b64 s[8:9], s[44:45], exec
	s_and_b64 s[12:13], s[18:19], exec
	s_or_b64 s[44:45], s[8:9], s[12:13]
	s_and_b64 s[16:17], s[2:3], exec
	v_mov_b32_e32 v2, v3
.LBB10_396:                             ;   in Loop: Header=BB10_6 Depth=1
	s_or_b64 exec, exec, s[14:15]
	s_orn2_b64 s[2:3], s[16:17], exec
.LBB10_397:                             ;   in Loop: Header=BB10_6 Depth=1
	s_or_b64 exec, exec, s[94:95]
	s_andn2_b64 s[8:9], s[42:43], exec
	s_and_b64 s[12:13], s[46:47], exec
	s_or_b64 s[42:43], s[8:9], s[12:13]
	s_andn2_b64 s[8:9], s[40:41], exec
	s_and_b64 s[12:13], s[44:45], exec
	s_or_b64 s[40:41], s[8:9], s[12:13]
	s_and_b64 s[14:15], s[2:3], exec
	v_mov_b32_e32 v4, v2
.LBB10_398:                             ;   in Loop: Header=BB10_6 Depth=1
	s_or_b64 exec, exec, s[52:53]
	s_orn2_b64 s[2:3], s[14:15], exec
.LBB10_399:                             ;   in Loop: Header=BB10_6 Depth=1
	s_or_b64 exec, exec, s[6:7]
	s_mov_b64 s[6:7], s[92:93]
	s_mov_b64 s[12:13], s[34:35]
	s_and_saveexec_b64 s[14:15], s[2:3]
; %bb.400:                              ;   in Loop: Header=BB10_6 Depth=1
	v_cmp_ne_u32_e64 s[6:7], 5, v1
	v_cmp_eq_u32_e32 vcc, 5, v1
	s_andn2_b64 s[2:3], s[34:35], exec
	s_and_b64 s[6:7], s[6:7], exec
	s_or_b64 s[12:13], s[2:3], s[6:7]
	s_andn2_b64 s[2:3], s[92:93], exec
	s_and_b64 s[6:7], vcc, exec
	s_or_b64 s[6:7], s[2:3], s[6:7]
; %bb.401:                              ;   in Loop: Header=BB10_6 Depth=1
	s_or_b64 exec, exec, s[14:15]
	s_andn2_b64 s[2:3], s[26:27], exec
	s_and_b64 s[8:9], s[42:43], exec
	s_or_b64 s[26:27], s[2:3], s[8:9]
	s_andn2_b64 s[2:3], s[30:31], exec
	s_and_b64 s[8:9], s[40:41], exec
	s_or_b64 s[30:31], s[2:3], s[8:9]
	;; [unrolled: 3-line block ×4, first 2 shown]
.LBB10_402:                             ;   in Loop: Header=BB10_6 Depth=1
	s_or_b64 exec, exec, s[50:51]
	s_mov_b64 s[94:95], 0
	s_mov_b64 s[50:51], 0
	s_and_saveexec_b64 s[2:3], s[92:93]
.LBB10_403:                             ;   in Loop: Header=BB10_6 Depth=1
	v_mov_b32_e32 v1, 0
	s_or_b64 s[34:35], s[34:35], exec
.LBB10_404:                             ;   in Loop: Header=BB10_6 Depth=1
	s_or_b64 exec, exec, s[2:3]
	s_andn2_b64 s[2:3], s[88:89], exec
	s_and_b64 s[8:9], s[26:27], exec
	s_or_b64 s[88:89], s[2:3], s[8:9]
	s_andn2_b64 s[2:3], s[86:87], exec
	s_and_b64 s[8:9], s[30:31], exec
	s_or_b64 s[86:87], s[2:3], s[8:9]
	;; [unrolled: 3-line block ×3, first 2 shown]
	s_andn2_b64 s[2:3], s[82:83], exec
	s_and_b64 s[8:9], s[94:95], exec
	s_mov_b64 s[6:7], -1
	s_andn2_b64 s[90:91], s[90:91], exec
	s_or_b64 s[82:83], s[2:3], s[8:9]
	v_mov_b32_e32 v40, v4
	s_and_saveexec_b64 s[2:3], s[34:35]
	s_xor_b64 s[2:3], exec, s[2:3]
	s_mov_b32 s22, s20
	s_mov_b32 s24, 0xc0c0004
	;; [unrolled: 1-line block ×3, first 2 shown]
	s_cbranch_execz .LBB10_5
; %bb.405:                              ;   in Loop: Header=BB10_6 Depth=1
	v_cmp_eq_u32_e32 vcc, 0, v1
	s_mov_b64 s[12:13], -1
	s_and_saveexec_b64 s[14:15], vcc
	s_cbranch_execz .LBB10_4
; %bb.406:                              ;   in Loop: Header=BB10_6 Depth=1
	s_xor_b32 s62, s62, 1
	s_add_i32 s8, s10, -2
	s_cmp_eq_u32 s10, 0
	s_cselect_b64 s[6:7], -1, 0
	s_xor_b64 s[12:13], exec, -1
	s_orn2_b64 s[6:7], s[6:7], exec
	s_mov_b32 s10, s8
	s_branch .LBB10_4
.LBB10_407:
	s_or_b64 exec, exec, s[70:71]
	s_xor_b64 s[6:7], s[80:81], -1
	s_xor_b64 s[18:19], s[78:79], -1
	;; [unrolled: 1-line block ×5, first 2 shown]
	s_mov_b64 s[12:13], 0
	s_and_saveexec_b64 s[10:11], s[4:5]
	s_xor_b64 s[10:11], exec, s[10:11]
	s_cbranch_execnz .LBB10_412
; %bb.408:
	s_andn2_saveexec_b64 s[0:1], s[10:11]
	s_cbranch_execnz .LBB10_431
.LBB10_409:
	s_or_b64 exec, exec, s[0:1]
	s_and_saveexec_b64 s[0:1], s[12:13]
.LBB10_410:
	; divergent unreachable
.LBB10_411:
	s_endpgm
.LBB10_412:
	s_mov_b64 s[14:15], 0
	s_and_saveexec_b64 s[4:5], s[8:9]
	s_xor_b64 s[12:13], exec, s[4:5]
	s_cbranch_execz .LBB10_429
; %bb.413:
	s_mov_b64 s[16:17], 0
	s_and_saveexec_b64 s[4:5], s[18:19]
	s_xor_b64 s[14:15], exec, s[4:5]
	s_cbranch_execz .LBB10_427
; %bb.414:
	;; [unrolled: 5-line block ×3, first 2 shown]
	s_and_saveexec_b64 s[4:5], s[2:3]
	s_xor_b64 s[2:3], exec, s[4:5]
; %bb.416:
	v_mov_b32_e32 v39, v29
; %bb.417:
	s_or_b64 exec, exec, s[2:3]
	s_mov_b64 s[2:3], exec
	v_readlane_b32 s4, v52, 22
	v_readlane_b32 s5, v52, 23
	;; [unrolled: 1-line block ×3, first 2 shown]
	s_and_b64 s[4:5], s[2:3], s[4:5]
	v_readlane_b32 s43, v52, 26
	v_readlane_b32 s6, v52, 24
	;; [unrolled: 1-line block ×3, first 2 shown]
	s_mov_b64 exec, s[4:5]
; %bb.418:
	v_mov_b32_e32 v1, 0
	ds_write_b32 v1, v1 offset:4108
; %bb.419:
	s_or_b64 exec, exec, s[2:3]
	v_mov_b32_e32 v3, 0
	s_waitcnt lgkmcnt(0)
	s_barrier
	s_mov_b64 s[2:3], exec
	v_readlane_b32 s4, v52, 33
	v_readlane_b32 s5, v52, 34
	s_and_b64 s[4:5], s[2:3], s[4:5]
	s_mov_b64 exec, s[4:5]
	s_cbranch_execz .LBB10_421
; %bb.420:
	global_load_ubyte v3, v[13:14], off
.LBB10_421:
	s_or_b64 exec, exec, s[2:3]
	v_readlane_b32 s8, v52, 14
	v_readlane_b32 s9, v52, 15
	;; [unrolled: 1-line block ×3, first 2 shown]
	s_mul_i32 s2, s7, s9
	v_readlane_b32 s9, v52, 17
	s_mul_i32 s3, s9, s8
	s_add_i32 s34, s36, 63
	s_sub_i32 s3, s7, s3
	s_andn2_b32 s34, s34, 63
	s_sub_i32 s2, s6, s2
	s_add_i32 s4, s9, 1
	s_sub_i32 s5, s3, s8
	s_cmp_ge_u32 s3, s8
	s_cselect_b32 s4, s4, s9
	s_cselect_b32 s3, s5, s3
	s_add_i32 s5, s4, 1
	s_cmp_ge_u32 s3, s8
	s_cselect_b32 s3, s5, s4
	v_readlane_b32 s20, v52, 6
	s_mul_i32 s4, s3, s8
	v_readlane_b32 s21, v52, 7
	v_readlane_b32 s22, v52, 8
	s_sub_i32 s4, s7, s4
	s_mul_i32 s2, s2, s22
	s_mul_i32 s4, s4, s21
	v_readlane_b32 s8, v52, 18
	s_add_i32 s2, s4, s2
	s_mul_i32 s3, s3, s20
	v_readlane_b32 s9, v52, 19
	v_readlane_b32 s7, v52, 20
	s_add_i32 s4, s2, s3
	s_mul_i32 s2, s7, s9
	v_readlane_b32 s9, v52, 21
	s_mul_i32 s3, s9, s8
	s_sub_i32 s3, s7, s3
	s_sub_i32 s2, s6, s2
	s_add_i32 s5, s9, 1
	s_sub_i32 s6, s3, s8
	s_cmp_ge_u32 s3, s8
	s_cselect_b32 s5, s5, s9
	s_cselect_b32 s3, s6, s3
	s_add_i32 s6, s5, 1
	s_cmp_ge_u32 s3, s8
	v_readlane_b32 s23, v52, 9
	s_cselect_b32 s3, s6, s5
	v_readlane_b32 s20, v52, 0
	s_mul_i32 s5, s3, s8
	v_readlane_b32 s21, v52, 1
	v_readlane_b32 s22, v52, 2
	s_sub_i32 s5, s7, s5
	s_mul_i32 s2, s2, s22
	s_mul_i32 s5, s5, s21
	s_add_i32 s2, s5, s2
	s_mul_i32 s3, s3, s20
	s_add_i32 s2, s2, s3
	v_readlane_b32 s6, v52, 10
	s_mov_b32 s3, 0
	v_readlane_b32 s7, v52, 11
	s_add_u32 s8, s6, s4
	s_addc_u32 s9, s7, 0
	s_lshl_b64 s[2:3], s[2:3], 3
	v_readlane_b32 s4, v52, 4
	v_readlane_b32 s5, v52, 5
	s_add_u32 s35, s4, s2
	s_addc_u32 s38, s5, s3
	v_readlane_b32 s2, v52, 12
	v_readlane_b32 s3, v52, 13
	s_load_dword s39, s[2:3], 0x1c8
	s_load_dword s40, s[2:3], 0x2a8
	v_cmp_gt_u32_e32 vcc, s34, v0
	s_mov_b64 s[2:3], -1
	s_mov_b64 s[4:5], 0
	v_readlane_b32 s23, v52, 3
	s_and_saveexec_b64 s[20:21], vcc
	s_cbranch_execnz .LBB10_432
; %bb.422:
	s_or_b64 exec, exec, s[20:21]
	s_and_saveexec_b64 s[6:7], s[2:3]
	s_cbranch_execnz .LBB10_447
.LBB10_423:
	s_or_b64 exec, exec, s[6:7]
	s_and_saveexec_b64 s[0:1], s[4:5]
	s_xor_b64 s[0:1], exec, s[0:1]
	s_cbranch_execnz .LBB10_470
.LBB10_424:
	s_or_b64 exec, exec, s[0:1]
	s_and_b64 s[18:19], s[18:19], exec
.LBB10_425:
	s_andn2_saveexec_b64 s[0:1], s[16:17]
	s_cbranch_execnz .LBB10_472
.LBB10_426:
	s_or_b64 exec, exec, s[0:1]
	s_and_b64 s[16:17], s[18:19], exec
.LBB10_427:
	s_andn2_saveexec_b64 s[0:1], s[14:15]
	s_cbranch_execnz .LBB10_471
.LBB10_428:
	s_or_b64 exec, exec, s[0:1]
	s_and_b64 s[14:15], s[16:17], exec
.LBB10_429:
	s_andn2_saveexec_b64 s[0:1], s[12:13]
	s_cbranch_execnz .LBB10_466
.LBB10_430:
	s_or_b64 exec, exec, s[0:1]
	s_and_b64 s[12:13], s[14:15], exec
	s_andn2_saveexec_b64 s[0:1], s[10:11]
	s_cbranch_execz .LBB10_409
.LBB10_431:
	s_or_b64 s[12:13], s[12:13], exec
	s_trap 2
	s_or_b64 exec, exec, s[0:1]
	s_and_saveexec_b64 s[0:1], s[12:13]
	s_cbranch_execnz .LBB10_410
	s_branch .LBB10_411
.LBB10_432:
	v_add_u32_e32 v1, s33, v0
	v_mul_lo_u32 v4, s44, v1
	s_mov_b64 s[22:23], 0
	v_mov_b32_e32 v2, 0
	v_mov_b32_e32 v1, v0
                                        ; implicit-def: $sgpr24_sgpr25
                                        ; implicit-def: $vgpr7
	s_branch .LBB10_434
.LBB10_433:                             ;   in Loop: Header=BB10_434 Depth=1
	s_or_b64 exec, exec, s[26:27]
	s_xor_b64 s[4:5], s[6:7], -1
	s_and_b64 s[2:3], exec, s[2:3]
	s_or_b64 s[22:23], s[2:3], s[22:23]
	s_andn2_b64 s[2:3], s[24:25], exec
	s_and_b64 s[4:5], s[4:5], exec
	s_or_b64 s[24:25], s[2:3], s[4:5]
	v_mov_b32_e32 v3, v6
	v_mov_b32_e32 v1, v5
	s_andn2_b64 exec, exec, s[22:23]
	s_cbranch_execz .LBB10_446
.LBB10_434:                             ; =>This Inner Loop Header: Depth=1
	v_add_u32_e32 v5, s33, v1
	v_cmp_gt_u32_e64 s[4:5], s36, v5
	v_mov_b32_e32 v6, 0
	s_and_saveexec_b64 s[2:3], s[4:5]
	s_cbranch_execz .LBB10_436
; %bb.435:                              ;   in Loop: Header=BB10_434 Depth=1
	global_load_ubyte v6, v4, s[48:49]
.LBB10_436:                             ;   in Loop: Header=BB10_434 Depth=1
	s_or_b64 exec, exec, s[2:3]
	s_waitcnt vmcnt(0)
	v_cmp_gt_u16_sdwa s[2:3], v3, v39 src0_sel:BYTE_0 src1_sel:BYTE_0
	v_cndmask_b32_e64 v8, 0, 1, s[2:3]
	v_cmp_lt_u16_sdwa s[2:3], v3, v39 src0_sel:BYTE_0 src1_sel:BYTE_0
	v_cndmask_b32_e64 v9, 0, 1, s[2:3]
	v_cndmask_b32_e64 v8, v9, v8, s[42:43]
	v_and_b32_e32 v8, 1, v8
	v_cmp_gt_u32_e64 s[4:5], s36, v1
	v_cmp_eq_u32_e64 s[6:7], 1, v8
	s_and_b64 s[26:27], s[4:5], s[6:7]
	v_cndmask_b32_e64 v8, 0, 1, s[26:27]
	v_cmp_ne_u32_e64 s[4:5], 0, v8
	s_cmp_lg_u64 s[4:5], 0
	s_cselect_b64 s[2:3], -1, 0
	s_and_b64 s[6:7], s[0:1], s[2:3]
	s_and_saveexec_b64 s[2:3], s[6:7]
	s_cbranch_execz .LBB10_440
; %bb.437:                              ;   in Loop: Header=BB10_434 Depth=1
	s_mov_b64 s[30:31], exec
	s_waitcnt lgkmcnt(0)
	v_mbcnt_lo_u32_b32 v7, s30, 0
	v_mbcnt_hi_u32_b32 v7, s31, v7
	s_bcnt1_i32_b64 s41, s[4:5]
	v_cmp_eq_u32_e64 s[6:7], 0, v7
                                        ; implicit-def: $vgpr8
	s_and_saveexec_b64 s[28:29], s[6:7]
; %bb.438:                              ;   in Loop: Header=BB10_434 Depth=1
	s_bcnt1_i32_b64 s6, s[30:31]
	s_mul_i32 s6, s41, s6
	v_mov_b32_e32 v8, s6
	ds_add_rtn_u32 v8, v2, v8 offset:4108
; %bb.439:                              ;   in Loop: Header=BB10_434 Depth=1
	s_or_b64 exec, exec, s[28:29]
	s_waitcnt lgkmcnt(0)
	v_readfirstlane_b32 s6, v8
	v_mov_b32_e32 v8, s6
	v_mad_u32_u24 v7, s41, v7, v8
.LBB10_440:                             ;   in Loop: Header=BB10_434 Depth=1
	s_or_b64 exec, exec, s[2:3]
	s_waitcnt lgkmcnt(0)
	ds_bpermute_b32 v7, v17, v7
	s_mov_b64 s[2:3], -1
	s_mov_b64 s[28:29], -1
	s_and_saveexec_b64 s[6:7], s[26:27]
	s_cbranch_execz .LBB10_444
; %bb.441:                              ;   in Loop: Header=BB10_434 Depth=1
	v_and_b32_e32 v9, s4, v19
	v_and_b32_e32 v8, s5, v18
	v_bcnt_u32_b32 v9, v9, 0
	v_bcnt_u32_b32 v8, v8, v9
	s_waitcnt lgkmcnt(0)
	v_add_u32_e32 v8, v7, v8
	v_cmp_gt_u32_e64 s[4:5], s37, v8
	s_mov_b64 s[26:27], 0
	s_and_saveexec_b64 s[28:29], s[4:5]
; %bb.442:                              ;   in Loop: Header=BB10_434 Depth=1
	v_mul_lo_u32 v10, v8, s39
	v_mul_lo_u32 v8, v8, s40
	v_mov_b32_e32 v9, v2
	s_mov_b64 s[26:27], exec
	global_store_byte v10, v3, s[8:9]
	v_lshlrev_b64 v[8:9], 3, v[8:9]
	v_mov_b32_e32 v3, s38
	v_add_co_u32_e64 v8, s[4:5], s35, v8
	v_addc_co_u32_e64 v9, s[4:5], v3, v9, s[4:5]
	global_store_dwordx2 v[8:9], v[1:2], off
; %bb.443:                              ;   in Loop: Header=BB10_434 Depth=1
	s_or_b64 exec, exec, s[28:29]
	s_orn2_b64 s[28:29], s[26:27], exec
.LBB10_444:                             ;   in Loop: Header=BB10_434 Depth=1
	s_or_b64 exec, exec, s[6:7]
	s_mov_b64 s[6:7], -1
	s_and_saveexec_b64 s[26:27], s[28:29]
	s_cbranch_execz .LBB10_433
; %bb.445:                              ;   in Loop: Header=BB10_434 Depth=1
	v_cmp_le_u32_e64 s[4:5], s34, v5
	v_add_u32_e32 v4, s61, v4
	s_xor_b64 s[6:7], exec, -1
	s_orn2_b64 s[2:3], s[4:5], exec
	s_branch .LBB10_433
.LBB10_446:
	s_or_b64 exec, exec, s[22:23]
	s_mov_b64 s[4:5], exec
	s_orn2_b64 s[2:3], s[24:25], exec
	s_or_b64 exec, exec, s[20:21]
	s_and_saveexec_b64 s[6:7], s[2:3]
	s_cbranch_execz .LBB10_423
.LBB10_447:
	v_mov_b32_e32 v6, 0
	s_waitcnt vmcnt(0) lgkmcnt(0)
	s_barrier
	s_mov_b64 s[2:3], exec
	v_readlane_b32 s18, v52, 33
	v_readlane_b32 s19, v52, 34
	s_and_b64 s[18:19], s[2:3], s[18:19]
	s_mov_b64 exec, s[18:19]
	s_cbranch_execz .LBB10_449
; %bb.448:
	global_load_ubyte v6, v[13:14], off
.LBB10_449:
	s_or_b64 exec, exec, s[2:3]
	s_mov_b64 s[2:3], 0
	s_and_saveexec_b64 s[18:19], vcc
	s_cbranch_execz .LBB10_469
; %bb.450:
	v_add_u32_e32 v1, s33, v0
	v_mul_lo_u32 v2, s44, v1
	s_mov_b64 s[20:21], 0
	v_mov_b32_e32 v1, 0
                                        ; implicit-def: $sgpr22_sgpr23
                                        ; implicit-def: $vgpr5
	s_branch .LBB10_453
.LBB10_451:                             ;   in Loop: Header=BB10_453 Depth=1
	s_or_b64 exec, exec, s[26:27]
	s_orn2_b64 s[28:29], s[28:29], exec
	s_orn2_b64 s[26:27], s[24:25], exec
.LBB10_452:                             ;   in Loop: Header=BB10_453 Depth=1
	s_or_b64 exec, exec, s[2:3]
	s_xor_b64 s[2:3], s[28:29], -1
	s_and_b64 s[24:25], exec, s[26:27]
	s_or_b64 s[20:21], s[24:25], s[20:21]
	s_andn2_b64 s[22:23], s[22:23], exec
	s_and_b64 s[2:3], s[2:3], exec
	s_or_b64 s[22:23], s[22:23], s[2:3]
	v_mov_b32_e32 v0, v3
	v_mov_b32_e32 v6, v4
	s_andn2_b64 exec, exec, s[20:21]
	s_cbranch_execz .LBB10_467
.LBB10_453:                             ; =>This Inner Loop Header: Depth=1
	v_add_u32_e32 v3, s33, v0
	v_cmp_gt_u32_e32 vcc, s36, v3
	v_mov_b32_e32 v4, 0
	s_and_saveexec_b64 s[2:3], vcc
	s_cbranch_execz .LBB10_455
; %bb.454:                              ;   in Loop: Header=BB10_453 Depth=1
	global_load_ubyte v4, v2, s[48:49]
.LBB10_455:                             ;   in Loop: Header=BB10_453 Depth=1
	s_or_b64 exec, exec, s[2:3]
	v_cmp_gt_u32_e32 vcc, s36, v0
	s_waitcnt vmcnt(0)
	v_cmp_eq_u16_sdwa s[2:3], v6, v39 src0_sel:BYTE_0 src1_sel:BYTE_0
	s_and_b64 s[24:25], vcc, s[2:3]
	v_cndmask_b32_e64 v6, 0, 1, s[24:25]
	v_cmp_ne_u32_e32 vcc, 0, v6
	s_cmp_lg_u64 vcc, 0
	s_cselect_b64 s[2:3], -1, 0
	s_and_b64 s[2:3], s[0:1], s[2:3]
	s_and_saveexec_b64 s[26:27], s[2:3]
	s_cbranch_execz .LBB10_459
; %bb.456:                              ;   in Loop: Header=BB10_453 Depth=1
	s_mov_b64 s[30:31], exec
	v_mbcnt_lo_u32_b32 v5, s30, 0
	v_mbcnt_hi_u32_b32 v5, s31, v5
	s_bcnt1_i32_b64 s41, vcc
	v_cmp_eq_u32_e64 s[2:3], 0, v5
                                        ; implicit-def: $vgpr6
	s_and_saveexec_b64 s[28:29], s[2:3]
; %bb.457:                              ;   in Loop: Header=BB10_453 Depth=1
	s_bcnt1_i32_b64 s2, s[30:31]
	s_mul_i32 s2, s41, s2
	v_mov_b32_e32 v6, s2
	ds_add_rtn_u32 v6, v1, v6 offset:4108
; %bb.458:                              ;   in Loop: Header=BB10_453 Depth=1
	s_or_b64 exec, exec, s[28:29]
	s_waitcnt lgkmcnt(0)
	v_readfirstlane_b32 s2, v6
	v_mov_b32_e32 v6, s2
	v_mad_u32_u24 v5, s41, v5, v6
.LBB10_459:                             ;   in Loop: Header=BB10_453 Depth=1
	s_or_b64 exec, exec, s[26:27]
	ds_bpermute_b32 v5, v17, v5
	s_cmp_eq_u64 vcc, 0
	s_cselect_b64 s[28:29], -1, 0
	s_mov_b64 s[26:27], -1
	s_waitcnt lgkmcnt(0)
	v_cmp_gt_u32_e64 s[2:3], s37, v5
	s_or_b64 s[30:31], s[28:29], s[2:3]
	s_mov_b64 s[28:29], -1
	s_and_saveexec_b64 s[2:3], s[30:31]
	s_cbranch_execz .LBB10_452
; %bb.460:                              ;   in Loop: Header=BB10_453 Depth=1
	v_and_b32_e32 v7, vcc_lo, v19
	v_and_b32_e32 v6, vcc_hi, v18
	v_bcnt_u32_b32 v7, v7, 0
	v_bcnt_u32_b32 v6, v6, v7
	v_sub_u32_e32 v7, s37, v5
	v_cmp_gt_u32_e32 vcc, v7, v6
	s_and_b64 s[42:43], s[24:25], vcc
	s_mov_b64 s[24:25], -1
	s_mov_b64 s[30:31], -1
	s_and_saveexec_b64 s[26:27], s[42:43]
	s_cbranch_execz .LBB10_464
; %bb.461:                              ;   in Loop: Header=BB10_453 Depth=1
	v_add_u32_e32 v6, v5, v6
	v_cmp_gt_u32_e32 vcc, s37, v6
	s_mov_b64 s[30:31], 0
	s_and_saveexec_b64 s[28:29], vcc
; %bb.462:                              ;   in Loop: Header=BB10_453 Depth=1
	v_mul_lo_u32 v8, v6, s39
	v_mul_lo_u32 v6, v6, s40
	v_mov_b32_e32 v7, v1
	s_mov_b64 s[30:31], exec
	global_store_byte v8, v39, s[8:9]
	v_lshlrev_b64 v[6:7], 3, v[6:7]
	v_mov_b32_e32 v8, s38
	v_add_co_u32_e32 v6, vcc, s35, v6
	v_addc_co_u32_e32 v7, vcc, v8, v7, vcc
	global_store_dwordx2 v[6:7], v[0:1], off
; %bb.463:                              ;   in Loop: Header=BB10_453 Depth=1
	s_or_b64 exec, exec, s[28:29]
	s_xor_b64 s[28:29], exec, -1
	s_orn2_b64 s[30:31], s[30:31], exec
.LBB10_464:                             ;   in Loop: Header=BB10_453 Depth=1
	s_or_b64 exec, exec, s[26:27]
	s_and_saveexec_b64 s[26:27], s[30:31]
	s_cbranch_execz .LBB10_451
; %bb.465:                              ;   in Loop: Header=BB10_453 Depth=1
	v_cmp_le_u32_e32 vcc, s34, v3
	v_add_u32_e32 v2, s61, v2
	s_or_b64 s[28:29], s[28:29], exec
	s_orn2_b64 s[24:25], vcc, exec
	s_branch .LBB10_451
.LBB10_466:
	s_or_b64 s[14:15], s[14:15], exec
	s_trap 2
	s_branch .LBB10_430
.LBB10_467:
	s_or_b64 exec, exec, s[20:21]
	s_mov_b64 s[0:1], 0
	s_and_saveexec_b64 s[2:3], s[22:23]
	s_xor_b64 s[2:3], exec, s[2:3]
	s_cbranch_execnz .LBB10_473
.LBB10_468:
	s_or_b64 exec, exec, s[2:3]
	s_and_b64 s[2:3], s[0:1], exec
.LBB10_469:
	s_or_b64 exec, exec, s[18:19]
	s_and_b64 s[18:19], s[2:3], exec
	s_andn2_b64 s[4:5], s[4:5], exec
	s_or_b64 exec, exec, s[6:7]
	s_and_saveexec_b64 s[0:1], s[4:5]
	s_xor_b64 s[0:1], exec, s[0:1]
	s_cbranch_execz .LBB10_424
.LBB10_470:
	s_trap 2
	s_or_b64 s[18:19], s[18:19], exec
	s_branch .LBB10_424
.LBB10_471:
	s_or_b64 s[16:17], s[16:17], exec
	s_trap 2
	s_branch .LBB10_428
.LBB10_472:
	s_trap 2
	s_or_b64 s[18:19], s[18:19], exec
	s_branch .LBB10_426
.LBB10_473:
	s_mov_b64 s[0:1], exec
	s_trap 2
	s_branch .LBB10_468
	.section	.rodata,"a",@progbits
	.p2align	6, 0x0
	.amdhsa_kernel _ZN2at6native6sbtopk10gatherTopKIhjLi3ELb0EEEvNS_4cuda6detail10TensorInfoIKT_T0_EES8_S8_bS8_S8_NS5_IS6_S8_EES8_NS5_IlS8_EES8_PS6_
		.amdhsa_group_segment_fixed_size 4112
		.amdhsa_private_segment_fixed_size 0
		.amdhsa_kernarg_size 952
		.amdhsa_user_sgpr_count 6
		.amdhsa_user_sgpr_private_segment_buffer 1
		.amdhsa_user_sgpr_dispatch_ptr 0
		.amdhsa_user_sgpr_queue_ptr 0
		.amdhsa_user_sgpr_kernarg_segment_ptr 1
		.amdhsa_user_sgpr_dispatch_id 0
		.amdhsa_user_sgpr_flat_scratch_init 0
		.amdhsa_user_sgpr_private_segment_size 0
		.amdhsa_uses_dynamic_stack 0
		.amdhsa_system_sgpr_private_segment_wavefront_offset 0
		.amdhsa_system_sgpr_workgroup_id_x 1
		.amdhsa_system_sgpr_workgroup_id_y 1
		.amdhsa_system_sgpr_workgroup_id_z 1
		.amdhsa_system_sgpr_workgroup_info 0
		.amdhsa_system_vgpr_workitem_id 0
		.amdhsa_next_free_vgpr 53
		.amdhsa_next_free_sgpr 96
		.amdhsa_reserve_vcc 1
		.amdhsa_reserve_flat_scratch 0
		.amdhsa_float_round_mode_32 0
		.amdhsa_float_round_mode_16_64 0
		.amdhsa_float_denorm_mode_32 3
		.amdhsa_float_denorm_mode_16_64 3
		.amdhsa_dx10_clamp 1
		.amdhsa_ieee_mode 1
		.amdhsa_fp16_overflow 0
		.amdhsa_exception_fp_ieee_invalid_op 0
		.amdhsa_exception_fp_denorm_src 0
		.amdhsa_exception_fp_ieee_div_zero 0
		.amdhsa_exception_fp_ieee_overflow 0
		.amdhsa_exception_fp_ieee_underflow 0
		.amdhsa_exception_fp_ieee_inexact 0
		.amdhsa_exception_int_div_zero 0
	.end_amdhsa_kernel
	.section	.text._ZN2at6native6sbtopk10gatherTopKIhjLi3ELb0EEEvNS_4cuda6detail10TensorInfoIKT_T0_EES8_S8_bS8_S8_NS5_IS6_S8_EES8_NS5_IlS8_EES8_PS6_,"axG",@progbits,_ZN2at6native6sbtopk10gatherTopKIhjLi3ELb0EEEvNS_4cuda6detail10TensorInfoIKT_T0_EES8_S8_bS8_S8_NS5_IS6_S8_EES8_NS5_IlS8_EES8_PS6_,comdat
.Lfunc_end10:
	.size	_ZN2at6native6sbtopk10gatherTopKIhjLi3ELb0EEEvNS_4cuda6detail10TensorInfoIKT_T0_EES8_S8_bS8_S8_NS5_IS6_S8_EES8_NS5_IlS8_EES8_PS6_, .Lfunc_end10-_ZN2at6native6sbtopk10gatherTopKIhjLi3ELb0EEEvNS_4cuda6detail10TensorInfoIKT_T0_EES8_S8_bS8_S8_NS5_IS6_S8_EES8_NS5_IlS8_EES8_PS6_
                                        ; -- End function
	.set _ZN2at6native6sbtopk10gatherTopKIhjLi3ELb0EEEvNS_4cuda6detail10TensorInfoIKT_T0_EES8_S8_bS8_S8_NS5_IS6_S8_EES8_NS5_IlS8_EES8_PS6_.num_vgpr, 53
	.set _ZN2at6native6sbtopk10gatherTopKIhjLi3ELb0EEEvNS_4cuda6detail10TensorInfoIKT_T0_EES8_S8_bS8_S8_NS5_IS6_S8_EES8_NS5_IlS8_EES8_PS6_.num_agpr, 0
	.set _ZN2at6native6sbtopk10gatherTopKIhjLi3ELb0EEEvNS_4cuda6detail10TensorInfoIKT_T0_EES8_S8_bS8_S8_NS5_IS6_S8_EES8_NS5_IlS8_EES8_PS6_.numbered_sgpr, 96
	.set _ZN2at6native6sbtopk10gatherTopKIhjLi3ELb0EEEvNS_4cuda6detail10TensorInfoIKT_T0_EES8_S8_bS8_S8_NS5_IS6_S8_EES8_NS5_IlS8_EES8_PS6_.num_named_barrier, 0
	.set _ZN2at6native6sbtopk10gatherTopKIhjLi3ELb0EEEvNS_4cuda6detail10TensorInfoIKT_T0_EES8_S8_bS8_S8_NS5_IS6_S8_EES8_NS5_IlS8_EES8_PS6_.private_seg_size, 0
	.set _ZN2at6native6sbtopk10gatherTopKIhjLi3ELb0EEEvNS_4cuda6detail10TensorInfoIKT_T0_EES8_S8_bS8_S8_NS5_IS6_S8_EES8_NS5_IlS8_EES8_PS6_.uses_vcc, 1
	.set _ZN2at6native6sbtopk10gatherTopKIhjLi3ELb0EEEvNS_4cuda6detail10TensorInfoIKT_T0_EES8_S8_bS8_S8_NS5_IS6_S8_EES8_NS5_IlS8_EES8_PS6_.uses_flat_scratch, 0
	.set _ZN2at6native6sbtopk10gatherTopKIhjLi3ELb0EEEvNS_4cuda6detail10TensorInfoIKT_T0_EES8_S8_bS8_S8_NS5_IS6_S8_EES8_NS5_IlS8_EES8_PS6_.has_dyn_sized_stack, 0
	.set _ZN2at6native6sbtopk10gatherTopKIhjLi3ELb0EEEvNS_4cuda6detail10TensorInfoIKT_T0_EES8_S8_bS8_S8_NS5_IS6_S8_EES8_NS5_IlS8_EES8_PS6_.has_recursion, 0
	.set _ZN2at6native6sbtopk10gatherTopKIhjLi3ELb0EEEvNS_4cuda6detail10TensorInfoIKT_T0_EES8_S8_bS8_S8_NS5_IS6_S8_EES8_NS5_IlS8_EES8_PS6_.has_indirect_call, 0
	.section	.AMDGPU.csdata,"",@progbits
; Kernel info:
; codeLenInByte = 16344
; TotalNumSgprs: 100
; NumVgprs: 53
; ScratchSize: 0
; MemoryBound: 0
; FloatMode: 240
; IeeeMode: 1
; LDSByteSize: 4112 bytes/workgroup (compile time only)
; SGPRBlocks: 12
; VGPRBlocks: 13
; NumSGPRsForWavesPerEU: 100
; NumVGPRsForWavesPerEU: 53
; Occupancy: 4
; WaveLimiterHint : 1
; COMPUTE_PGM_RSRC2:SCRATCH_EN: 0
; COMPUTE_PGM_RSRC2:USER_SGPR: 6
; COMPUTE_PGM_RSRC2:TRAP_HANDLER: 0
; COMPUTE_PGM_RSRC2:TGID_X_EN: 1
; COMPUTE_PGM_RSRC2:TGID_Y_EN: 1
; COMPUTE_PGM_RSRC2:TGID_Z_EN: 1
; COMPUTE_PGM_RSRC2:TIDIG_COMP_CNT: 0
	.section	.text._ZN2at6native6mbtopk23computeBlockDigitCountsIhjjLin1EEEvNS_4cuda6detail10TensorInfoIKT_T0_EEjPjjS8_iijT1_PSB_Ps,"axG",@progbits,_ZN2at6native6mbtopk23computeBlockDigitCountsIhjjLin1EEEvNS_4cuda6detail10TensorInfoIKT_T0_EEjPjjS8_iijT1_PSB_Ps,comdat
	.protected	_ZN2at6native6mbtopk23computeBlockDigitCountsIhjjLin1EEEvNS_4cuda6detail10TensorInfoIKT_T0_EEjPjjS8_iijT1_PSB_Ps ; -- Begin function _ZN2at6native6mbtopk23computeBlockDigitCountsIhjjLin1EEEvNS_4cuda6detail10TensorInfoIKT_T0_EEjPjjS8_iijT1_PSB_Ps
	.globl	_ZN2at6native6mbtopk23computeBlockDigitCountsIhjjLin1EEEvNS_4cuda6detail10TensorInfoIKT_T0_EEjPjjS8_iijT1_PSB_Ps
	.p2align	8
	.type	_ZN2at6native6mbtopk23computeBlockDigitCountsIhjjLin1EEEvNS_4cuda6detail10TensorInfoIKT_T0_EEjPjjS8_iijT1_PSB_Ps,@function
_ZN2at6native6mbtopk23computeBlockDigitCountsIhjjLin1EEEvNS_4cuda6detail10TensorInfoIKT_T0_EEjPjjS8_iijT1_PSB_Ps: ; @_ZN2at6native6mbtopk23computeBlockDigitCountsIhjjLin1EEEvNS_4cuda6detail10TensorInfoIKT_T0_EEjPjjS8_iijT1_PSB_Ps
; %bb.0:
	s_load_dwordx2 s[10:11], s[4:5], 0xf8
	s_load_dwordx4 s[12:15], s[4:5], 0xe8
	s_load_dwordx2 s[0:1], s[4:5], 0x110
	s_waitcnt lgkmcnt(0)
	v_cvt_f32_u32_e32 v1, s10
	s_sub_i32 s2, 0, s10
	s_mul_i32 s1, s1, s8
	s_add_i32 s1, s1, s7
	v_rcp_iflag_f32_e32 v1, v1
	s_mul_i32 s16, s1, s0
	s_add_i32 s16, s16, s6
	s_mov_b32 s7, 0
	v_mul_f32_e32 v1, 0x4f7ffffe, v1
	v_cvt_u32_f32_e32 v1, v1
	v_readfirstlane_b32 s0, v1
	s_mul_i32 s2, s2, s0
	s_mul_hi_u32 s1, s0, s2
	s_add_i32 s0, s0, s1
	s_mul_hi_u32 s0, s16, s0
	s_mul_i32 s1, s0, s10
	s_sub_i32 s1, s16, s1
	s_add_i32 s2, s0, 1
	s_sub_i32 s3, s1, s10
	s_cmp_ge_u32 s1, s10
	s_cselect_b32 s0, s2, s0
	s_cselect_b32 s1, s3, s1
	s_add_i32 s2, s0, 1
	s_cmp_ge_u32 s1, s10
	s_cselect_b32 s6, s2, s0
	s_cmp_ge_u32 s6, s12
	s_cbranch_scc1 .LBB11_30
; %bb.1:
	s_load_dwordx4 s[0:3], s[4:5], 0x100
	s_load_dword s8, s[4:5], 0xd0
	s_lshl_b64 s[18:19], s[6:7], 2
	s_waitcnt lgkmcnt(0)
	s_add_u32 s0, s0, s18
	s_addc_u32 s1, s1, s19
	s_cmp_lt_i32 s8, 2
	s_mov_b32 s18, s6
	s_cbranch_scc1 .LBB11_4
; %bb.2:
	s_add_i32 s18, s8, -1
	s_mov_b32 s19, 0
	s_add_i32 s12, s8, 1
	s_lshl_b64 s[8:9], s[18:19], 2
	s_add_u32 s7, s4, s8
	s_addc_u32 s9, s5, s9
	s_add_u32 s8, s7, 8
	s_addc_u32 s9, s9, 0
	s_mov_b32 s18, s6
	s_mov_b32 s7, s19
.LBB11_3:                               ; =>This Inner Loop Header: Depth=1
	s_load_dword s17, s[8:9], 0x0
	s_load_dword s20, s[8:9], 0x64
	s_mov_b32 s19, s18
	s_waitcnt lgkmcnt(0)
	v_cvt_f32_u32_e32 v1, s17
	s_sub_i32 s18, 0, s17
	v_rcp_iflag_f32_e32 v1, v1
	v_mul_f32_e32 v1, 0x4f7ffffe, v1
	v_cvt_u32_f32_e32 v1, v1
	v_readfirstlane_b32 s21, v1
	s_mul_i32 s18, s18, s21
	s_mul_hi_u32 s18, s21, s18
	s_add_i32 s21, s21, s18
	s_mul_hi_u32 s18, s19, s21
	s_mul_i32 s21, s18, s17
	s_sub_i32 s21, s19, s21
	s_add_i32 s22, s18, 1
	s_sub_i32 s23, s21, s17
	s_cmp_ge_u32 s21, s17
	s_cselect_b32 s18, s22, s18
	s_cselect_b32 s21, s23, s21
	s_add_i32 s22, s18, 1
	s_cmp_ge_u32 s21, s17
	s_cselect_b32 s18, s22, s18
	s_mul_i32 s17, s18, s17
	s_sub_i32 s17, s19, s17
	s_mul_i32 s17, s20, s17
	s_add_i32 s12, s12, -1
	s_add_i32 s7, s17, s7
	s_add_u32 s8, s8, -4
	s_addc_u32 s9, s9, -1
	s_cmp_gt_u32 s12, 2
	s_cbranch_scc1 .LBB11_3
.LBB11_4:
	s_load_dword s8, s[0:1], 0x0
	s_movk_i32 s0, 0x100
	v_cmp_gt_u32_e32 vcc, s0, v0
	v_lshlrev_b32_e32 v1, 2, v0
	s_and_saveexec_b64 s[0:1], vcc
; %bb.5:
	v_mov_b32_e32 v2, 0
	ds_write_b32 v1, v2
; %bb.6:
	s_or_b64 exec, exec, s[0:1]
	s_load_dword s9, s[4:5], 0xd8
	s_mul_i32 s0, s6, s10
	s_sub_i32 s0, s16, s0
	s_add_i32 s6, s0, 1
	s_mul_i32 s0, s15, s0
	s_lshl_b32 s12, s0, 8
	s_waitcnt lgkmcnt(0)
	s_sub_i32 s0, s9, s12
	s_add_u32 s0, s0, 0xff
	s_addc_u32 s1, 0, 0
	s_lshr_b64 s[0:1], s[0:1], 8
	s_cmp_lt_u32 s6, s10
	s_cselect_b32 s17, s15, s0
	s_cmp_lt_i32 s17, 1
	s_mov_b32 s15, 0
	s_barrier
	s_cbranch_scc1 .LBB11_28
; %bb.7:
	s_load_dword s6, s[4:5], 0x6c
	s_load_dwordx2 s[0:1], s[4:5], 0x0
	s_waitcnt lgkmcnt(0)
	s_mul_i32 s4, s6, s18
	s_add_i32 s4, s4, s7
	s_add_u32 s4, s0, s4
	s_addc_u32 s5, s1, 0
	s_and_b32 s10, s14, 0xff
	s_cmp_lt_u32 s17, 4
	s_cbranch_scc1 .LBB11_22
; %bb.8:
	v_add_u32_e32 v6, s12, v0
	v_add_u32_e32 v2, 0x300, v6
	;; [unrolled: 1-line block ×4, first 2 shown]
	v_mul_lo_u32 v3, s13, v2
	v_mul_lo_u32 v4, s13, v4
	;; [unrolled: 1-line block ×4, first 2 shown]
	s_and_b32 s15, s17, 0x7ffffffc
	s_lshl_b32 s14, s13, 10
	s_mov_b32 s18, 0
	v_mov_b32_e32 v7, 1
	s_mov_b32 s19, 0
	s_branch .LBB11_10
.LBB11_9:                               ;   in Loop: Header=BB11_10 Depth=1
	s_or_b64 exec, exec, s[6:7]
	s_add_i32 s19, s19, 4
	s_add_i32 s18, s18, s14
	s_cmp_eq_u32 s15, s19
	v_add_u32_e32 v2, 0x400, v2
	s_cbranch_scc1 .LBB11_22
.LBB11_10:                              ; =>This Inner Loop Header: Depth=1
	v_add_u32_e32 v8, 0xfffffd00, v2
	v_cmp_gt_u32_e64 s[0:1], s9, v8
	s_and_saveexec_b64 s[6:7], s[0:1]
	s_cbranch_execz .LBB11_13
; %bb.11:                               ;   in Loop: Header=BB11_10 Depth=1
	v_add_u32_e32 v8, s18, v6
	global_load_ubyte v8, v8, s[4:5]
	s_waitcnt vmcnt(0)
	v_xor_b32_e32 v9, s8, v8
	v_and_b32_e32 v9, s11, v9
	v_cmp_eq_u32_e64 s[0:1], 0, v9
	s_and_b64 exec, exec, s[0:1]
; %bb.12:                               ;   in Loop: Header=BB11_10 Depth=1
	v_lshrrev_b32_e32 v8, s10, v8
	v_lshlrev_b32_e32 v8, 2, v8
	ds_add_u32 v8, v7
.LBB11_13:                              ;   in Loop: Header=BB11_10 Depth=1
	s_or_b64 exec, exec, s[6:7]
	v_add_u32_e32 v8, 0xfffffe00, v2
	v_cmp_gt_u32_e64 s[0:1], s9, v8
	s_and_saveexec_b64 s[6:7], s[0:1]
	s_cbranch_execz .LBB11_16
; %bb.14:                               ;   in Loop: Header=BB11_10 Depth=1
	v_add_u32_e32 v8, s18, v5
	global_load_ubyte v8, v8, s[4:5]
	s_waitcnt vmcnt(0)
	v_xor_b32_e32 v9, s8, v8
	v_and_b32_e32 v9, s11, v9
	v_cmp_eq_u32_e64 s[0:1], 0, v9
	s_and_b64 exec, exec, s[0:1]
; %bb.15:                               ;   in Loop: Header=BB11_10 Depth=1
	v_lshrrev_b32_e32 v8, s10, v8
	v_lshlrev_b32_e32 v8, 2, v8
	ds_add_u32 v8, v7
.LBB11_16:                              ;   in Loop: Header=BB11_10 Depth=1
	s_or_b64 exec, exec, s[6:7]
	;; [unrolled: 18-line block ×3, first 2 shown]
	v_cmp_gt_u32_e64 s[0:1], s9, v2
	s_and_saveexec_b64 s[6:7], s[0:1]
	s_cbranch_execz .LBB11_9
; %bb.20:                               ;   in Loop: Header=BB11_10 Depth=1
	v_add_u32_e32 v8, s18, v3
	global_load_ubyte v8, v8, s[4:5]
	s_waitcnt vmcnt(0)
	v_xor_b32_e32 v9, s8, v8
	v_and_b32_e32 v9, s11, v9
	v_cmp_eq_u32_e64 s[0:1], 0, v9
	s_and_b64 exec, exec, s[0:1]
	s_cbranch_execz .LBB11_9
; %bb.21:                               ;   in Loop: Header=BB11_10 Depth=1
	v_lshrrev_b32_e32 v8, s10, v8
	v_lshlrev_b32_e32 v8, 2, v8
	ds_add_u32 v8, v7
	s_branch .LBB11_9
.LBB11_22:
	s_and_b32 s14, s17, 3
	s_cmp_eq_u32 s14, 0
	s_cbranch_scc1 .LBB11_28
; %bb.23:
	s_lshl_b32 s0, s15, 8
	s_add_i32 s0, s0, s12
	v_add_u32_e32 v2, s0, v0
	v_mul_lo_u32 v3, s13, v2
	s_lshl_b32 s12, s13, 8
	v_mov_b32_e32 v4, 1
	s_branch .LBB11_25
.LBB11_24:                              ;   in Loop: Header=BB11_25 Depth=1
	s_or_b64 exec, exec, s[6:7]
	s_add_i32 s14, s14, -1
	v_add_u32_e32 v3, s12, v3
	s_cmp_lg_u32 s14, 0
	v_add_u32_e32 v2, 0x100, v2
	s_cbranch_scc0 .LBB11_28
.LBB11_25:                              ; =>This Inner Loop Header: Depth=1
	v_cmp_gt_u32_e64 s[0:1], s9, v2
	s_and_saveexec_b64 s[6:7], s[0:1]
	s_cbranch_execz .LBB11_24
; %bb.26:                               ;   in Loop: Header=BB11_25 Depth=1
	global_load_ubyte v5, v3, s[4:5]
	s_waitcnt vmcnt(0)
	v_xor_b32_e32 v6, s8, v5
	v_and_b32_e32 v6, s11, v6
	v_cmp_eq_u32_e64 s[0:1], 0, v6
	s_and_b64 exec, exec, s[0:1]
	s_cbranch_execz .LBB11_24
; %bb.27:                               ;   in Loop: Header=BB11_25 Depth=1
	v_lshrrev_b32_e32 v5, s10, v5
	v_lshlrev_b32_e32 v5, 2, v5
	ds_add_u32 v5, v4
	s_branch .LBB11_24
.LBB11_28:
	s_waitcnt lgkmcnt(0)
	s_barrier
	s_and_saveexec_b64 s[0:1], vcc
	s_cbranch_execz .LBB11_30
; %bb.29:
	v_lshl_or_b32 v2, s16, 8, v0
	v_mov_b32_e32 v3, 0
	ds_read_b32 v5, v1
	v_lshlrev_b64 v[2:3], 1, v[2:3]
	v_mov_b32_e32 v4, s3
	v_add_co_u32_e32 v0, vcc, s2, v2
	v_addc_co_u32_e32 v1, vcc, v4, v3, vcc
	s_waitcnt lgkmcnt(0)
	global_store_short v[0:1], v5, off
.LBB11_30:
	s_endpgm
	.section	.rodata,"a",@progbits
	.p2align	6, 0x0
	.amdhsa_kernel _ZN2at6native6mbtopk23computeBlockDigitCountsIhjjLin1EEEvNS_4cuda6detail10TensorInfoIKT_T0_EEjPjjS8_iijT1_PSB_Ps
		.amdhsa_group_segment_fixed_size 1024
		.amdhsa_private_segment_fixed_size 0
		.amdhsa_kernarg_size 528
		.amdhsa_user_sgpr_count 6
		.amdhsa_user_sgpr_private_segment_buffer 1
		.amdhsa_user_sgpr_dispatch_ptr 0
		.amdhsa_user_sgpr_queue_ptr 0
		.amdhsa_user_sgpr_kernarg_segment_ptr 1
		.amdhsa_user_sgpr_dispatch_id 0
		.amdhsa_user_sgpr_flat_scratch_init 0
		.amdhsa_user_sgpr_private_segment_size 0
		.amdhsa_uses_dynamic_stack 0
		.amdhsa_system_sgpr_private_segment_wavefront_offset 0
		.amdhsa_system_sgpr_workgroup_id_x 1
		.amdhsa_system_sgpr_workgroup_id_y 1
		.amdhsa_system_sgpr_workgroup_id_z 1
		.amdhsa_system_sgpr_workgroup_info 0
		.amdhsa_system_vgpr_workitem_id 0
		.amdhsa_next_free_vgpr 10
		.amdhsa_next_free_sgpr 24
		.amdhsa_reserve_vcc 1
		.amdhsa_reserve_flat_scratch 0
		.amdhsa_float_round_mode_32 0
		.amdhsa_float_round_mode_16_64 0
		.amdhsa_float_denorm_mode_32 3
		.amdhsa_float_denorm_mode_16_64 3
		.amdhsa_dx10_clamp 1
		.amdhsa_ieee_mode 1
		.amdhsa_fp16_overflow 0
		.amdhsa_exception_fp_ieee_invalid_op 0
		.amdhsa_exception_fp_denorm_src 0
		.amdhsa_exception_fp_ieee_div_zero 0
		.amdhsa_exception_fp_ieee_overflow 0
		.amdhsa_exception_fp_ieee_underflow 0
		.amdhsa_exception_fp_ieee_inexact 0
		.amdhsa_exception_int_div_zero 0
	.end_amdhsa_kernel
	.section	.text._ZN2at6native6mbtopk23computeBlockDigitCountsIhjjLin1EEEvNS_4cuda6detail10TensorInfoIKT_T0_EEjPjjS8_iijT1_PSB_Ps,"axG",@progbits,_ZN2at6native6mbtopk23computeBlockDigitCountsIhjjLin1EEEvNS_4cuda6detail10TensorInfoIKT_T0_EEjPjjS8_iijT1_PSB_Ps,comdat
.Lfunc_end11:
	.size	_ZN2at6native6mbtopk23computeBlockDigitCountsIhjjLin1EEEvNS_4cuda6detail10TensorInfoIKT_T0_EEjPjjS8_iijT1_PSB_Ps, .Lfunc_end11-_ZN2at6native6mbtopk23computeBlockDigitCountsIhjjLin1EEEvNS_4cuda6detail10TensorInfoIKT_T0_EEjPjjS8_iijT1_PSB_Ps
                                        ; -- End function
	.set _ZN2at6native6mbtopk23computeBlockDigitCountsIhjjLin1EEEvNS_4cuda6detail10TensorInfoIKT_T0_EEjPjjS8_iijT1_PSB_Ps.num_vgpr, 10
	.set _ZN2at6native6mbtopk23computeBlockDigitCountsIhjjLin1EEEvNS_4cuda6detail10TensorInfoIKT_T0_EEjPjjS8_iijT1_PSB_Ps.num_agpr, 0
	.set _ZN2at6native6mbtopk23computeBlockDigitCountsIhjjLin1EEEvNS_4cuda6detail10TensorInfoIKT_T0_EEjPjjS8_iijT1_PSB_Ps.numbered_sgpr, 24
	.set _ZN2at6native6mbtopk23computeBlockDigitCountsIhjjLin1EEEvNS_4cuda6detail10TensorInfoIKT_T0_EEjPjjS8_iijT1_PSB_Ps.num_named_barrier, 0
	.set _ZN2at6native6mbtopk23computeBlockDigitCountsIhjjLin1EEEvNS_4cuda6detail10TensorInfoIKT_T0_EEjPjjS8_iijT1_PSB_Ps.private_seg_size, 0
	.set _ZN2at6native6mbtopk23computeBlockDigitCountsIhjjLin1EEEvNS_4cuda6detail10TensorInfoIKT_T0_EEjPjjS8_iijT1_PSB_Ps.uses_vcc, 1
	.set _ZN2at6native6mbtopk23computeBlockDigitCountsIhjjLin1EEEvNS_4cuda6detail10TensorInfoIKT_T0_EEjPjjS8_iijT1_PSB_Ps.uses_flat_scratch, 0
	.set _ZN2at6native6mbtopk23computeBlockDigitCountsIhjjLin1EEEvNS_4cuda6detail10TensorInfoIKT_T0_EEjPjjS8_iijT1_PSB_Ps.has_dyn_sized_stack, 0
	.set _ZN2at6native6mbtopk23computeBlockDigitCountsIhjjLin1EEEvNS_4cuda6detail10TensorInfoIKT_T0_EEjPjjS8_iijT1_PSB_Ps.has_recursion, 0
	.set _ZN2at6native6mbtopk23computeBlockDigitCountsIhjjLin1EEEvNS_4cuda6detail10TensorInfoIKT_T0_EEjPjjS8_iijT1_PSB_Ps.has_indirect_call, 0
	.section	.AMDGPU.csdata,"",@progbits
; Kernel info:
; codeLenInByte = 1184
; TotalNumSgprs: 28
; NumVgprs: 10
; ScratchSize: 0
; MemoryBound: 0
; FloatMode: 240
; IeeeMode: 1
; LDSByteSize: 1024 bytes/workgroup (compile time only)
; SGPRBlocks: 3
; VGPRBlocks: 2
; NumSGPRsForWavesPerEU: 28
; NumVGPRsForWavesPerEU: 10
; Occupancy: 10
; WaveLimiterHint : 1
; COMPUTE_PGM_RSRC2:SCRATCH_EN: 0
; COMPUTE_PGM_RSRC2:USER_SGPR: 6
; COMPUTE_PGM_RSRC2:TRAP_HANDLER: 0
; COMPUTE_PGM_RSRC2:TGID_X_EN: 1
; COMPUTE_PGM_RSRC2:TGID_Y_EN: 1
; COMPUTE_PGM_RSRC2:TGID_Z_EN: 1
; COMPUTE_PGM_RSRC2:TIDIG_COMP_CNT: 0
	.section	.text._ZN2at6native6mbtopk10gatherTopKIhjLin1EEEvNS_4cuda6detail10TensorInfoIKT_T0_EES8_S8_bjS8_NS5_IS6_S8_EES8_NS5_IlS8_EES8_jjPS6_PjSD_j,"axG",@progbits,_ZN2at6native6mbtopk10gatherTopKIhjLin1EEEvNS_4cuda6detail10TensorInfoIKT_T0_EES8_S8_bjS8_NS5_IS6_S8_EES8_NS5_IlS8_EES8_jjPS6_PjSD_j,comdat
	.protected	_ZN2at6native6mbtopk10gatherTopKIhjLin1EEEvNS_4cuda6detail10TensorInfoIKT_T0_EES8_S8_bjS8_NS5_IS6_S8_EES8_NS5_IlS8_EES8_jjPS6_PjSD_j ; -- Begin function _ZN2at6native6mbtopk10gatherTopKIhjLin1EEEvNS_4cuda6detail10TensorInfoIKT_T0_EES8_S8_bjS8_NS5_IS6_S8_EES8_NS5_IlS8_EES8_jjPS6_PjSD_j
	.globl	_ZN2at6native6mbtopk10gatherTopKIhjLin1EEEvNS_4cuda6detail10TensorInfoIKT_T0_EES8_S8_bjS8_NS5_IS6_S8_EES8_NS5_IlS8_EES8_jjPS6_PjSD_j
	.p2align	8
	.type	_ZN2at6native6mbtopk10gatherTopKIhjLin1EEEvNS_4cuda6detail10TensorInfoIKT_T0_EES8_S8_bjS8_NS5_IS6_S8_EES8_NS5_IlS8_EES8_jjPS6_PjSD_j,@function
_ZN2at6native6mbtopk10gatherTopKIhjLin1EEEvNS_4cuda6detail10TensorInfoIKT_T0_EES8_S8_bjS8_NS5_IS6_S8_EES8_NS5_IlS8_EES8_jjPS6_PjSD_j: ; @_ZN2at6native6mbtopk10gatherTopKIhjLin1EEEvNS_4cuda6detail10TensorInfoIKT_T0_EES8_S8_bjS8_NS5_IS6_S8_EES8_NS5_IlS8_EES8_jjPS6_PjSD_j
; %bb.0:
	s_load_dwordx2 s[0:1], s[4:5], 0x2d8
	s_load_dword s2, s[4:5], 0x2d0
	s_waitcnt lgkmcnt(0)
	s_mul_i32 s1, s1, s8
	s_add_i32 s1, s1, s7
	s_mul_i32 s16, s1, s0
	s_add_i32 s16, s16, s6
	s_cmp_ge_u32 s16, s2
	s_cbranch_scc1 .LBB12_49
; %bb.1:
	s_load_dwordx4 s[8:11], s[4:5], 0x2a8
	s_load_dword s0, s[4:5], 0xd0
	s_mov_b32 s7, 0
	s_waitcnt lgkmcnt(0)
	v_cvt_f32_u32_e32 v1, s10
	s_sub_i32 s1, 0, s10
	v_rcp_iflag_f32_e32 v1, v1
	v_mul_f32_e32 v1, 0x4f7ffffe, v1
	v_cvt_u32_f32_e32 v1, v1
	v_readfirstlane_b32 s2, v1
	s_mul_i32 s1, s1, s2
	s_mul_hi_u32 s1, s2, s1
	s_add_i32 s2, s2, s1
	s_mul_hi_u32 s1, s16, s2
	s_mul_i32 s2, s1, s10
	s_sub_i32 s2, s16, s2
	s_add_i32 s3, s1, 1
	s_sub_i32 s6, s2, s10
	s_cmp_ge_u32 s2, s10
	s_cselect_b32 s1, s3, s1
	s_cselect_b32 s2, s6, s2
	s_add_i32 s3, s1, 1
	s_cmp_ge_u32 s2, s10
	s_cselect_b32 s17, s3, s1
	s_cmp_lt_i32 s0, 2
	s_mov_b32 s6, s17
	s_cbranch_scc1 .LBB12_4
; %bb.2:
	s_add_i32 s6, s0, -1
	s_add_i32 s2, s0, 1
	s_lshl_b64 s[0:1], s[6:7], 2
	s_add_u32 s0, s4, s0
	s_addc_u32 s1, s5, s1
	s_add_u32 s0, s0, 8
	s_addc_u32 s1, s1, 0
	s_mov_b32 s6, s17
.LBB12_3:                               ; =>This Inner Loop Header: Depth=1
	s_load_dword s3, s[0:1], 0x0
	s_load_dword s12, s[0:1], 0x64
	s_mov_b32 s11, s6
	s_waitcnt lgkmcnt(0)
	v_cvt_f32_u32_e32 v1, s3
	s_sub_i32 s6, 0, s3
	v_rcp_iflag_f32_e32 v1, v1
	v_mul_f32_e32 v1, 0x4f7ffffe, v1
	v_cvt_u32_f32_e32 v1, v1
	v_readfirstlane_b32 s13, v1
	s_mul_i32 s6, s6, s13
	s_mul_hi_u32 s6, s13, s6
	s_add_i32 s13, s13, s6
	s_mul_hi_u32 s6, s11, s13
	s_mul_i32 s13, s6, s3
	s_sub_i32 s13, s11, s13
	s_add_i32 s14, s6, 1
	s_sub_i32 s15, s13, s3
	s_cmp_ge_u32 s13, s3
	s_cselect_b32 s6, s14, s6
	s_cselect_b32 s13, s15, s13
	s_add_i32 s14, s6, 1
	s_cmp_ge_u32 s13, s3
	s_cselect_b32 s6, s14, s6
	s_mul_i32 s3, s6, s3
	s_sub_i32 s3, s11, s3
	s_mul_i32 s3, s12, s3
	s_add_i32 s2, s2, -1
	s_add_i32 s7, s3, s7
	s_add_u32 s0, s0, -4
	s_addc_u32 s1, s1, -1
	s_cmp_gt_u32 s2, 2
	s_cbranch_scc1 .LBB12_3
.LBB12_4:
	s_load_dword s2, s[4:5], 0x1c0
	s_add_u32 s0, s4, 0xf0
	s_addc_u32 s1, s5, 0
	s_mov_b32 s21, 0
	s_mov_b32 s11, s17
	s_waitcnt lgkmcnt(0)
	s_cmp_lt_i32 s2, 2
	s_cbranch_scc1 .LBB12_7
; %bb.5:
	s_add_i32 s20, s2, -1
	s_add_i32 s12, s2, 1
	s_lshl_b64 s[2:3], s[20:21], 2
	s_add_u32 s2, s0, s2
	s_addc_u32 s3, s1, s3
	s_add_u32 s2, s2, 8
	s_addc_u32 s3, s3, 0
	s_mov_b32 s11, s17
.LBB12_6:                               ; =>This Inner Loop Header: Depth=1
	s_load_dword s13, s[2:3], 0x0
	s_load_dword s15, s[2:3], 0x64
	s_mov_b32 s14, s11
	s_waitcnt lgkmcnt(0)
	v_cvt_f32_u32_e32 v1, s13
	s_sub_i32 s11, 0, s13
	v_rcp_iflag_f32_e32 v1, v1
	v_mul_f32_e32 v1, 0x4f7ffffe, v1
	v_cvt_u32_f32_e32 v1, v1
	v_readfirstlane_b32 s18, v1
	s_mul_i32 s11, s11, s18
	s_mul_hi_u32 s11, s18, s11
	s_add_i32 s18, s18, s11
	s_mul_hi_u32 s11, s14, s18
	s_mul_i32 s18, s11, s13
	s_sub_i32 s18, s14, s18
	s_add_i32 s19, s11, 1
	s_sub_i32 s20, s18, s13
	s_cmp_ge_u32 s18, s13
	s_cselect_b32 s11, s19, s11
	s_cselect_b32 s18, s20, s18
	s_add_i32 s19, s11, 1
	s_cmp_ge_u32 s18, s13
	s_cselect_b32 s11, s19, s11
	s_mul_i32 s13, s11, s13
	s_sub_i32 s13, s14, s13
	s_mul_i32 s13, s15, s13
	s_add_i32 s12, s12, -1
	s_add_i32 s21, s13, s21
	s_add_u32 s2, s2, -4
	s_addc_u32 s3, s3, -1
	s_cmp_gt_u32 s12, 2
	s_cbranch_scc1 .LBB12_6
.LBB12_7:
	s_load_dword s20, s[4:5], 0x6c
	s_load_dword s13, s[4:5], 0x2a0
	s_add_u32 s2, s4, 0x1d0
	s_addc_u32 s3, s5, 0
	s_mov_b32 s23, 0
	s_mov_b32 s22, s17
	s_waitcnt lgkmcnt(0)
	s_cmp_lt_i32 s13, 2
	s_cbranch_scc1 .LBB12_10
; %bb.8:
	s_add_i32 s22, s13, -1
	s_add_i32 s12, s13, 1
	s_lshl_b64 s[14:15], s[22:23], 2
	s_add_u32 s2, s2, s14
	s_addc_u32 s3, s3, s15
	s_add_u32 s2, s2, 8
	s_addc_u32 s3, s3, 0
	s_mov_b32 s22, s17
.LBB12_9:                               ; =>This Inner Loop Header: Depth=1
	s_load_dword s13, s[2:3], 0x0
	s_load_dword s15, s[2:3], 0x64
	s_mov_b32 s14, s22
	s_waitcnt lgkmcnt(0)
	v_cvt_f32_u32_e32 v1, s13
	s_sub_i32 s18, 0, s13
	v_rcp_iflag_f32_e32 v1, v1
	v_mul_f32_e32 v1, 0x4f7ffffe, v1
	v_cvt_u32_f32_e32 v1, v1
	v_readfirstlane_b32 s19, v1
	s_mul_i32 s18, s18, s19
	s_mul_hi_u32 s18, s19, s18
	s_add_i32 s19, s19, s18
	s_mul_hi_u32 s18, s22, s19
	s_mul_i32 s19, s18, s13
	s_sub_i32 s19, s14, s19
	s_add_i32 s22, s18, 1
	s_sub_i32 s24, s19, s13
	s_cmp_ge_u32 s19, s13
	s_cselect_b32 s18, s22, s18
	s_cselect_b32 s19, s24, s19
	s_add_i32 s22, s18, 1
	s_cmp_ge_u32 s19, s13
	s_cselect_b32 s22, s22, s18
	s_mul_i32 s13, s22, s13
	s_sub_i32 s13, s14, s13
	s_mul_i32 s13, s15, s13
	s_add_i32 s12, s12, -1
	s_add_i32 s23, s13, s23
	s_add_u32 s2, s2, -4
	s_addc_u32 s3, s3, -1
	s_cmp_gt_u32 s12, 2
	s_cbranch_scc1 .LBB12_9
.LBB12_10:
	s_load_dword s33, s[0:1], 0x6c
	s_load_dwordx4 s[12:15], s[4:5], 0x2b8
	v_mov_b32_e32 v1, s17
	s_mul_i32 s30, s17, s10
	s_sub_i32 s40, s16, s30
	s_mov_b32 s31, 0
	s_waitcnt lgkmcnt(0)
	global_load_ubyte v6, v1, s[12:13]
	s_load_dwordx2 s[28:29], s[4:5], 0x0
	s_load_dwordx2 s[26:27], s[4:5], 0xf0
	;; [unrolled: 1-line block ×3, first 2 shown]
	v_cmp_ne_u32_e64 s[0:1], 0, v0
	v_cmp_eq_u32_e64 s[2:3], 0, v0
	s_and_saveexec_b64 s[12:13], s[2:3]
	s_cbranch_execz .LBB12_26
; %bb.11:
	s_load_dwordx2 s[34:35], s[4:5], 0x2c8
	s_lshl_b64 s[36:37], s[30:31], 2
	s_add_u32 s16, s14, s36
	s_addc_u32 s17, s15, s37
	s_mov_b32 s30, 0
	s_waitcnt lgkmcnt(0)
	s_add_u32 s18, s34, s36
	s_addc_u32 s19, s35, s37
	s_mov_b32 s41, 0
	s_cmp_lt_u32 s10, 4
	s_cbranch_scc1 .LBB12_23
; %bb.12:
	s_mov_b32 s42, 0
.LBB12_13:                              ; =>This Inner Loop Header: Depth=1
	s_add_u32 s38, s14, s36
	s_addc_u32 s39, s15, s37
	s_load_dwordx4 s[16:19], s[38:39], 0x0
	s_add_u32 s38, s34, s36
	s_addc_u32 s39, s35, s37
	s_cmp_ge_u32 s42, s40
	s_cbranch_scc0 .LBB12_20
; %bb.14:                               ;   in Loop: Header=BB12_13 Depth=1
	s_add_i32 s43, s42, 1
	s_cmp_ge_u32 s43, s40
	s_cbranch_scc0 .LBB12_21
.LBB12_15:                              ;   in Loop: Header=BB12_13 Depth=1
	s_add_i32 s43, s43, 1
	s_cmp_ge_u32 s43, s40
	s_cbranch_scc0 .LBB12_22
.LBB12_16:                              ;   in Loop: Header=BB12_13 Depth=1
	s_add_i32 s43, s43, 1
	s_cmp_ge_u32 s43, s40
	s_cbranch_scc1 .LBB12_18
.LBB12_17:                              ;   in Loop: Header=BB12_13 Depth=1
	s_load_dword s38, s[38:39], 0xc
	s_waitcnt lgkmcnt(0)
	s_add_i32 s31, s31, s19
	s_add_i32 s30, s38, s30
.LBB12_18:                              ;   in Loop: Header=BB12_13 Depth=1
	s_waitcnt lgkmcnt(0)
	s_add_i32 s16, s16, s41
	s_add_i32 s16, s16, s17
	;; [unrolled: 1-line block ×4, first 2 shown]
	s_add_u32 s14, s14, 16
	s_addc_u32 s15, s15, 0
	s_add_u32 s34, s34, 16
	s_addc_u32 s35, s35, 0
	s_add_i32 s39, s43, 4
	s_add_u32 s18, s34, s36
	s_addc_u32 s19, s35, s37
	s_add_u32 s16, s14, s36
	s_addc_u32 s17, s15, s37
	s_add_i32 s38, s43, 1
	s_cmp_ge_u32 s39, s10
	s_cbranch_scc1 .LBB12_24
; %bb.19:                               ;   in Loop: Header=BB12_13 Depth=1
	s_mov_b32 s42, s38
	s_branch .LBB12_13
.LBB12_20:                              ;   in Loop: Header=BB12_13 Depth=1
	s_load_dword s43, s[38:39], 0x0
	s_waitcnt lgkmcnt(0)
	s_add_i32 s31, s16, s31
	s_add_i32 s30, s43, s30
	;; [unrolled: 1-line block ×3, first 2 shown]
	s_cmp_ge_u32 s43, s40
	s_cbranch_scc1 .LBB12_15
.LBB12_21:                              ;   in Loop: Header=BB12_13 Depth=1
	s_load_dword s44, s[38:39], 0x4
	s_waitcnt lgkmcnt(0)
	s_add_i32 s31, s31, s17
	s_add_i32 s30, s44, s30
	;; [unrolled: 1-line block ×3, first 2 shown]
	s_cmp_ge_u32 s43, s40
	s_cbranch_scc1 .LBB12_16
.LBB12_22:                              ;   in Loop: Header=BB12_13 Depth=1
	s_load_dword s44, s[38:39], 0x8
	s_waitcnt lgkmcnt(0)
	s_add_i32 s31, s31, s18
	s_add_i32 s30, s44, s30
	;; [unrolled: 1-line block ×3, first 2 shown]
	s_cmp_ge_u32 s43, s40
	s_cbranch_scc0 .LBB12_17
	s_branch .LBB12_18
.LBB12_23:
	s_mov_b32 s14, 0
	s_cmp_ge_u32 s14, s10
	s_cbranch_scc0 .LBB12_47
	s_branch .LBB12_25
.LBB12_24:
	s_add_i32 s14, s42, 4
	s_cmp_ge_u32 s14, s10
	s_cbranch_scc0 .LBB12_47
.LBB12_25:
	v_mov_b32_e32 v1, s30
	v_mov_b32_e32 v2, s41
	;; [unrolled: 1-line block ×4, first 2 shown]
	ds_write_b96 v4, v[1:3] offset:1056
.LBB12_26:
	s_or_b64 exec, exec, s[12:13]
	s_load_dword s16, s[4:5], 0x23c
	s_load_dwordx4 s[12:15], s[4:5], 0xd8
	s_waitcnt lgkmcnt(0)
	s_mul_i32 s15, s9, s40
	s_lshl_b32 s15, s15, 8
	s_add_i32 s17, s40, 1
	s_mov_b32 s19, 0
	s_sub_i32 s18, s12, s15
	s_add_u32 s30, s18, 0xff
	s_addc_u32 s31, 0, 0
	s_lshr_b64 s[30:31], s[30:31], 8
	s_cmp_lt_u32 s17, s10
	s_cselect_b32 s9, s9, s30
	s_cmp_eq_u32 s9, 0
	s_waitcnt vmcnt(0)
	s_barrier
	s_cbranch_scc1 .LBB12_49
; %bb.27:
	s_mul_i32 s6, s20, s6
	s_mul_i32 s10, s33, s11
	s_add_i32 s6, s6, s7
	s_mul_i32 s7, s16, s22
	s_add_i32 s17, s10, s21
	s_add_i32 s18, s7, s23
	s_add_u32 s10, s28, s6
	s_addc_u32 s11, s29, 0
	s_add_u32 s16, s26, s17
	v_mov_b32_e32 v5, 0
	s_addc_u32 s17, s27, 0
	s_lshl_b64 s[6:7], s[18:19], 3
	ds_read_b96 v[1:3], v5 offset:1056
	s_add_u32 s18, s24, s6
	s_addc_u32 s19, s25, s7
	v_lshrrev_b32_e32 v4, 1, v0
	s_bitcmp1_b32 s14, 0
	s_load_dword s14, s[4:5], 0xe8
	s_load_dword s20, s[4:5], 0x1c8
	v_and_b32_e32 v7, 0x7c, v4
	v_add_u32_e32 v4, -1, v0
	v_lshrrev_b32_e32 v9, 3, v4
	s_waitcnt lgkmcnt(0)
	v_add_u32_e32 v1, v1, v2
	v_lshrrev_b32_e32 v2, 3, v0
	v_and_b32_e32 v9, 0x1ffffffc, v9
	v_and_b32_e32 v2, 28, v2
	v_lshl_add_u32 v9, v4, 2, v9
	v_add_u32_e32 v4, s15, v0
	v_lshl_add_u32 v2, v0, 2, v2
	v_cmp_gt_u32_e64 s[4:5], 64, v0
	v_lshlrev_b32_e32 v8, 4, v0
	v_mul_lo_u32 v0, s14, v4
	v_mbcnt_lo_u32_b32 v10, -1, 0
	s_cselect_b64 s[6:7], -1, 0
	s_lshl_b32 s21, s14, 8
	v_mbcnt_hi_u32_b32 v10, -1, v10
                                        ; implicit-def: $vgpr11
	s_branch .LBB12_30
.LBB12_28:                              ;   in Loop: Header=BB12_30 Depth=1
	s_or_b64 exec, exec, s[14:15]
	v_add_u32_e32 v1, v14, v1
.LBB12_29:                              ;   in Loop: Header=BB12_30 Depth=1
	s_add_i32 s9, s9, -1
	v_add_u32_e32 v3, v13, v3
	v_add_u32_e32 v0, s21, v0
	s_cmp_lg_u32 s9, 0
	v_add_u32_e32 v4, 0x100, v4
	s_cbranch_scc0 .LBB12_49
.LBB12_30:                              ; =>This Inner Loop Header: Depth=1
	v_cmp_gt_u32_e32 vcc, s12, v4
	v_mov_b32_e32 v14, 0
	v_mov_b32_e32 v12, 0
	s_and_saveexec_b64 s[14:15], vcc
	s_cbranch_execz .LBB12_32
; %bb.31:                               ;   in Loop: Header=BB12_30 Depth=1
	global_load_ubyte v11, v0, s[10:11]
	s_waitcnt vmcnt(0)
	v_cmp_gt_u16_sdwa s[22:23], v11, v6 src0_sel:DWORD src1_sel:BYTE_0
	v_cndmask_b32_e64 v12, 0, 1, s[22:23]
	v_cmp_lt_u16_sdwa s[22:23], v11, v6 src0_sel:DWORD src1_sel:BYTE_0
	v_cndmask_b32_e64 v13, 0, 1, s[22:23]
	v_cndmask_b32_e64 v12, v13, v12, s[6:7]
	v_cmp_eq_u16_sdwa s[22:23], v11, v6 src0_sel:DWORD src1_sel:BYTE_0
	v_and_b32_e32 v14, 1, v12
	v_cndmask_b32_e64 v12, 0, 1, s[22:23]
.LBB12_32:                              ;   in Loop: Header=BB12_30 Depth=1
	s_or_b64 exec, exec, s[14:15]
	ds_write_b32 v2, v14
	s_waitcnt vmcnt(0) lgkmcnt(0)
	s_barrier
	s_and_saveexec_b64 s[14:15], s[4:5]
	s_cbranch_execz .LBB12_34
; %bb.33:                               ;   in Loop: Header=BB12_30 Depth=1
	v_add_u32_e32 v13, v7, v8
	ds_read2_b32 v[15:16], v13 offset1:1
	ds_read2_b32 v[17:18], v13 offset0:2 offset1:3
	v_and_b32_e32 v19, 15, v10
	v_cmp_ne_u32_e32 vcc, 0, v19
	s_waitcnt lgkmcnt(1)
	v_add_u32_e32 v16, v16, v15
	s_waitcnt lgkmcnt(0)
	v_add3_u32 v16, v16, v17, v18
	v_bfe_i32 v18, v10, 4, 1
	; wave barrier
	s_nop 0
	v_mov_b32_dpp v17, v16 row_shr:1 row_mask:0xf bank_mask:0xf
	v_cndmask_b32_e32 v17, 0, v17, vcc
	v_add_u32_e32 v16, v17, v16
	v_cmp_lt_u32_e32 vcc, 1, v19
	s_nop 0
	v_mov_b32_dpp v17, v16 row_shr:2 row_mask:0xf bank_mask:0xf
	v_cndmask_b32_e32 v17, 0, v17, vcc
	v_add_u32_e32 v16, v16, v17
	v_cmp_lt_u32_e32 vcc, 3, v19
	;; [unrolled: 5-line block ×4, first 2 shown]
	s_nop 0
	v_mov_b32_dpp v17, v16 row_bcast:15 row_mask:0xf bank_mask:0xf
	v_and_b32_e32 v17, v18, v17
	v_add_u32_e32 v16, v16, v17
	v_and_b32_e32 v18, 64, v10
	s_nop 0
	v_mov_b32_dpp v17, v16 row_bcast:31 row_mask:0xf bank_mask:0xf
	v_cndmask_b32_e32 v17, 0, v17, vcc
	v_add_u32_e32 v16, v16, v17
	v_add_u32_e32 v17, -1, v10
	v_cmp_lt_i32_e32 vcc, v17, v18
	v_cndmask_b32_e32 v17, v17, v10, vcc
	v_lshlrev_b32_e32 v17, 2, v17
	ds_bpermute_b32 v16, v17, v16
	s_waitcnt lgkmcnt(0)
	v_add_u32_e32 v15, v16, v15
	v_cndmask_b32_e64 v17, v15, v14, s[2:3]
	ds_write_b32 v13, v17
	; wave barrier
	ds_read2_b32 v[15:16], v13 offset0:1 offset1:2
	ds_read_b32 v18, v13 offset:12
	s_waitcnt lgkmcnt(1)
	v_add_u32_e32 v15, v15, v17
	v_add_u32_e32 v16, v16, v15
	ds_write2_b32 v13, v15, v16 offset0:1 offset1:2
	s_waitcnt lgkmcnt(1)
	v_add_u32_e32 v15, v18, v16
	ds_write_b32 v13, v15 offset:12
.LBB12_34:                              ;   in Loop: Header=BB12_30 Depth=1
	s_or_b64 exec, exec, s[14:15]
	v_mov_b32_e32 v15, 0
	s_waitcnt lgkmcnt(0)
	s_barrier
	s_and_saveexec_b64 s[14:15], s[0:1]
; %bb.35:                               ;   in Loop: Header=BB12_30 Depth=1
	ds_read_b32 v15, v9
; %bb.36:                               ;   in Loop: Header=BB12_30 Depth=1
	s_or_b64 exec, exec, s[14:15]
	ds_read_b32 v13, v5 offset:1048
	v_cmp_ne_u32_e32 vcc, 0, v14
	s_waitcnt lgkmcnt(0)
	s_barrier
	s_and_saveexec_b64 s[14:15], vcc
	s_cbranch_execz .LBB12_38
; %bb.37:                               ;   in Loop: Header=BB12_30 Depth=1
	v_add_u32_e32 v14, v15, v3
	v_mul_lo_u32 v16, v14, s20
	v_mul_lo_u32 v14, v14, s8
	v_mov_b32_e32 v15, v5
	global_store_byte v16, v11, s[16:17]
	v_lshlrev_b64 v[14:15], 3, v[14:15]
	v_mov_b32_e32 v16, s19
	v_add_co_u32_e32 v14, vcc, s18, v14
	v_addc_co_u32_e32 v15, vcc, v16, v15, vcc
	global_store_dwordx2 v[14:15], v[4:5], off
.LBB12_38:                              ;   in Loop: Header=BB12_30 Depth=1
	s_or_b64 exec, exec, s[14:15]
	v_cmp_le_u32_e32 vcc, s13, v1
	s_cbranch_vccnz .LBB12_29
; %bb.39:                               ;   in Loop: Header=BB12_30 Depth=1
	ds_write_b32 v2, v12
	s_waitcnt vmcnt(0) lgkmcnt(0)
	s_barrier
	s_and_saveexec_b64 s[14:15], s[4:5]
	s_cbranch_execz .LBB12_41
; %bb.40:                               ;   in Loop: Header=BB12_30 Depth=1
	v_add_u32_e32 v18, v7, v8
	ds_read2_b32 v[14:15], v18 offset1:1
	ds_read2_b32 v[16:17], v18 offset0:2 offset1:3
	v_and_b32_e32 v19, 15, v10
	v_cmp_ne_u32_e32 vcc, 0, v19
	s_waitcnt lgkmcnt(1)
	v_add_u32_e32 v15, v15, v14
	s_waitcnt lgkmcnt(0)
	v_add3_u32 v15, v15, v16, v17
	v_bfe_i32 v17, v10, 4, 1
	; wave barrier
	s_nop 0
	v_mov_b32_dpp v16, v15 row_shr:1 row_mask:0xf bank_mask:0xf
	v_cndmask_b32_e32 v16, 0, v16, vcc
	v_add_u32_e32 v15, v16, v15
	v_cmp_lt_u32_e32 vcc, 1, v19
	s_nop 0
	v_mov_b32_dpp v16, v15 row_shr:2 row_mask:0xf bank_mask:0xf
	v_cndmask_b32_e32 v16, 0, v16, vcc
	v_add_u32_e32 v15, v15, v16
	v_cmp_lt_u32_e32 vcc, 3, v19
	;; [unrolled: 5-line block ×4, first 2 shown]
	s_nop 0
	v_mov_b32_dpp v16, v15 row_bcast:15 row_mask:0xf bank_mask:0xf
	v_and_b32_e32 v16, v17, v16
	v_add_u32_e32 v15, v15, v16
	v_and_b32_e32 v17, 64, v10
	s_nop 0
	v_mov_b32_dpp v16, v15 row_bcast:31 row_mask:0xf bank_mask:0xf
	v_cndmask_b32_e32 v16, 0, v16, vcc
	v_add_u32_e32 v15, v15, v16
	v_add_u32_e32 v16, -1, v10
	v_cmp_lt_i32_e32 vcc, v16, v17
	v_cndmask_b32_e32 v16, v16, v10, vcc
	v_lshlrev_b32_e32 v16, 2, v16
	ds_bpermute_b32 v15, v16, v15
	s_waitcnt lgkmcnt(0)
	v_add_u32_e32 v14, v15, v14
	v_cndmask_b32_e64 v16, v14, v12, s[2:3]
	ds_write_b32 v18, v16
	; wave barrier
	ds_read2_b32 v[14:15], v18 offset0:1 offset1:2
	ds_read_b32 v17, v18 offset:12
	s_waitcnt lgkmcnt(1)
	v_add_u32_e32 v14, v14, v16
	v_add_u32_e32 v15, v15, v14
	ds_write2_b32 v18, v14, v15 offset0:1 offset1:2
	s_waitcnt lgkmcnt(1)
	v_add_u32_e32 v14, v17, v15
	ds_write_b32 v18, v14 offset:12
.LBB12_41:                              ;   in Loop: Header=BB12_30 Depth=1
	s_or_b64 exec, exec, s[14:15]
	v_mov_b32_e32 v15, 0
	s_waitcnt lgkmcnt(0)
	s_barrier
	s_and_saveexec_b64 s[14:15], s[0:1]
; %bb.42:                               ;   in Loop: Header=BB12_30 Depth=1
	ds_read_b32 v15, v9
; %bb.43:                               ;   in Loop: Header=BB12_30 Depth=1
	s_or_b64 exec, exec, s[14:15]
	ds_read_b32 v14, v5 offset:1048
	v_cmp_ne_u32_e32 vcc, 0, v12
	s_waitcnt lgkmcnt(0)
	s_barrier
	s_and_saveexec_b64 s[14:15], vcc
	s_cbranch_execz .LBB12_28
; %bb.44:                               ;   in Loop: Header=BB12_30 Depth=1
	v_add_u32_e32 v12, v15, v1
	v_cmp_gt_u32_e32 vcc, s13, v12
	s_and_b64 exec, exec, vcc
	s_cbranch_execz .LBB12_28
; %bb.45:                               ;   in Loop: Header=BB12_30 Depth=1
	v_mul_lo_u32 v15, v12, s8
	v_mov_b32_e32 v16, v5
	v_mul_lo_u32 v17, v12, s20
	v_mov_b32_e32 v12, s19
	v_lshlrev_b64 v[15:16], 3, v[15:16]
	global_store_byte v17, v11, s[16:17]
	v_add_co_u32_e32 v15, vcc, s18, v15
	v_addc_co_u32_e32 v16, vcc, v12, v16, vcc
	global_store_dwordx2 v[15:16], v[4:5], off
	s_branch .LBB12_28
.LBB12_46:                              ;   in Loop: Header=BB12_47 Depth=1
	s_add_u32 s16, s16, 4
	s_addc_u32 s17, s17, 0
	s_waitcnt lgkmcnt(0)
	s_add_i32 s41, s15, s41
	s_add_u32 s18, s18, 4
	s_addc_u32 s19, s19, 0
	s_add_i32 s14, s14, 1
	s_cmp_lt_u32 s14, s10
	s_cbranch_scc0 .LBB12_25
.LBB12_47:                              ; =>This Inner Loop Header: Depth=1
	s_load_dword s15, s[16:17], 0x0
	s_cmp_ge_u32 s14, s40
	s_cbranch_scc1 .LBB12_46
; %bb.48:                               ;   in Loop: Header=BB12_47 Depth=1
	s_load_dword s34, s[18:19], 0x0
	s_waitcnt lgkmcnt(0)
	s_add_i32 s31, s15, s31
	s_add_i32 s30, s34, s30
	s_branch .LBB12_46
.LBB12_49:
	s_endpgm
	.section	.rodata,"a",@progbits
	.p2align	6, 0x0
	.amdhsa_kernel _ZN2at6native6mbtopk10gatherTopKIhjLin1EEEvNS_4cuda6detail10TensorInfoIKT_T0_EES8_S8_bjS8_NS5_IS6_S8_EES8_NS5_IlS8_EES8_jjPS6_PjSD_j
		.amdhsa_group_segment_fixed_size 1068
		.amdhsa_private_segment_fixed_size 0
		.amdhsa_kernarg_size 984
		.amdhsa_user_sgpr_count 6
		.amdhsa_user_sgpr_private_segment_buffer 1
		.amdhsa_user_sgpr_dispatch_ptr 0
		.amdhsa_user_sgpr_queue_ptr 0
		.amdhsa_user_sgpr_kernarg_segment_ptr 1
		.amdhsa_user_sgpr_dispatch_id 0
		.amdhsa_user_sgpr_flat_scratch_init 0
		.amdhsa_user_sgpr_private_segment_size 0
		.amdhsa_uses_dynamic_stack 0
		.amdhsa_system_sgpr_private_segment_wavefront_offset 0
		.amdhsa_system_sgpr_workgroup_id_x 1
		.amdhsa_system_sgpr_workgroup_id_y 1
		.amdhsa_system_sgpr_workgroup_id_z 1
		.amdhsa_system_sgpr_workgroup_info 0
		.amdhsa_system_vgpr_workitem_id 0
		.amdhsa_next_free_vgpr 20
		.amdhsa_next_free_sgpr 45
		.amdhsa_reserve_vcc 1
		.amdhsa_reserve_flat_scratch 0
		.amdhsa_float_round_mode_32 0
		.amdhsa_float_round_mode_16_64 0
		.amdhsa_float_denorm_mode_32 3
		.amdhsa_float_denorm_mode_16_64 3
		.amdhsa_dx10_clamp 1
		.amdhsa_ieee_mode 1
		.amdhsa_fp16_overflow 0
		.amdhsa_exception_fp_ieee_invalid_op 0
		.amdhsa_exception_fp_denorm_src 0
		.amdhsa_exception_fp_ieee_div_zero 0
		.amdhsa_exception_fp_ieee_overflow 0
		.amdhsa_exception_fp_ieee_underflow 0
		.amdhsa_exception_fp_ieee_inexact 0
		.amdhsa_exception_int_div_zero 0
	.end_amdhsa_kernel
	.section	.text._ZN2at6native6mbtopk10gatherTopKIhjLin1EEEvNS_4cuda6detail10TensorInfoIKT_T0_EES8_S8_bjS8_NS5_IS6_S8_EES8_NS5_IlS8_EES8_jjPS6_PjSD_j,"axG",@progbits,_ZN2at6native6mbtopk10gatherTopKIhjLin1EEEvNS_4cuda6detail10TensorInfoIKT_T0_EES8_S8_bjS8_NS5_IS6_S8_EES8_NS5_IlS8_EES8_jjPS6_PjSD_j,comdat
.Lfunc_end12:
	.size	_ZN2at6native6mbtopk10gatherTopKIhjLin1EEEvNS_4cuda6detail10TensorInfoIKT_T0_EES8_S8_bjS8_NS5_IS6_S8_EES8_NS5_IlS8_EES8_jjPS6_PjSD_j, .Lfunc_end12-_ZN2at6native6mbtopk10gatherTopKIhjLin1EEEvNS_4cuda6detail10TensorInfoIKT_T0_EES8_S8_bjS8_NS5_IS6_S8_EES8_NS5_IlS8_EES8_jjPS6_PjSD_j
                                        ; -- End function
	.set _ZN2at6native6mbtopk10gatherTopKIhjLin1EEEvNS_4cuda6detail10TensorInfoIKT_T0_EES8_S8_bjS8_NS5_IS6_S8_EES8_NS5_IlS8_EES8_jjPS6_PjSD_j.num_vgpr, 20
	.set _ZN2at6native6mbtopk10gatherTopKIhjLin1EEEvNS_4cuda6detail10TensorInfoIKT_T0_EES8_S8_bjS8_NS5_IS6_S8_EES8_NS5_IlS8_EES8_jjPS6_PjSD_j.num_agpr, 0
	.set _ZN2at6native6mbtopk10gatherTopKIhjLin1EEEvNS_4cuda6detail10TensorInfoIKT_T0_EES8_S8_bjS8_NS5_IS6_S8_EES8_NS5_IlS8_EES8_jjPS6_PjSD_j.numbered_sgpr, 45
	.set _ZN2at6native6mbtopk10gatherTopKIhjLin1EEEvNS_4cuda6detail10TensorInfoIKT_T0_EES8_S8_bjS8_NS5_IS6_S8_EES8_NS5_IlS8_EES8_jjPS6_PjSD_j.num_named_barrier, 0
	.set _ZN2at6native6mbtopk10gatherTopKIhjLin1EEEvNS_4cuda6detail10TensorInfoIKT_T0_EES8_S8_bjS8_NS5_IS6_S8_EES8_NS5_IlS8_EES8_jjPS6_PjSD_j.private_seg_size, 0
	.set _ZN2at6native6mbtopk10gatherTopKIhjLin1EEEvNS_4cuda6detail10TensorInfoIKT_T0_EES8_S8_bjS8_NS5_IS6_S8_EES8_NS5_IlS8_EES8_jjPS6_PjSD_j.uses_vcc, 1
	.set _ZN2at6native6mbtopk10gatherTopKIhjLin1EEEvNS_4cuda6detail10TensorInfoIKT_T0_EES8_S8_bjS8_NS5_IS6_S8_EES8_NS5_IlS8_EES8_jjPS6_PjSD_j.uses_flat_scratch, 0
	.set _ZN2at6native6mbtopk10gatherTopKIhjLin1EEEvNS_4cuda6detail10TensorInfoIKT_T0_EES8_S8_bjS8_NS5_IS6_S8_EES8_NS5_IlS8_EES8_jjPS6_PjSD_j.has_dyn_sized_stack, 0
	.set _ZN2at6native6mbtopk10gatherTopKIhjLin1EEEvNS_4cuda6detail10TensorInfoIKT_T0_EES8_S8_bjS8_NS5_IS6_S8_EES8_NS5_IlS8_EES8_jjPS6_PjSD_j.has_recursion, 0
	.set _ZN2at6native6mbtopk10gatherTopKIhjLin1EEEvNS_4cuda6detail10TensorInfoIKT_T0_EES8_S8_bjS8_NS5_IS6_S8_EES8_NS5_IlS8_EES8_jjPS6_PjSD_j.has_indirect_call, 0
	.section	.AMDGPU.csdata,"",@progbits
; Kernel info:
; codeLenInByte = 2640
; TotalNumSgprs: 49
; NumVgprs: 20
; ScratchSize: 0
; MemoryBound: 0
; FloatMode: 240
; IeeeMode: 1
; LDSByteSize: 1068 bytes/workgroup (compile time only)
; SGPRBlocks: 6
; VGPRBlocks: 4
; NumSGPRsForWavesPerEU: 49
; NumVGPRsForWavesPerEU: 20
; Occupancy: 10
; WaveLimiterHint : 1
; COMPUTE_PGM_RSRC2:SCRATCH_EN: 0
; COMPUTE_PGM_RSRC2:USER_SGPR: 6
; COMPUTE_PGM_RSRC2:TRAP_HANDLER: 0
; COMPUTE_PGM_RSRC2:TGID_X_EN: 1
; COMPUTE_PGM_RSRC2:TGID_Y_EN: 1
; COMPUTE_PGM_RSRC2:TGID_Z_EN: 1
; COMPUTE_PGM_RSRC2:TIDIG_COMP_CNT: 0
	.section	.text._ZN2at6native6sbtopk10gatherTopKIhjLin1ELb0EEEvNS_4cuda6detail10TensorInfoIKT_T0_EES8_S8_bS8_S8_NS5_IS6_S8_EES8_NS5_IlS8_EES8_PS6_,"axG",@progbits,_ZN2at6native6sbtopk10gatherTopKIhjLin1ELb0EEEvNS_4cuda6detail10TensorInfoIKT_T0_EES8_S8_bS8_S8_NS5_IS6_S8_EES8_NS5_IlS8_EES8_PS6_,comdat
	.protected	_ZN2at6native6sbtopk10gatherTopKIhjLin1ELb0EEEvNS_4cuda6detail10TensorInfoIKT_T0_EES8_S8_bS8_S8_NS5_IS6_S8_EES8_NS5_IlS8_EES8_PS6_ ; -- Begin function _ZN2at6native6sbtopk10gatherTopKIhjLin1ELb0EEEvNS_4cuda6detail10TensorInfoIKT_T0_EES8_S8_bS8_S8_NS5_IS6_S8_EES8_NS5_IlS8_EES8_PS6_
	.globl	_ZN2at6native6sbtopk10gatherTopKIhjLin1ELb0EEEvNS_4cuda6detail10TensorInfoIKT_T0_EES8_S8_bS8_S8_NS5_IS6_S8_EES8_NS5_IlS8_EES8_PS6_
	.p2align	8
	.type	_ZN2at6native6sbtopk10gatherTopKIhjLin1ELb0EEEvNS_4cuda6detail10TensorInfoIKT_T0_EES8_S8_bS8_S8_NS5_IS6_S8_EES8_NS5_IlS8_EES8_PS6_,@function
_ZN2at6native6sbtopk10gatherTopKIhjLin1ELb0EEEvNS_4cuda6detail10TensorInfoIKT_T0_EES8_S8_bS8_S8_NS5_IS6_S8_EES8_NS5_IlS8_EES8_PS6_: ; @_ZN2at6native6sbtopk10gatherTopKIhjLin1ELb0EEEvNS_4cuda6detail10TensorInfoIKT_T0_EES8_S8_bS8_S8_NS5_IS6_S8_EES8_NS5_IlS8_EES8_PS6_
; %bb.0:
	s_load_dwordx2 s[14:15], s[4:5], 0x2b8
	s_load_dwordx4 s[36:39], s[4:5], 0xd8
	s_mov_b64 s[18:19], s[4:5]
	s_add_u32 s12, s18, 0x2b8
	s_addc_u32 s13, s19, 0
	s_waitcnt lgkmcnt(0)
	s_mul_i32 s0, s15, s8
	s_add_i32 s0, s0, s7
	s_mul_i32 s0, s0, s14
	s_add_i32 s54, s0, s6
	s_cmp_ge_u32 s54, s39
	s_cbranch_scc1 .LBB13_421
; %bb.1:
	s_load_dword s2, s[18:19], 0xd0
	s_load_dword s33, s[18:19], 0xe8
	s_mov_b32 s1, 0
	s_mov_b32 s0, s54
	s_waitcnt lgkmcnt(0)
	s_cmp_lt_i32 s2, 2
	s_cbranch_scc1 .LBB13_4
; %bb.2:
	s_add_i32 s0, s2, -1
	s_add_i32 s4, s2, 1
	s_lshl_b64 s[2:3], s[0:1], 2
	s_add_u32 s0, s18, s2
	s_addc_u32 s3, s19, s3
	s_add_u32 s2, s0, 8
	s_addc_u32 s3, s3, 0
	s_mov_b32 s0, s54
.LBB13_3:                               ; =>This Inner Loop Header: Depth=1
	s_load_dword s5, s[2:3], 0x0
	s_load_dword s8, s[2:3], 0x64
	s_mov_b32 s7, s0
	s_waitcnt lgkmcnt(0)
	v_cvt_f32_u32_e32 v1, s5
	s_sub_i32 s0, 0, s5
	v_rcp_iflag_f32_e32 v1, v1
	v_mul_f32_e32 v1, 0x4f7ffffe, v1
	v_cvt_u32_f32_e32 v1, v1
	v_readfirstlane_b32 s9, v1
	s_mul_i32 s0, s0, s9
	s_mul_hi_u32 s0, s9, s0
	s_add_i32 s9, s9, s0
	s_mul_hi_u32 s0, s7, s9
	s_mul_i32 s9, s0, s5
	s_sub_i32 s9, s7, s9
	s_add_i32 s10, s0, 1
	s_sub_i32 s11, s9, s5
	s_cmp_ge_u32 s9, s5
	s_cselect_b32 s0, s10, s0
	s_cselect_b32 s9, s11, s9
	s_add_i32 s10, s0, 1
	s_cmp_ge_u32 s9, s5
	s_cselect_b32 s0, s10, s0
	s_mul_i32 s5, s0, s5
	s_sub_i32 s5, s7, s5
	s_mul_i32 s5, s8, s5
	s_add_i32 s4, s4, -1
	s_add_i32 s1, s5, s1
	s_add_u32 s2, s2, -4
	s_addc_u32 s3, s3, -1
	s_cmp_gt_u32 s4, 2
	s_cbranch_scc1 .LBB13_3
.LBB13_4:
	s_load_dword s5, s[18:19], 0x1c0
	s_add_u32 s2, s18, 0xf0
	s_addc_u32 s3, s19, 0
	s_mov_b32 s43, 0
	s_mov_b32 s55, s54
	s_waitcnt lgkmcnt(0)
	s_cmp_lt_i32 s5, 2
	s_cbranch_scc1 .LBB13_7
; %bb.5:
	s_add_i32 s42, s5, -1
	s_add_i32 s4, s5, 1
	s_lshl_b64 s[8:9], s[42:43], 2
	s_add_u32 s5, s2, s8
	s_addc_u32 s7, s3, s9
	s_add_u32 s8, s5, 8
	s_addc_u32 s9, s7, 0
	s_mov_b32 s55, s54
.LBB13_6:                               ; =>This Inner Loop Header: Depth=1
	s_load_dword s5, s[8:9], 0x0
	s_load_dword s10, s[8:9], 0x64
	s_mov_b32 s7, s55
	s_waitcnt lgkmcnt(0)
	v_cvt_f32_u32_e32 v1, s5
	s_sub_i32 s11, 0, s5
	v_rcp_iflag_f32_e32 v1, v1
	v_mul_f32_e32 v1, 0x4f7ffffe, v1
	v_cvt_u32_f32_e32 v1, v1
	v_readfirstlane_b32 s15, v1
	s_mul_i32 s11, s11, s15
	s_mul_hi_u32 s11, s15, s11
	s_add_i32 s15, s15, s11
	s_mul_hi_u32 s11, s55, s15
	s_mul_i32 s15, s11, s5
	s_sub_i32 s15, s55, s15
	s_add_i32 s16, s11, 1
	s_sub_i32 s17, s15, s5
	s_cmp_ge_u32 s15, s5
	s_cselect_b32 s11, s16, s11
	s_cselect_b32 s15, s17, s15
	s_add_i32 s16, s11, 1
	s_cmp_ge_u32 s15, s5
	s_cselect_b32 s55, s16, s11
	s_mul_i32 s5, s55, s5
	s_sub_i32 s5, s7, s5
	s_mul_i32 s5, s10, s5
	s_add_i32 s4, s4, -1
	s_add_i32 s43, s5, s43
	s_add_u32 s8, s8, -4
	s_addc_u32 s9, s9, -1
	s_cmp_gt_u32 s4, 2
	s_cbranch_scc1 .LBB13_6
.LBB13_7:
	s_load_dword s4, s[18:19], 0x6c
	s_load_dword s9, s[18:19], 0x2a0
	s_add_u32 s7, s18, 0x1d0
                                        ; implicit-def: $vgpr51 : SGPR spill to VGPR lane
	s_mov_b32 s45, 0
	v_writelane_b32 v51, s18, 0
	s_addc_u32 s8, s19, 0
	s_waitcnt lgkmcnt(0)
	s_cmp_lt_i32 s9, 2
	v_writelane_b32 v51, s19, 1
	s_cbranch_scc1 .LBB13_10
; %bb.8:
	s_add_i32 s44, s9, -1
	s_add_i32 s5, s9, 1
	s_lshl_b64 s[10:11], s[44:45], 2
	s_add_u32 s7, s7, s10
	s_addc_u32 s9, s8, s11
	s_add_u32 s8, s7, 8
	s_addc_u32 s9, s9, 0
.LBB13_9:                               ; =>This Inner Loop Header: Depth=1
	s_load_dword s7, s[8:9], 0x0
	s_load_dword s11, s[8:9], 0x64
	s_mov_b32 s10, s54
	s_waitcnt lgkmcnt(0)
	v_cvt_f32_u32_e32 v1, s7
	s_sub_i32 s15, 0, s7
	v_rcp_iflag_f32_e32 v1, v1
	v_mul_f32_e32 v1, 0x4f7ffffe, v1
	v_cvt_u32_f32_e32 v1, v1
	v_readfirstlane_b32 s16, v1
	s_mul_i32 s15, s15, s16
	s_mul_hi_u32 s15, s16, s15
	s_add_i32 s16, s16, s15
	s_mul_hi_u32 s15, s54, s16
	s_mul_i32 s16, s15, s7
	s_sub_i32 s16, s54, s16
	s_add_i32 s17, s15, 1
	s_sub_i32 s18, s16, s7
	s_cmp_ge_u32 s16, s7
	s_cselect_b32 s15, s17, s15
	s_cselect_b32 s16, s18, s16
	s_add_i32 s17, s15, 1
	s_cmp_ge_u32 s16, s7
	s_cselect_b32 s54, s17, s15
	s_mul_i32 s7, s54, s7
	s_sub_i32 s7, s10, s7
	s_mul_i32 s7, s11, s7
	s_add_i32 s5, s5, -1
	s_add_i32 s45, s7, s45
	s_add_u32 s8, s8, -4
	s_addc_u32 s9, s9, -1
	s_cmp_gt_u32 s5, 2
	s_cbranch_scc1 .LBB13_9
.LBB13_10:
	s_load_dword s2, s[2:3], 0x6c
	s_mov_b32 s20, 0
	s_waitcnt lgkmcnt(0)
	v_writelane_b32 v51, s2, 2
	v_readlane_b32 s8, v51, 0
	v_readlane_b32 s9, v51, 1
	s_load_dwordx2 s[2:3], s[8:9], 0x0
	s_load_dwordx2 s[10:11], s[8:9], 0xf0
	s_waitcnt lgkmcnt(0)
	v_writelane_b32 v51, s10, 3
	s_load_dwordx2 s[8:9], s[8:9], 0x1d0
	v_writelane_b32 v51, s11, 4
	v_cmp_eq_u32_e64 s[10:11], 0, v0
	s_waitcnt lgkmcnt(0)
	v_writelane_b32 v51, s8, 5
	v_writelane_b32 v51, s9, 6
	s_mov_b64 s[8:9], exec
	v_writelane_b32 v51, s10, 7
	v_writelane_b32 v51, s11, 8
	s_and_b64 s[10:11], s[8:9], s[10:11]
	s_mov_b64 exec, s[10:11]
; %bb.11:
	v_mov_b32_e32 v1, 0
	v_mov_b32_e32 v2, s36
	;; [unrolled: 1-line block ×3, first 2 shown]
	ds_write_b96 v1, v[1:3] offset:4096
; %bb.12:
	s_or_b64 exec, exec, s[8:9]
	s_mul_i32 s0, s4, s0
	s_add_i32 s0, s0, s1
	s_add_u32 s40, s2, s0
	s_addc_u32 s41, s3, 0
	s_waitcnt lgkmcnt(0)
	s_barrier
	s_load_dword s0, s[12:13], 0xc
	s_bitcmp1_b32 s38, 0
	s_cselect_b64 s[2:3], -1, 0
	v_writelane_b32 v51, s2, 9
	v_writelane_b32 v51, s3, 10
	s_xor_b64 s[2:3], s[2:3], -1
	v_mbcnt_lo_u32_b32 v1, -1, 0
	v_writelane_b32 v51, s2, 11
	v_mbcnt_hi_u32_b32 v21, -1, v1
	v_writelane_b32 v51, s3, 12
	s_waitcnt lgkmcnt(0)
	s_and_b32 s42, s0, 0xffff
	v_cmp_gt_u32_e32 vcc, 64, v0
	v_cmp_gt_i32_e64 s[2:3], 4, v21
	s_lshl_b32 s21, s42, 2
	s_bfe_u32 s4, s0, 0xa0006
	s_and_b64 s[2:3], vcc, s[2:3]
	v_writelane_b32 v51, s2, 13
	s_cmpk_gt_u32 s36, 0xc00
	v_writelane_b32 v51, s3, 14
	s_cselect_b64 s[2:3], -1, 0
	v_writelane_b32 v51, s2, 15
	v_writelane_b32 v51, s3, 16
	v_cmp_gt_u32_e64 s[2:3], s36, v0
	v_writelane_b32 v51, s2, 17
	s_cmp_gt_u32 s42, 63
	v_writelane_b32 v51, s3, 18
	s_cselect_b64 s[2:3], -1, 0
	v_writelane_b32 v51, s2, 19
	v_writelane_b32 v51, s3, 20
	v_cmp_gt_u32_e64 s[2:3], 2, v0
	v_writelane_b32 v51, s2, 21
	v_writelane_b32 v51, s3, 22
	s_add_i32 s2, s42, -1
	v_lshlrev_b64 v[2:3], v21, -1
	v_writelane_b32 v51, s2, 23
	s_add_i32 s2, s2, s36
	v_not_b32_e32 v19, v2
	v_lshrrev_b32_e32 v2, 2, v0
	s_cmp_lt_u32 s6, s14
	v_and_b32_e32 v2, 0xf0, v2
	s_cselect_b32 s3, 12, 18
	v_or_b32_e32 v24, 0xc00, v2
	s_add_u32 s6, s12, s3
	v_add_u32_e32 v2, 2, v0
	s_addc_u32 s7, s13, 0
	v_max_u32_e32 v2, s36, v2
	v_writelane_b32 v51, s6, 24
	v_xad_u32 v2, v0, -1, v2
	v_writelane_b32 v51, s7, 25
	v_cmp_lt_u32_e64 s[6:7], 31, v2
	v_writelane_b32 v51, s6, 26
	v_writelane_b32 v51, s7, 27
	v_not_b32_e32 v18, v3
	v_add_u32_e32 v3, -4, v2
	v_writelane_b32 v51, s33, 28
	v_lshrrev_b32_e32 v4, 2, v3
	v_writelane_b32 v51, s33, 29
	v_add_u32_e32 v4, 1, v4
	v_writelane_b32 v51, s33, 30
	v_cmp_lt_u32_e64 s[6:7], 11, v3
	v_and_b32_e32 v5, 3, v4
	v_writelane_b32 v51, s6, 31
	v_writelane_b32 v51, s7, 32
	v_cmp_ne_u32_e64 s[6:7], 0, v5
	v_and_b32_e32 v25, -4, v2
	v_writelane_b32 v51, s6, 33
	v_writelane_b32 v51, s7, 34
	v_cmp_ne_u32_e64 s[6:7], v2, v25
	v_cvt_f32_u32_e32 v2, s21
	s_add_i32 s3, s4, -1
	s_bfe_u32 s5, s42, 0x30006
	s_and_b32 s3, s3, 0xffff
	v_rcp_iflag_f32_e32 v2, v2
	v_writelane_b32 v51, s6, 35
	s_cmp_gt_u32 s3, 6
	v_writelane_b32 v51, s7, 36
	s_cselect_b64 s[6:7], -1, 0
	v_mul_f32_e32 v2, 0x4f7ffffe, v2
	v_writelane_b32 v51, s6, 37
	s_and_b32 s61, s4, 0x3f8
	v_cvt_u32_f32_e32 v2, v2
	v_writelane_b32 v51, s7, 38
	s_cmp_lg_u32 s5, 0
	v_writelane_b32 v51, s5, 39
	s_cselect_b64 s[4:5], -1, 0
	v_writelane_b32 v51, s4, 40
	v_writelane_b32 v51, s5, 41
	s_sub_i32 s3, 0, s21
	v_readfirstlane_b32 s4, v2
	s_mul_i32 s3, s3, s4
	s_mul_hi_u32 s3, s4, s3
	s_add_i32 s3, s4, s3
	v_writelane_b32 v51, s3, 42
	s_mul_hi_u32 s3, s36, s3
	s_mul_i32 s3, s3, s21
	v_cvt_f32_u32_e32 v2, s42
	s_sub_i32 s3, s36, s3
	s_sub_i32 s4, s3, s21
	s_cmp_ge_u32 s3, s21
	s_cselect_b32 s3, s4, s3
	v_rcp_iflag_f32_e32 v2, v2
	s_sub_i32 s4, s3, s21
	s_cmp_ge_u32 s3, s21
	s_cselect_b32 s3, s4, s3
	v_lshlrev_b32_e32 v20, 2, v0
	s_sub_i32 s11, s36, s3
	v_mul_f32_e32 v2, 0x4f7ffffe, v2
	v_cmp_gt_u32_e64 s[4:5], s11, v20
	v_cvt_u32_f32_e32 v2, v2
	v_writelane_b32 v51, s4, 43
	v_add_u32_e32 v28, s11, v0
	v_writelane_b32 v51, s5, 44
	v_cmp_gt_u32_e64 s[4:5], s36, v28
	v_writelane_b32 v51, s4, 45
	v_writelane_b32 v51, s5, 46
	s_sub_i32 s4, 0, s42
	v_readfirstlane_b32 s5, v2
	s_mul_i32 s4, s4, s5
	s_mul_hi_u32 s4, s5, s4
	s_add_i32 s4, s5, s4
	v_writelane_b32 v51, s4, 47
	s_mul_hi_u32 s4, s2, s4
	s_mul_i32 s4, s4, s42
	s_sub_i32 s4, s2, s4
	s_sub_i32 s5, s4, s42
	s_cmp_ge_u32 s4, s42
	v_mul_lo_u32 v2, s33, v20
	s_cselect_b32 s4, s5, s4
	s_sub_i32 s5, s4, s42
	s_cmp_ge_u32 s4, s42
	v_mul_lo_u32 v22, s33, v0
	s_cselect_b32 s4, s5, s4
	v_add_u32_e32 v31, s33, v2
	v_or_b32_e32 v2, 2, v20
	s_sub_i32 s4, s2, s4
	v_mul_lo_u32 v32, s33, v2
	v_or_b32_e32 v2, 3, v20
	s_add_i32 s2, s42, s36
	v_mul_lo_u32 v3, v28, s33
	v_mul_lo_u32 v33, s33, v2
	v_add_u32_e32 v2, s2, v0
	v_subrev_u32_e32 v2, s3, v2
	v_mov_b32_e32 v1, s41
	v_add_co_u32_e32 v13, vcc, s40, v22
	v_mul_lo_u32 v35, s33, v2
	v_addc_co_u32_e32 v14, vcc, 0, v1, vcc
	v_lshlrev_b32_e32 v1, 2, v21
	v_and_b32_e32 v27, 0x7ffffffc, v4
	v_mov_b32_e32 v4, s41
	v_add_co_u32_e32 v15, vcc, s40, v3
	v_cmp_gt_u32_e64 s[6:7], s4, v0
	s_mul_i32 s44, s33, s42
	v_cmp_eq_u32_e64 s[0:1], 0, v21
	v_mov_b32_e32 v23, 0
	v_and_b32_e32 v17, 0x100, v1
	v_add_u32_e32 v26, v0, v25
	s_mov_b32 s10, 6
	v_addc_co_u32_e32 v16, vcc, 0, v4, vcc
	v_writelane_b32 v51, s6, 48
	v_lshlrev_b32_e32 v29, 2, v5
	s_lshl_b32 s5, s44, 2
	v_lshlrev_b32_e32 v34, 2, v22
	v_or_b32_e32 v36, 0xc00, v1
	s_mov_b64 s[62:63], 0
	v_mov_b32_e32 v40, s37
	s_mov_b32 s22, 0xc0c0004
	v_mov_b32_e32 v37, 8
	v_mov_b32_e32 v39, 0
	;; [unrolled: 1-line block ×4, first 2 shown]
	v_writelane_b32 v51, s7, 49
                                        ; implicit-def: $sgpr64_sgpr65
                                        ; implicit-def: $sgpr66_sgpr67
                                        ; implicit-def: $sgpr70_sgpr71
                                        ; implicit-def: $sgpr72_sgpr73
                                        ; implicit-def: $sgpr68_sgpr69
                                        ; implicit-def: $sgpr74_sgpr75
                                        ; implicit-def: $sgpr76_sgpr77
                                        ; implicit-def: $sgpr78_sgpr79
                                        ; implicit-def: $sgpr80_sgpr81
                                        ; implicit-def: $sgpr82_sgpr83
	s_branch .LBB13_15
.LBB13_13:                              ;   in Loop: Header=BB13_15 Depth=1
	s_or_b64 exec, exec, s[12:13]
	s_andn2_b64 s[12:13], s[82:83], exec
	s_and_b64 s[8:9], s[8:9], exec
	s_or_b64 s[82:83], s[12:13], s[8:9]
	s_andn2_b64 s[80:81], s[80:81], exec
	s_andn2_b64 s[78:79], s[78:79], exec
	;; [unrolled: 1-line block ×4, first 2 shown]
	s_orn2_b64 s[6:7], s[6:7], exec
	v_mov_b32_e32 v40, v4
.LBB13_14:                              ;   in Loop: Header=BB13_15 Depth=1
	s_or_b64 exec, exec, s[2:3]
	s_and_b64 s[2:3], exec, s[6:7]
	s_or_b64 s[62:63], s[2:3], s[62:63]
	s_andn2_b64 s[2:3], s[68:69], exec
	s_and_b64 s[6:7], s[82:83], exec
	s_or_b64 s[68:69], s[2:3], s[6:7]
	s_andn2_b64 s[2:3], s[72:73], exec
	s_and_b64 s[6:7], s[80:81], exec
	;; [unrolled: 3-line block ×5, first 2 shown]
	s_or_b64 s[64:65], s[2:3], s[6:7]
	s_andn2_b64 exec, exec, s[62:63]
	s_cbranch_execz .LBB13_417
.LBB13_15:                              ; =>This Loop Header: Depth=1
                                        ;     Child Loop BB13_20 Depth 2
                                        ;     Child Loop BB13_41 Depth 2
	;; [unrolled: 1-line block ×26, first 2 shown]
	ds_read_b64 v[1:2], v23 offset:4096
	s_waitcnt lgkmcnt(0)
	v_readfirstlane_b32 s14, v1
	s_cmp_lg_u32 s14, 0
	s_cbranch_scc1 .LBB13_60
; %bb.16:                               ;   in Loop: Header=BB13_15 Depth=1
	v_readlane_b32 s2, v51, 15
	v_readlane_b32 s3, v51, 16
	s_and_b64 vcc, exec, s[2:3]
	s_cbranch_vccz .LBB13_28
; %bb.17:                               ;   in Loop: Header=BB13_15 Depth=1
	s_movk_i32 s6, 0xc01
	v_cmp_gt_u32_e32 vcc, s6, v2
	s_mov_b64 s[2:3], 0
	s_mov_b64 s[6:7], 0
	s_cbranch_vccz .LBB13_29
; %bb.18:                               ;   in Loop: Header=BB13_15 Depth=1
	v_readlane_b32 s6, v51, 24
	v_readlane_b32 s7, v51, 25
	s_nop 4
	global_load_ushort v1, v23, s[6:7]
	global_load_ubyte v4, v[13:14], off
	s_mov_b64 s[12:13], 0
	v_mov_b32_e32 v5, v0
	s_waitcnt vmcnt(1)
	v_add_u32_e32 v2, v0, v1
	v_mul_lo_u32 v2, s33, v2
	v_mul_lo_u32 v3, s33, v1
	s_branch .LBB13_20
.LBB13_19:                              ;   in Loop: Header=BB13_20 Depth=2
	s_or_b64 exec, exec, s[6:7]
	v_add_u32_e32 v2, v2, v3
	v_mov_b32_e32 v4, v6
	s_andn2_b64 exec, exec, s[12:13]
	s_cbranch_execz .LBB13_35
.LBB13_20:                              ;   Parent Loop BB13_15 Depth=1
                                        ; =>  This Inner Loop Header: Depth=2
	v_add_u32_e32 v5, v5, v1
	v_cmp_gt_u32_e64 s[6:7], s36, v5
	v_cmp_le_u32_e32 vcc, s36, v5
	s_waitcnt lgkmcnt(0)
	v_mov_b32_e32 v7, 0
	v_mov_b32_e32 v6, 0
	s_and_saveexec_b64 s[8:9], s[6:7]
	s_cbranch_execz .LBB13_22
; %bb.21:                               ;   in Loop: Header=BB13_20 Depth=2
	global_load_ubyte v6, v2, s[40:41]
.LBB13_22:                              ;   in Loop: Header=BB13_20 Depth=2
	s_or_b64 exec, exec, s[8:9]
	s_waitcnt vmcnt(0)
	v_and_b32_e32 v8, v4, v38
	v_cmp_eq_u32_sdwa s[8:9], v8, v30 src0_sel:BYTE_0 src1_sel:DWORD
	s_cmp_lg_u64 s[8:9], 0
	s_cselect_b64 s[6:7], -1, 0
	s_and_b64 s[6:7], s[0:1], s[6:7]
	s_and_saveexec_b64 s[14:15], s[6:7]
	s_cbranch_execz .LBB13_26
; %bb.23:                               ;   in Loop: Header=BB13_20 Depth=2
	s_mov_b64 s[18:19], exec
	v_mbcnt_lo_u32_b32 v7, s18, 0
	v_mbcnt_hi_u32_b32 v7, s19, v7
	s_bcnt1_i32_b64 s23, s[8:9]
	v_cmp_eq_u32_e64 s[6:7], 0, v7
                                        ; implicit-def: $vgpr8
	s_and_saveexec_b64 s[16:17], s[6:7]
; %bb.24:                               ;   in Loop: Header=BB13_20 Depth=2
	s_bcnt1_i32_b64 s6, s[18:19]
	s_mul_i32 s6, s23, s6
	v_mov_b32_e32 v8, s6
	ds_add_rtn_u32 v8, v23, v8 offset:4104
; %bb.25:                               ;   in Loop: Header=BB13_20 Depth=2
	s_or_b64 exec, exec, s[16:17]
	s_waitcnt lgkmcnt(0)
	v_readfirstlane_b32 s6, v8
	v_mov_b32_e32 v8, s6
	v_mad_u32_u24 v7, s23, v7, v8
.LBB13_26:                              ;   in Loop: Header=BB13_20 Depth=2
	s_or_b64 exec, exec, s[14:15]
	ds_bpermute_b32 v7, v17, v7
	s_and_b64 s[6:7], exec, vcc
	s_or_b64 s[12:13], s[6:7], s[12:13]
	s_and_saveexec_b64 s[6:7], s[8:9]
	s_cbranch_execz .LBB13_19
; %bb.27:                               ;   in Loop: Header=BB13_20 Depth=2
	v_and_b32_e32 v9, s8, v19
	v_and_b32_e32 v8, s9, v18
	v_bcnt_u32_b32 v9, v9, 0
	v_bcnt_u32_b32 v8, v8, v9
	s_waitcnt lgkmcnt(0)
	v_add_u32_e32 v7, v7, v8
	ds_write_b8 v7, v4
	s_branch .LBB13_19
.LBB13_28:                              ;   in Loop: Header=BB13_15 Depth=1
	s_mov_b64 s[2:3], -1
	s_mov_b64 s[6:7], 0
.LBB13_29:                              ;   in Loop: Header=BB13_15 Depth=1
	s_and_b64 vcc, exec, s[2:3]
	s_cbranch_vccz .LBB13_58
.LBB13_30:                              ;   in Loop: Header=BB13_15 Depth=1
	s_mov_b64 s[26:27], exec
	v_readlane_b32 s2, v51, 17
	v_readlane_b32 s3, v51, 18
	s_and_b64 s[2:3], s[26:27], s[2:3]
	s_mov_b64 exec, s[2:3]
	s_cbranch_execz .LBB13_55
; %bb.31:                               ;   in Loop: Header=BB13_15 Depth=1
	v_readlane_b32 s2, v51, 24
	v_readlane_b32 s3, v51, 25
	s_nop 4
	global_load_ushort v1, v23, s[2:3]
	global_load_ubyte v42, v[13:14], off
	v_mov_b32_e32 v2, v0
	s_waitcnt vmcnt(1)
	v_readfirstlane_b32 s8, v1
	v_add_u32_e32 v1, v0, v1
	v_cmp_gt_u32_e32 vcc, s36, v1
	s_and_saveexec_b64 s[30:31], vcc
	s_cbranch_execz .LBB13_54
; %bb.32:                               ;   in Loop: Header=BB13_15 Depth=1
	s_mov_b64 s[6:7], 0
	s_mul_i32 s9, s33, s8
                                        ; implicit-def: $vgpr2
                                        ; implicit-def: $vgpr5
                                        ; implicit-def: $vgpr4
                                        ; implicit-def: $vgpr3
	s_mov_b64 s[2:3], exec
	v_readlane_b32 s12, v51, 26
	v_readlane_b32 s13, v51, 27
	s_and_b64 s[12:13], s[2:3], s[12:13]
	s_xor_b64 s[34:35], s[12:13], s[2:3]
	s_mov_b64 exec, s[12:13]
	s_cbranch_execnz .LBB13_38
; %bb.33:                               ;   in Loop: Header=BB13_15 Depth=1
	s_andn2_saveexec_b64 s[2:3], s[34:35]
	s_cbranch_execnz .LBB13_49
.LBB13_34:                              ;   in Loop: Header=BB13_15 Depth=1
	s_or_b64 exec, exec, s[2:3]
	s_and_saveexec_b64 s[2:3], s[6:7]
	s_cbranch_execnz .LBB13_50
	s_branch .LBB13_53
.LBB13_35:                              ;   in Loop: Header=BB13_15 Depth=1
	s_or_b64 exec, exec, s[12:13]
	s_waitcnt lgkmcnt(0)
	s_barrier
	s_mov_b64 s[6:7], exec
	v_readlane_b32 s8, v51, 7
	v_readlane_b32 s9, v51, 8
	s_and_b64 s[8:9], s[6:7], s[8:9]
	s_mov_b64 exec, s[8:9]
	s_cbranch_execz .LBB13_37
; %bb.36:                               ;   in Loop: Header=BB13_15 Depth=1
	ds_read_b32 v1, v23 offset:4104
	s_waitcnt lgkmcnt(0)
	ds_write_b32 v23, v1 offset:4096
.LBB13_37:                              ;   in Loop: Header=BB13_15 Depth=1
	s_or_b64 exec, exec, s[6:7]
	s_waitcnt lgkmcnt(0)
	s_barrier
	s_mov_b64 s[6:7], -1
	s_and_b64 vcc, exec, s[2:3]
	s_cbranch_vccnz .LBB13_30
	s_branch .LBB13_58
.LBB13_38:                              ;   in Loop: Header=BB13_15 Depth=1
	v_cvt_f32_u32_e32 v2, s8
	s_sub_i32 s3, 0, s8
	v_add_u32_e32 v3, s8, v1
	v_max_u32_e32 v3, s36, v3
	v_rcp_iflag_f32_e32 v2, v2
	s_lshl_b32 s2, s8, 1
	v_sub_u32_e32 v3, v3, v0
	v_cmp_ne_u32_e32 vcc, s2, v3
	v_mul_f32_e32 v2, 0x4f7ffffe, v2
	v_cvt_u32_f32_e32 v2, v2
	v_cndmask_b32_e64 v6, 0, 1, vcc
	v_or_b32_e32 v6, s2, v6
	v_sub_u32_e32 v3, v3, v6
	v_mul_lo_u32 v4, s3, v2
	s_not_b32 s6, s9
	s_ashr_i32 s14, s6, 31
	s_abs_i32 s12, s9
	v_mul_hi_u32 v4, v2, v4
	v_mul_lo_u32 v5, s33, v1
	s_cmp_eq_u32 s8, 1
	s_mov_b64 s[2:3], -1
	v_add_u32_e32 v2, v2, v4
	v_mul_hi_u32 v4, v3, v2
	v_xor_b32_e32 v5, s14, v5
                                        ; implicit-def: $vgpr2
	v_mul_lo_u32 v6, v4, s8
	v_add_u32_e32 v7, 1, v4
	v_sub_u32_e32 v3, v3, v6
	v_subrev_u32_e32 v6, s8, v3
	v_cmp_le_u32_e64 s[6:7], s8, v3
	v_cndmask_b32_e64 v4, v4, v7, s[6:7]
	v_cndmask_b32_e64 v3, v3, v6, s[6:7]
	v_add_u32_e32 v6, 1, v4
	v_cmp_le_u32_e64 s[6:7], s8, v3
	v_cndmask_b32_e64 v3, v4, v6, s[6:7]
	v_addc_co_u32_e32 v3, vcc, 0, v3, vcc
	v_mul_hi_u32 v4, s12, v3
	v_mul_lo_u32 v3, s12, v3
	s_cselect_b64 s[12:13], -1, 0
	v_cmp_eq_u32_e32 vcc, 0, v4
	v_cmp_le_u32_e64 s[6:7], v3, v5
	s_and_b64 s[12:13], vcc, s[12:13]
	s_and_b64 s[12:13], s[12:13], s[6:7]
	v_mov_b32_e32 v4, v0
	s_and_saveexec_b64 s[6:7], s[12:13]
	s_cbranch_execz .LBB13_48
; %bb.39:                               ;   in Loop: Header=BB13_15 Depth=1
	v_add_u32_e32 v4, 3, v1
	v_add_u32_e32 v3, 2, v1
	;; [unrolled: 1-line block ×3, first 2 shown]
	v_mov_b32_e32 v8, v4
	s_waitcnt vmcnt(0)
	v_lshlrev_b32_e32 v43, 24, v42
	v_mov_b32_e32 v9, 0
	v_mov_b32_e32 v7, v3
	;; [unrolled: 1-line block ×4, first 2 shown]
                                        ; implicit-def: $vgpr42
	s_mov_b64 s[14:15], exec
	v_readlane_b32 s2, v51, 31
	v_readlane_b32 s3, v51, 32
	s_and_b64 s[2:3], s[14:15], s[2:3]
	s_mov_b64 exec, s[2:3]
	s_cbranch_execz .LBB13_43
; %bb.40:                               ;   in Loop: Header=BB13_15 Depth=1
	v_mov_b32_e32 v8, v4
	s_mov_b32 s2, 0
	s_mov_b64 s[46:47], 0
	v_mov_b32_e32 v41, v27
	v_mov_b32_e32 v7, v3
	;; [unrolled: 1-line block ×4, first 2 shown]
	v_readlane_b32 s3, v51, 28
	v_readlane_b32 s12, v51, 29
	;; [unrolled: 1-line block ×3, first 2 shown]
	s_mov_b32 s16, 0xc0c0007
.LBB13_41:                              ;   Parent Loop BB13_15 Depth=1
                                        ; =>  This Inner Loop Header: Depth=2
	v_mul_lo_u32 v2, v5, s33
	v_mul_lo_u32 v9, v6, s3
	;; [unrolled: 1-line block ×3, first 2 shown]
	v_mov_b32_e32 v12, s41
	v_add_co_u32_e32 v2, vcc, s40, v2
	v_addc_co_u32_e32 v3, vcc, 0, v12, vcc
	v_mul_lo_u32 v4, v8, s13
	v_add_co_u32_e32 v9, vcc, s40, v9
	v_addc_co_u32_e32 v10, vcc, 0, v12, vcc
	v_add_co_u32_e32 v44, vcc, s40, v11
	v_addc_co_u32_e32 v45, vcc, 0, v12, vcc
	v_add_co_u32_e32 v46, vcc, s40, v4
	global_load_ubyte v4, v[44:45], off
	s_nop 0
	global_load_ubyte v9, v[9:10], off
	v_add_u32_e32 v10, 4, v7
	global_load_ubyte v2, v[2:3], off
	v_add_u32_e32 v3, 4, v6
	v_mul_lo_u32 v42, v10, s12
	v_mul_lo_u32 v10, v3, s3
	v_addc_co_u32_e32 v47, vcc, 0, v12, vcc
	v_add_u32_e32 v11, 4, v8
	v_mul_lo_u32 v44, v11, s13
	v_add_u32_e32 v41, -4, v41
	s_waitcnt vmcnt(1)
	v_perm_b32 v4, v9, v4, s22
	s_waitcnt vmcnt(0)
	v_perm_b32 v2, v43, v2, s16
	v_lshl_or_b32 v9, v4, 16, v2
	v_add_u32_e32 v2, 4, v5
	v_mul_lo_u32 v2, v2, s33
	v_add_u32_e32 v4, s2, v0
	s_add_i32 s2, s2, 16
	v_add_co_u32_e32 v2, vcc, s40, v2
	v_addc_co_u32_e32 v3, vcc, 0, v12, vcc
	v_add_co_u32_e32 v10, vcc, s40, v10
	v_addc_co_u32_e32 v11, vcc, 0, v12, vcc
	;; [unrolled: 2-line block ×3, first 2 shown]
	global_load_ubyte v46, v[46:47], off
	s_nop 0
	global_load_ubyte v2, v[2:3], off
	s_nop 0
	;; [unrolled: 2-line block ×3, first 2 shown]
	global_load_ubyte v10, v[10:11], off
	v_add_co_u32_e32 v44, vcc, s40, v44
	v_addc_co_u32_e32 v45, vcc, 0, v12, vcc
	v_add_u32_e32 v11, 8, v7
	v_add_u32_e32 v42, 8, v8
	v_mul_lo_u32 v50, v42, s13
	v_mul_lo_u32 v11, v11, s12
	s_waitcnt vmcnt(2)
	v_perm_b32 v2, v46, v2, s22
	s_waitcnt vmcnt(0)
	v_perm_b32 v3, v10, v3, s22
	v_lshl_or_b32 v10, v3, 16, v2
	v_add_u32_e32 v2, 8, v5
	v_mul_lo_u32 v2, v2, s33
	v_add_u32_e32 v3, 8, v6
	v_mul_lo_u32 v3, v3, s3
	v_add_co_u32_e32 v42, vcc, s40, v2
	v_addc_co_u32_e32 v43, vcc, 0, v12, vcc
	v_add_co_u32_e32 v46, vcc, s40, v3
	v_addc_co_u32_e32 v47, vcc, 0, v12, vcc
	v_add_co_u32_e32 v48, vcc, s40, v11
	global_load_ubyte v11, v[42:43], off
	s_nop 0
	global_load_ubyte v42, v[44:45], off
	v_addc_co_u32_e32 v49, vcc, 0, v12, vcc
	v_add_u32_e32 v45, 12, v8
	v_add_co_u32_e32 v2, vcc, s40, v50
	v_addc_co_u32_e32 v3, vcc, 0, v12, vcc
	v_add_u32_e32 v44, 12, v7
	v_add_u32_e32 v8, 16, v8
	v_add_u32_e32 v7, 16, v7
	s_waitcnt vmcnt(0)
	v_perm_b32 v11, v42, v11, s22
	global_load_ubyte v42, v[48:49], off
	global_load_ubyte v43, v[46:47], off
	v_mul_lo_u32 v49, v45, s13
	v_mul_lo_u32 v47, v44, s12
	s_waitcnt vmcnt(0)
	v_perm_b32 v42, v43, v42, s22
	v_lshl_or_b32 v11, v42, 16, v11
	v_add_u32_e32 v42, 12, v5
	v_mul_lo_u32 v42, v42, s33
	v_add_u32_e32 v43, 12, v6
	v_mul_lo_u32 v45, v43, s3
	v_add_u32_e32 v6, 16, v6
	v_add_co_u32_e32 v43, vcc, s40, v42
	v_addc_co_u32_e32 v44, vcc, 0, v12, vcc
	v_add_co_u32_e32 v45, vcc, s40, v45
	v_addc_co_u32_e32 v46, vcc, 0, v12, vcc
	;; [unrolled: 2-line block ×4, first 2 shown]
	global_load_ubyte v42, v[49:50], off
	global_load_ubyte v12, v[45:46], off
	s_nop 0
	global_load_ubyte v44, v[43:44], off
	v_cmp_eq_u32_e32 vcc, 0, v41
	global_load_ubyte v45, v[47:48], off
	v_add_u32_e32 v5, 16, v5
	global_load_ubyte v2, v[2:3], off
	s_or_b64 s[46:47], vcc, s[46:47]
	s_waitcnt vmcnt(2)
	v_perm_b32 v43, v44, v12, s22
	s_waitcnt vmcnt(1)
	v_perm_b32 v3, v12, v45, s22
	v_perm_b32 v46, v45, v42, s22
	s_waitcnt vmcnt(0)
	v_perm_b32 v2, v2, v44, s22
	v_lshl_or_b32 v12, v3, 16, v2
	v_lshl_or_b32 v43, v46, 16, v43
	ds_write_b128 v4, v[9:12]
	v_mov_b32_e32 v9, s2
	s_andn2_b64 exec, exec, s[46:47]
	s_cbranch_execnz .LBB13_41
; %bb.42:                               ;   in Loop: Header=BB13_15 Depth=1
	s_or_b64 exec, exec, s[46:47]
.LBB13_43:                              ;   in Loop: Header=BB13_15 Depth=1
	s_or_b64 exec, exec, s[14:15]
	s_mov_b64 s[2:3], exec
	v_readlane_b32 s12, v51, 33
	v_readlane_b32 s13, v51, 34
	s_and_b64 s[12:13], s[2:3], s[12:13]
	s_mov_b64 exec, s[12:13]
	s_cbranch_execz .LBB13_47
; %bb.44:                               ;   in Loop: Header=BB13_15 Depth=1
	v_add_u32_e32 v2, v0, v9
	s_mov_b64 s[12:13], 0
	v_mov_b32_e32 v3, v29
	v_readlane_b32 s14, v51, 28
	v_readlane_b32 s15, v51, 29
	;; [unrolled: 1-line block ×3, first 2 shown]
	s_mov_b32 s17, 0xc0c0007
.LBB13_45:                              ;   Parent Loop BB13_15 Depth=1
                                        ; =>  This Inner Loop Header: Depth=2
	v_mul_lo_u32 v9, v5, s33
	v_mul_lo_u32 v11, v6, s14
	v_mul_lo_u32 v41, v7, s15
	v_mov_b32_e32 v45, s41
	v_add_co_u32_e32 v9, vcc, s40, v9
	v_addc_co_u32_e32 v10, vcc, 0, v45, vcc
	v_mul_lo_u32 v4, v8, s16
	v_add_co_u32_e32 v11, vcc, s40, v11
	v_addc_co_u32_e32 v12, vcc, 0, v45, vcc
	v_add_co_u32_e32 v41, vcc, s40, v41
	v_addc_co_u32_e32 v42, vcc, 0, v45, vcc
	;; [unrolled: 2-line block ×3, first 2 shown]
	global_load_ubyte v4, v[11:12], off
	s_nop 0
	global_load_ubyte v11, v[41:42], off
	s_nop 0
	;; [unrolled: 2-line block ×3, first 2 shown]
	global_load_ubyte v9, v[9:10], off
	v_add_u32_e32 v3, -4, v3
	v_cmp_eq_u32_e32 vcc, 0, v3
	v_add_u32_e32 v8, 4, v8
	v_add_u32_e32 v7, 4, v7
	;; [unrolled: 1-line block ×4, first 2 shown]
	s_or_b64 s[12:13], vcc, s[12:13]
	s_waitcnt vmcnt(1)
	v_perm_b32 v12, v11, v42, s22
	s_waitcnt vmcnt(0)
	v_perm_b32 v10, v9, v4, s22
	v_perm_b32 v4, v4, v11, s22
	;; [unrolled: 1-line block ×3, first 2 shown]
	v_lshl_or_b32 v4, v4, 16, v9
	v_lshl_or_b32 v43, v12, 16, v10
	ds_write_b32 v2, v4
	v_add_u32_e32 v2, 4, v2
	s_andn2_b64 exec, exec, s[12:13]
	s_cbranch_execnz .LBB13_45
; %bb.46:                               ;   in Loop: Header=BB13_15 Depth=1
	s_or_b64 exec, exec, s[12:13]
.LBB13_47:                              ;   in Loop: Header=BB13_15 Depth=1
	s_or_b64 exec, exec, s[2:3]
	v_readlane_b32 s2, v51, 35
	v_add_u32_e32 v1, v1, v25
	v_readlane_b32 s3, v51, 36
	v_add_u32_e32 v2, -1, v1
	s_orn2_b64 s[2:3], s[2:3], exec
	v_mov_b32_e32 v4, v26
.LBB13_48:                              ;   in Loop: Header=BB13_15 Depth=1
	s_or_b64 exec, exec, s[6:7]
	v_mov_b32_e32 v3, s9
	s_and_b64 s[6:7], s[2:3], exec
	s_waitcnt vmcnt(0)
	v_mov_b32_e32 v5, v42
	s_andn2_saveexec_b64 s[2:3], s[34:35]
	s_cbranch_execz .LBB13_34
.LBB13_49:                              ;   in Loop: Header=BB13_15 Depth=1
	v_mov_b32_e32 v3, s9
	s_or_b64 s[6:7], s[6:7], exec
	s_waitcnt vmcnt(0)
	v_mov_b32_e32 v5, v42
	v_mov_b32_e32 v4, v0
	s_or_b64 exec, exec, s[2:3]
	s_and_saveexec_b64 s[2:3], s[6:7]
	s_cbranch_execz .LBB13_53
.LBB13_50:                              ;   in Loop: Header=BB13_15 Depth=1
	v_mul_lo_u32 v2, s33, v1
	s_sub_i32 s9, 0, s8
	s_mov_b64 s[6:7], 0
.LBB13_51:                              ;   Parent Loop BB13_15 Depth=1
                                        ; =>  This Inner Loop Header: Depth=2
	global_load_ubyte v42, v2, s[40:41]
	v_mov_b32_e32 v6, v1
	v_add_u32_e32 v1, s8, v6
	v_cmp_le_u32_e32 vcc, s36, v1
	ds_write_b8 v4, v5
	v_add_u32_e32 v2, v2, v3
	s_or_b64 s[6:7], vcc, s[6:7]
	v_mov_b32_e32 v4, v6
	s_waitcnt vmcnt(0)
	v_mov_b32_e32 v5, v42
	s_andn2_b64 exec, exec, s[6:7]
	s_cbranch_execnz .LBB13_51
; %bb.52:                               ;   in Loop: Header=BB13_15 Depth=1
	s_or_b64 exec, exec, s[6:7]
	v_add_u32_e32 v2, s9, v1
.LBB13_53:                              ;   in Loop: Header=BB13_15 Depth=1
	s_or_b64 exec, exec, s[2:3]
.LBB13_54:                              ;   in Loop: Header=BB13_15 Depth=1
	s_or_b64 exec, exec, s[30:31]
	s_waitcnt vmcnt(0)
	ds_write_b8 v2, v42
.LBB13_55:                              ;   in Loop: Header=BB13_15 Depth=1
	s_or_b64 exec, exec, s[26:27]
	s_waitcnt lgkmcnt(0)
	s_barrier
	s_mov_b64 s[2:3], exec
	v_readlane_b32 s6, v51, 7
	v_readlane_b32 s7, v51, 8
	s_and_b64 s[6:7], s[2:3], s[6:7]
	s_mov_b64 exec, s[6:7]
; %bb.56:                               ;   in Loop: Header=BB13_15 Depth=1
	v_mov_b32_e32 v1, s36
	ds_write_b32 v23, v1 offset:4096
; %bb.57:                               ;   in Loop: Header=BB13_15 Depth=1
	s_or_b64 exec, exec, s[2:3]
	s_mov_b64 s[6:7], -1
	s_waitcnt lgkmcnt(0)
	s_barrier
.LBB13_58:                              ;   in Loop: Header=BB13_15 Depth=1
	s_mov_b32 s14, 0
	s_and_b64 vcc, exec, s[6:7]
	s_cbranch_vccz .LBB13_60
; %bb.59:                               ;   in Loop: Header=BB13_15 Depth=1
	ds_read_b32 v1, v23 offset:4096
	s_waitcnt lgkmcnt(0)
	v_readfirstlane_b32 s14, v1
.LBB13_60:                              ;   in Loop: Header=BB13_15 Depth=1
	s_cmp_lt_i32 s14, 1
	s_mov_b64 s[2:3], -1
                                        ; implicit-def: $vgpr4
	s_cbranch_scc1 .LBB13_70
; %bb.61:                               ;   in Loop: Header=BB13_15 Depth=1
	s_and_b64 vcc, exec, s[2:3]
	s_cbranch_vccnz .LBB13_81
.LBB13_62:                              ;   in Loop: Header=BB13_15 Depth=1
	s_lshl_b32 s6, s20, 6
	s_and_saveexec_b64 s[2:3], s[0:1]
.LBB13_63:                              ;   in Loop: Header=BB13_15 Depth=1
	v_lshl_add_u32 v5, s6, 2, v24
	ds_write_b128 v5, v[1:4]
.LBB13_64:                              ;   in Loop: Header=BB13_15 Depth=1
	s_or_b64 exec, exec, s[2:3]
	s_waitcnt lgkmcnt(0)
	s_barrier
	s_mov_b64 s[2:3], exec
	v_readlane_b32 s8, v51, 13
	v_readlane_b32 s9, v51, 14
	s_and_b64 s[8:9], s[2:3], s[8:9]
	s_mov_b64 exec, s[8:9]
	s_cbranch_execz .LBB13_95
; %bb.65:                               ;   in Loop: Header=BB13_15 Depth=1
	v_readlane_b32 s8, v51, 19
	v_readlane_b32 s9, v51, 20
	s_andn2_b64 vcc, exec, s[8:9]
	v_mov_b32_e32 v1, 0
	s_cbranch_vccnz .LBB13_94
; %bb.66:                               ;   in Loop: Header=BB13_15 Depth=1
	v_readlane_b32 s8, v51, 37
	v_readlane_b32 s9, v51, 38
	s_andn2_b64 vcc, exec, s[8:9]
	s_cbranch_vccnz .LBB13_90
; %bb.67:                               ;   in Loop: Header=BB13_15 Depth=1
	v_lshl_add_u32 v2, s20, 8, v36
	s_mov_b32 s7, 0
	v_mov_b32_e32 v1, 0
.LBB13_68:                              ;   Parent Loop BB13_15 Depth=1
                                        ; =>  This Inner Loop Header: Depth=2
	ds_read2_b32 v[3:4], v2 offset1:4
	ds_read2_b32 v[5:6], v2 offset0:8 offset1:12
	ds_read2_b32 v[7:8], v2 offset0:16 offset1:20
	;; [unrolled: 1-line block ×3, first 2 shown]
	s_add_i32 s7, s7, 8
	s_waitcnt lgkmcnt(3)
	v_add3_u32 v1, v3, v1, v4
	s_waitcnt lgkmcnt(2)
	v_add3_u32 v1, v5, v1, v6
	;; [unrolled: 2-line block ×3, first 2 shown]
	v_add_u32_e32 v2, 0x80, v2
	s_cmp_eq_u32 s61, s7
	s_waitcnt lgkmcnt(0)
	v_add3_u32 v1, v9, v1, v10
	s_cbranch_scc0 .LBB13_68
; %bb.69:                               ;   in Loop: Header=BB13_15 Depth=1
	s_mov_b32 s7, s61
	s_branch .LBB13_91
.LBB13_70:                              ;   in Loop: Header=BB13_15 Depth=1
	v_mov_b32_e32 v1, 0
	v_mov_b32_e32 v2, 0
	;; [unrolled: 1-line block ×4, first 2 shown]
	s_mov_b64 s[84:85], exec
	v_readlane_b32 s2, v51, 43
	v_readlane_b32 s3, v51, 44
	s_and_b64 s[2:3], s[84:85], s[2:3]
	s_mov_b64 exec, s[2:3]
	s_cbranch_execz .LBB13_74
; %bb.71:                               ;   in Loop: Header=BB13_15 Depth=1
	s_mov_b32 s2, 0
	s_mov_b64 s[86:87], 0
	s_mov_b32 s3, 0
	s_mov_b32 s8, 0
	;; [unrolled: 1-line block ×4, first 2 shown]
	v_mov_b32_e32 v5, v20
.LBB13_72:                              ;   Parent Loop BB13_15 Depth=1
                                        ; =>  This Inner Loop Header: Depth=2
	v_add_u32_e32 v1, s2, v34
	global_load_ubyte v1, v1, s[40:41]
	v_add_u32_e32 v2, s2, v31
	global_load_ubyte v2, v2, s[40:41]
	v_add_u32_e32 v3, s2, v32
	global_load_ubyte v3, v3, s[40:41]
	v_add_u32_e32 v4, s2, v33
	global_load_ubyte v4, v4, s[40:41]
	v_add_u32_e32 v5, s21, v5
	s_add_i32 s2, s2, s5
	s_waitcnt vmcnt(3)
	v_and_b32_e32 v6, v38, v1
	v_bfe_u32 v1, v1, s10, 2
	v_cmp_eq_u32_e32 vcc, v6, v30
	s_waitcnt vmcnt(2)
	v_and_b32_e32 v6, v38, v2
	v_bfe_u32 v2, v2, s10, 2
	v_cmp_eq_u32_e64 s[34:35], 0, v1
	v_cmp_eq_u32_e64 s[6:7], v6, v30
	s_waitcnt vmcnt(1)
	v_and_b32_e32 v6, v38, v3
	v_bfe_u32 v3, v3, s10, 2
	s_and_b64 s[16:17], vcc, s[34:35]
	v_cmp_eq_u32_e64 s[34:35], 0, v2
	v_cmp_eq_u32_e64 s[26:27], v6, v30
	s_waitcnt vmcnt(0)
	v_and_b32_e32 v6, v38, v4
	v_bfe_u32 v4, v4, s10, 2
	s_and_b64 s[18:19], s[6:7], s[34:35]
	v_cmp_eq_u32_e64 s[34:35], 0, v3
	v_cmp_eq_u32_e64 s[30:31], v6, v30
	s_and_b64 s[24:25], s[26:27], s[34:35]
	v_cmp_eq_u32_e64 s[34:35], 0, v4
	v_cndmask_b32_e64 v6, 0, 1, s[16:17]
	s_and_b64 s[28:29], s[30:31], s[34:35]
	v_cmp_ne_u32_e64 s[34:35], 0, v6
	v_cndmask_b32_e64 v6, 0, 1, s[18:19]
	s_bcnt1_i32_b64 s13, s[34:35]
	v_cmp_ne_u32_e64 s[34:35], 0, v6
	v_cndmask_b32_e64 v6, 0, 1, s[24:25]
	s_bcnt1_i32_b64 s15, s[34:35]
	v_cmp_ne_u32_e64 s[34:35], 0, v6
	v_cndmask_b32_e64 v6, 0, 1, s[28:29]
	s_add_i32 s12, s12, s13
	s_bcnt1_i32_b64 s16, s[34:35]
	v_cmp_ne_u32_e64 s[34:35], 0, v6
	s_add_i32 s12, s12, s15
	s_bcnt1_i32_b64 s17, s[34:35]
	s_add_i32 s12, s12, s16
	v_cmp_eq_u32_e64 s[34:35], 1, v1
	s_add_i32 s12, s12, s17
	s_and_b64 s[16:17], vcc, s[34:35]
	v_cmp_eq_u32_e64 s[34:35], 1, v2
	s_and_b64 s[18:19], s[6:7], s[34:35]
	v_cmp_eq_u32_e64 s[34:35], 1, v3
	s_and_b64 s[24:25], s[26:27], s[34:35]
	v_cmp_eq_u32_e64 s[34:35], 1, v4
	v_cndmask_b32_e64 v6, 0, 1, s[16:17]
	s_and_b64 s[28:29], s[30:31], s[34:35]
	v_cmp_ne_u32_e64 s[34:35], 0, v6
	v_cndmask_b32_e64 v6, 0, 1, s[18:19]
	s_bcnt1_i32_b64 s13, s[34:35]
	v_cmp_ne_u32_e64 s[34:35], 0, v6
	v_cndmask_b32_e64 v6, 0, 1, s[24:25]
	s_bcnt1_i32_b64 s15, s[34:35]
	v_cmp_ne_u32_e64 s[34:35], 0, v6
	v_cndmask_b32_e64 v6, 0, 1, s[28:29]
	s_add_i32 s9, s9, s13
	s_bcnt1_i32_b64 s16, s[34:35]
	v_cmp_ne_u32_e64 s[34:35], 0, v6
	s_add_i32 s9, s9, s15
	s_bcnt1_i32_b64 s17, s[34:35]
	s_add_i32 s9, s9, s16
	v_cmp_eq_u32_e64 s[34:35], 2, v1
	s_add_i32 s9, s9, s17
	s_and_b64 s[16:17], vcc, s[34:35]
	v_cmp_eq_u32_e64 s[34:35], 2, v2
	s_and_b64 s[18:19], s[6:7], s[34:35]
	v_cmp_eq_u32_e64 s[34:35], 2, v3
	s_and_b64 s[24:25], s[26:27], s[34:35]
	v_cmp_eq_u32_e64 s[34:35], 2, v4
	v_cndmask_b32_e64 v6, 0, 1, s[16:17]
	s_and_b64 s[28:29], s[30:31], s[34:35]
	v_cmp_ne_u32_e64 s[34:35], 0, v6
	v_cndmask_b32_e64 v6, 0, 1, s[18:19]
	s_bcnt1_i32_b64 s13, s[34:35]
	v_cmp_ne_u32_e64 s[34:35], 0, v6
	v_cndmask_b32_e64 v6, 0, 1, s[24:25]
	s_bcnt1_i32_b64 s15, s[34:35]
	v_cmp_ne_u32_e64 s[34:35], 0, v6
	v_cndmask_b32_e64 v6, 0, 1, s[28:29]
	s_add_i32 s8, s8, s13
	s_bcnt1_i32_b64 s16, s[34:35]
	v_cmp_ne_u32_e64 s[34:35], 0, v6
	s_add_i32 s8, s8, s15
	s_bcnt1_i32_b64 s17, s[34:35]
	s_add_i32 s8, s8, s16
	v_cmp_eq_u32_e64 s[34:35], 3, v1
	s_add_i32 s8, s8, s17
	s_and_b64 s[16:17], vcc, s[34:35]
	v_cmp_eq_u32_e32 vcc, 3, v2
	s_and_b64 s[6:7], s[6:7], vcc
	v_cmp_eq_u32_e32 vcc, 3, v3
	s_and_b64 s[18:19], s[26:27], vcc
	v_cmp_eq_u32_e32 vcc, 3, v4
	v_cndmask_b32_e64 v1, 0, 1, s[16:17]
	s_and_b64 s[24:25], s[30:31], vcc
	v_cmp_ne_u32_e32 vcc, 0, v1
	v_cndmask_b32_e64 v1, 0, 1, s[6:7]
	s_bcnt1_i32_b64 s13, vcc
	v_cmp_ne_u32_e32 vcc, 0, v1
	v_cndmask_b32_e64 v1, 0, 1, s[18:19]
	s_bcnt1_i32_b64 s6, vcc
	v_cmp_ne_u32_e32 vcc, 0, v1
	v_cndmask_b32_e64 v1, 0, 1, s[24:25]
	s_add_i32 s3, s3, s13
	s_bcnt1_i32_b64 s7, vcc
	v_cmp_ne_u32_e32 vcc, 0, v1
	s_add_i32 s3, s3, s6
	s_bcnt1_i32_b64 s15, vcc
	s_add_i32 s3, s3, s7
	s_add_i32 s3, s3, s15
	v_cmp_le_u32_e32 vcc, s11, v5
	s_or_b64 s[86:87], vcc, s[86:87]
	v_mov_b32_e32 v1, s12
	v_mov_b32_e32 v2, s9
	;; [unrolled: 1-line block ×4, first 2 shown]
	s_andn2_b64 exec, exec, s[86:87]
	s_cbranch_execnz .LBB13_72
; %bb.73:                               ;   in Loop: Header=BB13_15 Depth=1
	s_or_b64 exec, exec, s[86:87]
.LBB13_74:                              ;   in Loop: Header=BB13_15 Depth=1
	s_or_b64 exec, exec, s[84:85]
	s_mov_b64 s[2:3], exec
	v_readlane_b32 s6, v51, 45
	v_readlane_b32 s7, v51, 46
	s_and_b64 s[6:7], s[2:3], s[6:7]
	s_mov_b64 exec, s[6:7]
	s_cbranch_execz .LBB13_80
; %bb.75:                               ;   in Loop: Header=BB13_15 Depth=1
	global_load_ubyte v8, v[15:16], off
	s_mov_b64 s[12:13], 0
	v_mov_b32_e32 v5, v35
	v_mov_b32_e32 v6, v28
	s_branch .LBB13_77
.LBB13_76:                              ;   in Loop: Header=BB13_77 Depth=2
	s_or_b64 exec, exec, s[8:9]
	s_waitcnt vmcnt(0)
	v_and_b32_e32 v8, 0xff, v8
	s_and_b64 s[6:7], exec, vcc
	v_and_b32_e32 v9, v38, v8
	v_bfe_u32 v8, v8, s10, 2
	s_or_b64 s[12:13], s[6:7], s[12:13]
	v_cmp_eq_u32_e32 vcc, v9, v30
	v_cmp_eq_u32_e64 s[6:7], 0, v8
	s_and_b64 s[6:7], vcc, s[6:7]
	v_cndmask_b32_e64 v9, 0, 1, s[6:7]
	v_cmp_ne_u32_e64 s[6:7], 0, v9
	s_bcnt1_i32_b64 s6, s[6:7]
	v_add_u32_e32 v1, s6, v1
	v_cmp_eq_u32_e64 s[6:7], 1, v8
	s_and_b64 s[6:7], vcc, s[6:7]
	v_cndmask_b32_e64 v9, 0, 1, s[6:7]
	v_cmp_ne_u32_e64 s[6:7], 0, v9
	s_bcnt1_i32_b64 s6, s[6:7]
	v_add_u32_e32 v2, s6, v2
	;; [unrolled: 6-line block ×3, first 2 shown]
	v_cmp_eq_u32_e64 s[6:7], 3, v8
	s_and_b64 s[6:7], vcc, s[6:7]
	v_cndmask_b32_e64 v8, 0, 1, s[6:7]
	v_cmp_ne_u32_e32 vcc, 0, v8
	s_bcnt1_i32_b64 s6, vcc
	v_add_u32_e32 v4, s6, v4
	v_add_u32_e32 v5, s44, v5
	v_mov_b32_e32 v8, v7
	s_andn2_b64 exec, exec, s[12:13]
	s_cbranch_execz .LBB13_79
.LBB13_77:                              ;   Parent Loop BB13_15 Depth=1
                                        ; =>  This Inner Loop Header: Depth=2
	v_add_u32_e32 v6, s42, v6
	v_cmp_gt_u32_e64 s[6:7], s36, v6
	v_cmp_le_u32_e32 vcc, s36, v6
	v_mov_b32_e32 v7, 0
	s_and_saveexec_b64 s[8:9], s[6:7]
	s_cbranch_execz .LBB13_76
; %bb.78:                               ;   in Loop: Header=BB13_77 Depth=2
	global_load_ubyte v7, v5, s[40:41]
	s_branch .LBB13_76
.LBB13_79:                              ;   in Loop: Header=BB13_15 Depth=1
	s_or_b64 exec, exec, s[12:13]
.LBB13_80:                              ;   in Loop: Header=BB13_15 Depth=1
	s_or_b64 exec, exec, s[2:3]
	s_branch .LBB13_62
.LBB13_81:                              ;   in Loop: Header=BB13_15 Depth=1
	v_readlane_b32 s2, v51, 42
	s_mul_hi_u32 s2, s14, s2
	s_mul_i32 s2, s2, s21
	s_sub_i32 s2, s14, s2
	s_sub_i32 s3, s2, s21
	s_cmp_ge_u32 s2, s21
	s_cselect_b32 s2, s3, s2
	s_sub_i32 s3, s2, s21
	s_cmp_ge_u32 s2, s21
	s_cselect_b32 s2, s3, s2
	s_sub_i32 s2, s14, s2
	v_cmp_gt_u32_e32 vcc, s2, v20
	v_mov_b32_e32 v1, 0
	v_mov_b32_e32 v2, 0
	;; [unrolled: 1-line block ×4, first 2 shown]
	s_and_saveexec_b64 s[84:85], vcc
	s_cbranch_execz .LBB13_85
; %bb.82:                               ;   in Loop: Header=BB13_15 Depth=1
	s_mov_b32 s3, 0
	s_mov_b64 s[86:87], 0
	s_mov_b32 s8, 0
	s_mov_b32 s9, 0
	s_mov_b32 s12, 0
	v_mov_b32_e32 v5, v20
.LBB13_83:                              ;   Parent Loop BB13_15 Depth=1
                                        ; =>  This Inner Loop Header: Depth=2
	ds_read_b32 v1, v5
	v_add_u32_e32 v5, s21, v5
	s_waitcnt lgkmcnt(0)
	v_and_b32_e32 v3, 0xff, v1
	v_bfe_u32 v4, v1, 8, 8
	v_and_b32_e32 v6, v38, v3
	v_bfe_u32 v3, v3, s10, 2
	v_lshrrev_b32_e32 v2, 24, v1
	v_bfe_u32 v1, v1, 16, 8
	v_cmp_eq_u32_e32 vcc, v6, v30
	v_and_b32_e32 v6, v38, v4
	v_bfe_u32 v4, v4, s10, 2
	v_cmp_eq_u32_e64 s[34:35], 0, v3
	v_cmp_eq_u32_e64 s[6:7], v6, v30
	v_and_b32_e32 v6, v38, v1
	v_bfe_u32 v1, v1, s10, 2
	s_and_b64 s[16:17], vcc, s[34:35]
	v_cmp_eq_u32_e64 s[34:35], 0, v4
	v_cmp_eq_u32_e64 s[26:27], v6, v30
	v_and_b32_e32 v6, v38, v2
	v_bfe_u32 v2, v2, s10, 2
	s_and_b64 s[18:19], s[6:7], s[34:35]
	v_cmp_eq_u32_e64 s[34:35], 0, v1
	v_cmp_eq_u32_e64 s[30:31], v6, v30
	s_and_b64 s[24:25], s[26:27], s[34:35]
	v_cmp_eq_u32_e64 s[34:35], 0, v2
	v_cndmask_b32_e64 v6, 0, 1, s[16:17]
	s_and_b64 s[28:29], s[30:31], s[34:35]
	v_cmp_ne_u32_e64 s[34:35], 0, v6
	v_cndmask_b32_e64 v6, 0, 1, s[18:19]
	s_bcnt1_i32_b64 s13, s[34:35]
	v_cmp_ne_u32_e64 s[34:35], 0, v6
	v_cndmask_b32_e64 v6, 0, 1, s[24:25]
	s_bcnt1_i32_b64 s15, s[34:35]
	v_cmp_ne_u32_e64 s[34:35], 0, v6
	v_cndmask_b32_e64 v6, 0, 1, s[28:29]
	s_add_i32 s12, s12, s13
	s_bcnt1_i32_b64 s16, s[34:35]
	v_cmp_ne_u32_e64 s[34:35], 0, v6
	s_add_i32 s12, s12, s15
	s_bcnt1_i32_b64 s17, s[34:35]
	s_add_i32 s12, s12, s16
	v_cmp_eq_u32_e64 s[34:35], 1, v3
	s_add_i32 s12, s12, s17
	s_and_b64 s[16:17], vcc, s[34:35]
	v_cmp_eq_u32_e64 s[34:35], 1, v4
	s_and_b64 s[18:19], s[6:7], s[34:35]
	v_cmp_eq_u32_e64 s[34:35], 1, v1
	s_and_b64 s[24:25], s[26:27], s[34:35]
	v_cmp_eq_u32_e64 s[34:35], 1, v2
	v_cndmask_b32_e64 v6, 0, 1, s[16:17]
	s_and_b64 s[28:29], s[30:31], s[34:35]
	v_cmp_ne_u32_e64 s[34:35], 0, v6
	v_cndmask_b32_e64 v6, 0, 1, s[18:19]
	s_bcnt1_i32_b64 s13, s[34:35]
	v_cmp_ne_u32_e64 s[34:35], 0, v6
	v_cndmask_b32_e64 v6, 0, 1, s[24:25]
	s_bcnt1_i32_b64 s15, s[34:35]
	v_cmp_ne_u32_e64 s[34:35], 0, v6
	v_cndmask_b32_e64 v6, 0, 1, s[28:29]
	s_add_i32 s9, s9, s13
	s_bcnt1_i32_b64 s16, s[34:35]
	v_cmp_ne_u32_e64 s[34:35], 0, v6
	s_add_i32 s9, s9, s15
	s_bcnt1_i32_b64 s17, s[34:35]
	s_add_i32 s9, s9, s16
	v_cmp_eq_u32_e64 s[34:35], 2, v3
	s_add_i32 s9, s9, s17
	s_and_b64 s[16:17], vcc, s[34:35]
	v_cmp_eq_u32_e64 s[34:35], 2, v4
	s_and_b64 s[18:19], s[6:7], s[34:35]
	v_cmp_eq_u32_e64 s[34:35], 2, v1
	s_and_b64 s[24:25], s[26:27], s[34:35]
	v_cmp_eq_u32_e64 s[34:35], 2, v2
	v_cndmask_b32_e64 v6, 0, 1, s[16:17]
	s_and_b64 s[28:29], s[30:31], s[34:35]
	v_cmp_ne_u32_e64 s[34:35], 0, v6
	v_cndmask_b32_e64 v6, 0, 1, s[18:19]
	s_bcnt1_i32_b64 s13, s[34:35]
	v_cmp_ne_u32_e64 s[34:35], 0, v6
	v_cndmask_b32_e64 v6, 0, 1, s[24:25]
	s_bcnt1_i32_b64 s15, s[34:35]
	v_cmp_ne_u32_e64 s[34:35], 0, v6
	v_cndmask_b32_e64 v6, 0, 1, s[28:29]
	s_add_i32 s8, s8, s13
	s_bcnt1_i32_b64 s16, s[34:35]
	v_cmp_ne_u32_e64 s[34:35], 0, v6
	s_add_i32 s8, s8, s15
	s_bcnt1_i32_b64 s17, s[34:35]
	s_add_i32 s8, s8, s16
	v_cmp_eq_u32_e64 s[34:35], 3, v3
	s_add_i32 s8, s8, s17
	s_and_b64 s[16:17], vcc, s[34:35]
	v_cmp_eq_u32_e32 vcc, 3, v4
	s_and_b64 s[6:7], s[6:7], vcc
	v_cmp_eq_u32_e32 vcc, 3, v1
	s_and_b64 s[18:19], s[26:27], vcc
	v_cmp_eq_u32_e32 vcc, 3, v2
	v_cndmask_b32_e64 v1, 0, 1, s[16:17]
	s_and_b64 s[24:25], s[30:31], vcc
	v_cmp_ne_u32_e32 vcc, 0, v1
	v_cndmask_b32_e64 v1, 0, 1, s[6:7]
	s_bcnt1_i32_b64 s13, vcc
	v_cmp_ne_u32_e32 vcc, 0, v1
	v_cndmask_b32_e64 v1, 0, 1, s[18:19]
	s_bcnt1_i32_b64 s6, vcc
	v_cmp_ne_u32_e32 vcc, 0, v1
	v_cndmask_b32_e64 v1, 0, 1, s[24:25]
	s_add_i32 s3, s3, s13
	s_bcnt1_i32_b64 s7, vcc
	v_cmp_ne_u32_e32 vcc, 0, v1
	s_add_i32 s3, s3, s6
	s_bcnt1_i32_b64 s15, vcc
	s_add_i32 s3, s3, s7
	s_add_i32 s3, s3, s15
	v_cmp_le_u32_e32 vcc, s2, v5
	s_or_b64 s[86:87], vcc, s[86:87]
	v_mov_b32_e32 v1, s12
	v_mov_b32_e32 v2, s9
	;; [unrolled: 1-line block ×4, first 2 shown]
	s_andn2_b64 exec, exec, s[86:87]
	s_cbranch_execnz .LBB13_83
; %bb.84:                               ;   in Loop: Header=BB13_15 Depth=1
	s_or_b64 exec, exec, s[86:87]
.LBB13_85:                              ;   in Loop: Header=BB13_15 Depth=1
	s_or_b64 exec, exec, s[84:85]
	v_add_u32_e32 v5, s2, v0
	v_cmp_gt_u32_e32 vcc, s14, v5
	s_and_saveexec_b64 s[2:3], vcc
	s_cbranch_execz .LBB13_89
; %bb.86:                               ;   in Loop: Header=BB13_15 Depth=1
	s_mov_b64 s[12:13], 0
.LBB13_87:                              ;   Parent Loop BB13_15 Depth=1
                                        ; =>  This Inner Loop Header: Depth=2
	ds_read_u8 v6, v5
	v_add_u32_e32 v5, s42, v5
	s_waitcnt lgkmcnt(0)
	v_and_b32_e32 v7, v38, v6
	v_bfe_u32 v6, v6, s10, 2
	v_cmp_eq_u32_e32 vcc, v7, v30
	v_cmp_eq_u32_e64 s[6:7], 0, v6
	s_and_b64 s[6:7], vcc, s[6:7]
	v_cndmask_b32_e64 v7, 0, 1, s[6:7]
	v_cmp_ne_u32_e64 s[6:7], 0, v7
	s_bcnt1_i32_b64 s6, s[6:7]
	v_add_u32_e32 v1, s6, v1
	v_cmp_eq_u32_e64 s[6:7], 1, v6
	s_and_b64 s[6:7], vcc, s[6:7]
	v_cndmask_b32_e64 v7, 0, 1, s[6:7]
	v_cmp_ne_u32_e64 s[6:7], 0, v7
	s_bcnt1_i32_b64 s6, s[6:7]
	v_add_u32_e32 v2, s6, v2
	;; [unrolled: 6-line block ×3, first 2 shown]
	v_cmp_eq_u32_e64 s[6:7], 3, v6
	s_and_b64 s[6:7], vcc, s[6:7]
	v_cndmask_b32_e64 v6, 0, 1, s[6:7]
	v_cmp_ne_u32_e32 vcc, 0, v6
	s_bcnt1_i32_b64 s6, vcc
	v_cmp_le_u32_e32 vcc, s14, v5
	v_add_u32_e32 v4, s6, v4
	s_or_b64 s[12:13], vcc, s[12:13]
	s_andn2_b64 exec, exec, s[12:13]
	s_cbranch_execnz .LBB13_87
; %bb.88:                               ;   in Loop: Header=BB13_15 Depth=1
	s_or_b64 exec, exec, s[12:13]
.LBB13_89:                              ;   in Loop: Header=BB13_15 Depth=1
	s_or_b64 exec, exec, s[2:3]
	s_lshl_b32 s6, s20, 6
	s_and_saveexec_b64 s[2:3], s[0:1]
	s_cbranch_execnz .LBB13_63
	s_branch .LBB13_64
.LBB13_90:                              ;   in Loop: Header=BB13_15 Depth=1
	v_mov_b32_e32 v1, 0
	s_mov_b32 s7, 0
.LBB13_91:                              ;   in Loop: Header=BB13_15 Depth=1
	v_readlane_b32 s8, v51, 40
	v_readlane_b32 s9, v51, 41
	s_andn2_b64 vcc, exec, s[8:9]
	s_cbranch_vccnz .LBB13_94
; %bb.92:                               ;   in Loop: Header=BB13_15 Depth=1
	s_lshl_b32 s8, s20, 8
	s_lshl_b32 s7, s7, 4
	s_add_i32 s8, s8, s7
	v_add_u32_e32 v2, s8, v36
	v_readlane_b32 s7, v51, 39
.LBB13_93:                              ;   Parent Loop BB13_15 Depth=1
                                        ; =>  This Inner Loop Header: Depth=2
	ds_read_b32 v3, v2
	s_add_i32 s7, s7, -1
	v_add_u32_e32 v2, 16, v2
	s_cmp_lg_u32 s7, 0
	s_waitcnt lgkmcnt(0)
	v_add_u32_e32 v1, v3, v1
	s_cbranch_scc1 .LBB13_93
.LBB13_94:                              ;   in Loop: Header=BB13_15 Depth=1
	v_add_lshl_u32 v2, s6, v21, 2
	ds_write_b32 v2, v1 offset:3072
.LBB13_95:                              ;   in Loop: Header=BB13_15 Depth=1
	s_or_b64 exec, exec, s[2:3]
	s_lshl_b32 s2, s6, 2
	v_mov_b32_e32 v1, s2
	s_waitcnt lgkmcnt(0)
	s_barrier
	ds_read_b128 v[1:4], v1 offset:3072
	v_readlane_b32 s2, v51, 11
	s_lshl_b32 s60, 3, s10
	v_readlane_b32 s3, v51, 12
	s_not_b32 s38, s60
	s_waitcnt lgkmcnt(0)
	v_readfirstlane_b32 s23, v1
	v_readfirstlane_b32 s39, v2
	;; [unrolled: 1-line block ×4, first 2 shown]
	v_cmp_eq_u32_e64 s[26:27], 1, v40
	s_mov_b64 s[90:91], -1
	s_mov_b64 s[30:31], 0
	s_andn2_b64 vcc, exec, s[2:3]
	s_mov_b64 s[84:85], 0
	s_mov_b64 s[34:35], 0
                                        ; implicit-def: $sgpr86_sgpr87
                                        ; implicit-def: $sgpr88_sgpr89
                                        ; implicit-def: $vgpr4
                                        ; implicit-def: $vgpr1
                                        ; implicit-def: $vgpr3
                                        ; implicit-def: $vgpr2
                                        ; implicit-def: $vgpr5
	s_cbranch_vccnz .LBB13_254
; %bb.96:                               ;   in Loop: Header=BB13_15 Depth=1
	s_cmp_eq_u32 s23, 1
	s_cselect_b64 s[2:3], -1, 0
	s_and_b64 s[6:7], s[2:3], s[26:27]
	s_mov_b64 s[8:9], -1
	v_mov_b32_e32 v3, v30
	v_mov_b32_e32 v2, v38
	;; [unrolled: 1-line block ×3, first 2 shown]
                                        ; implicit-def: $sgpr88_sgpr89
                                        ; implicit-def: $sgpr86_sgpr87
	s_and_saveexec_b64 s[2:3], s[6:7]
	s_cbranch_execz .LBB13_122
; %bb.97:                               ;   in Loop: Header=BB13_15 Depth=1
	ds_read_b32 v1, v23 offset:4096
	s_waitcnt lgkmcnt(0)
	s_barrier
	v_readfirstlane_b32 s28, v1
	s_mov_b64 s[8:9], exec
	v_readlane_b32 s12, v51, 21
	v_readlane_b32 s13, v51, 22
	s_and_b64 s[12:13], s[8:9], s[12:13]
	s_mov_b64 exec, s[12:13]
; %bb.98:                               ;   in Loop: Header=BB13_15 Depth=1
	ds_write_b8 v0, v23 offset:3072
; %bb.99:                               ;   in Loop: Header=BB13_15 Depth=1
	s_or_b64 exec, exec, s[8:9]
	v_and_b32_e32 v3, s38, v30
	v_or_b32_e32 v2, s60, v38
	s_mov_b64 s[86:87], -1
	s_mov_b64 s[88:89], 0
	s_cmp_eq_u32 s28, 0
	s_mov_b64 s[12:13], 0
	s_mov_b64 s[14:15], -1
	s_waitcnt lgkmcnt(0)
	s_barrier
                                        ; implicit-def: $vgpr5
	s_cbranch_scc1 .LBB13_110
; %bb.100:                              ;   in Loop: Header=BB13_15 Depth=1
	v_readlane_b32 s8, v51, 23
	s_add_i32 s8, s28, s8
	v_readlane_b32 s9, v51, 47
	s_mul_hi_u32 s9, s8, s9
	s_mul_i32 s9, s9, s42
	s_sub_i32 s9, s8, s9
	s_sub_i32 s12, s9, s42
	s_cmp_ge_u32 s9, s42
	s_cselect_b32 s9, s12, s9
	s_sub_i32 s12, s9, s42
	s_cmp_ge_u32 s9, s42
	s_cselect_b32 s9, s12, s9
	s_sub_i32 s29, s8, s9
	v_cmp_gt_u32_e32 vcc, s29, v0
	s_mov_b64 s[14:15], 0
	s_mov_b64 s[12:13], 0
                                        ; implicit-def: $vgpr5
	s_and_saveexec_b64 s[16:17], vcc
	s_cbranch_execz .LBB13_109
; %bb.101:                              ;   in Loop: Header=BB13_15 Depth=1
	v_mov_b32_e32 v1, v0
                                        ; implicit-def: $sgpr8_sgpr9
	s_branch .LBB13_104
.LBB13_102:                             ;   in Loop: Header=BB13_104 Depth=2
	s_or_b64 exec, exec, s[18:19]
	s_waitcnt lgkmcnt(0)
	s_barrier
	ds_read_u16 v4, v23 offset:3072
	s_mov_b64 s[18:19], -1
	s_waitcnt lgkmcnt(0)
	s_barrier
	v_cmp_ne_u32_sdwa s[24:25], v4, v23 src0_sel:BYTE_0 src1_sel:DWORD
	s_and_b64 vcc, exec, s[24:25]
	s_mov_b64 s[24:25], -1
	s_cbranch_vccz .LBB13_107
.LBB13_103:                             ;   in Loop: Header=BB13_104 Depth=2
	s_and_b64 s[18:19], exec, s[18:19]
	s_or_b64 s[12:13], s[18:19], s[12:13]
	s_andn2_b64 s[8:9], s[8:9], exec
	s_and_b64 s[18:19], s[24:25], exec
	s_or_b64 s[8:9], s[8:9], s[18:19]
	s_andn2_b64 exec, exec, s[12:13]
	s_cbranch_execz .LBB13_108
.LBB13_104:                             ;   Parent Loop BB13_15 Depth=1
                                        ; =>  This Inner Loop Header: Depth=2
	v_cmp_gt_u32_e32 vcc, s28, v1
	s_and_saveexec_b64 s[18:19], vcc
	s_cbranch_execz .LBB13_102
; %bb.105:                              ;   in Loop: Header=BB13_104 Depth=2
	ds_read_u8 v4, v1
	s_waitcnt lgkmcnt(0)
	v_and_b32_e32 v5, v4, v2
	v_cmp_eq_u32_sdwa s[24:25], v5, v3 src0_sel:BYTE_0 src1_sel:DWORD
	s_and_b64 exec, exec, s[24:25]
	s_cbranch_execz .LBB13_102
; %bb.106:                              ;   in Loop: Header=BB13_104 Depth=2
	v_lshlrev_b16_e32 v4, 8, v4
	v_or_b32_e32 v4, 1, v4
	ds_write_b16 v23, v4 offset:3072
	s_branch .LBB13_102
.LBB13_107:                             ;   in Loop: Header=BB13_104 Depth=2
	v_add_u32_e32 v1, s42, v1
	v_cmp_le_u32_e32 vcc, s29, v1
	s_mov_b64 s[24:25], 0
	s_orn2_b64 s[18:19], vcc, exec
	s_branch .LBB13_103
.LBB13_108:                             ;   in Loop: Header=BB13_15 Depth=1
	s_or_b64 exec, exec, s[12:13]
	v_lshrrev_b32_sdwa v5, v37, v4 dst_sel:DWORD dst_unused:UNUSED_PAD src0_sel:DWORD src1_sel:WORD_0
	s_and_b64 s[12:13], s[8:9], exec
.LBB13_109:                             ;   in Loop: Header=BB13_15 Depth=1
	s_or_b64 exec, exec, s[16:17]
.LBB13_110:                             ;   in Loop: Header=BB13_15 Depth=1
	s_and_b64 vcc, exec, s[14:15]
	s_cbranch_vccz .LBB13_121
; %bb.111:                              ;   in Loop: Header=BB13_15 Depth=1
                                        ; implicit-def: $vgpr5
	s_mov_b64 s[14:15], exec
	v_readlane_b32 s8, v51, 48
	v_readlane_b32 s9, v51, 49
	s_and_b64 s[8:9], s[14:15], s[8:9]
	s_mov_b64 exec, s[8:9]
	s_cbranch_execz .LBB13_120
; %bb.112:                              ;   in Loop: Header=BB13_15 Depth=1
	s_mov_b64 s[16:17], 0
	v_mov_b32_e32 v1, v22
	v_mov_b32_e32 v4, v0
                                        ; implicit-def: $sgpr18_sgpr19
	s_branch .LBB13_115
.LBB13_113:                             ;   in Loop: Header=BB13_115 Depth=2
	s_or_b64 exec, exec, s[8:9]
	s_waitcnt lgkmcnt(0)
	s_barrier
	ds_read_u16 v5, v23 offset:3072
	s_mov_b64 s[8:9], -1
	s_waitcnt lgkmcnt(0)
	s_barrier
	v_cmp_ne_u32_sdwa s[24:25], v5, v23 src0_sel:BYTE_0 src1_sel:DWORD
	s_and_b64 vcc, exec, s[24:25]
	s_mov_b64 s[24:25], -1
	s_cbranch_vccz .LBB13_118
.LBB13_114:                             ;   in Loop: Header=BB13_115 Depth=2
	s_and_b64 s[8:9], exec, s[8:9]
	s_or_b64 s[16:17], s[8:9], s[16:17]
	s_andn2_b64 s[8:9], s[18:19], exec
	s_and_b64 s[18:19], s[24:25], exec
	s_or_b64 s[18:19], s[8:9], s[18:19]
	s_andn2_b64 exec, exec, s[16:17]
	s_cbranch_execz .LBB13_119
.LBB13_115:                             ;   Parent Loop BB13_15 Depth=1
                                        ; =>  This Inner Loop Header: Depth=2
	v_cmp_gt_u32_e32 vcc, s36, v4
	s_and_saveexec_b64 s[8:9], vcc
	s_cbranch_execz .LBB13_113
; %bb.116:                              ;   in Loop: Header=BB13_115 Depth=2
	global_load_ubyte v5, v1, s[40:41]
	s_waitcnt vmcnt(0)
	v_and_b32_e32 v6, v5, v2
	v_cmp_eq_u32_sdwa s[24:25], v6, v3 src0_sel:BYTE_0 src1_sel:DWORD
	s_and_b64 exec, exec, s[24:25]
	s_cbranch_execz .LBB13_113
; %bb.117:                              ;   in Loop: Header=BB13_115 Depth=2
	v_lshlrev_b16_e32 v5, 8, v5
	v_or_b32_e32 v5, 1, v5
	ds_write_b16 v23, v5 offset:3072
	s_branch .LBB13_113
.LBB13_118:                             ;   in Loop: Header=BB13_115 Depth=2
	v_add_u32_e32 v4, s42, v4
	v_cmp_le_u32_e32 vcc, s4, v4
	v_add_u32_e32 v1, s44, v1
	s_mov_b64 s[24:25], 0
	s_orn2_b64 s[8:9], vcc, exec
	s_branch .LBB13_114
.LBB13_119:                             ;   in Loop: Header=BB13_15 Depth=1
	s_or_b64 exec, exec, s[16:17]
	s_andn2_b64 s[8:9], s[12:13], exec
	s_and_b64 s[12:13], s[18:19], exec
	v_lshrrev_b32_sdwa v5, v37, v5 dst_sel:DWORD dst_unused:UNUSED_PAD src0_sel:DWORD src1_sel:WORD_0
	s_or_b64 s[12:13], s[8:9], s[12:13]
.LBB13_120:                             ;   in Loop: Header=BB13_15 Depth=1
	s_or_b64 exec, exec, s[14:15]
	s_mov_b64 s[86:87], 0
	s_mov_b64 s[88:89], -1
.LBB13_121:                             ;   in Loop: Header=BB13_15 Depth=1
	s_orn2_b64 s[8:9], s[12:13], exec
.LBB13_122:                             ;   in Loop: Header=BB13_15 Depth=1
	s_or_b64 exec, exec, s[2:3]
	s_mov_b64 s[90:91], 0
	s_mov_b64 s[84:85], 0
	;; [unrolled: 1-line block ×3, first 2 shown]
                                        ; implicit-def: $vgpr4
                                        ; implicit-def: $vgpr1
	s_and_saveexec_b64 s[92:93], s[8:9]
	s_cbranch_execz .LBB13_253
; %bb.123:                              ;   in Loop: Header=BB13_15 Depth=1
	s_xor_b64 s[8:9], s[6:7], -1
	s_mov_b64 s[6:7], 0
	v_mov_b32_e32 v4, 1
	v_mov_b32_e32 v1, 1
	s_and_saveexec_b64 s[2:3], s[8:9]
	s_cbranch_execz .LBB13_132
; %bb.124:                              ;   in Loop: Header=BB13_15 Depth=1
	v_cmp_ge_u32_e32 vcc, s23, v40
	s_and_saveexec_b64 s[6:7], vcc
	s_xor_b64 s[6:7], exec, s[6:7]
	s_cbranch_execz .LBB13_129
; %bb.125:                              ;   in Loop: Header=BB13_15 Depth=1
	ds_read_b32 v1, v23 offset:4096
	v_and_b32_e32 v3, s38, v3
	v_or_b32_e32 v2, s60, v2
	s_waitcnt lgkmcnt(0)
	v_cmp_ne_u32_e32 vcc, 0, v1
	s_cbranch_vccnz .LBB13_129
; %bb.126:                              ;   in Loop: Header=BB13_15 Depth=1
	s_mov_b64 s[8:9], exec
	v_readlane_b32 s12, v51, 7
	v_readlane_b32 s13, v51, 8
	s_and_b64 s[12:13], s[8:9], s[12:13]
	s_mov_b64 exec, s[12:13]
; %bb.127:                              ;   in Loop: Header=BB13_15 Depth=1
	v_mov_b32_e32 v1, s23
	ds_write_b32 v23, v1 offset:4100
; %bb.128:                              ;   in Loop: Header=BB13_15 Depth=1
	s_or_b64 exec, exec, s[8:9]
	s_waitcnt lgkmcnt(0)
	s_barrier
.LBB13_129:                             ;   in Loop: Header=BB13_15 Depth=1
	s_or_saveexec_b64 s[6:7], s[6:7]
	s_mov_b64 s[8:9], 0
	v_mov_b32_e32 v1, 8
	v_mov_b32_e32 v4, v40
	s_xor_b64 exec, exec, s[6:7]
; %bb.130:                              ;   in Loop: Header=BB13_15 Depth=1
	s_mov_b64 s[8:9], exec
	v_subrev_u32_e32 v4, s23, v40
	v_mov_b32_e32 v1, 0
; %bb.131:                              ;   in Loop: Header=BB13_15 Depth=1
	s_or_b64 exec, exec, s[6:7]
	s_and_b64 s[6:7], s[8:9], exec
.LBB13_132:                             ;   in Loop: Header=BB13_15 Depth=1
	s_or_b64 exec, exec, s[2:3]
	s_mov_b64 s[2:3], -1
                                        ; implicit-def: $sgpr34_sgpr35
                                        ; implicit-def: $sgpr84_sgpr85
	s_and_saveexec_b64 s[8:9], s[6:7]
	s_xor_b64 s[6:7], exec, s[8:9]
	s_cbranch_execz .LBB13_250
; %bb.133:                              ;   in Loop: Header=BB13_15 Depth=1
	s_cmp_eq_u32 s39, 1
	s_cselect_b64 s[2:3], -1, 0
	v_cmp_eq_u32_e32 vcc, 1, v4
	s_and_b64 s[12:13], s[2:3], vcc
	s_mov_b64 s[8:9], -1
                                        ; implicit-def: $sgpr84_sgpr85
                                        ; implicit-def: $sgpr34_sgpr35
	s_and_saveexec_b64 s[2:3], s[12:13]
	s_cbranch_execz .LBB13_159
; %bb.134:                              ;   in Loop: Header=BB13_15 Depth=1
	ds_read_b32 v5, v23 offset:4096
	s_waitcnt lgkmcnt(0)
	s_barrier
	v_readfirstlane_b32 s46, v5
	s_mov_b64 s[8:9], exec
	v_readlane_b32 s14, v51, 21
	v_readlane_b32 s15, v51, 22
	s_and_b64 s[14:15], s[8:9], s[14:15]
	s_mov_b64 exec, s[14:15]
; %bb.135:                              ;   in Loop: Header=BB13_15 Depth=1
	ds_write_b8 v0, v23 offset:3072
; %bb.136:                              ;   in Loop: Header=BB13_15 Depth=1
	s_or_b64 exec, exec, s[8:9]
	v_and_b32_e32 v3, s38, v3
	v_lshl_or_b32 v3, 1, s10, v3
	v_or_b32_e32 v2, s60, v2
	s_mov_b64 s[34:35], -1
	s_mov_b64 s[84:85], 0
	s_cmp_eq_u32 s46, 0
	s_mov_b64 s[14:15], 0
	s_mov_b64 s[16:17], -1
	s_waitcnt lgkmcnt(0)
	s_barrier
                                        ; implicit-def: $vgpr5
	s_cbranch_scc1 .LBB13_147
; %bb.137:                              ;   in Loop: Header=BB13_15 Depth=1
	v_readlane_b32 s8, v51, 23
	s_add_i32 s8, s46, s8
	v_readlane_b32 s9, v51, 47
	s_mul_hi_u32 s9, s8, s9
	s_mul_i32 s9, s9, s42
	s_sub_i32 s9, s8, s9
	s_sub_i32 s14, s9, s42
	s_cmp_ge_u32 s9, s42
	s_cselect_b32 s9, s14, s9
	s_sub_i32 s14, s9, s42
	s_cmp_ge_u32 s9, s42
	s_cselect_b32 s9, s14, s9
	s_sub_i32 s47, s8, s9
	v_cmp_gt_u32_e32 vcc, s47, v0
	s_mov_b64 s[16:17], 0
	s_mov_b64 s[14:15], 0
                                        ; implicit-def: $vgpr5
	s_and_saveexec_b64 s[18:19], vcc
	s_cbranch_execz .LBB13_146
; %bb.138:                              ;   in Loop: Header=BB13_15 Depth=1
	v_mov_b32_e32 v5, v0
                                        ; implicit-def: $sgpr24_sgpr25
	s_branch .LBB13_141
.LBB13_139:                             ;   in Loop: Header=BB13_141 Depth=2
	s_or_b64 exec, exec, s[8:9]
	s_waitcnt lgkmcnt(0)
	s_barrier
	ds_read_u16 v6, v23 offset:3072
	s_mov_b64 s[8:9], -1
	s_waitcnt lgkmcnt(0)
	s_barrier
	v_cmp_ne_u32_sdwa s[28:29], v6, v23 src0_sel:BYTE_0 src1_sel:DWORD
	s_and_b64 vcc, exec, s[28:29]
	s_mov_b64 s[28:29], -1
	s_cbranch_vccz .LBB13_144
.LBB13_140:                             ;   in Loop: Header=BB13_141 Depth=2
	s_and_b64 s[8:9], exec, s[8:9]
	s_or_b64 s[14:15], s[8:9], s[14:15]
	s_andn2_b64 s[8:9], s[24:25], exec
	s_and_b64 s[24:25], s[28:29], exec
	s_or_b64 s[24:25], s[8:9], s[24:25]
	s_andn2_b64 exec, exec, s[14:15]
	s_cbranch_execz .LBB13_145
.LBB13_141:                             ;   Parent Loop BB13_15 Depth=1
                                        ; =>  This Inner Loop Header: Depth=2
	v_cmp_gt_u32_e32 vcc, s46, v5
	s_and_saveexec_b64 s[8:9], vcc
	s_cbranch_execz .LBB13_139
; %bb.142:                              ;   in Loop: Header=BB13_141 Depth=2
	ds_read_u8 v6, v5
	s_waitcnt lgkmcnt(0)
	v_and_b32_e32 v7, v6, v2
	v_cmp_eq_u32_sdwa s[28:29], v7, v3 src0_sel:BYTE_0 src1_sel:DWORD
	s_and_b64 exec, exec, s[28:29]
	s_cbranch_execz .LBB13_139
; %bb.143:                              ;   in Loop: Header=BB13_141 Depth=2
	v_lshlrev_b16_e32 v6, 8, v6
	v_or_b32_e32 v6, 1, v6
	ds_write_b16 v23, v6 offset:3072
	s_branch .LBB13_139
.LBB13_144:                             ;   in Loop: Header=BB13_141 Depth=2
	v_add_u32_e32 v5, s42, v5
	v_cmp_le_u32_e32 vcc, s47, v5
	s_mov_b64 s[28:29], 0
	s_orn2_b64 s[8:9], vcc, exec
	s_branch .LBB13_140
.LBB13_145:                             ;   in Loop: Header=BB13_15 Depth=1
	s_or_b64 exec, exec, s[14:15]
	v_lshrrev_b32_sdwa v5, v37, v6 dst_sel:DWORD dst_unused:UNUSED_PAD src0_sel:DWORD src1_sel:WORD_0
	s_and_b64 s[14:15], s[24:25], exec
.LBB13_146:                             ;   in Loop: Header=BB13_15 Depth=1
	s_or_b64 exec, exec, s[18:19]
.LBB13_147:                             ;   in Loop: Header=BB13_15 Depth=1
	s_and_b64 vcc, exec, s[16:17]
	s_cbranch_vccz .LBB13_158
; %bb.148:                              ;   in Loop: Header=BB13_15 Depth=1
                                        ; implicit-def: $vgpr5
	s_mov_b64 s[16:17], exec
	v_readlane_b32 s8, v51, 48
	v_readlane_b32 s9, v51, 49
	s_and_b64 s[8:9], s[16:17], s[8:9]
	s_mov_b64 exec, s[8:9]
	s_cbranch_execz .LBB13_157
; %bb.149:                              ;   in Loop: Header=BB13_15 Depth=1
	s_mov_b64 s[18:19], 0
	v_mov_b32_e32 v5, v22
	v_mov_b32_e32 v6, v0
                                        ; implicit-def: $sgpr24_sgpr25
	s_branch .LBB13_152
.LBB13_150:                             ;   in Loop: Header=BB13_152 Depth=2
	s_or_b64 exec, exec, s[8:9]
	s_waitcnt lgkmcnt(0)
	s_barrier
	ds_read_u16 v7, v23 offset:3072
	s_mov_b64 s[8:9], -1
	s_waitcnt lgkmcnt(0)
	s_barrier
	v_cmp_eq_u32_sdwa s[28:29], v7, v23 src0_sel:BYTE_0 src1_sel:DWORD
	s_and_b64 vcc, exec, s[28:29]
	s_mov_b64 s[28:29], -1
	s_cbranch_vccnz .LBB13_155
.LBB13_151:                             ;   in Loop: Header=BB13_152 Depth=2
	s_and_b64 s[8:9], exec, s[8:9]
	s_or_b64 s[18:19], s[8:9], s[18:19]
	s_andn2_b64 s[8:9], s[24:25], exec
	s_and_b64 s[24:25], s[28:29], exec
	s_or_b64 s[24:25], s[8:9], s[24:25]
	s_andn2_b64 exec, exec, s[18:19]
	s_cbranch_execz .LBB13_156
.LBB13_152:                             ;   Parent Loop BB13_15 Depth=1
                                        ; =>  This Inner Loop Header: Depth=2
	v_cmp_gt_u32_e32 vcc, s36, v6
	s_and_saveexec_b64 s[8:9], vcc
	s_cbranch_execz .LBB13_150
; %bb.153:                              ;   in Loop: Header=BB13_152 Depth=2
	global_load_ubyte v7, v5, s[40:41]
	s_waitcnt vmcnt(0)
	v_and_b32_e32 v8, v7, v2
	v_cmp_eq_u32_sdwa s[28:29], v8, v3 src0_sel:BYTE_0 src1_sel:DWORD
	s_and_b64 exec, exec, s[28:29]
	s_cbranch_execz .LBB13_150
; %bb.154:                              ;   in Loop: Header=BB13_152 Depth=2
	v_lshlrev_b16_e32 v7, 8, v7
	v_or_b32_e32 v7, 1, v7
	ds_write_b16 v23, v7 offset:3072
	s_branch .LBB13_150
.LBB13_155:                             ;   in Loop: Header=BB13_152 Depth=2
	v_add_u32_e32 v6, s42, v6
	v_cmp_le_u32_e32 vcc, s4, v6
	v_add_u32_e32 v5, s44, v5
	s_mov_b64 s[28:29], 0
	s_orn2_b64 s[8:9], vcc, exec
	s_branch .LBB13_151
.LBB13_156:                             ;   in Loop: Header=BB13_15 Depth=1
	s_or_b64 exec, exec, s[18:19]
	s_andn2_b64 s[8:9], s[14:15], exec
	s_and_b64 s[14:15], s[24:25], exec
	v_lshrrev_b32_sdwa v5, v37, v7 dst_sel:DWORD dst_unused:UNUSED_PAD src0_sel:DWORD src1_sel:WORD_0
	s_or_b64 s[14:15], s[8:9], s[14:15]
.LBB13_157:                             ;   in Loop: Header=BB13_15 Depth=1
	s_or_b64 exec, exec, s[16:17]
	s_mov_b64 s[34:35], 0
	s_mov_b64 s[84:85], -1
.LBB13_158:                             ;   in Loop: Header=BB13_15 Depth=1
	s_orn2_b64 s[8:9], s[14:15], exec
.LBB13_159:                             ;   in Loop: Header=BB13_15 Depth=1
	s_or_b64 exec, exec, s[2:3]
	s_mov_b64 s[2:3], 0
	s_and_saveexec_b64 s[94:95], s[8:9]
	s_cbranch_execz .LBB13_249
; %bb.160:                              ;   in Loop: Header=BB13_15 Depth=1
	s_xor_b64 s[12:13], s[12:13], -1
	s_mov_b64 s[8:9], 0
	v_mov_b32_e32 v6, 1
	v_mov_b32_e32 v1, 1
	s_and_saveexec_b64 s[2:3], s[12:13]
	s_cbranch_execz .LBB13_169
; %bb.161:                              ;   in Loop: Header=BB13_15 Depth=1
	v_cmp_ge_u32_e32 vcc, s39, v4
	s_and_saveexec_b64 s[8:9], vcc
	s_xor_b64 s[8:9], exec, s[8:9]
	s_cbranch_execz .LBB13_166
; %bb.162:                              ;   in Loop: Header=BB13_15 Depth=1
	v_and_b32_e32 v1, s38, v3
	v_lshl_or_b32 v3, 1, s10, v1
	ds_read_b32 v1, v23 offset:4096
	v_or_b32_e32 v2, s60, v2
	s_waitcnt lgkmcnt(0)
	v_cmp_ne_u32_e32 vcc, 0, v1
	s_cbranch_vccnz .LBB13_166
; %bb.163:                              ;   in Loop: Header=BB13_15 Depth=1
	s_mov_b64 s[12:13], exec
	v_readlane_b32 s14, v51, 7
	v_readlane_b32 s15, v51, 8
	s_and_b64 s[14:15], s[12:13], s[14:15]
	s_mov_b64 exec, s[14:15]
; %bb.164:                              ;   in Loop: Header=BB13_15 Depth=1
	v_mov_b32_e32 v1, s39
	ds_write_b32 v23, v1 offset:4100
; %bb.165:                              ;   in Loop: Header=BB13_15 Depth=1
	s_or_b64 exec, exec, s[12:13]
	s_waitcnt lgkmcnt(0)
	s_barrier
.LBB13_166:                             ;   in Loop: Header=BB13_15 Depth=1
	s_or_saveexec_b64 s[8:9], s[8:9]
	s_mov_b64 s[12:13], 0
	v_mov_b32_e32 v1, 8
	s_xor_b64 exec, exec, s[8:9]
; %bb.167:                              ;   in Loop: Header=BB13_15 Depth=1
	s_mov_b64 s[12:13], exec
	v_subrev_u32_e32 v4, s39, v4
	v_mov_b32_e32 v1, 0
; %bb.168:                              ;   in Loop: Header=BB13_15 Depth=1
	s_or_b64 exec, exec, s[8:9]
	s_and_b64 s[8:9], s[12:13], exec
	v_mov_b32_e32 v6, v4
.LBB13_169:                             ;   in Loop: Header=BB13_15 Depth=1
	s_or_b64 exec, exec, s[2:3]
	s_mov_b64 s[2:3], -1
                                        ; implicit-def: $sgpr48_sgpr49
                                        ; implicit-def: $sgpr14_sgpr15
	s_and_saveexec_b64 s[46:47], s[8:9]
	s_cbranch_execz .LBB13_248
; %bb.170:                              ;   in Loop: Header=BB13_15 Depth=1
	s_cmp_eq_u32 s50, 1
	s_cselect_b64 s[2:3], -1, 0
	v_cmp_eq_u32_e32 vcc, 1, v6
	s_and_b64 s[12:13], s[2:3], vcc
	s_mov_b64 s[8:9], -1
                                        ; implicit-def: $sgpr14_sgpr15
                                        ; implicit-def: $sgpr48_sgpr49
	s_and_saveexec_b64 s[2:3], s[12:13]
	s_cbranch_execz .LBB13_196
; %bb.171:                              ;   in Loop: Header=BB13_15 Depth=1
	ds_read_b32 v4, v23 offset:4096
	s_waitcnt lgkmcnt(0)
	s_barrier
	v_readfirstlane_b32 s56, v4
	s_mov_b64 s[8:9], exec
	v_readlane_b32 s14, v51, 21
	v_readlane_b32 s15, v51, 22
	s_and_b64 s[14:15], s[8:9], s[14:15]
	s_mov_b64 exec, s[14:15]
; %bb.172:                              ;   in Loop: Header=BB13_15 Depth=1
	ds_write_b8 v0, v23 offset:3072
; %bb.173:                              ;   in Loop: Header=BB13_15 Depth=1
	s_or_b64 exec, exec, s[8:9]
	v_and_b32_e32 v3, s38, v3
	v_lshl_or_b32 v3, 2, s10, v3
	v_or_b32_e32 v2, s60, v2
	s_mov_b64 s[48:49], -1
	s_mov_b64 s[14:15], 0
	s_cmp_eq_u32 s56, 0
	s_mov_b64 s[16:17], 0
	s_mov_b64 s[18:19], -1
	s_waitcnt lgkmcnt(0)
	s_barrier
                                        ; implicit-def: $vgpr5
	s_cbranch_scc1 .LBB13_184
; %bb.174:                              ;   in Loop: Header=BB13_15 Depth=1
	v_readlane_b32 s8, v51, 23
	s_add_i32 s8, s56, s8
	v_readlane_b32 s9, v51, 47
	s_mul_hi_u32 s9, s8, s9
	s_mul_i32 s9, s9, s42
	s_sub_i32 s9, s8, s9
	s_sub_i32 s16, s9, s42
	s_cmp_ge_u32 s9, s42
	s_cselect_b32 s9, s16, s9
	s_sub_i32 s16, s9, s42
	s_cmp_ge_u32 s9, s42
	s_cselect_b32 s9, s16, s9
	s_sub_i32 s57, s8, s9
	v_cmp_gt_u32_e32 vcc, s57, v0
	s_mov_b64 s[18:19], 0
	s_mov_b64 s[16:17], 0
                                        ; implicit-def: $vgpr5
	s_and_saveexec_b64 s[28:29], vcc
	s_cbranch_execz .LBB13_183
; %bb.175:                              ;   in Loop: Header=BB13_15 Depth=1
	v_mov_b32_e32 v4, v0
                                        ; implicit-def: $sgpr24_sgpr25
	s_branch .LBB13_178
.LBB13_176:                             ;   in Loop: Header=BB13_178 Depth=2
	s_or_b64 exec, exec, s[8:9]
	s_waitcnt lgkmcnt(0)
	s_barrier
	ds_read_u16 v5, v23 offset:3072
	s_mov_b64 s[8:9], -1
	s_waitcnt lgkmcnt(0)
	s_barrier
	v_cmp_ne_u32_sdwa s[52:53], v5, v23 src0_sel:BYTE_0 src1_sel:DWORD
	s_and_b64 vcc, exec, s[52:53]
	s_mov_b64 s[52:53], -1
	s_cbranch_vccz .LBB13_181
.LBB13_177:                             ;   in Loop: Header=BB13_178 Depth=2
	s_and_b64 s[8:9], exec, s[8:9]
	s_or_b64 s[16:17], s[8:9], s[16:17]
	s_andn2_b64 s[8:9], s[24:25], exec
	s_and_b64 s[24:25], s[52:53], exec
	s_or_b64 s[24:25], s[8:9], s[24:25]
	s_andn2_b64 exec, exec, s[16:17]
	s_cbranch_execz .LBB13_182
.LBB13_178:                             ;   Parent Loop BB13_15 Depth=1
                                        ; =>  This Inner Loop Header: Depth=2
	v_cmp_gt_u32_e32 vcc, s56, v4
	s_and_saveexec_b64 s[8:9], vcc
	s_cbranch_execz .LBB13_176
; %bb.179:                              ;   in Loop: Header=BB13_178 Depth=2
	ds_read_u8 v5, v4
	s_waitcnt lgkmcnt(0)
	v_and_b32_e32 v7, v5, v2
	v_cmp_eq_u32_sdwa s[52:53], v7, v3 src0_sel:BYTE_0 src1_sel:DWORD
	s_and_b64 exec, exec, s[52:53]
	s_cbranch_execz .LBB13_176
; %bb.180:                              ;   in Loop: Header=BB13_178 Depth=2
	v_lshlrev_b16_e32 v5, 8, v5
	v_or_b32_e32 v5, 1, v5
	ds_write_b16 v23, v5 offset:3072
	s_branch .LBB13_176
.LBB13_181:                             ;   in Loop: Header=BB13_178 Depth=2
	v_add_u32_e32 v4, s42, v4
	v_cmp_le_u32_e32 vcc, s57, v4
	s_mov_b64 s[52:53], 0
	s_orn2_b64 s[8:9], vcc, exec
	s_branch .LBB13_177
.LBB13_182:                             ;   in Loop: Header=BB13_15 Depth=1
	s_or_b64 exec, exec, s[16:17]
	v_lshrrev_b32_sdwa v5, v37, v5 dst_sel:DWORD dst_unused:UNUSED_PAD src0_sel:DWORD src1_sel:WORD_0
	s_and_b64 s[16:17], s[24:25], exec
.LBB13_183:                             ;   in Loop: Header=BB13_15 Depth=1
	s_or_b64 exec, exec, s[28:29]
.LBB13_184:                             ;   in Loop: Header=BB13_15 Depth=1
	s_and_b64 vcc, exec, s[18:19]
	s_cbranch_vccz .LBB13_195
; %bb.185:                              ;   in Loop: Header=BB13_15 Depth=1
                                        ; implicit-def: $vgpr5
	s_mov_b64 s[14:15], exec
	v_readlane_b32 s8, v51, 48
	v_readlane_b32 s9, v51, 49
	s_and_b64 s[8:9], s[14:15], s[8:9]
	s_mov_b64 exec, s[8:9]
	s_cbranch_execz .LBB13_194
; %bb.186:                              ;   in Loop: Header=BB13_15 Depth=1
	s_mov_b64 s[18:19], 0
	v_mov_b32_e32 v4, v22
	v_mov_b32_e32 v5, v0
                                        ; implicit-def: $sgpr24_sgpr25
	s_branch .LBB13_189
.LBB13_187:                             ;   in Loop: Header=BB13_189 Depth=2
	s_or_b64 exec, exec, s[8:9]
	s_waitcnt lgkmcnt(0)
	s_barrier
	ds_read_u16 v7, v23 offset:3072
	s_mov_b64 s[8:9], -1
	s_waitcnt lgkmcnt(0)
	s_barrier
	v_cmp_eq_u32_sdwa s[28:29], v7, v23 src0_sel:BYTE_0 src1_sel:DWORD
	s_and_b64 vcc, exec, s[28:29]
	s_mov_b64 s[28:29], -1
	s_cbranch_vccnz .LBB13_192
.LBB13_188:                             ;   in Loop: Header=BB13_189 Depth=2
	s_and_b64 s[8:9], exec, s[8:9]
	s_or_b64 s[18:19], s[8:9], s[18:19]
	s_andn2_b64 s[8:9], s[24:25], exec
	s_and_b64 s[24:25], s[28:29], exec
	s_or_b64 s[24:25], s[8:9], s[24:25]
	s_andn2_b64 exec, exec, s[18:19]
	s_cbranch_execz .LBB13_193
.LBB13_189:                             ;   Parent Loop BB13_15 Depth=1
                                        ; =>  This Inner Loop Header: Depth=2
	v_cmp_gt_u32_e32 vcc, s36, v5
	s_and_saveexec_b64 s[8:9], vcc
	s_cbranch_execz .LBB13_187
; %bb.190:                              ;   in Loop: Header=BB13_189 Depth=2
	global_load_ubyte v7, v4, s[40:41]
	s_waitcnt vmcnt(0)
	v_and_b32_e32 v8, v7, v2
	v_cmp_eq_u32_sdwa s[28:29], v8, v3 src0_sel:BYTE_0 src1_sel:DWORD
	s_and_b64 exec, exec, s[28:29]
	s_cbranch_execz .LBB13_187
; %bb.191:                              ;   in Loop: Header=BB13_189 Depth=2
	v_lshlrev_b16_e32 v7, 8, v7
	v_or_b32_e32 v7, 1, v7
	ds_write_b16 v23, v7 offset:3072
	s_branch .LBB13_187
.LBB13_192:                             ;   in Loop: Header=BB13_189 Depth=2
	v_add_u32_e32 v5, s42, v5
	v_cmp_le_u32_e32 vcc, s4, v5
	v_add_u32_e32 v4, s44, v4
	s_mov_b64 s[28:29], 0
	s_orn2_b64 s[8:9], vcc, exec
	s_branch .LBB13_188
.LBB13_193:                             ;   in Loop: Header=BB13_15 Depth=1
	s_or_b64 exec, exec, s[18:19]
	s_andn2_b64 s[8:9], s[16:17], exec
	s_and_b64 s[16:17], s[24:25], exec
	v_lshrrev_b32_sdwa v5, v37, v7 dst_sel:DWORD dst_unused:UNUSED_PAD src0_sel:DWORD src1_sel:WORD_0
	s_or_b64 s[16:17], s[8:9], s[16:17]
.LBB13_194:                             ;   in Loop: Header=BB13_15 Depth=1
	s_or_b64 exec, exec, s[14:15]
	s_mov_b64 s[48:49], 0
	s_mov_b64 s[14:15], -1
.LBB13_195:                             ;   in Loop: Header=BB13_15 Depth=1
	s_orn2_b64 s[8:9], s[16:17], exec
.LBB13_196:                             ;   in Loop: Header=BB13_15 Depth=1
	s_or_b64 exec, exec, s[2:3]
	s_mov_b64 s[2:3], 0
	s_and_saveexec_b64 s[16:17], s[8:9]
	s_cbranch_execz .LBB13_247
; %bb.197:                              ;   in Loop: Header=BB13_15 Depth=1
	s_xor_b64 s[12:13], s[12:13], -1
	s_mov_b64 s[8:9], 0
	v_mov_b32_e32 v4, 1
	v_mov_b32_e32 v1, 1
	s_and_saveexec_b64 s[2:3], s[12:13]
	s_cbranch_execz .LBB13_206
; %bb.198:                              ;   in Loop: Header=BB13_15 Depth=1
	v_cmp_ge_u32_e32 vcc, s50, v6
	s_and_saveexec_b64 s[8:9], vcc
	s_xor_b64 s[8:9], exec, s[8:9]
	s_cbranch_execz .LBB13_203
; %bb.199:                              ;   in Loop: Header=BB13_15 Depth=1
	v_and_b32_e32 v1, s38, v3
	v_lshl_or_b32 v3, 2, s10, v1
	ds_read_b32 v1, v23 offset:4096
	v_or_b32_e32 v2, s60, v2
	s_waitcnt lgkmcnt(0)
	v_cmp_ne_u32_e32 vcc, 0, v1
	s_cbranch_vccnz .LBB13_203
; %bb.200:                              ;   in Loop: Header=BB13_15 Depth=1
	s_mov_b64 s[12:13], exec
	v_readlane_b32 s18, v51, 7
	v_readlane_b32 s19, v51, 8
	s_and_b64 s[18:19], s[12:13], s[18:19]
	s_mov_b64 exec, s[18:19]
; %bb.201:                              ;   in Loop: Header=BB13_15 Depth=1
	v_mov_b32_e32 v1, s50
	ds_write_b32 v23, v1 offset:4100
; %bb.202:                              ;   in Loop: Header=BB13_15 Depth=1
	s_or_b64 exec, exec, s[12:13]
	s_waitcnt lgkmcnt(0)
	s_barrier
.LBB13_203:                             ;   in Loop: Header=BB13_15 Depth=1
	s_or_saveexec_b64 s[8:9], s[8:9]
	s_mov_b64 s[12:13], 0
	v_mov_b32_e32 v1, 8
	s_xor_b64 exec, exec, s[8:9]
; %bb.204:                              ;   in Loop: Header=BB13_15 Depth=1
	s_mov_b64 s[12:13], exec
	v_subrev_u32_e32 v6, s50, v6
	v_mov_b32_e32 v1, 0
; %bb.205:                              ;   in Loop: Header=BB13_15 Depth=1
	s_or_b64 exec, exec, s[8:9]
	s_and_b64 s[8:9], s[12:13], exec
	v_mov_b32_e32 v4, v6
.LBB13_206:                             ;   in Loop: Header=BB13_15 Depth=1
	s_or_b64 exec, exec, s[2:3]
	s_mov_b64 s[2:3], -1
                                        ; implicit-def: $sgpr28_sgpr29
                                        ; implicit-def: $sgpr52_sgpr53
	s_and_saveexec_b64 s[18:19], s[8:9]
	s_cbranch_execz .LBB13_246
; %bb.207:                              ;   in Loop: Header=BB13_15 Depth=1
	s_cmp_eq_u32 s51, 1
	s_cselect_b64 s[2:3], -1, 0
	v_cmp_eq_u32_e32 vcc, 1, v4
	s_mov_b64 s[8:9], -1
	s_and_b64 s[2:3], s[2:3], vcc
                                        ; implicit-def: $sgpr28_sgpr29
                                        ; implicit-def: $sgpr52_sgpr53
	s_mov_b64 s[56:57], exec
	v_writelane_b32 v51, s2, 50
	v_writelane_b32 v51, s3, 51
	s_and_b64 s[2:3], s[56:57], s[2:3]
	s_mov_b64 exec, s[2:3]
	s_cbranch_execz .LBB13_234
; %bb.208:                              ;   in Loop: Header=BB13_15 Depth=1
	ds_read_b32 v5, v23 offset:4096
	s_waitcnt lgkmcnt(0)
	s_barrier
	v_readfirstlane_b32 s28, v5
	s_mov_b64 s[2:3], exec
	v_readlane_b32 s8, v51, 21
	v_readlane_b32 s9, v51, 22
	s_and_b64 s[8:9], s[2:3], s[8:9]
	s_mov_b64 exec, s[8:9]
; %bb.209:                              ;   in Loop: Header=BB13_15 Depth=1
	ds_write_b8 v0, v23 offset:3072
; %bb.210:                              ;   in Loop: Header=BB13_15 Depth=1
	s_or_b64 exec, exec, s[2:3]
	v_or_b32_e32 v3, s60, v3
	v_or_b32_e32 v2, s60, v2
	s_mov_b64 s[52:53], -1
	s_cmp_eq_u32 s28, 0
	s_mov_b64 s[58:59], 0
	s_mov_b64 s[12:13], -1
	s_waitcnt lgkmcnt(0)
	s_barrier
                                        ; implicit-def: $vgpr5
	s_cbranch_scc1 .LBB13_221
; %bb.211:                              ;   in Loop: Header=BB13_15 Depth=1
	v_readlane_b32 s2, v51, 23
	s_add_i32 s2, s28, s2
	v_readlane_b32 s3, v51, 47
	s_mul_hi_u32 s3, s2, s3
	s_mul_i32 s3, s3, s42
	s_sub_i32 s3, s2, s3
	s_sub_i32 s8, s3, s42
	s_cmp_ge_u32 s3, s42
	s_cselect_b32 s3, s8, s3
	s_sub_i32 s8, s3, s42
	s_cmp_ge_u32 s3, s42
	s_cselect_b32 s3, s8, s3
	s_sub_i32 s29, s2, s3
	v_cmp_gt_u32_e32 vcc, s29, v0
	s_mov_b64 s[12:13], 0
                                        ; implicit-def: $vgpr5
	s_and_saveexec_b64 s[24:25], vcc
	s_cbranch_execz .LBB13_220
; %bb.212:                              ;   in Loop: Header=BB13_15 Depth=1
	v_mov_b32_e32 v5, v0
                                        ; implicit-def: $sgpr8_sgpr9
	s_branch .LBB13_215
.LBB13_213:                             ;   in Loop: Header=BB13_215 Depth=2
	s_or_b64 exec, exec, s[52:53]
	s_waitcnt lgkmcnt(0)
	s_barrier
	ds_read_u16 v6, v23 offset:3072
	s_mov_b64 s[52:53], -1
	s_waitcnt lgkmcnt(0)
	s_barrier
	v_cmp_ne_u32_sdwa s[2:3], v6, v23 src0_sel:BYTE_0 src1_sel:DWORD
	s_and_b64 vcc, exec, s[2:3]
	s_mov_b64 s[2:3], -1
	s_cbranch_vccz .LBB13_218
.LBB13_214:                             ;   in Loop: Header=BB13_215 Depth=2
	s_and_b64 s[52:53], exec, s[52:53]
	s_or_b64 s[58:59], s[52:53], s[58:59]
	s_andn2_b64 s[8:9], s[8:9], exec
	s_and_b64 s[2:3], s[2:3], exec
	s_or_b64 s[8:9], s[8:9], s[2:3]
	s_andn2_b64 exec, exec, s[58:59]
	s_cbranch_execz .LBB13_219
.LBB13_215:                             ;   Parent Loop BB13_15 Depth=1
                                        ; =>  This Inner Loop Header: Depth=2
	v_cmp_gt_u32_e32 vcc, s28, v5
	s_and_saveexec_b64 s[52:53], vcc
	s_cbranch_execz .LBB13_213
; %bb.216:                              ;   in Loop: Header=BB13_215 Depth=2
	ds_read_u8 v6, v5
	s_waitcnt lgkmcnt(0)
	v_and_b32_e32 v7, v6, v2
	v_cmp_eq_u32_sdwa s[2:3], v7, v3 src0_sel:BYTE_0 src1_sel:DWORD
	s_and_b64 exec, exec, s[2:3]
	s_cbranch_execz .LBB13_213
; %bb.217:                              ;   in Loop: Header=BB13_215 Depth=2
	v_lshlrev_b16_e32 v6, 8, v6
	v_or_b32_e32 v6, 1, v6
	ds_write_b16 v23, v6 offset:3072
	s_branch .LBB13_213
.LBB13_218:                             ;   in Loop: Header=BB13_215 Depth=2
	v_add_u32_e32 v5, s42, v5
	v_cmp_le_u32_e32 vcc, s29, v5
	s_mov_b64 s[2:3], 0
	s_orn2_b64 s[52:53], vcc, exec
	s_branch .LBB13_214
.LBB13_219:                             ;   in Loop: Header=BB13_15 Depth=1
	s_or_b64 exec, exec, s[58:59]
	v_lshrrev_b32_sdwa v5, v37, v6 dst_sel:DWORD dst_unused:UNUSED_PAD src0_sel:DWORD src1_sel:WORD_0
	s_and_b64 s[58:59], s[8:9], exec
	s_mov_b64 s[52:53], -1
.LBB13_220:                             ;   in Loop: Header=BB13_15 Depth=1
	s_or_b64 exec, exec, s[24:25]
.LBB13_221:                             ;   in Loop: Header=BB13_15 Depth=1
	s_and_b64 vcc, exec, s[12:13]
	s_cbranch_vccz .LBB13_230
; %bb.222:                              ;   in Loop: Header=BB13_15 Depth=1
                                        ; implicit-def: $vgpr5
	s_mov_b64 s[12:13], exec
	v_readlane_b32 s2, v51, 48
	v_readlane_b32 s3, v51, 49
	s_and_b64 s[2:3], s[12:13], s[2:3]
	s_mov_b64 exec, s[2:3]
	s_cbranch_execz .LBB13_232
; %bb.223:                              ;   in Loop: Header=BB13_15 Depth=1
	s_mov_b64 s[24:25], 0
	v_mov_b32_e32 v5, v22
	v_mov_b32_e32 v6, v0
                                        ; implicit-def: $sgpr28_sgpr29
	s_branch .LBB13_226
.LBB13_224:                             ;   in Loop: Header=BB13_226 Depth=2
	s_or_b64 exec, exec, s[8:9]
	s_waitcnt lgkmcnt(0)
	s_barrier
	ds_read_u16 v7, v23 offset:3072
	s_mov_b64 s[8:9], -1
	s_mov_b64 s[52:53], -1
	s_waitcnt lgkmcnt(0)
	s_barrier
	v_cmp_eq_u32_sdwa s[2:3], v7, v23 src0_sel:BYTE_0 src1_sel:DWORD
	s_and_b64 vcc, exec, s[2:3]
	s_cbranch_vccnz .LBB13_229
.LBB13_225:                             ;   in Loop: Header=BB13_226 Depth=2
	s_and_b64 s[2:3], exec, s[8:9]
	s_or_b64 s[24:25], s[2:3], s[24:25]
	s_andn2_b64 s[2:3], s[28:29], exec
	s_and_b64 s[8:9], s[52:53], exec
	s_or_b64 s[28:29], s[2:3], s[8:9]
	s_andn2_b64 exec, exec, s[24:25]
	s_cbranch_execz .LBB13_231
.LBB13_226:                             ;   Parent Loop BB13_15 Depth=1
                                        ; =>  This Inner Loop Header: Depth=2
	v_cmp_gt_u32_e32 vcc, s36, v6
	s_and_saveexec_b64 s[8:9], vcc
	s_cbranch_execz .LBB13_224
; %bb.227:                              ;   in Loop: Header=BB13_226 Depth=2
	global_load_ubyte v7, v5, s[40:41]
	s_waitcnt vmcnt(0)
	v_and_b32_e32 v8, v7, v2
	v_cmp_eq_u32_sdwa s[2:3], v8, v3 src0_sel:BYTE_0 src1_sel:DWORD
	s_and_b64 exec, exec, s[2:3]
	s_cbranch_execz .LBB13_224
; %bb.228:                              ;   in Loop: Header=BB13_226 Depth=2
	v_lshlrev_b16_e32 v7, 8, v7
	v_or_b32_e32 v7, 1, v7
	ds_write_b16 v23, v7 offset:3072
	s_branch .LBB13_224
.LBB13_229:                             ;   in Loop: Header=BB13_226 Depth=2
	v_add_u32_e32 v6, s42, v6
	v_cmp_le_u32_e32 vcc, s4, v6
	v_add_u32_e32 v5, s44, v5
	s_mov_b64 s[52:53], 0
	s_orn2_b64 s[8:9], vcc, exec
	s_branch .LBB13_225
.LBB13_230:                             ;   in Loop: Header=BB13_15 Depth=1
	s_mov_b64 s[28:29], 0
	s_branch .LBB13_233
.LBB13_231:                             ;   in Loop: Header=BB13_15 Depth=1
	s_or_b64 exec, exec, s[24:25]
	s_andn2_b64 s[2:3], s[58:59], exec
	s_and_b64 s[8:9], s[28:29], exec
	v_lshrrev_b32_sdwa v5, v37, v7 dst_sel:DWORD dst_unused:UNUSED_PAD src0_sel:DWORD src1_sel:WORD_0
	s_or_b64 s[58:59], s[2:3], s[8:9]
.LBB13_232:                             ;   in Loop: Header=BB13_15 Depth=1
	s_or_b64 exec, exec, s[12:13]
	s_mov_b64 s[52:53], 0
	s_mov_b64 s[28:29], -1
.LBB13_233:                             ;   in Loop: Header=BB13_15 Depth=1
	s_orn2_b64 s[8:9], s[58:59], exec
.LBB13_234:                             ;   in Loop: Header=BB13_15 Depth=1
	s_or_b64 exec, exec, s[56:57]
	s_mov_b64 s[24:25], 0
	s_and_saveexec_b64 s[56:57], s[8:9]
	s_cbranch_execz .LBB13_245
; %bb.235:                              ;   in Loop: Header=BB13_15 Depth=1
	v_readlane_b32 s2, v51, 50
	v_readlane_b32 s3, v51, 51
	s_xor_b64 s[8:9], s[2:3], -1
	v_mov_b32_e32 v1, 1
	v_mov_b32_e32 v6, 1
	s_and_saveexec_b64 s[2:3], s[8:9]
	s_cbranch_execz .LBB13_244
; %bb.236:                              ;   in Loop: Header=BB13_15 Depth=1
	v_cmp_ge_u32_e32 vcc, s51, v4
	s_and_saveexec_b64 s[8:9], vcc
	s_xor_b64 s[8:9], exec, s[8:9]
	s_cbranch_execz .LBB13_241
; %bb.237:                              ;   in Loop: Header=BB13_15 Depth=1
	ds_read_b32 v1, v23 offset:4096
	v_or_b32_e32 v3, s60, v3
	v_or_b32_e32 v2, s60, v2
	s_waitcnt lgkmcnt(0)
	v_cmp_ne_u32_e32 vcc, 0, v1
	s_cbranch_vccnz .LBB13_241
; %bb.238:                              ;   in Loop: Header=BB13_15 Depth=1
	s_mov_b64 s[24:25], exec
	v_readlane_b32 s12, v51, 7
	v_readlane_b32 s13, v51, 8
	s_and_b64 s[12:13], s[24:25], s[12:13]
	s_mov_b64 exec, s[12:13]
; %bb.239:                              ;   in Loop: Header=BB13_15 Depth=1
	v_mov_b32_e32 v1, s51
	ds_write_b32 v23, v1 offset:4100
; %bb.240:                              ;   in Loop: Header=BB13_15 Depth=1
	s_or_b64 exec, exec, s[24:25]
	s_waitcnt lgkmcnt(0)
	s_barrier
.LBB13_241:                             ;   in Loop: Header=BB13_15 Depth=1
	s_andn2_saveexec_b64 s[8:9], s[8:9]
; %bb.242:                              ;   in Loop: Header=BB13_15 Depth=1
	v_subrev_u32_e32 v4, s51, v4
; %bb.243:                              ;   in Loop: Header=BB13_15 Depth=1
	s_or_b64 exec, exec, s[8:9]
	v_mov_b32_e32 v1, 8
	v_mov_b32_e32 v6, v4
.LBB13_244:                             ;   in Loop: Header=BB13_15 Depth=1
	s_or_b64 exec, exec, s[2:3]
	s_mov_b64 s[24:25], exec
	v_mov_b32_e32 v4, v6
.LBB13_245:                             ;   in Loop: Header=BB13_15 Depth=1
	s_or_b64 exec, exec, s[56:57]
	s_orn2_b64 s[2:3], s[24:25], exec
.LBB13_246:                             ;   in Loop: Header=BB13_15 Depth=1
	s_or_b64 exec, exec, s[18:19]
	s_andn2_b64 s[8:9], s[14:15], exec
	s_and_b64 s[12:13], s[28:29], exec
	s_or_b64 s[14:15], s[8:9], s[12:13]
	s_andn2_b64 s[8:9], s[48:49], exec
	s_and_b64 s[12:13], s[52:53], exec
	s_or_b64 s[48:49], s[8:9], s[12:13]
	s_and_b64 s[2:3], s[2:3], exec
	v_mov_b32_e32 v6, v4
.LBB13_247:                             ;   in Loop: Header=BB13_15 Depth=1
	s_or_b64 exec, exec, s[16:17]
	s_orn2_b64 s[2:3], s[2:3], exec
.LBB13_248:                             ;   in Loop: Header=BB13_15 Depth=1
	s_or_b64 exec, exec, s[46:47]
	s_andn2_b64 s[8:9], s[84:85], exec
	s_and_b64 s[12:13], s[14:15], exec
	s_or_b64 s[84:85], s[8:9], s[12:13]
	s_andn2_b64 s[8:9], s[34:35], exec
	s_and_b64 s[12:13], s[48:49], exec
	s_or_b64 s[34:35], s[8:9], s[12:13]
	s_and_b64 s[2:3], s[2:3], exec
	v_mov_b32_e32 v4, v6
.LBB13_249:                             ;   in Loop: Header=BB13_15 Depth=1
	s_or_b64 exec, exec, s[94:95]
	s_orn2_b64 s[2:3], s[2:3], exec
.LBB13_250:                             ;   in Loop: Header=BB13_15 Depth=1
	s_or_b64 exec, exec, s[6:7]
	s_mov_b64 s[6:7], 0
	s_mov_b64 s[8:9], 0
	s_and_saveexec_b64 s[12:13], s[2:3]
	s_xor_b64 s[2:3], exec, s[12:13]
; %bb.251:                              ;   in Loop: Header=BB13_15 Depth=1
	v_cmp_eq_u32_e32 vcc, 8, v1
	v_cmp_ne_u32_e64 s[6:7], 8, v1
	s_and_b64 s[8:9], s[6:7], exec
	s_and_b64 s[6:7], vcc, exec
; %bb.252:                              ;   in Loop: Header=BB13_15 Depth=1
	s_or_b64 exec, exec, s[2:3]
	s_andn2_b64 s[2:3], s[88:89], exec
	s_and_b64 s[12:13], s[84:85], exec
	s_or_b64 s[88:89], s[2:3], s[12:13]
	s_andn2_b64 s[2:3], s[86:87], exec
	s_and_b64 s[12:13], s[34:35], exec
	s_or_b64 s[86:87], s[2:3], s[12:13]
	s_and_b64 s[34:35], s[8:9], exec
	s_and_b64 s[84:85], s[6:7], exec
.LBB13_253:                             ;   in Loop: Header=BB13_15 Depth=1
	s_or_b64 exec, exec, s[92:93]
.LBB13_254:                             ;   in Loop: Header=BB13_15 Depth=1
	s_and_b64 vcc, exec, s[90:91]
	s_cbranch_vccz .LBB13_267
; %bb.255:                              ;   in Loop: Header=BB13_15 Depth=1
	s_cmp_eq_u32 s51, 1
	s_cselect_b64 s[2:3], -1, 0
	s_and_b64 s[6:7], s[2:3], s[26:27]
	s_mov_b64 s[8:9], -1
                                        ; implicit-def: $sgpr26_sgpr27
                                        ; implicit-def: $sgpr30_sgpr31
	s_and_saveexec_b64 s[2:3], s[6:7]
	s_cbranch_execz .LBB13_282
; %bb.256:                              ;   in Loop: Header=BB13_15 Depth=1
	ds_read_b32 v1, v23 offset:4096
	s_waitcnt lgkmcnt(0)
	s_barrier
	v_readfirstlane_b32 s28, v1
	s_mov_b64 s[8:9], exec
	v_readlane_b32 s12, v51, 21
	v_readlane_b32 s13, v51, 22
	s_and_b64 s[12:13], s[8:9], s[12:13]
	s_mov_b64 exec, s[12:13]
; %bb.257:                              ;   in Loop: Header=BB13_15 Depth=1
	ds_write_b8 v0, v23 offset:3072
; %bb.258:                              ;   in Loop: Header=BB13_15 Depth=1
	s_or_b64 exec, exec, s[8:9]
	v_or_b32_e32 v30, s60, v30
	v_or_b32_e32 v38, s60, v38
	s_mov_b64 s[30:31], -1
	s_mov_b64 s[26:27], 0
	s_cmp_eq_u32 s28, 0
	s_mov_b64 s[12:13], 0
	s_mov_b64 s[14:15], -1
	s_waitcnt lgkmcnt(0)
	s_barrier
                                        ; implicit-def: $vgpr39
	s_cbranch_scc1 .LBB13_270
; %bb.259:                              ;   in Loop: Header=BB13_15 Depth=1
	v_readlane_b32 s8, v51, 23
	s_add_i32 s8, s28, s8
	v_readlane_b32 s9, v51, 47
	s_mul_hi_u32 s9, s8, s9
	s_mul_i32 s9, s9, s42
	s_sub_i32 s9, s8, s9
	s_sub_i32 s12, s9, s42
	s_cmp_ge_u32 s9, s42
	s_cselect_b32 s9, s12, s9
	s_sub_i32 s12, s9, s42
	s_cmp_ge_u32 s9, s42
	s_cselect_b32 s9, s12, s9
	s_sub_i32 s29, s8, s9
	v_cmp_gt_u32_e32 vcc, s29, v0
	s_mov_b64 s[14:15], 0
	s_mov_b64 s[12:13], 0
                                        ; implicit-def: $vgpr39
	s_and_saveexec_b64 s[16:17], vcc
	s_cbranch_execz .LBB13_269
; %bb.260:                              ;   in Loop: Header=BB13_15 Depth=1
	v_mov_b32_e32 v1, v0
                                        ; implicit-def: $sgpr18_sgpr19
	s_branch .LBB13_263
.LBB13_261:                             ;   in Loop: Header=BB13_263 Depth=2
	s_or_b64 exec, exec, s[8:9]
	s_waitcnt lgkmcnt(0)
	s_barrier
	ds_read_u16 v2, v23 offset:3072
	s_mov_b64 s[8:9], -1
	s_waitcnt lgkmcnt(0)
	s_barrier
	v_cmp_ne_u32_sdwa s[24:25], v2, v23 src0_sel:BYTE_0 src1_sel:DWORD
	s_and_b64 vcc, exec, s[24:25]
	s_mov_b64 s[24:25], -1
	s_cbranch_vccz .LBB13_266
.LBB13_262:                             ;   in Loop: Header=BB13_263 Depth=2
	s_and_b64 s[8:9], exec, s[8:9]
	s_or_b64 s[12:13], s[8:9], s[12:13]
	s_andn2_b64 s[8:9], s[18:19], exec
	s_and_b64 s[18:19], s[24:25], exec
	s_or_b64 s[18:19], s[8:9], s[18:19]
	s_andn2_b64 exec, exec, s[12:13]
	s_cbranch_execz .LBB13_268
.LBB13_263:                             ;   Parent Loop BB13_15 Depth=1
                                        ; =>  This Inner Loop Header: Depth=2
	v_cmp_gt_u32_e32 vcc, s28, v1
	s_and_saveexec_b64 s[8:9], vcc
	s_cbranch_execz .LBB13_261
; %bb.264:                              ;   in Loop: Header=BB13_263 Depth=2
	ds_read_u8 v2, v1
	s_waitcnt lgkmcnt(0)
	v_and_b32_e32 v3, v2, v38
	v_cmp_eq_u32_sdwa s[24:25], v3, v30 src0_sel:BYTE_0 src1_sel:DWORD
	s_and_b64 exec, exec, s[24:25]
	s_cbranch_execz .LBB13_261
; %bb.265:                              ;   in Loop: Header=BB13_263 Depth=2
	v_lshlrev_b16_e32 v2, 8, v2
	v_or_b32_e32 v2, 1, v2
	ds_write_b16 v23, v2 offset:3072
	s_branch .LBB13_261
.LBB13_266:                             ;   in Loop: Header=BB13_263 Depth=2
	v_add_u32_e32 v1, s42, v1
	v_cmp_le_u32_e32 vcc, s29, v1
	s_mov_b64 s[24:25], 0
	s_orn2_b64 s[8:9], vcc, exec
	s_branch .LBB13_262
.LBB13_267:                             ;   in Loop: Header=BB13_15 Depth=1
	s_mov_b64 s[26:27], 0
	v_mov_b32_e32 v30, v3
	v_mov_b32_e32 v38, v2
	;; [unrolled: 1-line block ×3, first 2 shown]
	s_and_saveexec_b64 s[2:3], s[84:85]
	s_cbranch_execnz .LBB13_413
	s_branch .LBB13_414
.LBB13_268:                             ;   in Loop: Header=BB13_15 Depth=1
	s_or_b64 exec, exec, s[12:13]
	v_lshrrev_b32_sdwa v39, v37, v2 dst_sel:DWORD dst_unused:UNUSED_PAD src0_sel:DWORD src1_sel:WORD_0
	s_and_b64 s[12:13], s[18:19], exec
.LBB13_269:                             ;   in Loop: Header=BB13_15 Depth=1
	s_or_b64 exec, exec, s[16:17]
.LBB13_270:                             ;   in Loop: Header=BB13_15 Depth=1
	s_and_b64 vcc, exec, s[14:15]
	s_cbranch_vccz .LBB13_281
; %bb.271:                              ;   in Loop: Header=BB13_15 Depth=1
                                        ; implicit-def: $vgpr39
	s_mov_b64 s[14:15], exec
	v_readlane_b32 s8, v51, 48
	v_readlane_b32 s9, v51, 49
	s_and_b64 s[8:9], s[14:15], s[8:9]
	s_mov_b64 exec, s[8:9]
	s_cbranch_execz .LBB13_280
; %bb.272:                              ;   in Loop: Header=BB13_15 Depth=1
	s_mov_b64 s[16:17], 0
	v_mov_b32_e32 v1, v22
	v_mov_b32_e32 v2, v0
                                        ; implicit-def: $sgpr18_sgpr19
	s_branch .LBB13_275
.LBB13_273:                             ;   in Loop: Header=BB13_275 Depth=2
	s_or_b64 exec, exec, s[8:9]
	s_waitcnt lgkmcnt(0)
	s_barrier
	ds_read_u16 v3, v23 offset:3072
	s_mov_b64 s[8:9], -1
	s_waitcnt lgkmcnt(0)
	s_barrier
	v_cmp_ne_u32_sdwa s[24:25], v3, v23 src0_sel:BYTE_0 src1_sel:DWORD
	s_and_b64 vcc, exec, s[24:25]
	s_mov_b64 s[24:25], -1
	s_cbranch_vccz .LBB13_278
.LBB13_274:                             ;   in Loop: Header=BB13_275 Depth=2
	s_and_b64 s[8:9], exec, s[8:9]
	s_or_b64 s[16:17], s[8:9], s[16:17]
	s_andn2_b64 s[8:9], s[18:19], exec
	s_and_b64 s[18:19], s[24:25], exec
	s_or_b64 s[18:19], s[8:9], s[18:19]
	s_andn2_b64 exec, exec, s[16:17]
	s_cbranch_execz .LBB13_279
.LBB13_275:                             ;   Parent Loop BB13_15 Depth=1
                                        ; =>  This Inner Loop Header: Depth=2
	v_cmp_gt_u32_e32 vcc, s36, v2
	s_and_saveexec_b64 s[8:9], vcc
	s_cbranch_execz .LBB13_273
; %bb.276:                              ;   in Loop: Header=BB13_275 Depth=2
	global_load_ubyte v3, v1, s[40:41]
	s_waitcnt vmcnt(0)
	v_and_b32_e32 v4, v3, v38
	v_cmp_eq_u32_sdwa s[24:25], v4, v30 src0_sel:BYTE_0 src1_sel:DWORD
	s_and_b64 exec, exec, s[24:25]
	s_cbranch_execz .LBB13_273
; %bb.277:                              ;   in Loop: Header=BB13_275 Depth=2
	v_lshlrev_b16_e32 v3, 8, v3
	v_or_b32_e32 v3, 1, v3
	ds_write_b16 v23, v3 offset:3072
	s_branch .LBB13_273
.LBB13_278:                             ;   in Loop: Header=BB13_275 Depth=2
	v_add_u32_e32 v2, s42, v2
	v_cmp_le_u32_e32 vcc, s4, v2
	v_add_u32_e32 v1, s44, v1
	s_mov_b64 s[24:25], 0
	s_orn2_b64 s[8:9], vcc, exec
	s_branch .LBB13_274
.LBB13_279:                             ;   in Loop: Header=BB13_15 Depth=1
	s_or_b64 exec, exec, s[16:17]
	s_andn2_b64 s[8:9], s[12:13], exec
	s_and_b64 s[12:13], s[18:19], exec
	v_lshrrev_b32_sdwa v39, v37, v3 dst_sel:DWORD dst_unused:UNUSED_PAD src0_sel:DWORD src1_sel:WORD_0
	s_or_b64 s[12:13], s[8:9], s[12:13]
.LBB13_280:                             ;   in Loop: Header=BB13_15 Depth=1
	s_or_b64 exec, exec, s[14:15]
	s_mov_b64 s[30:31], 0
	s_mov_b64 s[26:27], -1
.LBB13_281:                             ;   in Loop: Header=BB13_15 Depth=1
	s_orn2_b64 s[8:9], s[12:13], exec
.LBB13_282:                             ;   in Loop: Header=BB13_15 Depth=1
	s_or_b64 exec, exec, s[2:3]
                                        ; implicit-def: $vgpr4
                                        ; implicit-def: $vgpr1
	s_and_saveexec_b64 s[86:87], s[8:9]
	s_cbranch_execz .LBB13_412
; %bb.283:                              ;   in Loop: Header=BB13_15 Depth=1
	s_xor_b64 s[8:9], s[6:7], -1
	s_mov_b64 s[6:7], 0
	v_mov_b32_e32 v4, 1
	v_mov_b32_e32 v1, 1
	s_and_saveexec_b64 s[2:3], s[8:9]
	s_cbranch_execz .LBB13_292
; %bb.284:                              ;   in Loop: Header=BB13_15 Depth=1
	v_cmp_ge_u32_e32 vcc, s51, v40
	s_and_saveexec_b64 s[6:7], vcc
	s_xor_b64 s[6:7], exec, s[6:7]
	s_cbranch_execz .LBB13_289
; %bb.285:                              ;   in Loop: Header=BB13_15 Depth=1
	ds_read_b32 v1, v23 offset:4096
	v_or_b32_e32 v30, s60, v30
	v_or_b32_e32 v38, s60, v38
	s_waitcnt lgkmcnt(0)
	v_cmp_ne_u32_e32 vcc, 0, v1
	s_cbranch_vccnz .LBB13_289
; %bb.286:                              ;   in Loop: Header=BB13_15 Depth=1
	s_mov_b64 s[8:9], exec
	v_readlane_b32 s12, v51, 7
	v_readlane_b32 s13, v51, 8
	s_and_b64 s[12:13], s[8:9], s[12:13]
	s_mov_b64 exec, s[12:13]
; %bb.287:                              ;   in Loop: Header=BB13_15 Depth=1
	v_mov_b32_e32 v1, s51
	ds_write_b32 v23, v1 offset:4100
; %bb.288:                              ;   in Loop: Header=BB13_15 Depth=1
	s_or_b64 exec, exec, s[8:9]
	s_waitcnt lgkmcnt(0)
	s_barrier
.LBB13_289:                             ;   in Loop: Header=BB13_15 Depth=1
	s_or_saveexec_b64 s[6:7], s[6:7]
	s_mov_b64 s[8:9], 0
	v_mov_b32_e32 v1, 5
	s_xor_b64 exec, exec, s[6:7]
; %bb.290:                              ;   in Loop: Header=BB13_15 Depth=1
	v_subrev_u32_e32 v40, s51, v40
	v_mov_b32_e32 v1, 0
	s_mov_b64 s[8:9], exec
; %bb.291:                              ;   in Loop: Header=BB13_15 Depth=1
	s_or_b64 exec, exec, s[6:7]
	s_and_b64 s[6:7], s[8:9], exec
	v_mov_b32_e32 v4, v40
.LBB13_292:                             ;   in Loop: Header=BB13_15 Depth=1
	s_or_b64 exec, exec, s[2:3]
	s_mov_b64 s[2:3], -1
                                        ; implicit-def: $sgpr88_sgpr89
                                        ; implicit-def: $sgpr90_sgpr91
	s_and_saveexec_b64 s[8:9], s[6:7]
	s_xor_b64 s[6:7], exec, s[8:9]
	s_cbranch_execz .LBB13_409
; %bb.293:                              ;   in Loop: Header=BB13_15 Depth=1
	s_cmp_eq_u32 s50, 1
	s_cselect_b64 s[2:3], -1, 0
	v_cmp_eq_u32_e32 vcc, 1, v4
	s_and_b64 s[12:13], s[2:3], vcc
	s_mov_b64 s[8:9], -1
                                        ; implicit-def: $sgpr90_sgpr91
                                        ; implicit-def: $sgpr88_sgpr89
	s_and_saveexec_b64 s[2:3], s[12:13]
	s_cbranch_execz .LBB13_319
; %bb.294:                              ;   in Loop: Header=BB13_15 Depth=1
	ds_read_b32 v2, v23 offset:4096
	s_waitcnt lgkmcnt(0)
	s_barrier
	v_readfirstlane_b32 s46, v2
	s_mov_b64 s[8:9], exec
	v_readlane_b32 s14, v51, 21
	v_readlane_b32 s15, v51, 22
	s_and_b64 s[14:15], s[8:9], s[14:15]
	s_mov_b64 exec, s[14:15]
; %bb.295:                              ;   in Loop: Header=BB13_15 Depth=1
	ds_write_b8 v0, v23 offset:3072
; %bb.296:                              ;   in Loop: Header=BB13_15 Depth=1
	s_or_b64 exec, exec, s[8:9]
	v_and_b32_e32 v2, s38, v30
	v_lshl_or_b32 v30, 2, s10, v2
	v_or_b32_e32 v38, s60, v38
	s_mov_b64 s[88:89], -1
	s_mov_b64 s[90:91], 0
	s_cmp_eq_u32 s46, 0
	s_mov_b64 s[14:15], 0
	s_mov_b64 s[16:17], -1
	s_waitcnt lgkmcnt(0)
	s_barrier
                                        ; implicit-def: $vgpr39
	s_cbranch_scc1 .LBB13_307
; %bb.297:                              ;   in Loop: Header=BB13_15 Depth=1
	v_readlane_b32 s8, v51, 23
	s_add_i32 s8, s46, s8
	v_readlane_b32 s9, v51, 47
	s_mul_hi_u32 s9, s8, s9
	s_mul_i32 s9, s9, s42
	s_sub_i32 s9, s8, s9
	s_sub_i32 s14, s9, s42
	s_cmp_ge_u32 s9, s42
	s_cselect_b32 s9, s14, s9
	s_sub_i32 s14, s9, s42
	s_cmp_ge_u32 s9, s42
	s_cselect_b32 s9, s14, s9
	s_sub_i32 s47, s8, s9
	v_cmp_gt_u32_e32 vcc, s47, v0
	s_mov_b64 s[16:17], 0
	s_mov_b64 s[14:15], 0
                                        ; implicit-def: $vgpr39
	s_and_saveexec_b64 s[18:19], vcc
	s_cbranch_execz .LBB13_306
; %bb.298:                              ;   in Loop: Header=BB13_15 Depth=1
	v_mov_b32_e32 v2, v0
                                        ; implicit-def: $sgpr24_sgpr25
	s_branch .LBB13_301
.LBB13_299:                             ;   in Loop: Header=BB13_301 Depth=2
	s_or_b64 exec, exec, s[8:9]
	s_waitcnt lgkmcnt(0)
	s_barrier
	ds_read_u16 v3, v23 offset:3072
	s_mov_b64 s[8:9], -1
	s_waitcnt lgkmcnt(0)
	s_barrier
	v_cmp_ne_u32_sdwa s[28:29], v3, v23 src0_sel:BYTE_0 src1_sel:DWORD
	s_and_b64 vcc, exec, s[28:29]
	s_mov_b64 s[28:29], -1
	s_cbranch_vccz .LBB13_304
.LBB13_300:                             ;   in Loop: Header=BB13_301 Depth=2
	s_and_b64 s[8:9], exec, s[8:9]
	s_or_b64 s[14:15], s[8:9], s[14:15]
	s_andn2_b64 s[8:9], s[24:25], exec
	s_and_b64 s[24:25], s[28:29], exec
	s_or_b64 s[24:25], s[8:9], s[24:25]
	s_andn2_b64 exec, exec, s[14:15]
	s_cbranch_execz .LBB13_305
.LBB13_301:                             ;   Parent Loop BB13_15 Depth=1
                                        ; =>  This Inner Loop Header: Depth=2
	v_cmp_gt_u32_e32 vcc, s46, v2
	s_and_saveexec_b64 s[8:9], vcc
	s_cbranch_execz .LBB13_299
; %bb.302:                              ;   in Loop: Header=BB13_301 Depth=2
	ds_read_u8 v3, v2
	s_waitcnt lgkmcnt(0)
	v_and_b32_e32 v5, v3, v38
	v_cmp_eq_u32_sdwa s[28:29], v5, v30 src0_sel:BYTE_0 src1_sel:DWORD
	s_and_b64 exec, exec, s[28:29]
	s_cbranch_execz .LBB13_299
; %bb.303:                              ;   in Loop: Header=BB13_301 Depth=2
	v_lshlrev_b16_e32 v3, 8, v3
	v_or_b32_e32 v3, 1, v3
	ds_write_b16 v23, v3 offset:3072
	s_branch .LBB13_299
.LBB13_304:                             ;   in Loop: Header=BB13_301 Depth=2
	v_add_u32_e32 v2, s42, v2
	v_cmp_le_u32_e32 vcc, s47, v2
	s_mov_b64 s[28:29], 0
	s_orn2_b64 s[8:9], vcc, exec
	s_branch .LBB13_300
.LBB13_305:                             ;   in Loop: Header=BB13_15 Depth=1
	s_or_b64 exec, exec, s[14:15]
	v_lshrrev_b32_sdwa v39, v37, v3 dst_sel:DWORD dst_unused:UNUSED_PAD src0_sel:DWORD src1_sel:WORD_0
	s_and_b64 s[14:15], s[24:25], exec
.LBB13_306:                             ;   in Loop: Header=BB13_15 Depth=1
	s_or_b64 exec, exec, s[18:19]
.LBB13_307:                             ;   in Loop: Header=BB13_15 Depth=1
	s_and_b64 vcc, exec, s[16:17]
	s_cbranch_vccz .LBB13_318
; %bb.308:                              ;   in Loop: Header=BB13_15 Depth=1
                                        ; implicit-def: $vgpr39
	s_mov_b64 s[16:17], exec
	v_readlane_b32 s8, v51, 48
	v_readlane_b32 s9, v51, 49
	s_and_b64 s[8:9], s[16:17], s[8:9]
	s_mov_b64 exec, s[8:9]
	s_cbranch_execz .LBB13_317
; %bb.309:                              ;   in Loop: Header=BB13_15 Depth=1
	s_mov_b64 s[18:19], 0
	v_mov_b32_e32 v2, v22
	v_mov_b32_e32 v3, v0
                                        ; implicit-def: $sgpr24_sgpr25
	s_branch .LBB13_312
.LBB13_310:                             ;   in Loop: Header=BB13_312 Depth=2
	s_or_b64 exec, exec, s[8:9]
	s_waitcnt lgkmcnt(0)
	s_barrier
	ds_read_u16 v5, v23 offset:3072
	s_mov_b64 s[8:9], -1
	s_waitcnt lgkmcnt(0)
	s_barrier
	v_cmp_eq_u32_sdwa s[28:29], v5, v23 src0_sel:BYTE_0 src1_sel:DWORD
	s_and_b64 vcc, exec, s[28:29]
	s_mov_b64 s[28:29], -1
	s_cbranch_vccnz .LBB13_315
.LBB13_311:                             ;   in Loop: Header=BB13_312 Depth=2
	s_and_b64 s[8:9], exec, s[8:9]
	s_or_b64 s[18:19], s[8:9], s[18:19]
	s_andn2_b64 s[8:9], s[24:25], exec
	s_and_b64 s[24:25], s[28:29], exec
	s_or_b64 s[24:25], s[8:9], s[24:25]
	s_andn2_b64 exec, exec, s[18:19]
	s_cbranch_execz .LBB13_316
.LBB13_312:                             ;   Parent Loop BB13_15 Depth=1
                                        ; =>  This Inner Loop Header: Depth=2
	v_cmp_gt_u32_e32 vcc, s36, v3
	s_and_saveexec_b64 s[8:9], vcc
	s_cbranch_execz .LBB13_310
; %bb.313:                              ;   in Loop: Header=BB13_312 Depth=2
	global_load_ubyte v5, v2, s[40:41]
	s_waitcnt vmcnt(0)
	v_and_b32_e32 v6, v5, v38
	v_cmp_eq_u32_sdwa s[28:29], v6, v30 src0_sel:BYTE_0 src1_sel:DWORD
	s_and_b64 exec, exec, s[28:29]
	s_cbranch_execz .LBB13_310
; %bb.314:                              ;   in Loop: Header=BB13_312 Depth=2
	v_lshlrev_b16_e32 v5, 8, v5
	v_or_b32_e32 v5, 1, v5
	ds_write_b16 v23, v5 offset:3072
	s_branch .LBB13_310
.LBB13_315:                             ;   in Loop: Header=BB13_312 Depth=2
	v_add_u32_e32 v3, s42, v3
	v_cmp_le_u32_e32 vcc, s4, v3
	v_add_u32_e32 v2, s44, v2
	s_mov_b64 s[28:29], 0
	s_orn2_b64 s[8:9], vcc, exec
	s_branch .LBB13_311
.LBB13_316:                             ;   in Loop: Header=BB13_15 Depth=1
	s_or_b64 exec, exec, s[18:19]
	s_andn2_b64 s[8:9], s[14:15], exec
	s_and_b64 s[14:15], s[24:25], exec
	v_lshrrev_b32_sdwa v39, v37, v5 dst_sel:DWORD dst_unused:UNUSED_PAD src0_sel:DWORD src1_sel:WORD_0
	s_or_b64 s[14:15], s[8:9], s[14:15]
.LBB13_317:                             ;   in Loop: Header=BB13_15 Depth=1
	s_or_b64 exec, exec, s[16:17]
	s_mov_b64 s[88:89], 0
	s_mov_b64 s[90:91], -1
.LBB13_318:                             ;   in Loop: Header=BB13_15 Depth=1
	s_orn2_b64 s[8:9], s[14:15], exec
.LBB13_319:                             ;   in Loop: Header=BB13_15 Depth=1
	s_or_b64 exec, exec, s[2:3]
	s_mov_b64 s[2:3], 0
	s_and_saveexec_b64 s[92:93], s[8:9]
	s_cbranch_execz .LBB13_408
; %bb.320:                              ;   in Loop: Header=BB13_15 Depth=1
	s_xor_b64 s[12:13], s[12:13], -1
	s_mov_b64 s[8:9], 0
	v_mov_b32_e32 v2, 1
	v_mov_b32_e32 v1, 1
	s_and_saveexec_b64 s[2:3], s[12:13]
	s_cbranch_execz .LBB13_329
; %bb.321:                              ;   in Loop: Header=BB13_15 Depth=1
	v_cmp_ge_u32_e32 vcc, s50, v4
	s_and_saveexec_b64 s[8:9], vcc
	s_xor_b64 s[8:9], exec, s[8:9]
	s_cbranch_execz .LBB13_326
; %bb.322:                              ;   in Loop: Header=BB13_15 Depth=1
	v_and_b32_e32 v1, s38, v30
	v_lshl_or_b32 v30, 2, s10, v1
	ds_read_b32 v1, v23 offset:4096
	v_or_b32_e32 v38, s60, v38
	s_waitcnt lgkmcnt(0)
	v_cmp_ne_u32_e32 vcc, 0, v1
	s_cbranch_vccnz .LBB13_326
; %bb.323:                              ;   in Loop: Header=BB13_15 Depth=1
	s_mov_b64 s[12:13], exec
	v_readlane_b32 s14, v51, 7
	v_readlane_b32 s15, v51, 8
	s_and_b64 s[14:15], s[12:13], s[14:15]
	s_mov_b64 exec, s[14:15]
; %bb.324:                              ;   in Loop: Header=BB13_15 Depth=1
	v_mov_b32_e32 v1, s50
	ds_write_b32 v23, v1 offset:4100
; %bb.325:                              ;   in Loop: Header=BB13_15 Depth=1
	s_or_b64 exec, exec, s[12:13]
	s_waitcnt lgkmcnt(0)
	s_barrier
.LBB13_326:                             ;   in Loop: Header=BB13_15 Depth=1
	s_or_saveexec_b64 s[8:9], s[8:9]
	s_mov_b64 s[12:13], 0
	v_mov_b32_e32 v1, 5
	s_xor_b64 exec, exec, s[8:9]
; %bb.327:                              ;   in Loop: Header=BB13_15 Depth=1
	v_subrev_u32_e32 v4, s50, v4
	v_mov_b32_e32 v1, 0
	s_mov_b64 s[12:13], exec
; %bb.328:                              ;   in Loop: Header=BB13_15 Depth=1
	s_or_b64 exec, exec, s[8:9]
	s_and_b64 s[8:9], s[12:13], exec
	v_mov_b32_e32 v2, v4
.LBB13_329:                             ;   in Loop: Header=BB13_15 Depth=1
	s_or_b64 exec, exec, s[2:3]
	s_mov_b64 s[2:3], -1
                                        ; implicit-def: $sgpr46_sgpr47
                                        ; implicit-def: $sgpr48_sgpr49
	s_and_saveexec_b64 s[94:95], s[8:9]
	s_cbranch_execz .LBB13_407
; %bb.330:                              ;   in Loop: Header=BB13_15 Depth=1
	s_cmp_eq_u32 s39, 1
	s_cselect_b64 s[2:3], -1, 0
	v_cmp_eq_u32_e32 vcc, 1, v2
	s_and_b64 s[12:13], s[2:3], vcc
	s_mov_b64 s[8:9], -1
                                        ; implicit-def: $sgpr48_sgpr49
                                        ; implicit-def: $sgpr46_sgpr47
	s_and_saveexec_b64 s[2:3], s[12:13]
	s_cbranch_execz .LBB13_356
; %bb.331:                              ;   in Loop: Header=BB13_15 Depth=1
	ds_read_b32 v3, v23 offset:4096
	s_waitcnt lgkmcnt(0)
	s_barrier
	v_readfirstlane_b32 s50, v3
	s_mov_b64 s[8:9], exec
	v_readlane_b32 s14, v51, 21
	v_readlane_b32 s15, v51, 22
	s_and_b64 s[14:15], s[8:9], s[14:15]
	s_mov_b64 exec, s[14:15]
; %bb.332:                              ;   in Loop: Header=BB13_15 Depth=1
	ds_write_b8 v0, v23 offset:3072
; %bb.333:                              ;   in Loop: Header=BB13_15 Depth=1
	s_or_b64 exec, exec, s[8:9]
	v_and_b32_e32 v3, s38, v30
	v_lshl_or_b32 v30, 1, s10, v3
	v_or_b32_e32 v38, s60, v38
	s_mov_b64 s[46:47], -1
	s_mov_b64 s[48:49], 0
	s_cmp_eq_u32 s50, 0
	s_mov_b64 s[14:15], 0
	s_mov_b64 s[16:17], -1
	s_waitcnt lgkmcnt(0)
	s_barrier
                                        ; implicit-def: $vgpr39
	s_cbranch_scc1 .LBB13_344
; %bb.334:                              ;   in Loop: Header=BB13_15 Depth=1
	v_readlane_b32 s8, v51, 23
	s_add_i32 s8, s50, s8
	v_readlane_b32 s9, v51, 47
	s_mul_hi_u32 s9, s8, s9
	s_mul_i32 s9, s9, s42
	s_sub_i32 s9, s8, s9
	s_sub_i32 s14, s9, s42
	s_cmp_ge_u32 s9, s42
	s_cselect_b32 s9, s14, s9
	s_sub_i32 s14, s9, s42
	s_cmp_ge_u32 s9, s42
	s_cselect_b32 s9, s14, s9
	s_sub_i32 s51, s8, s9
	v_cmp_gt_u32_e32 vcc, s51, v0
	s_mov_b64 s[16:17], 0
	s_mov_b64 s[14:15], 0
                                        ; implicit-def: $vgpr39
	s_and_saveexec_b64 s[18:19], vcc
	s_cbranch_execz .LBB13_343
; %bb.335:                              ;   in Loop: Header=BB13_15 Depth=1
	v_mov_b32_e32 v3, v0
                                        ; implicit-def: $sgpr24_sgpr25
	s_branch .LBB13_338
.LBB13_336:                             ;   in Loop: Header=BB13_338 Depth=2
	s_or_b64 exec, exec, s[8:9]
	s_waitcnt lgkmcnt(0)
	s_barrier
	ds_read_u16 v4, v23 offset:3072
	s_mov_b64 s[8:9], -1
	s_waitcnt lgkmcnt(0)
	s_barrier
	v_cmp_ne_u32_sdwa s[28:29], v4, v23 src0_sel:BYTE_0 src1_sel:DWORD
	s_and_b64 vcc, exec, s[28:29]
	s_mov_b64 s[28:29], -1
	s_cbranch_vccz .LBB13_341
.LBB13_337:                             ;   in Loop: Header=BB13_338 Depth=2
	s_and_b64 s[8:9], exec, s[8:9]
	s_or_b64 s[14:15], s[8:9], s[14:15]
	s_andn2_b64 s[8:9], s[24:25], exec
	s_and_b64 s[24:25], s[28:29], exec
	s_or_b64 s[24:25], s[8:9], s[24:25]
	s_andn2_b64 exec, exec, s[14:15]
	s_cbranch_execz .LBB13_342
.LBB13_338:                             ;   Parent Loop BB13_15 Depth=1
                                        ; =>  This Inner Loop Header: Depth=2
	v_cmp_gt_u32_e32 vcc, s50, v3
	s_and_saveexec_b64 s[8:9], vcc
	s_cbranch_execz .LBB13_336
; %bb.339:                              ;   in Loop: Header=BB13_338 Depth=2
	ds_read_u8 v4, v3
	s_waitcnt lgkmcnt(0)
	v_and_b32_e32 v5, v4, v38
	v_cmp_eq_u32_sdwa s[28:29], v5, v30 src0_sel:BYTE_0 src1_sel:DWORD
	s_and_b64 exec, exec, s[28:29]
	s_cbranch_execz .LBB13_336
; %bb.340:                              ;   in Loop: Header=BB13_338 Depth=2
	v_lshlrev_b16_e32 v4, 8, v4
	v_or_b32_e32 v4, 1, v4
	ds_write_b16 v23, v4 offset:3072
	s_branch .LBB13_336
.LBB13_341:                             ;   in Loop: Header=BB13_338 Depth=2
	v_add_u32_e32 v3, s42, v3
	v_cmp_le_u32_e32 vcc, s51, v3
	s_mov_b64 s[28:29], 0
	s_orn2_b64 s[8:9], vcc, exec
	s_branch .LBB13_337
.LBB13_342:                             ;   in Loop: Header=BB13_15 Depth=1
	s_or_b64 exec, exec, s[14:15]
	v_lshrrev_b32_sdwa v39, v37, v4 dst_sel:DWORD dst_unused:UNUSED_PAD src0_sel:DWORD src1_sel:WORD_0
	s_and_b64 s[14:15], s[24:25], exec
.LBB13_343:                             ;   in Loop: Header=BB13_15 Depth=1
	s_or_b64 exec, exec, s[18:19]
.LBB13_344:                             ;   in Loop: Header=BB13_15 Depth=1
	s_and_b64 vcc, exec, s[16:17]
	s_cbranch_vccz .LBB13_355
; %bb.345:                              ;   in Loop: Header=BB13_15 Depth=1
                                        ; implicit-def: $vgpr39
	s_mov_b64 s[16:17], exec
	v_readlane_b32 s8, v51, 48
	v_readlane_b32 s9, v51, 49
	s_and_b64 s[8:9], s[16:17], s[8:9]
	s_mov_b64 exec, s[8:9]
	s_cbranch_execz .LBB13_354
; %bb.346:                              ;   in Loop: Header=BB13_15 Depth=1
	s_mov_b64 s[18:19], 0
	v_mov_b32_e32 v3, v22
	v_mov_b32_e32 v4, v0
                                        ; implicit-def: $sgpr24_sgpr25
	s_branch .LBB13_349
.LBB13_347:                             ;   in Loop: Header=BB13_349 Depth=2
	s_or_b64 exec, exec, s[8:9]
	s_waitcnt lgkmcnt(0)
	s_barrier
	ds_read_u16 v5, v23 offset:3072
	s_mov_b64 s[8:9], -1
	s_waitcnt lgkmcnt(0)
	s_barrier
	v_cmp_eq_u32_sdwa s[28:29], v5, v23 src0_sel:BYTE_0 src1_sel:DWORD
	s_and_b64 vcc, exec, s[28:29]
	s_mov_b64 s[28:29], -1
	s_cbranch_vccnz .LBB13_352
.LBB13_348:                             ;   in Loop: Header=BB13_349 Depth=2
	s_and_b64 s[8:9], exec, s[8:9]
	s_or_b64 s[18:19], s[8:9], s[18:19]
	s_andn2_b64 s[8:9], s[24:25], exec
	s_and_b64 s[24:25], s[28:29], exec
	s_or_b64 s[24:25], s[8:9], s[24:25]
	s_andn2_b64 exec, exec, s[18:19]
	s_cbranch_execz .LBB13_353
.LBB13_349:                             ;   Parent Loop BB13_15 Depth=1
                                        ; =>  This Inner Loop Header: Depth=2
	v_cmp_gt_u32_e32 vcc, s36, v4
	s_and_saveexec_b64 s[8:9], vcc
	s_cbranch_execz .LBB13_347
; %bb.350:                              ;   in Loop: Header=BB13_349 Depth=2
	global_load_ubyte v5, v3, s[40:41]
	s_waitcnt vmcnt(0)
	v_and_b32_e32 v6, v5, v38
	v_cmp_eq_u32_sdwa s[28:29], v6, v30 src0_sel:BYTE_0 src1_sel:DWORD
	s_and_b64 exec, exec, s[28:29]
	s_cbranch_execz .LBB13_347
; %bb.351:                              ;   in Loop: Header=BB13_349 Depth=2
	v_lshlrev_b16_e32 v5, 8, v5
	v_or_b32_e32 v5, 1, v5
	ds_write_b16 v23, v5 offset:3072
	s_branch .LBB13_347
.LBB13_352:                             ;   in Loop: Header=BB13_349 Depth=2
	v_add_u32_e32 v4, s42, v4
	v_cmp_le_u32_e32 vcc, s4, v4
	v_add_u32_e32 v3, s44, v3
	s_mov_b64 s[28:29], 0
	s_orn2_b64 s[8:9], vcc, exec
	s_branch .LBB13_348
.LBB13_353:                             ;   in Loop: Header=BB13_15 Depth=1
	s_or_b64 exec, exec, s[18:19]
	s_andn2_b64 s[8:9], s[14:15], exec
	s_and_b64 s[14:15], s[24:25], exec
	v_lshrrev_b32_sdwa v39, v37, v5 dst_sel:DWORD dst_unused:UNUSED_PAD src0_sel:DWORD src1_sel:WORD_0
	s_or_b64 s[14:15], s[8:9], s[14:15]
.LBB13_354:                             ;   in Loop: Header=BB13_15 Depth=1
	s_or_b64 exec, exec, s[16:17]
	s_mov_b64 s[46:47], 0
	s_mov_b64 s[48:49], -1
.LBB13_355:                             ;   in Loop: Header=BB13_15 Depth=1
	s_orn2_b64 s[8:9], s[14:15], exec
.LBB13_356:                             ;   in Loop: Header=BB13_15 Depth=1
	s_or_b64 exec, exec, s[2:3]
	s_mov_b64 s[2:3], 0
	s_and_saveexec_b64 s[14:15], s[8:9]
	s_cbranch_execz .LBB13_406
; %bb.357:                              ;   in Loop: Header=BB13_15 Depth=1
	s_xor_b64 s[12:13], s[12:13], -1
	s_mov_b64 s[8:9], 0
	v_mov_b32_e32 v3, 1
	v_mov_b32_e32 v1, 1
	s_and_saveexec_b64 s[2:3], s[12:13]
	s_cbranch_execz .LBB13_366
; %bb.358:                              ;   in Loop: Header=BB13_15 Depth=1
	v_cmp_ge_u32_e32 vcc, s39, v2
	s_and_saveexec_b64 s[8:9], vcc
	s_xor_b64 s[8:9], exec, s[8:9]
	s_cbranch_execz .LBB13_363
; %bb.359:                              ;   in Loop: Header=BB13_15 Depth=1
	v_and_b32_e32 v1, s38, v30
	v_lshl_or_b32 v30, 1, s10, v1
	ds_read_b32 v1, v23 offset:4096
	v_or_b32_e32 v38, s60, v38
	s_waitcnt lgkmcnt(0)
	v_cmp_ne_u32_e32 vcc, 0, v1
	s_cbranch_vccnz .LBB13_363
; %bb.360:                              ;   in Loop: Header=BB13_15 Depth=1
	s_mov_b64 s[12:13], exec
	v_readlane_b32 s16, v51, 7
	v_readlane_b32 s17, v51, 8
	s_and_b64 s[16:17], s[12:13], s[16:17]
	s_mov_b64 exec, s[16:17]
; %bb.361:                              ;   in Loop: Header=BB13_15 Depth=1
	v_mov_b32_e32 v1, s39
	ds_write_b32 v23, v1 offset:4100
; %bb.362:                              ;   in Loop: Header=BB13_15 Depth=1
	s_or_b64 exec, exec, s[12:13]
	s_waitcnt lgkmcnt(0)
	s_barrier
.LBB13_363:                             ;   in Loop: Header=BB13_15 Depth=1
	s_or_saveexec_b64 s[8:9], s[8:9]
	s_mov_b64 s[12:13], 0
	v_mov_b32_e32 v1, 5
	s_xor_b64 exec, exec, s[8:9]
; %bb.364:                              ;   in Loop: Header=BB13_15 Depth=1
	v_subrev_u32_e32 v2, s39, v2
	v_mov_b32_e32 v1, 0
	s_mov_b64 s[12:13], exec
; %bb.365:                              ;   in Loop: Header=BB13_15 Depth=1
	s_or_b64 exec, exec, s[8:9]
	s_and_b64 s[8:9], s[12:13], exec
	v_mov_b32_e32 v3, v2
.LBB13_366:                             ;   in Loop: Header=BB13_15 Depth=1
	s_or_b64 exec, exec, s[2:3]
	s_mov_b64 s[2:3], -1
                                        ; implicit-def: $sgpr12_sgpr13
                                        ; implicit-def: $sgpr18_sgpr19
	s_and_saveexec_b64 s[16:17], s[8:9]
	s_cbranch_execz .LBB13_405
; %bb.367:                              ;   in Loop: Header=BB13_15 Depth=1
	s_cmp_eq_u32 s23, 1
	s_cselect_b64 s[2:3], -1, 0
	v_cmp_eq_u32_e32 vcc, 1, v3
	s_mov_b64 s[8:9], -1
	s_and_b64 s[2:3], s[2:3], vcc
                                        ; implicit-def: $sgpr12_sgpr13
                                        ; implicit-def: $sgpr18_sgpr19
	s_mov_b64 s[28:29], exec
	v_writelane_b32 v51, s2, 50
	v_writelane_b32 v51, s3, 51
	s_and_b64 s[2:3], s[28:29], s[2:3]
	s_mov_b64 exec, s[2:3]
	s_cbranch_execz .LBB13_393
; %bb.368:                              ;   in Loop: Header=BB13_15 Depth=1
	ds_read_b32 v2, v23 offset:4096
	s_waitcnt lgkmcnt(0)
	s_barrier
	v_readfirstlane_b32 s39, v2
	s_mov_b64 s[8:9], exec
	v_readlane_b32 s2, v51, 21
	v_readlane_b32 s3, v51, 22
	s_and_b64 s[2:3], s[8:9], s[2:3]
	s_mov_b64 exec, s[2:3]
; %bb.369:                              ;   in Loop: Header=BB13_15 Depth=1
	ds_write_b8 v0, v23 offset:3072
; %bb.370:                              ;   in Loop: Header=BB13_15 Depth=1
	s_or_b64 exec, exec, s[8:9]
	v_and_b32_e32 v30, s38, v30
	v_or_b32_e32 v38, s60, v38
	s_mov_b64 s[18:19], -1
	s_mov_b64 s[12:13], 0
	s_cmp_eq_u32 s39, 0
	s_mov_b64 s[56:57], 0
	s_mov_b64 s[58:59], -1
	s_waitcnt lgkmcnt(0)
	s_barrier
                                        ; implicit-def: $vgpr39
	s_cbranch_scc1 .LBB13_381
; %bb.371:                              ;   in Loop: Header=BB13_15 Depth=1
	v_readlane_b32 s2, v51, 23
	s_add_i32 s2, s39, s2
	v_readlane_b32 s3, v51, 47
	s_mul_hi_u32 s3, s2, s3
	s_mul_i32 s3, s3, s42
	s_sub_i32 s3, s2, s3
	s_sub_i32 s8, s3, s42
	s_cmp_ge_u32 s3, s42
	s_cselect_b32 s3, s8, s3
	s_sub_i32 s8, s3, s42
	s_cmp_ge_u32 s3, s42
	s_cselect_b32 s3, s8, s3
	s_sub_i32 s50, s2, s3
	v_cmp_gt_u32_e32 vcc, s50, v0
	s_mov_b64 s[58:59], 0
                                        ; implicit-def: $vgpr39
	s_and_saveexec_b64 s[2:3], vcc
	s_cbranch_execz .LBB13_380
; %bb.372:                              ;   in Loop: Header=BB13_15 Depth=1
	s_mov_b64 s[24:25], 0
	v_mov_b32_e32 v2, v0
                                        ; implicit-def: $sgpr56_sgpr57
	s_branch .LBB13_375
.LBB13_373:                             ;   in Loop: Header=BB13_375 Depth=2
	s_or_b64 exec, exec, s[8:9]
	s_waitcnt lgkmcnt(0)
	s_barrier
	ds_read_u16 v4, v23 offset:3072
	s_mov_b64 s[8:9], -1
	s_waitcnt lgkmcnt(0)
	s_barrier
	v_cmp_ne_u32_sdwa s[52:53], v4, v23 src0_sel:BYTE_0 src1_sel:DWORD
	s_and_b64 vcc, exec, s[52:53]
	s_mov_b64 s[52:53], -1
	s_cbranch_vccz .LBB13_378
.LBB13_374:                             ;   in Loop: Header=BB13_375 Depth=2
	s_and_b64 s[8:9], exec, s[8:9]
	s_or_b64 s[24:25], s[8:9], s[24:25]
	s_andn2_b64 s[8:9], s[56:57], exec
	s_and_b64 s[52:53], s[52:53], exec
	s_or_b64 s[56:57], s[8:9], s[52:53]
	s_andn2_b64 exec, exec, s[24:25]
	s_cbranch_execz .LBB13_379
.LBB13_375:                             ;   Parent Loop BB13_15 Depth=1
                                        ; =>  This Inner Loop Header: Depth=2
	v_cmp_gt_u32_e32 vcc, s39, v2
	s_and_saveexec_b64 s[8:9], vcc
	s_cbranch_execz .LBB13_373
; %bb.376:                              ;   in Loop: Header=BB13_375 Depth=2
	ds_read_u8 v4, v2
	s_waitcnt lgkmcnt(0)
	v_and_b32_e32 v5, v4, v38
	v_cmp_eq_u32_sdwa s[52:53], v5, v30 src0_sel:BYTE_0 src1_sel:DWORD
	s_and_b64 exec, exec, s[52:53]
	s_cbranch_execz .LBB13_373
; %bb.377:                              ;   in Loop: Header=BB13_375 Depth=2
	v_lshlrev_b16_e32 v4, 8, v4
	v_or_b32_e32 v4, 1, v4
	ds_write_b16 v23, v4 offset:3072
	s_branch .LBB13_373
.LBB13_378:                             ;   in Loop: Header=BB13_375 Depth=2
	v_add_u32_e32 v2, s42, v2
	v_cmp_le_u32_e32 vcc, s50, v2
	s_mov_b64 s[52:53], 0
	s_orn2_b64 s[8:9], vcc, exec
	s_branch .LBB13_374
.LBB13_379:                             ;   in Loop: Header=BB13_15 Depth=1
	s_or_b64 exec, exec, s[24:25]
	v_lshrrev_b32_sdwa v39, v37, v4 dst_sel:DWORD dst_unused:UNUSED_PAD src0_sel:DWORD src1_sel:WORD_0
	s_and_b64 s[56:57], s[56:57], exec
.LBB13_380:                             ;   in Loop: Header=BB13_15 Depth=1
	s_or_b64 exec, exec, s[2:3]
.LBB13_381:                             ;   in Loop: Header=BB13_15 Depth=1
	s_and_b64 vcc, exec, s[58:59]
	s_cbranch_vccz .LBB13_392
; %bb.382:                              ;   in Loop: Header=BB13_15 Depth=1
                                        ; implicit-def: $vgpr39
	s_mov_b64 s[12:13], exec
	v_readlane_b32 s2, v51, 48
	v_readlane_b32 s3, v51, 49
	s_and_b64 s[2:3], s[12:13], s[2:3]
	s_mov_b64 exec, s[2:3]
	s_cbranch_execz .LBB13_391
; %bb.383:                              ;   in Loop: Header=BB13_15 Depth=1
	s_mov_b64 s[18:19], 0
	v_mov_b32_e32 v2, v22
	v_mov_b32_e32 v4, v0
                                        ; implicit-def: $sgpr24_sgpr25
	s_branch .LBB13_386
.LBB13_384:                             ;   in Loop: Header=BB13_386 Depth=2
	s_or_b64 exec, exec, s[8:9]
	s_waitcnt lgkmcnt(0)
	s_barrier
	ds_read_u16 v5, v23 offset:3072
	s_mov_b64 s[8:9], -1
	s_mov_b64 s[52:53], -1
	s_waitcnt lgkmcnt(0)
	s_barrier
	v_cmp_eq_u32_sdwa s[2:3], v5, v23 src0_sel:BYTE_0 src1_sel:DWORD
	s_and_b64 vcc, exec, s[2:3]
	s_cbranch_vccnz .LBB13_389
.LBB13_385:                             ;   in Loop: Header=BB13_386 Depth=2
	s_and_b64 s[2:3], exec, s[8:9]
	s_or_b64 s[18:19], s[2:3], s[18:19]
	s_andn2_b64 s[2:3], s[24:25], exec
	s_and_b64 s[8:9], s[52:53], exec
	s_or_b64 s[24:25], s[2:3], s[8:9]
	s_andn2_b64 exec, exec, s[18:19]
	s_cbranch_execz .LBB13_390
.LBB13_386:                             ;   Parent Loop BB13_15 Depth=1
                                        ; =>  This Inner Loop Header: Depth=2
	v_cmp_gt_u32_e32 vcc, s36, v4
	s_and_saveexec_b64 s[8:9], vcc
	s_cbranch_execz .LBB13_384
; %bb.387:                              ;   in Loop: Header=BB13_386 Depth=2
	global_load_ubyte v5, v2, s[40:41]
	s_waitcnt vmcnt(0)
	v_and_b32_e32 v6, v5, v38
	v_cmp_eq_u32_sdwa s[2:3], v6, v30 src0_sel:BYTE_0 src1_sel:DWORD
	s_and_b64 exec, exec, s[2:3]
	s_cbranch_execz .LBB13_384
; %bb.388:                              ;   in Loop: Header=BB13_386 Depth=2
	v_lshlrev_b16_e32 v5, 8, v5
	v_or_b32_e32 v5, 1, v5
	ds_write_b16 v23, v5 offset:3072
	s_branch .LBB13_384
.LBB13_389:                             ;   in Loop: Header=BB13_386 Depth=2
	v_add_u32_e32 v4, s42, v4
	v_cmp_le_u32_e32 vcc, s4, v4
	v_add_u32_e32 v2, s44, v2
	s_mov_b64 s[52:53], 0
	s_orn2_b64 s[8:9], vcc, exec
	s_branch .LBB13_385
.LBB13_390:                             ;   in Loop: Header=BB13_15 Depth=1
	s_or_b64 exec, exec, s[18:19]
	s_andn2_b64 s[2:3], s[56:57], exec
	s_and_b64 s[8:9], s[24:25], exec
	v_lshrrev_b32_sdwa v39, v37, v5 dst_sel:DWORD dst_unused:UNUSED_PAD src0_sel:DWORD src1_sel:WORD_0
	s_or_b64 s[56:57], s[2:3], s[8:9]
.LBB13_391:                             ;   in Loop: Header=BB13_15 Depth=1
	s_or_b64 exec, exec, s[12:13]
	s_mov_b64 s[18:19], 0
	s_mov_b64 s[12:13], -1
.LBB13_392:                             ;   in Loop: Header=BB13_15 Depth=1
	s_orn2_b64 s[8:9], s[56:57], exec
.LBB13_393:                             ;   in Loop: Header=BB13_15 Depth=1
	s_or_b64 exec, exec, s[28:29]
	s_mov_b64 s[24:25], 0
	s_and_saveexec_b64 s[28:29], s[8:9]
	s_cbranch_execz .LBB13_404
; %bb.394:                              ;   in Loop: Header=BB13_15 Depth=1
	v_readlane_b32 s2, v51, 50
	v_readlane_b32 s3, v51, 51
	s_xor_b64 s[8:9], s[2:3], -1
	v_mov_b32_e32 v1, 1
	v_mov_b32_e32 v2, 1
	s_and_saveexec_b64 s[2:3], s[8:9]
	s_cbranch_execz .LBB13_403
; %bb.395:                              ;   in Loop: Header=BB13_15 Depth=1
	v_cmp_ge_u32_e32 vcc, s23, v3
	s_and_saveexec_b64 s[8:9], vcc
	s_xor_b64 s[8:9], exec, s[8:9]
	s_cbranch_execz .LBB13_400
; %bb.396:                              ;   in Loop: Header=BB13_15 Depth=1
	ds_read_b32 v1, v23 offset:4096
	v_and_b32_e32 v30, s38, v30
	v_or_b32_e32 v38, s60, v38
	s_waitcnt lgkmcnt(0)
	v_cmp_ne_u32_e32 vcc, 0, v1
	s_cbranch_vccnz .LBB13_400
; %bb.397:                              ;   in Loop: Header=BB13_15 Depth=1
	s_mov_b64 s[24:25], exec
	v_readlane_b32 s38, v51, 7
	v_readlane_b32 s39, v51, 8
	s_and_b64 s[38:39], s[24:25], s[38:39]
	s_mov_b64 exec, s[38:39]
; %bb.398:                              ;   in Loop: Header=BB13_15 Depth=1
	v_mov_b32_e32 v1, s23
	ds_write_b32 v23, v1 offset:4100
; %bb.399:                              ;   in Loop: Header=BB13_15 Depth=1
	s_or_b64 exec, exec, s[24:25]
	s_waitcnt lgkmcnt(0)
	s_barrier
.LBB13_400:                             ;   in Loop: Header=BB13_15 Depth=1
	s_andn2_saveexec_b64 s[8:9], s[8:9]
; %bb.401:                              ;   in Loop: Header=BB13_15 Depth=1
	v_subrev_u32_e32 v3, s23, v3
; %bb.402:                              ;   in Loop: Header=BB13_15 Depth=1
	s_or_b64 exec, exec, s[8:9]
	v_mov_b32_e32 v1, 5
	v_mov_b32_e32 v2, v3
.LBB13_403:                             ;   in Loop: Header=BB13_15 Depth=1
	s_or_b64 exec, exec, s[2:3]
	s_mov_b64 s[24:25], exec
	v_mov_b32_e32 v3, v2
.LBB13_404:                             ;   in Loop: Header=BB13_15 Depth=1
	s_or_b64 exec, exec, s[28:29]
	s_orn2_b64 s[2:3], s[24:25], exec
.LBB13_405:                             ;   in Loop: Header=BB13_15 Depth=1
	s_or_b64 exec, exec, s[16:17]
	s_andn2_b64 s[8:9], s[48:49], exec
	s_and_b64 s[12:13], s[12:13], exec
	s_or_b64 s[48:49], s[8:9], s[12:13]
	s_andn2_b64 s[8:9], s[46:47], exec
	s_and_b64 s[12:13], s[18:19], exec
	s_or_b64 s[46:47], s[8:9], s[12:13]
	s_and_b64 s[2:3], s[2:3], exec
	v_mov_b32_e32 v2, v3
.LBB13_406:                             ;   in Loop: Header=BB13_15 Depth=1
	s_or_b64 exec, exec, s[14:15]
	s_orn2_b64 s[2:3], s[2:3], exec
.LBB13_407:                             ;   in Loop: Header=BB13_15 Depth=1
	s_or_b64 exec, exec, s[94:95]
	s_andn2_b64 s[8:9], s[90:91], exec
	s_and_b64 s[12:13], s[48:49], exec
	s_or_b64 s[90:91], s[8:9], s[12:13]
	s_andn2_b64 s[8:9], s[88:89], exec
	s_and_b64 s[12:13], s[46:47], exec
	s_or_b64 s[88:89], s[8:9], s[12:13]
	s_and_b64 s[2:3], s[2:3], exec
	v_mov_b32_e32 v4, v2
.LBB13_408:                             ;   in Loop: Header=BB13_15 Depth=1
	s_or_b64 exec, exec, s[92:93]
	s_orn2_b64 s[2:3], s[2:3], exec
.LBB13_409:                             ;   in Loop: Header=BB13_15 Depth=1
	s_or_b64 exec, exec, s[6:7]
	s_mov_b64 s[6:7], s[84:85]
	s_mov_b64 s[8:9], s[34:35]
	s_and_saveexec_b64 s[12:13], s[2:3]
; %bb.410:                              ;   in Loop: Header=BB13_15 Depth=1
	v_cmp_ne_u32_e64 s[6:7], 5, v1
	v_cmp_eq_u32_e32 vcc, 5, v1
	s_andn2_b64 s[2:3], s[34:35], exec
	s_and_b64 s[6:7], s[6:7], exec
	s_or_b64 s[8:9], s[2:3], s[6:7]
	s_andn2_b64 s[2:3], s[84:85], exec
	s_and_b64 s[6:7], vcc, exec
	s_or_b64 s[6:7], s[2:3], s[6:7]
; %bb.411:                              ;   in Loop: Header=BB13_15 Depth=1
	s_or_b64 exec, exec, s[12:13]
	s_andn2_b64 s[2:3], s[26:27], exec
	s_and_b64 s[12:13], s[90:91], exec
	s_or_b64 s[26:27], s[2:3], s[12:13]
	s_andn2_b64 s[2:3], s[30:31], exec
	s_and_b64 s[12:13], s[88:89], exec
	s_or_b64 s[30:31], s[2:3], s[12:13]
	;; [unrolled: 3-line block ×4, first 2 shown]
.LBB13_412:                             ;   in Loop: Header=BB13_15 Depth=1
	s_or_b64 exec, exec, s[86:87]
	s_mov_b64 s[86:87], 0
	s_mov_b64 s[88:89], 0
	s_and_saveexec_b64 s[2:3], s[84:85]
.LBB13_413:                             ;   in Loop: Header=BB13_15 Depth=1
	v_mov_b32_e32 v1, 0
	s_or_b64 s[34:35], s[34:35], exec
.LBB13_414:                             ;   in Loop: Header=BB13_15 Depth=1
	s_or_b64 exec, exec, s[2:3]
	s_andn2_b64 s[2:3], s[80:81], exec
	s_and_b64 s[8:9], s[26:27], exec
	s_or_b64 s[80:81], s[2:3], s[8:9]
	s_andn2_b64 s[2:3], s[78:79], exec
	s_and_b64 s[8:9], s[30:31], exec
	s_or_b64 s[78:79], s[2:3], s[8:9]
	;; [unrolled: 3-line block ×3, first 2 shown]
	s_andn2_b64 s[2:3], s[74:75], exec
	s_and_b64 s[8:9], s[86:87], exec
	s_mov_b64 s[6:7], -1
	s_andn2_b64 s[82:83], s[82:83], exec
	s_or_b64 s[74:75], s[2:3], s[8:9]
	v_mov_b32_e32 v40, v4
	s_and_saveexec_b64 s[2:3], s[34:35]
	s_xor_b64 s[2:3], exec, s[2:3]
	s_cbranch_execz .LBB13_14
; %bb.415:                              ;   in Loop: Header=BB13_15 Depth=1
	v_cmp_eq_u32_e32 vcc, 0, v1
	s_mov_b64 s[8:9], -1
	s_and_saveexec_b64 s[12:13], vcc
	s_cbranch_execz .LBB13_13
; %bb.416:                              ;   in Loop: Header=BB13_15 Depth=1
	s_xor_b32 s20, s20, 1
	s_add_i32 s14, s10, -2
	s_cmp_eq_u32 s10, 0
	s_cselect_b64 s[6:7], -1, 0
	s_xor_b64 s[8:9], exec, -1
	s_orn2_b64 s[6:7], s[6:7], exec
	s_mov_b32 s10, s14
	s_branch .LBB13_13
.LBB13_417:
	s_or_b64 exec, exec, s[62:63]
	s_xor_b64 s[6:7], s[72:73], -1
	s_xor_b64 s[14:15], s[70:71], -1
	;; [unrolled: 1-line block ×5, first 2 shown]
	s_mov_b64 s[8:9], 0
	s_and_saveexec_b64 s[10:11], s[4:5]
	s_xor_b64 s[10:11], exec, s[10:11]
	s_cbranch_execnz .LBB13_422
; %bb.418:
	s_andn2_saveexec_b64 s[0:1], s[10:11]
	s_cbranch_execnz .LBB13_441
.LBB13_419:
	s_or_b64 exec, exec, s[0:1]
	s_and_saveexec_b64 s[0:1], s[8:9]
.LBB13_420:
	; divergent unreachable
.LBB13_421:
	s_endpgm
.LBB13_422:
	s_and_saveexec_b64 s[4:5], s[12:13]
	s_xor_b64 s[12:13], exec, s[4:5]
	s_cbranch_execz .LBB13_439
; %bb.423:
	s_and_saveexec_b64 s[4:5], s[14:15]
	s_xor_b64 s[14:15], exec, s[4:5]
	s_cbranch_execz .LBB13_437
; %bb.424:
	;; [unrolled: 4-line block ×3, first 2 shown]
	s_and_saveexec_b64 s[4:5], s[2:3]
	s_xor_b64 s[2:3], exec, s[4:5]
; %bb.426:
	v_mov_b32_e32 v39, v30
; %bb.427:
	s_or_b64 exec, exec, s[2:3]
	s_mov_b64 s[2:3], exec
	v_readlane_b32 s4, v51, 7
	v_readlane_b32 s5, v51, 8
	;; [unrolled: 1-line block ×3, first 2 shown]
	s_and_b64 s[4:5], s[2:3], s[4:5]
	v_readlane_b32 s47, v51, 10
	s_mov_b64 exec, s[4:5]
; %bb.428:
	v_mov_b32_e32 v1, 0
	ds_write_b32 v1, v1 offset:4108
; %bb.429:
	s_or_b64 exec, exec, s[2:3]
	v_mov_b32_e32 v3, 0
	s_waitcnt lgkmcnt(0)
	s_barrier
	s_mov_b64 s[2:3], exec
	v_readlane_b32 s4, v51, 17
	v_readlane_b32 s5, v51, 18
	s_and_b64 s[4:5], s[2:3], s[4:5]
	s_mov_b64 exec, s[4:5]
	s_cbranch_execz .LBB13_431
; %bb.430:
	global_load_ubyte v3, v[13:14], off
.LBB13_431:
	s_or_b64 exec, exec, s[2:3]
	v_readlane_b32 s6, v51, 0
	v_readlane_b32 s7, v51, 1
	s_load_dword s2, s[6:7], 0x23c
	v_readlane_b32 s3, v51, 2
	s_add_i32 s34, s36, 63
	s_mul_i32 s3, s3, s55
	s_andn2_b32 s34, s34, 63
	s_waitcnt lgkmcnt(0)
	s_mul_i32 s2, s2, s54
	s_add_i32 s4, s3, s43
	s_load_dword s35, s[6:7], 0x2a8
	s_load_dword s38, s[6:7], 0x1c8
	s_add_i32 s2, s2, s45
	v_readlane_b32 s6, v51, 3
	s_mov_b32 s3, 0
	v_readlane_b32 s7, v51, 4
	s_add_u32 s8, s6, s4
	s_addc_u32 s9, s7, 0
	s_lshl_b64 s[2:3], s[2:3], 3
	v_readlane_b32 s4, v51, 5
	v_readlane_b32 s5, v51, 6
	s_add_u32 s39, s4, s2
	s_addc_u32 s43, s5, s3
	v_cmp_gt_u32_e32 vcc, s34, v0
	s_mov_b64 s[20:21], -1
	s_mov_b64 s[2:3], 0
	s_mov_b64 s[4:5], 0
	s_and_saveexec_b64 s[18:19], vcc
	s_cbranch_execnz .LBB13_442
; %bb.432:
	s_or_b64 exec, exec, s[18:19]
	s_and_saveexec_b64 s[6:7], s[20:21]
	s_cbranch_execnz .LBB13_457
.LBB13_433:
	s_or_b64 exec, exec, s[6:7]
	s_and_saveexec_b64 s[0:1], s[4:5]
	s_xor_b64 s[0:1], exec, s[0:1]
	s_cbranch_execnz .LBB13_480
.LBB13_434:
	s_or_b64 exec, exec, s[0:1]
	s_and_b64 s[8:9], s[2:3], exec
.LBB13_435:
	s_andn2_saveexec_b64 s[0:1], s[16:17]
	s_cbranch_execnz .LBB13_482
.LBB13_436:
	s_or_b64 exec, exec, s[0:1]
	s_and_b64 s[8:9], s[8:9], exec
.LBB13_437:
	s_andn2_saveexec_b64 s[0:1], s[14:15]
	s_cbranch_execnz .LBB13_481
.LBB13_438:
	s_or_b64 exec, exec, s[0:1]
	s_and_b64 s[8:9], s[8:9], exec
.LBB13_439:
	s_andn2_saveexec_b64 s[0:1], s[12:13]
	s_cbranch_execnz .LBB13_476
.LBB13_440:
	s_or_b64 exec, exec, s[0:1]
	s_and_b64 s[8:9], s[8:9], exec
	s_andn2_saveexec_b64 s[0:1], s[10:11]
	s_cbranch_execz .LBB13_419
.LBB13_441:
	s_or_b64 s[8:9], s[8:9], exec
	s_trap 2
	s_or_b64 exec, exec, s[0:1]
	s_and_saveexec_b64 s[0:1], s[8:9]
	s_cbranch_execnz .LBB13_420
	s_branch .LBB13_421
.LBB13_442:
	v_add_u32_e32 v1, s42, v0
	v_mul_lo_u32 v4, s33, v1
	s_mov_b64 s[20:21], 0
	v_mov_b32_e32 v2, 0
	v_mov_b32_e32 v1, v0
                                        ; implicit-def: $sgpr22_sgpr23
                                        ; implicit-def: $vgpr7
	s_branch .LBB13_444
.LBB13_443:                             ;   in Loop: Header=BB13_444 Depth=1
	s_or_b64 exec, exec, s[26:27]
	s_xor_b64 s[4:5], s[24:25], -1
	s_and_b64 s[6:7], exec, s[6:7]
	s_or_b64 s[20:21], s[6:7], s[20:21]
	s_andn2_b64 s[6:7], s[22:23], exec
	s_and_b64 s[4:5], s[4:5], exec
	s_or_b64 s[22:23], s[6:7], s[4:5]
	v_mov_b32_e32 v3, v6
	v_mov_b32_e32 v1, v5
	s_andn2_b64 exec, exec, s[20:21]
	s_cbranch_execz .LBB13_456
.LBB13_444:                             ; =>This Inner Loop Header: Depth=1
	v_add_u32_e32 v5, s42, v1
	v_cmp_gt_u32_e64 s[4:5], s36, v5
	v_mov_b32_e32 v6, 0
	s_and_saveexec_b64 s[6:7], s[4:5]
	s_cbranch_execz .LBB13_446
; %bb.445:                              ;   in Loop: Header=BB13_444 Depth=1
	global_load_ubyte v6, v4, s[40:41]
.LBB13_446:                             ;   in Loop: Header=BB13_444 Depth=1
	s_or_b64 exec, exec, s[6:7]
	s_waitcnt vmcnt(0)
	v_cmp_gt_u16_sdwa s[6:7], v3, v39 src0_sel:BYTE_0 src1_sel:BYTE_0
	v_cndmask_b32_e64 v8, 0, 1, s[6:7]
	v_cmp_lt_u16_sdwa s[6:7], v3, v39 src0_sel:BYTE_0 src1_sel:BYTE_0
	v_cndmask_b32_e64 v9, 0, 1, s[6:7]
	v_cndmask_b32_e64 v8, v9, v8, s[46:47]
	v_and_b32_e32 v8, 1, v8
	v_cmp_gt_u32_e64 s[4:5], s36, v1
	v_cmp_eq_u32_e64 s[6:7], 1, v8
	s_and_b64 s[24:25], s[4:5], s[6:7]
	v_cndmask_b32_e64 v8, 0, 1, s[24:25]
	v_cmp_ne_u32_e64 s[4:5], 0, v8
	s_cmp_lg_u64 s[4:5], 0
	s_cselect_b64 s[6:7], -1, 0
	s_and_b64 s[6:7], s[0:1], s[6:7]
	s_and_saveexec_b64 s[26:27], s[6:7]
	s_cbranch_execz .LBB13_450
; %bb.447:                              ;   in Loop: Header=BB13_444 Depth=1
	s_mov_b64 s[30:31], exec
	s_waitcnt lgkmcnt(0)
	v_mbcnt_lo_u32_b32 v7, s30, 0
	v_mbcnt_hi_u32_b32 v7, s31, v7
	s_bcnt1_i32_b64 s45, s[4:5]
	v_cmp_eq_u32_e64 s[6:7], 0, v7
                                        ; implicit-def: $vgpr8
	s_and_saveexec_b64 s[28:29], s[6:7]
; %bb.448:                              ;   in Loop: Header=BB13_444 Depth=1
	s_bcnt1_i32_b64 s6, s[30:31]
	s_mul_i32 s6, s45, s6
	v_mov_b32_e32 v8, s6
	ds_add_rtn_u32 v8, v2, v8 offset:4108
; %bb.449:                              ;   in Loop: Header=BB13_444 Depth=1
	s_or_b64 exec, exec, s[28:29]
	s_waitcnt lgkmcnt(0)
	v_readfirstlane_b32 s6, v8
	v_mov_b32_e32 v8, s6
	v_mad_u32_u24 v7, s45, v7, v8
.LBB13_450:                             ;   in Loop: Header=BB13_444 Depth=1
	s_or_b64 exec, exec, s[26:27]
	s_waitcnt lgkmcnt(0)
	ds_bpermute_b32 v7, v17, v7
	s_mov_b64 s[6:7], -1
	s_mov_b64 s[28:29], -1
	s_and_saveexec_b64 s[26:27], s[24:25]
	s_cbranch_execz .LBB13_454
; %bb.451:                              ;   in Loop: Header=BB13_444 Depth=1
	v_and_b32_e32 v9, s4, v19
	v_and_b32_e32 v8, s5, v18
	v_bcnt_u32_b32 v9, v9, 0
	v_bcnt_u32_b32 v8, v8, v9
	s_waitcnt lgkmcnt(0)
	v_add_u32_e32 v8, v7, v8
	v_cmp_gt_u32_e64 s[4:5], s37, v8
	s_mov_b64 s[24:25], 0
	s_and_saveexec_b64 s[28:29], s[4:5]
; %bb.452:                              ;   in Loop: Header=BB13_444 Depth=1
	v_mul_lo_u32 v10, v8, s38
	v_mul_lo_u32 v8, v8, s35
	v_mov_b32_e32 v9, v2
	s_mov_b64 s[24:25], exec
	global_store_byte v10, v3, s[8:9]
	v_lshlrev_b64 v[8:9], 3, v[8:9]
	v_mov_b32_e32 v3, s43
	v_add_co_u32_e64 v8, s[4:5], s39, v8
	v_addc_co_u32_e64 v9, s[4:5], v3, v9, s[4:5]
	global_store_dwordx2 v[8:9], v[1:2], off
; %bb.453:                              ;   in Loop: Header=BB13_444 Depth=1
	s_or_b64 exec, exec, s[28:29]
	s_orn2_b64 s[28:29], s[24:25], exec
.LBB13_454:                             ;   in Loop: Header=BB13_444 Depth=1
	s_or_b64 exec, exec, s[26:27]
	s_mov_b64 s[24:25], -1
	s_and_saveexec_b64 s[26:27], s[28:29]
	s_cbranch_execz .LBB13_443
; %bb.455:                              ;   in Loop: Header=BB13_444 Depth=1
	v_cmp_le_u32_e64 s[4:5], s34, v5
	v_add_u32_e32 v4, s44, v4
	s_xor_b64 s[24:25], exec, -1
	s_orn2_b64 s[6:7], s[4:5], exec
	s_branch .LBB13_443
.LBB13_456:
	s_or_b64 exec, exec, s[20:21]
	s_mov_b64 s[4:5], exec
	s_orn2_b64 s[20:21], s[22:23], exec
	s_or_b64 exec, exec, s[18:19]
	s_and_saveexec_b64 s[6:7], s[20:21]
	s_cbranch_execz .LBB13_433
.LBB13_457:
	v_mov_b32_e32 v6, 0
	s_waitcnt vmcnt(0) lgkmcnt(0)
	s_barrier
	s_mov_b64 s[2:3], exec
	v_readlane_b32 s18, v51, 17
	v_readlane_b32 s19, v51, 18
	s_and_b64 s[18:19], s[2:3], s[18:19]
	s_mov_b64 exec, s[18:19]
	s_cbranch_execz .LBB13_459
; %bb.458:
	global_load_ubyte v6, v[13:14], off
.LBB13_459:
	s_or_b64 exec, exec, s[2:3]
	s_mov_b64 s[2:3], 0
	s_and_saveexec_b64 s[18:19], vcc
	s_cbranch_execz .LBB13_479
; %bb.460:
	v_add_u32_e32 v1, s42, v0
	v_mul_lo_u32 v2, s33, v1
	s_mov_b64 s[20:21], 0
	v_mov_b32_e32 v1, 0
                                        ; implicit-def: $sgpr22_sgpr23
                                        ; implicit-def: $vgpr5
	s_branch .LBB13_463
.LBB13_461:                             ;   in Loop: Header=BB13_463 Depth=1
	s_or_b64 exec, exec, s[26:27]
	s_orn2_b64 s[28:29], s[28:29], exec
	s_orn2_b64 s[26:27], s[24:25], exec
.LBB13_462:                             ;   in Loop: Header=BB13_463 Depth=1
	s_or_b64 exec, exec, s[2:3]
	s_xor_b64 s[2:3], s[28:29], -1
	s_and_b64 s[24:25], exec, s[26:27]
	s_or_b64 s[20:21], s[24:25], s[20:21]
	s_andn2_b64 s[22:23], s[22:23], exec
	s_and_b64 s[2:3], s[2:3], exec
	s_or_b64 s[22:23], s[22:23], s[2:3]
	v_mov_b32_e32 v0, v3
	v_mov_b32_e32 v6, v4
	s_andn2_b64 exec, exec, s[20:21]
	s_cbranch_execz .LBB13_477
.LBB13_463:                             ; =>This Inner Loop Header: Depth=1
	v_add_u32_e32 v3, s42, v0
	v_cmp_gt_u32_e32 vcc, s36, v3
	v_mov_b32_e32 v4, 0
	s_and_saveexec_b64 s[2:3], vcc
	s_cbranch_execz .LBB13_465
; %bb.464:                              ;   in Loop: Header=BB13_463 Depth=1
	global_load_ubyte v4, v2, s[40:41]
.LBB13_465:                             ;   in Loop: Header=BB13_463 Depth=1
	s_or_b64 exec, exec, s[2:3]
	v_cmp_gt_u32_e32 vcc, s36, v0
	s_waitcnt vmcnt(0)
	v_cmp_eq_u16_sdwa s[2:3], v6, v39 src0_sel:BYTE_0 src1_sel:BYTE_0
	s_and_b64 s[24:25], vcc, s[2:3]
	v_cndmask_b32_e64 v6, 0, 1, s[24:25]
	v_cmp_ne_u32_e32 vcc, 0, v6
	s_cmp_lg_u64 vcc, 0
	s_cselect_b64 s[2:3], -1, 0
	s_and_b64 s[2:3], s[0:1], s[2:3]
	s_and_saveexec_b64 s[26:27], s[2:3]
	s_cbranch_execz .LBB13_469
; %bb.466:                              ;   in Loop: Header=BB13_463 Depth=1
	s_mov_b64 s[30:31], exec
	v_mbcnt_lo_u32_b32 v5, s30, 0
	v_mbcnt_hi_u32_b32 v5, s31, v5
	s_bcnt1_i32_b64 s33, vcc
	v_cmp_eq_u32_e64 s[2:3], 0, v5
                                        ; implicit-def: $vgpr6
	s_and_saveexec_b64 s[28:29], s[2:3]
; %bb.467:                              ;   in Loop: Header=BB13_463 Depth=1
	s_bcnt1_i32_b64 s2, s[30:31]
	s_mul_i32 s2, s33, s2
	v_mov_b32_e32 v6, s2
	ds_add_rtn_u32 v6, v1, v6 offset:4108
; %bb.468:                              ;   in Loop: Header=BB13_463 Depth=1
	s_or_b64 exec, exec, s[28:29]
	s_waitcnt lgkmcnt(0)
	v_readfirstlane_b32 s2, v6
	v_mov_b32_e32 v6, s2
	v_mad_u32_u24 v5, s33, v5, v6
.LBB13_469:                             ;   in Loop: Header=BB13_463 Depth=1
	s_or_b64 exec, exec, s[26:27]
	ds_bpermute_b32 v5, v17, v5
	s_cmp_eq_u64 vcc, 0
	s_cselect_b64 s[28:29], -1, 0
	s_mov_b64 s[26:27], -1
	s_waitcnt lgkmcnt(0)
	v_cmp_gt_u32_e64 s[2:3], s37, v5
	s_or_b64 s[30:31], s[28:29], s[2:3]
	s_mov_b64 s[28:29], -1
	s_and_saveexec_b64 s[2:3], s[30:31]
	s_cbranch_execz .LBB13_462
; %bb.470:                              ;   in Loop: Header=BB13_463 Depth=1
	v_and_b32_e32 v7, vcc_lo, v19
	v_and_b32_e32 v6, vcc_hi, v18
	v_bcnt_u32_b32 v7, v7, 0
	v_bcnt_u32_b32 v6, v6, v7
	v_sub_u32_e32 v7, s37, v5
	v_cmp_gt_u32_e32 vcc, v7, v6
	s_and_b64 s[46:47], s[24:25], vcc
	s_mov_b64 s[24:25], -1
	s_mov_b64 s[30:31], -1
	s_and_saveexec_b64 s[26:27], s[46:47]
	s_cbranch_execz .LBB13_474
; %bb.471:                              ;   in Loop: Header=BB13_463 Depth=1
	v_add_u32_e32 v6, v5, v6
	v_cmp_gt_u32_e32 vcc, s37, v6
	s_mov_b64 s[30:31], 0
	s_and_saveexec_b64 s[28:29], vcc
; %bb.472:                              ;   in Loop: Header=BB13_463 Depth=1
	v_mul_lo_u32 v8, v6, s38
	v_mul_lo_u32 v6, v6, s35
	v_mov_b32_e32 v7, v1
	s_mov_b64 s[30:31], exec
	global_store_byte v8, v39, s[8:9]
	v_lshlrev_b64 v[6:7], 3, v[6:7]
	v_mov_b32_e32 v8, s43
	v_add_co_u32_e32 v6, vcc, s39, v6
	v_addc_co_u32_e32 v7, vcc, v8, v7, vcc
	global_store_dwordx2 v[6:7], v[0:1], off
; %bb.473:                              ;   in Loop: Header=BB13_463 Depth=1
	s_or_b64 exec, exec, s[28:29]
	s_xor_b64 s[28:29], exec, -1
	s_orn2_b64 s[30:31], s[30:31], exec
.LBB13_474:                             ;   in Loop: Header=BB13_463 Depth=1
	s_or_b64 exec, exec, s[26:27]
	s_and_saveexec_b64 s[26:27], s[30:31]
	s_cbranch_execz .LBB13_461
; %bb.475:                              ;   in Loop: Header=BB13_463 Depth=1
	v_cmp_le_u32_e32 vcc, s34, v3
	v_add_u32_e32 v2, s44, v2
	s_or_b64 s[28:29], s[28:29], exec
	s_orn2_b64 s[24:25], vcc, exec
	s_branch .LBB13_461
.LBB13_476:
	s_or_b64 s[8:9], s[8:9], exec
	s_trap 2
	s_branch .LBB13_440
.LBB13_477:
	s_or_b64 exec, exec, s[20:21]
	s_mov_b64 s[0:1], 0
	s_and_saveexec_b64 s[2:3], s[22:23]
	s_xor_b64 s[2:3], exec, s[2:3]
	s_cbranch_execnz .LBB13_483
.LBB13_478:
	s_or_b64 exec, exec, s[2:3]
	s_and_b64 s[2:3], s[0:1], exec
.LBB13_479:
	s_or_b64 exec, exec, s[18:19]
	s_and_b64 s[2:3], s[2:3], exec
	s_andn2_b64 s[4:5], s[4:5], exec
	s_or_b64 exec, exec, s[6:7]
	s_and_saveexec_b64 s[0:1], s[4:5]
	s_xor_b64 s[0:1], exec, s[0:1]
	s_cbranch_execz .LBB13_434
.LBB13_480:
	s_trap 2
	s_or_b64 s[2:3], s[2:3], exec
	s_branch .LBB13_434
.LBB13_481:
	s_or_b64 s[8:9], s[8:9], exec
	s_trap 2
	s_branch .LBB13_438
.LBB13_482:
	s_trap 2
	s_or_b64 s[8:9], s[8:9], exec
	s_branch .LBB13_436
.LBB13_483:
	s_mov_b64 s[0:1], exec
	s_trap 2
	s_branch .LBB13_478
	.section	.rodata,"a",@progbits
	.p2align	6, 0x0
	.amdhsa_kernel _ZN2at6native6sbtopk10gatherTopKIhjLin1ELb0EEEvNS_4cuda6detail10TensorInfoIKT_T0_EES8_S8_bS8_S8_NS5_IS6_S8_EES8_NS5_IlS8_EES8_PS6_
		.amdhsa_group_segment_fixed_size 4112
		.amdhsa_private_segment_fixed_size 0
		.amdhsa_kernarg_size 952
		.amdhsa_user_sgpr_count 6
		.amdhsa_user_sgpr_private_segment_buffer 1
		.amdhsa_user_sgpr_dispatch_ptr 0
		.amdhsa_user_sgpr_queue_ptr 0
		.amdhsa_user_sgpr_kernarg_segment_ptr 1
		.amdhsa_user_sgpr_dispatch_id 0
		.amdhsa_user_sgpr_flat_scratch_init 0
		.amdhsa_user_sgpr_private_segment_size 0
		.amdhsa_uses_dynamic_stack 0
		.amdhsa_system_sgpr_private_segment_wavefront_offset 0
		.amdhsa_system_sgpr_workgroup_id_x 1
		.amdhsa_system_sgpr_workgroup_id_y 1
		.amdhsa_system_sgpr_workgroup_id_z 1
		.amdhsa_system_sgpr_workgroup_info 0
		.amdhsa_system_vgpr_workitem_id 0
		.amdhsa_next_free_vgpr 52
		.amdhsa_next_free_sgpr 96
		.amdhsa_reserve_vcc 1
		.amdhsa_reserve_flat_scratch 0
		.amdhsa_float_round_mode_32 0
		.amdhsa_float_round_mode_16_64 0
		.amdhsa_float_denorm_mode_32 3
		.amdhsa_float_denorm_mode_16_64 3
		.amdhsa_dx10_clamp 1
		.amdhsa_ieee_mode 1
		.amdhsa_fp16_overflow 0
		.amdhsa_exception_fp_ieee_invalid_op 0
		.amdhsa_exception_fp_denorm_src 0
		.amdhsa_exception_fp_ieee_div_zero 0
		.amdhsa_exception_fp_ieee_overflow 0
		.amdhsa_exception_fp_ieee_underflow 0
		.amdhsa_exception_fp_ieee_inexact 0
		.amdhsa_exception_int_div_zero 0
	.end_amdhsa_kernel
	.section	.text._ZN2at6native6sbtopk10gatherTopKIhjLin1ELb0EEEvNS_4cuda6detail10TensorInfoIKT_T0_EES8_S8_bS8_S8_NS5_IS6_S8_EES8_NS5_IlS8_EES8_PS6_,"axG",@progbits,_ZN2at6native6sbtopk10gatherTopKIhjLin1ELb0EEEvNS_4cuda6detail10TensorInfoIKT_T0_EES8_S8_bS8_S8_NS5_IS6_S8_EES8_NS5_IlS8_EES8_PS6_,comdat
.Lfunc_end13:
	.size	_ZN2at6native6sbtopk10gatherTopKIhjLin1ELb0EEEvNS_4cuda6detail10TensorInfoIKT_T0_EES8_S8_bS8_S8_NS5_IS6_S8_EES8_NS5_IlS8_EES8_PS6_, .Lfunc_end13-_ZN2at6native6sbtopk10gatherTopKIhjLin1ELb0EEEvNS_4cuda6detail10TensorInfoIKT_T0_EES8_S8_bS8_S8_NS5_IS6_S8_EES8_NS5_IlS8_EES8_PS6_
                                        ; -- End function
	.set _ZN2at6native6sbtopk10gatherTopKIhjLin1ELb0EEEvNS_4cuda6detail10TensorInfoIKT_T0_EES8_S8_bS8_S8_NS5_IS6_S8_EES8_NS5_IlS8_EES8_PS6_.num_vgpr, 52
	.set _ZN2at6native6sbtopk10gatherTopKIhjLin1ELb0EEEvNS_4cuda6detail10TensorInfoIKT_T0_EES8_S8_bS8_S8_NS5_IS6_S8_EES8_NS5_IlS8_EES8_PS6_.num_agpr, 0
	.set _ZN2at6native6sbtopk10gatherTopKIhjLin1ELb0EEEvNS_4cuda6detail10TensorInfoIKT_T0_EES8_S8_bS8_S8_NS5_IS6_S8_EES8_NS5_IlS8_EES8_PS6_.numbered_sgpr, 96
	.set _ZN2at6native6sbtopk10gatherTopKIhjLin1ELb0EEEvNS_4cuda6detail10TensorInfoIKT_T0_EES8_S8_bS8_S8_NS5_IS6_S8_EES8_NS5_IlS8_EES8_PS6_.num_named_barrier, 0
	.set _ZN2at6native6sbtopk10gatherTopKIhjLin1ELb0EEEvNS_4cuda6detail10TensorInfoIKT_T0_EES8_S8_bS8_S8_NS5_IS6_S8_EES8_NS5_IlS8_EES8_PS6_.private_seg_size, 0
	.set _ZN2at6native6sbtopk10gatherTopKIhjLin1ELb0EEEvNS_4cuda6detail10TensorInfoIKT_T0_EES8_S8_bS8_S8_NS5_IS6_S8_EES8_NS5_IlS8_EES8_PS6_.uses_vcc, 1
	.set _ZN2at6native6sbtopk10gatherTopKIhjLin1ELb0EEEvNS_4cuda6detail10TensorInfoIKT_T0_EES8_S8_bS8_S8_NS5_IS6_S8_EES8_NS5_IlS8_EES8_PS6_.uses_flat_scratch, 0
	.set _ZN2at6native6sbtopk10gatherTopKIhjLin1ELb0EEEvNS_4cuda6detail10TensorInfoIKT_T0_EES8_S8_bS8_S8_NS5_IS6_S8_EES8_NS5_IlS8_EES8_PS6_.has_dyn_sized_stack, 0
	.set _ZN2at6native6sbtopk10gatherTopKIhjLin1ELb0EEEvNS_4cuda6detail10TensorInfoIKT_T0_EES8_S8_bS8_S8_NS5_IS6_S8_EES8_NS5_IlS8_EES8_PS6_.has_recursion, 0
	.set _ZN2at6native6sbtopk10gatherTopKIhjLin1ELb0EEEvNS_4cuda6detail10TensorInfoIKT_T0_EES8_S8_bS8_S8_NS5_IS6_S8_EES8_NS5_IlS8_EES8_PS6_.has_indirect_call, 0
	.section	.AMDGPU.csdata,"",@progbits
; Kernel info:
; codeLenInByte = 16144
; TotalNumSgprs: 100
; NumVgprs: 52
; ScratchSize: 0
; MemoryBound: 0
; FloatMode: 240
; IeeeMode: 1
; LDSByteSize: 4112 bytes/workgroup (compile time only)
; SGPRBlocks: 12
; VGPRBlocks: 12
; NumSGPRsForWavesPerEU: 100
; NumVGPRsForWavesPerEU: 52
; Occupancy: 4
; WaveLimiterHint : 1
; COMPUTE_PGM_RSRC2:SCRATCH_EN: 0
; COMPUTE_PGM_RSRC2:USER_SGPR: 6
; COMPUTE_PGM_RSRC2:TRAP_HANDLER: 0
; COMPUTE_PGM_RSRC2:TGID_X_EN: 1
; COMPUTE_PGM_RSRC2:TGID_Y_EN: 1
; COMPUTE_PGM_RSRC2:TGID_Z_EN: 1
; COMPUTE_PGM_RSRC2:TIDIG_COMP_CNT: 0
	.section	.text._ZN2at6native6mbtopk23computeBlockDigitCountsIajjLi1EEEvNS_4cuda6detail10TensorInfoIKT_T0_EEjPjjS8_iijT1_PSB_Ps,"axG",@progbits,_ZN2at6native6mbtopk23computeBlockDigitCountsIajjLi1EEEvNS_4cuda6detail10TensorInfoIKT_T0_EEjPjjS8_iijT1_PSB_Ps,comdat
	.protected	_ZN2at6native6mbtopk23computeBlockDigitCountsIajjLi1EEEvNS_4cuda6detail10TensorInfoIKT_T0_EEjPjjS8_iijT1_PSB_Ps ; -- Begin function _ZN2at6native6mbtopk23computeBlockDigitCountsIajjLi1EEEvNS_4cuda6detail10TensorInfoIKT_T0_EEjPjjS8_iijT1_PSB_Ps
	.globl	_ZN2at6native6mbtopk23computeBlockDigitCountsIajjLi1EEEvNS_4cuda6detail10TensorInfoIKT_T0_EEjPjjS8_iijT1_PSB_Ps
	.p2align	8
	.type	_ZN2at6native6mbtopk23computeBlockDigitCountsIajjLi1EEEvNS_4cuda6detail10TensorInfoIKT_T0_EEjPjjS8_iijT1_PSB_Ps,@function
_ZN2at6native6mbtopk23computeBlockDigitCountsIajjLi1EEEvNS_4cuda6detail10TensorInfoIKT_T0_EEjPjjS8_iijT1_PSB_Ps: ; @_ZN2at6native6mbtopk23computeBlockDigitCountsIajjLi1EEEvNS_4cuda6detail10TensorInfoIKT_T0_EEjPjjS8_iijT1_PSB_Ps
; %bb.0:
	s_load_dwordx2 s[10:11], s[4:5], 0xf8
	s_load_dwordx4 s[12:15], s[4:5], 0xe8
	s_load_dwordx2 s[0:1], s[4:5], 0x110
	s_waitcnt lgkmcnt(0)
	v_cvt_f32_u32_e32 v1, s10
	s_sub_i32 s2, 0, s10
	s_mul_i32 s1, s1, s8
	s_add_i32 s1, s1, s7
	v_rcp_iflag_f32_e32 v1, v1
	s_mul_i32 s16, s1, s0
	s_add_i32 s16, s16, s6
	s_mov_b32 s7, 0
	v_mul_f32_e32 v1, 0x4f7ffffe, v1
	v_cvt_u32_f32_e32 v1, v1
	v_readfirstlane_b32 s0, v1
	s_mul_i32 s2, s2, s0
	s_mul_hi_u32 s1, s0, s2
	s_add_i32 s0, s0, s1
	s_mul_hi_u32 s0, s16, s0
	s_mul_i32 s1, s0, s10
	s_sub_i32 s1, s16, s1
	s_add_i32 s2, s0, 1
	s_sub_i32 s3, s1, s10
	s_cmp_ge_u32 s1, s10
	s_cselect_b32 s0, s2, s0
	s_cselect_b32 s1, s3, s1
	s_add_i32 s2, s0, 1
	s_cmp_ge_u32 s1, s10
	s_cselect_b32 s6, s2, s0
	s_cmp_ge_u32 s6, s12
	s_cbranch_scc1 .LBB14_27
; %bb.1:
	s_load_dwordx4 s[0:3], s[4:5], 0x100
	s_lshl_b64 s[8:9], s[6:7], 2
	s_movk_i32 s7, 0x100
	v_cmp_gt_u32_e32 vcc, s7, v0
	v_lshlrev_b32_e32 v1, 2, v0
	s_waitcnt lgkmcnt(0)
	s_add_u32 s0, s0, s8
	s_addc_u32 s1, s1, s9
	s_and_saveexec_b64 s[8:9], vcc
; %bb.2:
	v_mov_b32_e32 v2, 0
	ds_write_b32 v1, v2
; %bb.3:
	s_or_b64 exec, exec, s[8:9]
	s_load_dword s8, s[4:5], 0xd8
	s_mul_i32 s7, s6, s10
	s_sub_i32 s7, s16, s7
	s_add_i32 s9, s7, 1
	s_mul_i32 s7, s15, s7
	s_lshl_b32 s12, s7, 8
	s_waitcnt lgkmcnt(0)
	s_sub_i32 s7, s8, s12
	s_add_u32 s18, s7, 0xff
	s_addc_u32 s19, 0, 0
	s_lshr_b64 s[18:19], s[18:19], 8
	s_cmp_lt_u32 s9, s10
	s_cselect_b32 s17, s15, s18
	s_cmp_lt_i32 s17, 1
	s_mov_b32 s15, 0
	s_barrier
	s_cbranch_scc1 .LBB14_25
; %bb.4:
	s_load_dword s7, s[4:5], 0x6c
	s_load_dwordx2 s[18:19], s[4:5], 0x0
	s_load_dword s9, s[0:1], 0x0
	s_waitcnt lgkmcnt(0)
	s_mul_i32 s7, s7, s6
	s_add_u32 s4, s18, s7
	s_addc_u32 s5, s19, 0
	s_and_b32 s10, s14, 0xff
	s_cmp_lt_u32 s17, 4
	s_cbranch_scc1 .LBB14_19
; %bb.5:
	v_add_u32_e32 v6, s12, v0
	v_add_u32_e32 v2, 0x300, v6
	;; [unrolled: 1-line block ×4, first 2 shown]
	v_mul_lo_u32 v3, s13, v2
	v_mul_lo_u32 v4, s13, v4
	;; [unrolled: 1-line block ×4, first 2 shown]
	s_and_b32 s15, s17, 0x7ffffffc
	s_lshl_b32 s14, s13, 10
	s_mov_b32 s18, 0
	v_mov_b32_e32 v7, 1
	s_mov_b32 s19, 0
	s_branch .LBB14_7
.LBB14_6:                               ;   in Loop: Header=BB14_7 Depth=1
	s_or_b64 exec, exec, s[6:7]
	s_add_i32 s19, s19, 4
	s_add_i32 s18, s18, s14
	s_cmp_eq_u32 s15, s19
	v_add_u32_e32 v2, 0x400, v2
	s_cbranch_scc1 .LBB14_19
.LBB14_7:                               ; =>This Inner Loop Header: Depth=1
	v_add_u32_e32 v8, 0xfffffd00, v2
	v_cmp_gt_u32_e64 s[0:1], s8, v8
	s_and_saveexec_b64 s[6:7], s[0:1]
	s_cbranch_execz .LBB14_10
; %bb.8:                                ;   in Loop: Header=BB14_7 Depth=1
	v_add_u32_e32 v8, s18, v6
	global_load_sbyte v8, v8, s[4:5]
	s_waitcnt vmcnt(0)
	v_add_u32_e32 v8, 0x80, v8
	v_xor_b32_e32 v9, s9, v8
	v_and_b32_e32 v9, s11, v9
	v_cmp_eq_u32_e64 s[0:1], 0, v9
	s_and_b64 exec, exec, s[0:1]
; %bb.9:                                ;   in Loop: Header=BB14_7 Depth=1
	v_lshrrev_b32_e32 v8, s10, v8
	v_lshlrev_b32_e32 v8, 2, v8
	ds_add_u32 v8, v7
.LBB14_10:                              ;   in Loop: Header=BB14_7 Depth=1
	s_or_b64 exec, exec, s[6:7]
	v_add_u32_e32 v8, 0xfffffe00, v2
	v_cmp_gt_u32_e64 s[0:1], s8, v8
	s_and_saveexec_b64 s[6:7], s[0:1]
	s_cbranch_execz .LBB14_13
; %bb.11:                               ;   in Loop: Header=BB14_7 Depth=1
	v_add_u32_e32 v8, s18, v5
	global_load_sbyte v8, v8, s[4:5]
	s_waitcnt vmcnt(0)
	v_add_u32_e32 v8, 0x80, v8
	v_xor_b32_e32 v9, s9, v8
	v_and_b32_e32 v9, s11, v9
	v_cmp_eq_u32_e64 s[0:1], 0, v9
	s_and_b64 exec, exec, s[0:1]
; %bb.12:                               ;   in Loop: Header=BB14_7 Depth=1
	v_lshrrev_b32_e32 v8, s10, v8
	v_lshlrev_b32_e32 v8, 2, v8
	ds_add_u32 v8, v7
.LBB14_13:                              ;   in Loop: Header=BB14_7 Depth=1
	s_or_b64 exec, exec, s[6:7]
	v_add_u32_e32 v8, 0xffffff00, v2
	v_cmp_gt_u32_e64 s[0:1], s8, v8
	s_and_saveexec_b64 s[6:7], s[0:1]
	s_cbranch_execz .LBB14_16
; %bb.14:                               ;   in Loop: Header=BB14_7 Depth=1
	v_add_u32_e32 v8, s18, v4
	global_load_sbyte v8, v8, s[4:5]
	s_waitcnt vmcnt(0)
	v_add_u32_e32 v8, 0x80, v8
	v_xor_b32_e32 v9, s9, v8
	v_and_b32_e32 v9, s11, v9
	v_cmp_eq_u32_e64 s[0:1], 0, v9
	s_and_b64 exec, exec, s[0:1]
; %bb.15:                               ;   in Loop: Header=BB14_7 Depth=1
	v_lshrrev_b32_e32 v8, s10, v8
	v_lshlrev_b32_e32 v8, 2, v8
	ds_add_u32 v8, v7
.LBB14_16:                              ;   in Loop: Header=BB14_7 Depth=1
	s_or_b64 exec, exec, s[6:7]
	v_cmp_gt_u32_e64 s[0:1], s8, v2
	s_and_saveexec_b64 s[6:7], s[0:1]
	s_cbranch_execz .LBB14_6
; %bb.17:                               ;   in Loop: Header=BB14_7 Depth=1
	v_add_u32_e32 v8, s18, v3
	global_load_sbyte v8, v8, s[4:5]
	s_waitcnt vmcnt(0)
	v_add_u32_e32 v8, 0x80, v8
	v_xor_b32_e32 v9, s9, v8
	v_and_b32_e32 v9, s11, v9
	v_cmp_eq_u32_e64 s[0:1], 0, v9
	s_and_b64 exec, exec, s[0:1]
	s_cbranch_execz .LBB14_6
; %bb.18:                               ;   in Loop: Header=BB14_7 Depth=1
	v_lshrrev_b32_e32 v8, s10, v8
	v_lshlrev_b32_e32 v8, 2, v8
	ds_add_u32 v8, v7
	s_branch .LBB14_6
.LBB14_19:
	s_and_b32 s14, s17, 3
	s_cmp_eq_u32 s14, 0
	s_cbranch_scc1 .LBB14_25
; %bb.20:
	s_lshl_b32 s0, s15, 8
	s_add_i32 s0, s0, s12
	v_add_u32_e32 v2, s0, v0
	v_mul_lo_u32 v3, s13, v2
	s_lshl_b32 s12, s13, 8
	v_mov_b32_e32 v4, 1
	s_branch .LBB14_22
.LBB14_21:                              ;   in Loop: Header=BB14_22 Depth=1
	s_or_b64 exec, exec, s[6:7]
	s_add_i32 s14, s14, -1
	v_add_u32_e32 v3, s12, v3
	s_cmp_lg_u32 s14, 0
	v_add_u32_e32 v2, 0x100, v2
	s_cbranch_scc0 .LBB14_25
.LBB14_22:                              ; =>This Inner Loop Header: Depth=1
	v_cmp_gt_u32_e64 s[0:1], s8, v2
	s_and_saveexec_b64 s[6:7], s[0:1]
	s_cbranch_execz .LBB14_21
; %bb.23:                               ;   in Loop: Header=BB14_22 Depth=1
	global_load_sbyte v5, v3, s[4:5]
	s_waitcnt vmcnt(0)
	v_add_u32_e32 v5, 0x80, v5
	v_xor_b32_e32 v6, s9, v5
	v_and_b32_e32 v6, s11, v6
	v_cmp_eq_u32_e64 s[0:1], 0, v6
	s_and_b64 exec, exec, s[0:1]
	s_cbranch_execz .LBB14_21
; %bb.24:                               ;   in Loop: Header=BB14_22 Depth=1
	v_lshrrev_b32_e32 v5, s10, v5
	v_lshlrev_b32_e32 v5, 2, v5
	ds_add_u32 v5, v4
	s_branch .LBB14_21
.LBB14_25:
	s_waitcnt lgkmcnt(0)
	s_barrier
	s_and_saveexec_b64 s[0:1], vcc
	s_cbranch_execz .LBB14_27
; %bb.26:
	v_lshl_or_b32 v2, s16, 8, v0
	v_mov_b32_e32 v3, 0
	ds_read_b32 v5, v1
	v_lshlrev_b64 v[2:3], 1, v[2:3]
	v_mov_b32_e32 v4, s3
	v_add_co_u32_e32 v0, vcc, s2, v2
	v_addc_co_u32_e32 v1, vcc, v4, v3, vcc
	s_waitcnt lgkmcnt(0)
	global_store_short v[0:1], v5, off
.LBB14_27:
	s_endpgm
	.section	.rodata,"a",@progbits
	.p2align	6, 0x0
	.amdhsa_kernel _ZN2at6native6mbtopk23computeBlockDigitCountsIajjLi1EEEvNS_4cuda6detail10TensorInfoIKT_T0_EEjPjjS8_iijT1_PSB_Ps
		.amdhsa_group_segment_fixed_size 1024
		.amdhsa_private_segment_fixed_size 0
		.amdhsa_kernarg_size 528
		.amdhsa_user_sgpr_count 6
		.amdhsa_user_sgpr_private_segment_buffer 1
		.amdhsa_user_sgpr_dispatch_ptr 0
		.amdhsa_user_sgpr_queue_ptr 0
		.amdhsa_user_sgpr_kernarg_segment_ptr 1
		.amdhsa_user_sgpr_dispatch_id 0
		.amdhsa_user_sgpr_flat_scratch_init 0
		.amdhsa_user_sgpr_private_segment_size 0
		.amdhsa_uses_dynamic_stack 0
		.amdhsa_system_sgpr_private_segment_wavefront_offset 0
		.amdhsa_system_sgpr_workgroup_id_x 1
		.amdhsa_system_sgpr_workgroup_id_y 1
		.amdhsa_system_sgpr_workgroup_id_z 1
		.amdhsa_system_sgpr_workgroup_info 0
		.amdhsa_system_vgpr_workitem_id 0
		.amdhsa_next_free_vgpr 10
		.amdhsa_next_free_sgpr 20
		.amdhsa_reserve_vcc 1
		.amdhsa_reserve_flat_scratch 0
		.amdhsa_float_round_mode_32 0
		.amdhsa_float_round_mode_16_64 0
		.amdhsa_float_denorm_mode_32 3
		.amdhsa_float_denorm_mode_16_64 3
		.amdhsa_dx10_clamp 1
		.amdhsa_ieee_mode 1
		.amdhsa_fp16_overflow 0
		.amdhsa_exception_fp_ieee_invalid_op 0
		.amdhsa_exception_fp_denorm_src 0
		.amdhsa_exception_fp_ieee_div_zero 0
		.amdhsa_exception_fp_ieee_overflow 0
		.amdhsa_exception_fp_ieee_underflow 0
		.amdhsa_exception_fp_ieee_inexact 0
		.amdhsa_exception_int_div_zero 0
	.end_amdhsa_kernel
	.section	.text._ZN2at6native6mbtopk23computeBlockDigitCountsIajjLi1EEEvNS_4cuda6detail10TensorInfoIKT_T0_EEjPjjS8_iijT1_PSB_Ps,"axG",@progbits,_ZN2at6native6mbtopk23computeBlockDigitCountsIajjLi1EEEvNS_4cuda6detail10TensorInfoIKT_T0_EEjPjjS8_iijT1_PSB_Ps,comdat
.Lfunc_end14:
	.size	_ZN2at6native6mbtopk23computeBlockDigitCountsIajjLi1EEEvNS_4cuda6detail10TensorInfoIKT_T0_EEjPjjS8_iijT1_PSB_Ps, .Lfunc_end14-_ZN2at6native6mbtopk23computeBlockDigitCountsIajjLi1EEEvNS_4cuda6detail10TensorInfoIKT_T0_EEjPjjS8_iijT1_PSB_Ps
                                        ; -- End function
	.set _ZN2at6native6mbtopk23computeBlockDigitCountsIajjLi1EEEvNS_4cuda6detail10TensorInfoIKT_T0_EEjPjjS8_iijT1_PSB_Ps.num_vgpr, 10
	.set _ZN2at6native6mbtopk23computeBlockDigitCountsIajjLi1EEEvNS_4cuda6detail10TensorInfoIKT_T0_EEjPjjS8_iijT1_PSB_Ps.num_agpr, 0
	.set _ZN2at6native6mbtopk23computeBlockDigitCountsIajjLi1EEEvNS_4cuda6detail10TensorInfoIKT_T0_EEjPjjS8_iijT1_PSB_Ps.numbered_sgpr, 20
	.set _ZN2at6native6mbtopk23computeBlockDigitCountsIajjLi1EEEvNS_4cuda6detail10TensorInfoIKT_T0_EEjPjjS8_iijT1_PSB_Ps.num_named_barrier, 0
	.set _ZN2at6native6mbtopk23computeBlockDigitCountsIajjLi1EEEvNS_4cuda6detail10TensorInfoIKT_T0_EEjPjjS8_iijT1_PSB_Ps.private_seg_size, 0
	.set _ZN2at6native6mbtopk23computeBlockDigitCountsIajjLi1EEEvNS_4cuda6detail10TensorInfoIKT_T0_EEjPjjS8_iijT1_PSB_Ps.uses_vcc, 1
	.set _ZN2at6native6mbtopk23computeBlockDigitCountsIajjLi1EEEvNS_4cuda6detail10TensorInfoIKT_T0_EEjPjjS8_iijT1_PSB_Ps.uses_flat_scratch, 0
	.set _ZN2at6native6mbtopk23computeBlockDigitCountsIajjLi1EEEvNS_4cuda6detail10TensorInfoIKT_T0_EEjPjjS8_iijT1_PSB_Ps.has_dyn_sized_stack, 0
	.set _ZN2at6native6mbtopk23computeBlockDigitCountsIajjLi1EEEvNS_4cuda6detail10TensorInfoIKT_T0_EEjPjjS8_iijT1_PSB_Ps.has_recursion, 0
	.set _ZN2at6native6mbtopk23computeBlockDigitCountsIajjLi1EEEvNS_4cuda6detail10TensorInfoIKT_T0_EEjPjjS8_iijT1_PSB_Ps.has_indirect_call, 0
	.section	.AMDGPU.csdata,"",@progbits
; Kernel info:
; codeLenInByte = 1016
; TotalNumSgprs: 24
; NumVgprs: 10
; ScratchSize: 0
; MemoryBound: 0
; FloatMode: 240
; IeeeMode: 1
; LDSByteSize: 1024 bytes/workgroup (compile time only)
; SGPRBlocks: 2
; VGPRBlocks: 2
; NumSGPRsForWavesPerEU: 24
; NumVGPRsForWavesPerEU: 10
; Occupancy: 10
; WaveLimiterHint : 1
; COMPUTE_PGM_RSRC2:SCRATCH_EN: 0
; COMPUTE_PGM_RSRC2:USER_SGPR: 6
; COMPUTE_PGM_RSRC2:TRAP_HANDLER: 0
; COMPUTE_PGM_RSRC2:TGID_X_EN: 1
; COMPUTE_PGM_RSRC2:TGID_Y_EN: 1
; COMPUTE_PGM_RSRC2:TGID_Z_EN: 1
; COMPUTE_PGM_RSRC2:TIDIG_COMP_CNT: 0
	.section	.text._ZN2at6native6mbtopk29computeBlockwiseWithinKCountsIjaEEvPT_PsPjjibS6_PT0_S6_S4_S6_j,"axG",@progbits,_ZN2at6native6mbtopk29computeBlockwiseWithinKCountsIjaEEvPT_PsPjjibS6_PT0_S6_S4_S6_j,comdat
	.protected	_ZN2at6native6mbtopk29computeBlockwiseWithinKCountsIjaEEvPT_PsPjjibS6_PT0_S6_S4_S6_j ; -- Begin function _ZN2at6native6mbtopk29computeBlockwiseWithinKCountsIjaEEvPT_PsPjjibS6_PT0_S6_S4_S6_j
	.globl	_ZN2at6native6mbtopk29computeBlockwiseWithinKCountsIjaEEvPT_PsPjjibS6_PT0_S6_S4_S6_j
	.p2align	8
	.type	_ZN2at6native6mbtopk29computeBlockwiseWithinKCountsIjaEEvPT_PsPjjibS6_PT0_S6_S4_S6_j,@function
_ZN2at6native6mbtopk29computeBlockwiseWithinKCountsIjaEEvPT_PsPjjibS6_PT0_S6_S4_S6_j: ; @_ZN2at6native6mbtopk29computeBlockwiseWithinKCountsIjaEEvPT_PsPjjibS6_PT0_S6_S4_S6_j
; %bb.0:
	s_load_dwordx4 s[16:19], s[4:5], 0x18
	s_load_dword s2, s[4:5], 0x50
	s_load_dwordx2 s[0:1], s[4:5], 0x58
	s_waitcnt lgkmcnt(0)
	v_cvt_f32_u32_e32 v1, s16
	s_mul_i32 s1, s1, s8
	s_add_i32 s1, s1, s7
	v_rcp_iflag_f32_e32 v1, v1
	s_mul_i32 s0, s1, s0
	s_add_i32 s6, s0, s6
	s_cmp_ge_u32 s6, s2
	v_mul_f32_e32 v1, 0x4f7ffffe, v1
	v_cvt_u32_f32_e32 v1, v1
	v_readfirstlane_b32 s0, v1
	s_cbranch_scc1 .LBB15_40
; %bb.1:
	s_sub_i32 s1, 0, s16
	s_mul_i32 s1, s1, s0
	s_mul_hi_u32 s1, s0, s1
	s_add_i32 s0, s0, s1
	s_mul_hi_u32 s2, s6, s0
	s_mul_i32 s3, s2, s16
	s_sub_i32 s3, s6, s3
	s_add_i32 s8, s2, 1
	s_sub_i32 s9, s3, s16
	s_cmp_ge_u32 s3, s16
	s_load_dwordx4 s[20:23], s[4:5], 0x0
	s_load_dwordx2 s[0:1], s[4:5], 0x10
	s_cselect_b32 s2, s8, s2
	s_cselect_b32 s3, s9, s3
	s_add_i32 s8, s2, 1
	s_mov_b32 s7, 0
	s_cmp_ge_u32 s3, s16
	s_cselect_b32 s28, s8, s2
	s_mov_b32 s29, s7
	s_lshl_b64 s[24:25], s[28:29], 2
	s_waitcnt lgkmcnt(0)
	s_add_u32 s0, s0, s24
	s_movk_i32 s2, 0x100
	s_addc_u32 s1, s1, s25
	v_cmp_gt_u32_e64 s[2:3], s2, v0
	s_and_saveexec_b64 s[8:9], s[2:3]
	s_cbranch_execz .LBB15_8
; %bb.2:
	s_mul_i32 s10, s28, s16
	s_lshl_b32 s10, s10, 8
	s_mov_b32 s11, s7
	s_lshl_b64 s[10:11], s[10:11], 1
	s_add_u32 s10, s22, s10
	s_addc_u32 s11, s23, s11
	v_lshlrev_b32_e32 v1, 1, v0
	v_mov_b32_e32 v2, s11
	v_add_co_u32_e32 v1, vcc, s10, v1
	v_mov_b32_e32 v3, 0
	s_cmp_lt_u32 s16, 4
	v_addc_co_u32_e32 v2, vcc, 0, v2, vcc
	s_cbranch_scc1 .LBB15_41
; %bb.3:
	v_mov_b32_e32 v3, 0
	s_mov_b32 s10, 0
.LBB15_4:                               ; =>This Inner Loop Header: Depth=1
	global_load_sshort v4, v[1:2], off
	global_load_sshort v5, v[1:2], off offset:512
	global_load_sshort v6, v[1:2], off offset:1024
	;; [unrolled: 1-line block ×3, first 2 shown]
	s_mov_b32 s11, s10
	v_add_co_u32_e32 v1, vcc, 0x800, v1
	s_add_i32 s10, s10, 4
	s_add_i32 s11, s11, 7
	v_addc_co_u32_e32 v2, vcc, 0, v2, vcc
	s_cmp_ge_u32 s11, s16
	s_waitcnt vmcnt(2)
	v_add3_u32 v3, v3, v4, v5
	s_waitcnt vmcnt(0)
	v_add3_u32 v3, v3, v6, v7
	s_cbranch_scc0 .LBB15_4
; %bb.5:
	s_cmp_ge_u32 s10, s16
	s_cbranch_scc1 .LBB15_7
.LBB15_6:                               ; =>This Inner Loop Header: Depth=1
	global_load_sshort v4, v[1:2], off
	v_add_co_u32_e32 v1, vcc, 0x200, v1
	s_add_i32 s10, s10, 1
	v_addc_co_u32_e32 v2, vcc, 0, v2, vcc
	s_cmp_lt_u32 s10, s16
	s_waitcnt vmcnt(0)
	v_add_u32_e32 v3, v3, v4
	s_cbranch_scc1 .LBB15_6
.LBB15_7:
	v_lshlrev_b32_e32 v1, 2, v0
	ds_write_b32 v1, v3 offset:1056
.LBB15_8:
	s_or_b64 exec, exec, s[8:9]
	s_load_dword s19, s[0:1], 0x0
	v_mov_b32_e32 v3, 0
	s_waitcnt lgkmcnt(0)
	s_barrier
	s_and_saveexec_b64 s[0:1], s[2:3]
; %bb.9:
	v_lshlrev_b32_e32 v1, 2, v0
	ds_read_b32 v3, v1 offset:1056
; %bb.10:
	s_or_b64 exec, exec, s[0:1]
	v_lshrrev_b32_e32 v1, 3, v0
	v_and_b32_e32 v1, 28, v1
	v_lshl_add_u32 v2, v0, 2, v1
	v_cmp_gt_u32_e64 s[0:1], 64, v0
	v_mbcnt_lo_u32_b32 v1, -1, 0
	s_waitcnt lgkmcnt(0)
	ds_write_b32 v2, v3
	s_waitcnt lgkmcnt(0)
	s_barrier
	s_and_saveexec_b64 s[8:9], s[0:1]
	s_cbranch_execz .LBB15_12
; %bb.11:
	v_lshrrev_b32_e32 v4, 1, v0
	v_and_b32_e32 v4, 0x7c, v4
	v_lshl_add_u32 v8, v0, 4, v4
	ds_read2_b32 v[4:5], v8 offset1:1
	ds_read2_b32 v[6:7], v8 offset0:2 offset1:3
	v_mbcnt_hi_u32_b32 v9, -1, v1
	v_and_b32_e32 v10, 15, v9
	v_cmp_ne_u32_e32 vcc, 0, v10
	s_waitcnt lgkmcnt(1)
	v_add_u32_e32 v5, v5, v4
	s_waitcnt lgkmcnt(0)
	v_add3_u32 v5, v5, v6, v7
	v_bfe_i32 v7, v9, 4, 1
	s_nop 0
	v_mov_b32_dpp v6, v5 row_shr:1 row_mask:0xf bank_mask:0xf
	v_cndmask_b32_e32 v6, 0, v6, vcc
	v_add_u32_e32 v5, v6, v5
	v_cmp_lt_u32_e32 vcc, 1, v10
	; wave barrier
	s_nop 0
	v_mov_b32_dpp v6, v5 row_shr:2 row_mask:0xf bank_mask:0xf
	v_cndmask_b32_e32 v6, 0, v6, vcc
	v_add_u32_e32 v5, v5, v6
	v_cmp_lt_u32_e32 vcc, 3, v10
	s_nop 0
	v_mov_b32_dpp v6, v5 row_shr:4 row_mask:0xf bank_mask:0xf
	v_cndmask_b32_e32 v6, 0, v6, vcc
	v_add_u32_e32 v5, v5, v6
	v_cmp_lt_u32_e32 vcc, 7, v10
	s_nop 0
	v_mov_b32_dpp v6, v5 row_shr:8 row_mask:0xf bank_mask:0xf
	v_cndmask_b32_e32 v6, 0, v6, vcc
	v_add_u32_e32 v5, v5, v6
	v_cmp_lt_u32_e32 vcc, 31, v9
	s_nop 0
	v_mov_b32_dpp v6, v5 row_bcast:15 row_mask:0xf bank_mask:0xf
	v_and_b32_e32 v6, v7, v6
	v_add_u32_e32 v5, v5, v6
	v_and_b32_e32 v7, 64, v9
	s_nop 0
	v_mov_b32_dpp v6, v5 row_bcast:31 row_mask:0xf bank_mask:0xf
	v_cndmask_b32_e32 v6, 0, v6, vcc
	v_add_u32_e32 v5, v5, v6
	v_add_u32_e32 v6, -1, v9
	v_cmp_lt_i32_e32 vcc, v6, v7
	v_cndmask_b32_e32 v6, v6, v9, vcc
	v_lshlrev_b32_e32 v6, 2, v6
	ds_bpermute_b32 v5, v6, v5
	v_cmp_eq_u32_e32 vcc, 0, v0
	s_waitcnt lgkmcnt(0)
	v_add_u32_e32 v4, v5, v4
	v_cndmask_b32_e32 v5, v4, v3, vcc
	ds_write_b32 v8, v5
	; wave barrier
	ds_read2_b32 v[3:4], v8 offset0:1 offset1:2
	ds_read_b32 v6, v8 offset:12
	s_waitcnt lgkmcnt(1)
	v_add_u32_e32 v3, v3, v5
	v_add_u32_e32 v4, v4, v3
	ds_write2_b32 v8, v3, v4 offset0:1 offset1:2
	s_waitcnt lgkmcnt(1)
	v_add_u32_e32 v3, v6, v4
	ds_write_b32 v8, v3 offset:12
.LBB15_12:
	s_or_b64 exec, exec, s[8:9]
	s_waitcnt lgkmcnt(0)
	s_barrier
	ds_read_b32 v3, v2
	s_waitcnt lgkmcnt(0)
	s_barrier
	s_and_saveexec_b64 s[8:9], s[2:3]
; %bb.13:
	v_lshlrev_b32_e32 v2, 2, v0
	ds_write_b32 v2, v3 offset:1056
; %bb.14:
	s_or_b64 exec, exec, s[8:9]
	s_load_dwordx8 s[8:15], s[4:5], 0x28
	s_load_dwordx2 s[26:27], s[4:5], 0x48
	s_waitcnt lgkmcnt(0)
	s_barrier
	s_and_saveexec_b64 s[4:5], s[2:3]
	s_cbranch_execz .LBB15_23
; %bb.15:
	v_mov_b32_e32 v2, 0
	v_cmp_ne_u32_e32 vcc, 0, v0
	s_and_saveexec_b64 s[2:3], vcc
; %bb.16:
	v_lshlrev_b32_e32 v2, 2, v0
	ds_read_b32 v2, v2 offset:1052
; %bb.17:
	s_or_b64 exec, exec, s[2:3]
	s_waitcnt lgkmcnt(0)
	v_cmp_gt_u32_e32 vcc, s19, v2
	v_cmp_le_u32_e64 s[2:3], s19, v3
	s_and_b64 s[2:3], vcc, s[2:3]
	s_and_b64 exec, exec, s[2:3]
	s_cbranch_execz .LBB15_23
; %bb.18:
	s_add_u32 s2, s20, s24
	s_addc_u32 s3, s21, s25
	v_mov_b32_e32 v3, 0
	global_load_dword v4, v3, s[2:3]
	s_lshl_b32 s3, 0xff, s17
	v_not_b32_e32 v6, s3
	v_lshlrev_b32_e32 v5, s17, v0
	s_mul_i32 s2, s28, s16
	s_cmp_lg_u32 s6, s2
	s_waitcnt vmcnt(0)
	v_and_b32_e32 v4, v4, v6
	v_or_b32_e32 v4, v4, v5
	ds_write_b32 v3, v4 offset:2096
	s_cbranch_scc1 .LBB15_23
; %bb.19:
	s_add_u32 s2, s14, s24
	s_addc_u32 s3, s15, s25
	global_store_dword v3, v4, s[2:3]
	s_cmp_lt_i32 s17, 1
	s_mov_b64 s[2:3], -1
	s_cbranch_scc0 .LBB15_21
; %bb.20:
	s_add_u32 s2, s10, s28
	v_xor_b32_e32 v3, 0x80, v4
	s_addc_u32 s3, s11, 0
	v_mov_b32_e32 v4, 0
	global_store_byte v4, v3, s[2:3]
	s_mov_b64 s[2:3], 0
.LBB15_21:
	s_andn2_b64 vcc, exec, s[2:3]
	s_cbranch_vccnz .LBB15_23
; %bb.22:
	s_add_u32 s2, s12, s24
	v_sub_u32_e32 v2, s19, v2
	s_addc_u32 s3, s13, s25
	v_mov_b32_e32 v3, 0
	global_store_dword v3, v2, s[2:3]
.LBB15_23:
	s_or_b64 exec, exec, s[4:5]
	v_mov_b32_e32 v2, 0
	s_waitcnt vmcnt(0) lgkmcnt(0)
	s_barrier
	ds_read_b32 v2, v2 offset:2096
	s_bitcmp0_b32 s18, 0
	s_waitcnt lgkmcnt(0)
	v_lshrrev_b32_e32 v2, s17, v2
	s_cbranch_scc0 .LBB15_25
; %bb.24:
	v_and_b32_e32 v3, 0xc0, v0
	v_cmp_lt_u32_sdwa s[10:11], v3, v2 src0_sel:DWORD src1_sel:BYTE_0
	v_cmp_lt_u32_sdwa s[4:5], v0, v2 src0_sel:DWORD src1_sel:BYTE_0
	s_cbranch_execz .LBB15_26
	s_branch .LBB15_27
.LBB15_25:
                                        ; implicit-def: $sgpr4_sgpr5
                                        ; implicit-def: $sgpr10_sgpr11
.LBB15_26:
	v_or_b32_e32 v3, 63, v0
	v_cmp_gt_u32_sdwa s[2:3], v3, v2 src0_sel:DWORD src1_sel:BYTE_0
	v_cmp_gt_u32_sdwa s[12:13], v0, v2 src0_sel:DWORD src1_sel:BYTE_0
	s_andn2_b64 s[4:5], s[4:5], exec
	s_and_b64 s[12:13], s[12:13], exec
	s_andn2_b64 s[10:11], s[10:11], exec
	s_and_b64 s[2:3], s[2:3], exec
	s_or_b64 s[4:5], s[4:5], s[12:13]
	s_or_b64 s[10:11], s[10:11], s[2:3]
.LBB15_27:
	v_mov_b32_e32 v2, 0
	s_and_saveexec_b64 s[2:3], s[10:11]
	s_cbranch_execz .LBB15_31
; %bb.28:
	v_mov_b32_e32 v2, 0
	s_and_saveexec_b64 s[10:11], s[4:5]
	s_cbranch_execz .LBB15_30
; %bb.29:
	s_lshl_b32 s4, s6, 8
	s_mov_b32 s5, 0
	s_lshl_b64 s[4:5], s[4:5], 1
	s_add_u32 s4, s22, s4
	s_addc_u32 s5, s23, s5
	v_lshlrev_b32_e32 v2, 1, v0
	global_load_sshort v2, v2, s[4:5]
.LBB15_30:
	s_or_b64 exec, exec, s[10:11]
	v_mbcnt_hi_u32_b32 v3, -1, v1
	v_mov_b32_e32 v4, 0x80
	v_lshl_or_b32 v4, v3, 2, v4
	s_waitcnt vmcnt(0)
	ds_bpermute_b32 v4, v4, v2
	v_and_b32_e32 v5, 63, v3
	v_cmp_gt_u32_e32 vcc, 48, v5
	v_cndmask_b32_e64 v6, 0, 16, vcc
	v_cmp_gt_u32_e32 vcc, 56, v5
	s_waitcnt lgkmcnt(0)
	v_add_u32_e32 v2, v4, v2
	v_add_lshl_u32 v4, v6, v3, 2
	ds_bpermute_b32 v4, v4, v2
	v_cndmask_b32_e64 v6, 0, 8, vcc
	v_add_lshl_u32 v6, v6, v3, 2
	v_cmp_gt_u32_e32 vcc, 60, v5
	s_waitcnt lgkmcnt(0)
	v_add_u32_e32 v2, v4, v2
	ds_bpermute_b32 v4, v6, v2
	v_cndmask_b32_e64 v6, 0, 4, vcc
	v_add_lshl_u32 v6, v6, v3, 2
	v_cmp_gt_u32_e32 vcc, 62, v5
	s_waitcnt lgkmcnt(0)
	v_add_u32_e32 v2, v4, v2
	ds_bpermute_b32 v4, v6, v2
	v_cndmask_b32_e64 v6, 0, 2, vcc
	v_add_lshl_u32 v6, v6, v3, 2
	v_cmp_ne_u32_e32 vcc, 63, v5
	v_addc_co_u32_e32 v3, vcc, 0, v3, vcc
	s_waitcnt lgkmcnt(0)
	v_add_u32_e32 v2, v4, v2
	ds_bpermute_b32 v4, v6, v2
	v_lshlrev_b32_e32 v3, 2, v3
	s_waitcnt lgkmcnt(0)
	v_add_u32_e32 v2, v4, v2
	ds_bpermute_b32 v3, v3, v2
	s_waitcnt lgkmcnt(0)
	v_add_u32_e32 v2, v3, v2
.LBB15_31:
	s_or_b64 exec, exec, s[2:3]
	v_and_b32_e32 v3, 63, v0
	v_cmp_eq_u32_e32 vcc, 0, v3
	s_and_saveexec_b64 s[2:3], vcc
; %bb.32:
	v_lshrrev_b32_e32 v3, 4, v0
	v_and_b32_e32 v3, 12, v3
	ds_write_b32 v3, v2 offset:2080
; %bb.33:
	s_or_b64 exec, exec, s[2:3]
	s_waitcnt lgkmcnt(0)
	s_barrier
	s_and_saveexec_b64 s[2:3], s[0:1]
	s_cbranch_execz .LBB15_40
; %bb.34:
	v_cmp_gt_u32_e32 vcc, 4, v0
	v_mov_b32_e32 v2, 0
	s_and_saveexec_b64 s[0:1], vcc
; %bb.35:
	v_lshlrev_b32_e32 v2, 2, v0
	ds_read_b32 v2, v2 offset:2080
; %bb.36:
	s_or_b64 exec, exec, s[0:1]
	v_mbcnt_hi_u32_b32 v1, -1, v1
	v_and_b32_e32 v3, 63, v1
	v_cmp_gt_u32_e32 vcc, 62, v3
	v_cndmask_b32_e64 v4, 0, 2, vcc
	v_add_lshl_u32 v4, v4, v1, 2
	s_waitcnt lgkmcnt(0)
	ds_bpermute_b32 v4, v4, v2
	v_cmp_ne_u32_e32 vcc, 63, v3
	v_addc_co_u32_e32 v3, vcc, 0, v1, vcc
	v_cmp_eq_u32_e32 vcc, 0, v0
	s_waitcnt lgkmcnt(0)
	v_add_u32_e32 v1, v4, v2
	v_lshlrev_b32_e32 v2, 2, v3
	ds_bpermute_b32 v2, v2, v1
	s_and_saveexec_b64 s[0:1], vcc
	s_cbranch_execz .LBB15_38
; %bb.37:
	s_lshl_b64 s[2:3], s[6:7], 2
	s_add_u32 s2, s8, s2
	s_addc_u32 s3, s9, s3
	v_mov_b32_e32 v3, 0
	global_load_dword v4, v3, s[2:3]
	s_waitcnt vmcnt(0) lgkmcnt(0)
	v_add3_u32 v1, v2, v1, v4
	global_store_dword v3, v1, s[2:3]
.LBB15_38:
	s_or_b64 exec, exec, s[0:1]
	v_or_b32_e32 v0, s17, v0
	v_cmp_eq_u32_e32 vcc, 0, v0
	s_and_b64 exec, exec, vcc
	s_cbranch_execz .LBB15_40
; %bb.39:
	v_mov_b32_e32 v0, 0
	ds_read_b32 v1, v0 offset:2096
	s_lshl_b32 s0, s6, 8
	s_mov_b32 s1, 0
	s_lshl_b64 s[0:1], s[0:1], 1
	s_add_u32 s0, s22, s0
	s_waitcnt lgkmcnt(1)
	v_mov_b32_e32 v2, 1
	s_addc_u32 s1, s23, s1
	s_waitcnt lgkmcnt(0)
	v_lshlrev_b32_sdwa v1, v2, v1 dst_sel:DWORD dst_unused:UNUSED_PAD src0_sel:DWORD src1_sel:BYTE_0
	global_load_sshort v1, v1, s[0:1]
	s_lshl_b64 s[0:1], s[6:7], 2
	s_add_u32 s0, s26, s0
	s_addc_u32 s1, s27, s1
	s_waitcnt vmcnt(0)
	global_store_dword v0, v1, s[0:1]
.LBB15_40:
	s_endpgm
.LBB15_41:
	s_mov_b32 s10, s7
	s_cmp_ge_u32 s10, s16
	s_cbranch_scc0 .LBB15_6
	s_branch .LBB15_7
	.section	.rodata,"a",@progbits
	.p2align	6, 0x0
	.amdhsa_kernel _ZN2at6native6mbtopk29computeBlockwiseWithinKCountsIjaEEvPT_PsPjjibS6_PT0_S6_S4_S6_j
		.amdhsa_group_segment_fixed_size 2100
		.amdhsa_private_segment_fixed_size 0
		.amdhsa_kernarg_size 344
		.amdhsa_user_sgpr_count 6
		.amdhsa_user_sgpr_private_segment_buffer 1
		.amdhsa_user_sgpr_dispatch_ptr 0
		.amdhsa_user_sgpr_queue_ptr 0
		.amdhsa_user_sgpr_kernarg_segment_ptr 1
		.amdhsa_user_sgpr_dispatch_id 0
		.amdhsa_user_sgpr_flat_scratch_init 0
		.amdhsa_user_sgpr_private_segment_size 0
		.amdhsa_uses_dynamic_stack 0
		.amdhsa_system_sgpr_private_segment_wavefront_offset 0
		.amdhsa_system_sgpr_workgroup_id_x 1
		.amdhsa_system_sgpr_workgroup_id_y 1
		.amdhsa_system_sgpr_workgroup_id_z 1
		.amdhsa_system_sgpr_workgroup_info 0
		.amdhsa_system_vgpr_workitem_id 0
		.amdhsa_next_free_vgpr 11
		.amdhsa_next_free_sgpr 30
		.amdhsa_reserve_vcc 1
		.amdhsa_reserve_flat_scratch 0
		.amdhsa_float_round_mode_32 0
		.amdhsa_float_round_mode_16_64 0
		.amdhsa_float_denorm_mode_32 3
		.amdhsa_float_denorm_mode_16_64 3
		.amdhsa_dx10_clamp 1
		.amdhsa_ieee_mode 1
		.amdhsa_fp16_overflow 0
		.amdhsa_exception_fp_ieee_invalid_op 0
		.amdhsa_exception_fp_denorm_src 0
		.amdhsa_exception_fp_ieee_div_zero 0
		.amdhsa_exception_fp_ieee_overflow 0
		.amdhsa_exception_fp_ieee_underflow 0
		.amdhsa_exception_fp_ieee_inexact 0
		.amdhsa_exception_int_div_zero 0
	.end_amdhsa_kernel
	.section	.text._ZN2at6native6mbtopk29computeBlockwiseWithinKCountsIjaEEvPT_PsPjjibS6_PT0_S6_S4_S6_j,"axG",@progbits,_ZN2at6native6mbtopk29computeBlockwiseWithinKCountsIjaEEvPT_PsPjjibS6_PT0_S6_S4_S6_j,comdat
.Lfunc_end15:
	.size	_ZN2at6native6mbtopk29computeBlockwiseWithinKCountsIjaEEvPT_PsPjjibS6_PT0_S6_S4_S6_j, .Lfunc_end15-_ZN2at6native6mbtopk29computeBlockwiseWithinKCountsIjaEEvPT_PsPjjibS6_PT0_S6_S4_S6_j
                                        ; -- End function
	.set _ZN2at6native6mbtopk29computeBlockwiseWithinKCountsIjaEEvPT_PsPjjibS6_PT0_S6_S4_S6_j.num_vgpr, 11
	.set _ZN2at6native6mbtopk29computeBlockwiseWithinKCountsIjaEEvPT_PsPjjibS6_PT0_S6_S4_S6_j.num_agpr, 0
	.set _ZN2at6native6mbtopk29computeBlockwiseWithinKCountsIjaEEvPT_PsPjjibS6_PT0_S6_S4_S6_j.numbered_sgpr, 30
	.set _ZN2at6native6mbtopk29computeBlockwiseWithinKCountsIjaEEvPT_PsPjjibS6_PT0_S6_S4_S6_j.num_named_barrier, 0
	.set _ZN2at6native6mbtopk29computeBlockwiseWithinKCountsIjaEEvPT_PsPjjibS6_PT0_S6_S4_S6_j.private_seg_size, 0
	.set _ZN2at6native6mbtopk29computeBlockwiseWithinKCountsIjaEEvPT_PsPjjibS6_PT0_S6_S4_S6_j.uses_vcc, 1
	.set _ZN2at6native6mbtopk29computeBlockwiseWithinKCountsIjaEEvPT_PsPjjibS6_PT0_S6_S4_S6_j.uses_flat_scratch, 0
	.set _ZN2at6native6mbtopk29computeBlockwiseWithinKCountsIjaEEvPT_PsPjjibS6_PT0_S6_S4_S6_j.has_dyn_sized_stack, 0
	.set _ZN2at6native6mbtopk29computeBlockwiseWithinKCountsIjaEEvPT_PsPjjibS6_PT0_S6_S4_S6_j.has_recursion, 0
	.set _ZN2at6native6mbtopk29computeBlockwiseWithinKCountsIjaEEvPT_PsPjjibS6_PT0_S6_S4_S6_j.has_indirect_call, 0
	.section	.AMDGPU.csdata,"",@progbits
; Kernel info:
; codeLenInByte = 1852
; TotalNumSgprs: 34
; NumVgprs: 11
; ScratchSize: 0
; MemoryBound: 0
; FloatMode: 240
; IeeeMode: 1
; LDSByteSize: 2100 bytes/workgroup (compile time only)
; SGPRBlocks: 4
; VGPRBlocks: 2
; NumSGPRsForWavesPerEU: 34
; NumVGPRsForWavesPerEU: 11
; Occupancy: 10
; WaveLimiterHint : 1
; COMPUTE_PGM_RSRC2:SCRATCH_EN: 0
; COMPUTE_PGM_RSRC2:USER_SGPR: 6
; COMPUTE_PGM_RSRC2:TRAP_HANDLER: 0
; COMPUTE_PGM_RSRC2:TGID_X_EN: 1
; COMPUTE_PGM_RSRC2:TGID_Y_EN: 1
; COMPUTE_PGM_RSRC2:TGID_Z_EN: 1
; COMPUTE_PGM_RSRC2:TIDIG_COMP_CNT: 0
	.section	.text._ZN2at6native6mbtopk10gatherTopKIajLi1EEEvNS_4cuda6detail10TensorInfoIKT_T0_EES8_S8_bjS8_NS5_IS6_S8_EES8_NS5_IlS8_EES8_jjPS6_PjSD_j,"axG",@progbits,_ZN2at6native6mbtopk10gatherTopKIajLi1EEEvNS_4cuda6detail10TensorInfoIKT_T0_EES8_S8_bjS8_NS5_IS6_S8_EES8_NS5_IlS8_EES8_jjPS6_PjSD_j,comdat
	.protected	_ZN2at6native6mbtopk10gatherTopKIajLi1EEEvNS_4cuda6detail10TensorInfoIKT_T0_EES8_S8_bjS8_NS5_IS6_S8_EES8_NS5_IlS8_EES8_jjPS6_PjSD_j ; -- Begin function _ZN2at6native6mbtopk10gatherTopKIajLi1EEEvNS_4cuda6detail10TensorInfoIKT_T0_EES8_S8_bjS8_NS5_IS6_S8_EES8_NS5_IlS8_EES8_jjPS6_PjSD_j
	.globl	_ZN2at6native6mbtopk10gatherTopKIajLi1EEEvNS_4cuda6detail10TensorInfoIKT_T0_EES8_S8_bjS8_NS5_IS6_S8_EES8_NS5_IlS8_EES8_jjPS6_PjSD_j
	.p2align	8
	.type	_ZN2at6native6mbtopk10gatherTopKIajLi1EEEvNS_4cuda6detail10TensorInfoIKT_T0_EES8_S8_bjS8_NS5_IS6_S8_EES8_NS5_IlS8_EES8_jjPS6_PjSD_j,@function
_ZN2at6native6mbtopk10gatherTopKIajLi1EEEvNS_4cuda6detail10TensorInfoIKT_T0_EES8_S8_bjS8_NS5_IS6_S8_EES8_NS5_IlS8_EES8_jjPS6_PjSD_j: ; @_ZN2at6native6mbtopk10gatherTopKIajLi1EEEvNS_4cuda6detail10TensorInfoIKT_T0_EES8_S8_bjS8_NS5_IS6_S8_EES8_NS5_IlS8_EES8_jjPS6_PjSD_j
; %bb.0:
	s_load_dwordx2 s[0:1], s[4:5], 0x2d8
	s_load_dword s2, s[4:5], 0x2d0
	s_waitcnt lgkmcnt(0)
	s_mul_i32 s1, s1, s8
	s_add_i32 s1, s1, s7
	s_mul_i32 s0, s1, s0
	s_add_i32 s0, s0, s6
	s_cmp_ge_u32 s0, s2
	s_cbranch_scc1 .LBB16_40
; %bb.1:
	s_load_dwordx8 s[8:15], s[4:5], 0x2a8
	s_mov_b32 s25, 0
	s_waitcnt lgkmcnt(0)
	v_cvt_f32_u32_e32 v1, s10
	s_sub_i32 s1, 0, s10
	v_rcp_iflag_f32_e32 v1, v1
	v_mul_f32_e32 v1, 0x4f7ffffe, v1
	v_cvt_u32_f32_e32 v1, v1
	v_readfirstlane_b32 s2, v1
	s_mul_i32 s1, s1, s2
	s_mul_hi_u32 s1, s2, s1
	s_add_i32 s2, s2, s1
	s_mul_hi_u32 s1, s0, s2
	s_mul_i32 s2, s1, s10
	s_sub_i32 s2, s0, s2
	s_add_i32 s3, s1, 1
	s_sub_i32 s6, s2, s10
	s_cmp_ge_u32 s2, s10
	s_cselect_b32 s1, s3, s1
	s_cselect_b32 s2, s6, s2
	s_add_i32 s3, s1, 1
	s_cmp_ge_u32 s2, s10
	s_cselect_b32 s11, s3, s1
	v_mov_b32_e32 v1, s11
	global_load_ubyte v6, v1, s[12:13]
	s_load_dwordx2 s[6:7], s[4:5], 0x1d0
	s_load_dwordx2 s[20:21], s[4:5], 0xf0
	;; [unrolled: 1-line block ×3, first 2 shown]
	s_mul_i32 s24, s11, s10
	s_sub_i32 s33, s0, s24
	v_cmp_ne_u32_e64 s[0:1], 0, v0
	v_cmp_eq_u32_e64 s[2:3], 0, v0
	s_and_saveexec_b64 s[12:13], s[2:3]
	s_cbranch_execz .LBB16_17
; %bb.2:
	s_load_dwordx2 s[26:27], s[4:5], 0x2c8
	s_lshl_b64 s[28:29], s[24:25], 2
	s_add_u32 s16, s14, s28
	s_addc_u32 s17, s15, s29
	s_mov_b32 s24, 0
	s_waitcnt lgkmcnt(0)
	s_add_u32 s18, s26, s28
	s_addc_u32 s19, s27, s29
	s_mov_b32 s34, 0
	s_cmp_lt_u32 s10, 4
	s_cbranch_scc1 .LBB16_14
; %bb.3:
	s_mov_b32 s35, 0
.LBB16_4:                               ; =>This Inner Loop Header: Depth=1
	s_add_u32 s30, s14, s28
	s_addc_u32 s31, s15, s29
	s_load_dwordx4 s[16:19], s[30:31], 0x0
	s_add_u32 s30, s26, s28
	s_addc_u32 s31, s27, s29
	s_cmp_ge_u32 s35, s33
	s_cbranch_scc0 .LBB16_11
; %bb.5:                                ;   in Loop: Header=BB16_4 Depth=1
	s_add_i32 s36, s35, 1
	s_cmp_ge_u32 s36, s33
	s_cbranch_scc0 .LBB16_12
.LBB16_6:                               ;   in Loop: Header=BB16_4 Depth=1
	s_add_i32 s36, s36, 1
	s_cmp_ge_u32 s36, s33
	s_cbranch_scc0 .LBB16_13
.LBB16_7:                               ;   in Loop: Header=BB16_4 Depth=1
	s_add_i32 s36, s36, 1
	s_cmp_ge_u32 s36, s33
	s_cbranch_scc1 .LBB16_9
.LBB16_8:                               ;   in Loop: Header=BB16_4 Depth=1
	s_load_dword s30, s[30:31], 0xc
	s_waitcnt lgkmcnt(0)
	s_add_i32 s25, s25, s19
	s_add_i32 s24, s30, s24
.LBB16_9:                               ;   in Loop: Header=BB16_4 Depth=1
	s_waitcnt lgkmcnt(0)
	s_add_i32 s16, s16, s34
	s_add_i32 s16, s16, s17
	;; [unrolled: 1-line block ×4, first 2 shown]
	s_add_u32 s14, s14, 16
	s_addc_u32 s15, s15, 0
	s_add_u32 s26, s26, 16
	s_addc_u32 s27, s27, 0
	s_add_i32 s31, s36, 4
	s_add_u32 s18, s26, s28
	s_addc_u32 s19, s27, s29
	s_add_u32 s16, s14, s28
	s_addc_u32 s17, s15, s29
	s_add_i32 s30, s36, 1
	s_cmp_ge_u32 s31, s10
	s_cbranch_scc1 .LBB16_15
; %bb.10:                               ;   in Loop: Header=BB16_4 Depth=1
	s_mov_b32 s35, s30
	s_branch .LBB16_4
.LBB16_11:                              ;   in Loop: Header=BB16_4 Depth=1
	s_load_dword s36, s[30:31], 0x0
	s_waitcnt lgkmcnt(0)
	s_add_i32 s25, s16, s25
	s_add_i32 s24, s36, s24
	;; [unrolled: 1-line block ×3, first 2 shown]
	s_cmp_ge_u32 s36, s33
	s_cbranch_scc1 .LBB16_6
.LBB16_12:                              ;   in Loop: Header=BB16_4 Depth=1
	s_load_dword s37, s[30:31], 0x4
	s_waitcnt lgkmcnt(0)
	s_add_i32 s25, s25, s17
	s_add_i32 s24, s37, s24
	;; [unrolled: 1-line block ×3, first 2 shown]
	s_cmp_ge_u32 s36, s33
	s_cbranch_scc1 .LBB16_7
.LBB16_13:                              ;   in Loop: Header=BB16_4 Depth=1
	s_load_dword s37, s[30:31], 0x8
	s_waitcnt lgkmcnt(0)
	s_add_i32 s25, s25, s18
	s_add_i32 s24, s37, s24
	;; [unrolled: 1-line block ×3, first 2 shown]
	s_cmp_ge_u32 s36, s33
	s_cbranch_scc0 .LBB16_8
	s_branch .LBB16_9
.LBB16_14:
	s_mov_b32 s14, 0
	s_cmp_ge_u32 s14, s10
	s_cbranch_scc0 .LBB16_38
	s_branch .LBB16_16
.LBB16_15:
	s_add_i32 s14, s35, 4
	s_cmp_ge_u32 s14, s10
	s_cbranch_scc0 .LBB16_38
.LBB16_16:
	v_mov_b32_e32 v1, s24
	v_mov_b32_e32 v2, s34
	v_mov_b32_e32 v3, s25
	v_mov_b32_e32 v4, 0
	ds_write_b96 v4, v[1:3] offset:1056
.LBB16_17:
	s_or_b64 exec, exec, s[12:13]
	s_load_dword s16, s[4:5], 0x23c
	s_load_dword s17, s[4:5], 0x15c
	;; [unrolled: 1-line block ×3, first 2 shown]
	s_load_dwordx4 s[12:15], s[4:5], 0xd8
	s_waitcnt lgkmcnt(0)
	s_mul_i32 s15, s9, s33
	s_lshl_b32 s15, s15, 8
	s_add_i32 s26, s33, 1
	s_mov_b32 s19, 0
	s_sub_i32 s24, s12, s15
	s_add_u32 s24, s24, 0xff
	s_addc_u32 s25, 0, 0
	s_lshr_b64 s[24:25], s[24:25], 8
	s_cmp_lt_u32 s26, s10
	s_cselect_b32 s9, s9, s24
	s_cmp_eq_u32 s9, 0
	s_waitcnt vmcnt(0)
	s_barrier
	s_cbranch_scc1 .LBB16_40
; %bb.18:
	s_mul_i32 s10, s11, s18
	s_add_u32 s10, s22, s10
	s_mul_i32 s17, s11, s17
	s_mul_i32 s18, s11, s16
	s_addc_u32 s11, s23, 0
	s_add_u32 s16, s20, s17
	v_mov_b32_e32 v5, 0
	s_addc_u32 s17, s21, 0
	s_lshl_b64 s[18:19], s[18:19], 3
	ds_read_b96 v[1:3], v5 offset:1056
	s_add_u32 s18, s6, s18
	s_addc_u32 s19, s7, s19
	v_lshrrev_b32_e32 v4, 1, v0
	s_bitcmp1_b32 s14, 0
	s_load_dword s14, s[4:5], 0xe8
	s_load_dword s21, s[4:5], 0x1c8
	v_and_b32_e32 v8, 0x7c, v4
	v_add_u32_e32 v4, -1, v0
	v_lshrrev_b32_e32 v10, 3, v4
	s_waitcnt lgkmcnt(0)
	v_add_u32_e32 v1, v1, v2
	v_lshrrev_b32_e32 v2, 3, v0
	v_and_b32_e32 v10, 0x1ffffffc, v10
	v_and_b32_e32 v2, 28, v2
	v_lshl_add_u32 v10, v4, 2, v10
	v_add_u32_e32 v4, s15, v0
	v_lshl_add_u32 v2, v0, 2, v2
	v_cmp_gt_u32_e64 s[4:5], 64, v0
	v_lshlrev_b32_e32 v9, 4, v0
	v_mul_lo_u32 v0, s14, v4
	s_movk_i32 s20, 0x80
	v_mbcnt_lo_u32_b32 v11, -1, 0
	v_add_u32_sdwa v7, sext(v6), s20 dst_sel:DWORD dst_unused:UNUSED_PAD src0_sel:BYTE_0 src1_sel:DWORD
	s_cselect_b64 s[6:7], -1, 0
	s_lshl_b32 s22, s14, 8
	v_mbcnt_hi_u32_b32 v11, -1, v11
                                        ; implicit-def: $vgpr12
	s_branch .LBB16_21
.LBB16_19:                              ;   in Loop: Header=BB16_21 Depth=1
	s_or_b64 exec, exec, s[14:15]
	v_add_u32_e32 v1, v15, v1
.LBB16_20:                              ;   in Loop: Header=BB16_21 Depth=1
	s_add_i32 s9, s9, -1
	v_add_u32_e32 v3, v14, v3
	v_add_u32_e32 v0, s22, v0
	s_cmp_lg_u32 s9, 0
	v_add_u32_e32 v4, 0x100, v4
	s_cbranch_scc0 .LBB16_40
.LBB16_21:                              ; =>This Inner Loop Header: Depth=1
	v_cmp_gt_u32_e32 vcc, s12, v4
	v_mov_b32_e32 v15, 0
	v_mov_b32_e32 v13, 0
	s_and_saveexec_b64 s[14:15], vcc
	s_cbranch_execz .LBB16_23
; %bb.22:                               ;   in Loop: Header=BB16_21 Depth=1
	global_load_ubyte v12, v0, s[10:11]
	s_waitcnt vmcnt(0)
	v_add_u32_sdwa v13, sext(v12), s20 dst_sel:DWORD dst_unused:UNUSED_PAD src0_sel:BYTE_0 src1_sel:DWORD
	v_cmp_gt_u32_e32 vcc, v13, v7
	v_cndmask_b32_e64 v14, 0, 1, vcc
	v_cmp_lt_u32_e32 vcc, v13, v7
	v_cndmask_b32_e64 v13, 0, 1, vcc
	v_cndmask_b32_e64 v13, v13, v14, s[6:7]
	v_cmp_eq_u16_sdwa s[24:25], v12, v6 src0_sel:DWORD src1_sel:BYTE_0
	v_and_b32_e32 v15, 1, v13
	v_cndmask_b32_e64 v13, 0, 1, s[24:25]
.LBB16_23:                              ;   in Loop: Header=BB16_21 Depth=1
	s_or_b64 exec, exec, s[14:15]
	ds_write_b32 v2, v15
	s_waitcnt vmcnt(0) lgkmcnt(0)
	s_barrier
	s_and_saveexec_b64 s[14:15], s[4:5]
	s_cbranch_execz .LBB16_25
; %bb.24:                               ;   in Loop: Header=BB16_21 Depth=1
	v_add_u32_e32 v14, v8, v9
	ds_read2_b32 v[16:17], v14 offset1:1
	ds_read2_b32 v[18:19], v14 offset0:2 offset1:3
	v_and_b32_e32 v20, 15, v11
	v_cmp_ne_u32_e32 vcc, 0, v20
	s_waitcnt lgkmcnt(1)
	v_add_u32_e32 v17, v17, v16
	s_waitcnt lgkmcnt(0)
	v_add3_u32 v17, v17, v18, v19
	v_bfe_i32 v19, v11, 4, 1
	; wave barrier
	s_nop 0
	v_mov_b32_dpp v18, v17 row_shr:1 row_mask:0xf bank_mask:0xf
	v_cndmask_b32_e32 v18, 0, v18, vcc
	v_add_u32_e32 v17, v18, v17
	v_cmp_lt_u32_e32 vcc, 1, v20
	s_nop 0
	v_mov_b32_dpp v18, v17 row_shr:2 row_mask:0xf bank_mask:0xf
	v_cndmask_b32_e32 v18, 0, v18, vcc
	v_add_u32_e32 v17, v17, v18
	v_cmp_lt_u32_e32 vcc, 3, v20
	;; [unrolled: 5-line block ×4, first 2 shown]
	s_nop 0
	v_mov_b32_dpp v18, v17 row_bcast:15 row_mask:0xf bank_mask:0xf
	v_and_b32_e32 v18, v19, v18
	v_add_u32_e32 v17, v17, v18
	v_and_b32_e32 v19, 64, v11
	s_nop 0
	v_mov_b32_dpp v18, v17 row_bcast:31 row_mask:0xf bank_mask:0xf
	v_cndmask_b32_e32 v18, 0, v18, vcc
	v_add_u32_e32 v17, v17, v18
	v_add_u32_e32 v18, -1, v11
	v_cmp_lt_i32_e32 vcc, v18, v19
	v_cndmask_b32_e32 v18, v18, v11, vcc
	v_lshlrev_b32_e32 v18, 2, v18
	ds_bpermute_b32 v17, v18, v17
	s_waitcnt lgkmcnt(0)
	v_add_u32_e32 v16, v17, v16
	v_cndmask_b32_e64 v18, v16, v15, s[2:3]
	ds_write_b32 v14, v18
	; wave barrier
	ds_read2_b32 v[16:17], v14 offset0:1 offset1:2
	ds_read_b32 v19, v14 offset:12
	s_waitcnt lgkmcnt(1)
	v_add_u32_e32 v16, v16, v18
	v_add_u32_e32 v17, v17, v16
	ds_write2_b32 v14, v16, v17 offset0:1 offset1:2
	s_waitcnt lgkmcnt(1)
	v_add_u32_e32 v16, v19, v17
	ds_write_b32 v14, v16 offset:12
.LBB16_25:                              ;   in Loop: Header=BB16_21 Depth=1
	s_or_b64 exec, exec, s[14:15]
	v_mov_b32_e32 v16, 0
	s_waitcnt lgkmcnt(0)
	s_barrier
	s_and_saveexec_b64 s[14:15], s[0:1]
; %bb.26:                               ;   in Loop: Header=BB16_21 Depth=1
	ds_read_b32 v16, v10
; %bb.27:                               ;   in Loop: Header=BB16_21 Depth=1
	s_or_b64 exec, exec, s[14:15]
	ds_read_b32 v14, v5 offset:1048
	v_cmp_ne_u32_e32 vcc, 0, v15
	s_waitcnt lgkmcnt(0)
	s_barrier
	s_and_saveexec_b64 s[14:15], vcc
	s_cbranch_execz .LBB16_29
; %bb.28:                               ;   in Loop: Header=BB16_21 Depth=1
	v_add_u32_e32 v15, v16, v3
	v_mul_lo_u32 v17, v15, s21
	v_mul_lo_u32 v15, v15, s8
	v_mov_b32_e32 v16, v5
	global_store_byte v17, v12, s[16:17]
	v_lshlrev_b64 v[15:16], 3, v[15:16]
	v_mov_b32_e32 v17, s19
	v_add_co_u32_e32 v15, vcc, s18, v15
	v_addc_co_u32_e32 v16, vcc, v17, v16, vcc
	global_store_dwordx2 v[15:16], v[4:5], off
.LBB16_29:                              ;   in Loop: Header=BB16_21 Depth=1
	s_or_b64 exec, exec, s[14:15]
	v_cmp_le_u32_e32 vcc, s13, v1
	s_cbranch_vccnz .LBB16_20
; %bb.30:                               ;   in Loop: Header=BB16_21 Depth=1
	ds_write_b32 v2, v13
	s_waitcnt vmcnt(0) lgkmcnt(0)
	s_barrier
	s_and_saveexec_b64 s[14:15], s[4:5]
	s_cbranch_execz .LBB16_32
; %bb.31:                               ;   in Loop: Header=BB16_21 Depth=1
	v_add_u32_e32 v19, v8, v9
	ds_read2_b32 v[15:16], v19 offset1:1
	ds_read2_b32 v[17:18], v19 offset0:2 offset1:3
	v_and_b32_e32 v20, 15, v11
	v_cmp_ne_u32_e32 vcc, 0, v20
	s_waitcnt lgkmcnt(1)
	v_add_u32_e32 v16, v16, v15
	s_waitcnt lgkmcnt(0)
	v_add3_u32 v16, v16, v17, v18
	v_bfe_i32 v18, v11, 4, 1
	; wave barrier
	s_nop 0
	v_mov_b32_dpp v17, v16 row_shr:1 row_mask:0xf bank_mask:0xf
	v_cndmask_b32_e32 v17, 0, v17, vcc
	v_add_u32_e32 v16, v17, v16
	v_cmp_lt_u32_e32 vcc, 1, v20
	s_nop 0
	v_mov_b32_dpp v17, v16 row_shr:2 row_mask:0xf bank_mask:0xf
	v_cndmask_b32_e32 v17, 0, v17, vcc
	v_add_u32_e32 v16, v16, v17
	v_cmp_lt_u32_e32 vcc, 3, v20
	;; [unrolled: 5-line block ×4, first 2 shown]
	s_nop 0
	v_mov_b32_dpp v17, v16 row_bcast:15 row_mask:0xf bank_mask:0xf
	v_and_b32_e32 v17, v18, v17
	v_add_u32_e32 v16, v16, v17
	v_and_b32_e32 v18, 64, v11
	s_nop 0
	v_mov_b32_dpp v17, v16 row_bcast:31 row_mask:0xf bank_mask:0xf
	v_cndmask_b32_e32 v17, 0, v17, vcc
	v_add_u32_e32 v16, v16, v17
	v_add_u32_e32 v17, -1, v11
	v_cmp_lt_i32_e32 vcc, v17, v18
	v_cndmask_b32_e32 v17, v17, v11, vcc
	v_lshlrev_b32_e32 v17, 2, v17
	ds_bpermute_b32 v16, v17, v16
	s_waitcnt lgkmcnt(0)
	v_add_u32_e32 v15, v16, v15
	v_cndmask_b32_e64 v17, v15, v13, s[2:3]
	ds_write_b32 v19, v17
	; wave barrier
	ds_read2_b32 v[15:16], v19 offset0:1 offset1:2
	ds_read_b32 v18, v19 offset:12
	s_waitcnt lgkmcnt(1)
	v_add_u32_e32 v15, v15, v17
	v_add_u32_e32 v16, v16, v15
	ds_write2_b32 v19, v15, v16 offset0:1 offset1:2
	s_waitcnt lgkmcnt(1)
	v_add_u32_e32 v15, v18, v16
	ds_write_b32 v19, v15 offset:12
.LBB16_32:                              ;   in Loop: Header=BB16_21 Depth=1
	s_or_b64 exec, exec, s[14:15]
	v_mov_b32_e32 v16, 0
	s_waitcnt lgkmcnt(0)
	s_barrier
	s_and_saveexec_b64 s[14:15], s[0:1]
; %bb.33:                               ;   in Loop: Header=BB16_21 Depth=1
	ds_read_b32 v16, v10
; %bb.34:                               ;   in Loop: Header=BB16_21 Depth=1
	s_or_b64 exec, exec, s[14:15]
	ds_read_b32 v15, v5 offset:1048
	v_cmp_ne_u32_e32 vcc, 0, v13
	s_waitcnt lgkmcnt(0)
	s_barrier
	s_and_saveexec_b64 s[14:15], vcc
	s_cbranch_execz .LBB16_19
; %bb.35:                               ;   in Loop: Header=BB16_21 Depth=1
	v_add_u32_e32 v13, v16, v1
	v_cmp_gt_u32_e32 vcc, s13, v13
	s_and_b64 exec, exec, vcc
	s_cbranch_execz .LBB16_19
; %bb.36:                               ;   in Loop: Header=BB16_21 Depth=1
	v_mul_lo_u32 v16, v13, s8
	v_mov_b32_e32 v17, v5
	v_mul_lo_u32 v18, v13, s21
	v_mov_b32_e32 v13, s19
	v_lshlrev_b64 v[16:17], 3, v[16:17]
	global_store_byte v18, v12, s[16:17]
	v_add_co_u32_e32 v16, vcc, s18, v16
	v_addc_co_u32_e32 v17, vcc, v13, v17, vcc
	global_store_dwordx2 v[16:17], v[4:5], off
	s_branch .LBB16_19
.LBB16_37:                              ;   in Loop: Header=BB16_38 Depth=1
	s_add_u32 s16, s16, 4
	s_addc_u32 s17, s17, 0
	s_waitcnt lgkmcnt(0)
	s_add_i32 s34, s15, s34
	s_add_u32 s18, s18, 4
	s_addc_u32 s19, s19, 0
	s_add_i32 s14, s14, 1
	s_cmp_lt_u32 s14, s10
	s_cbranch_scc0 .LBB16_16
.LBB16_38:                              ; =>This Inner Loop Header: Depth=1
	s_load_dword s15, s[16:17], 0x0
	s_cmp_ge_u32 s14, s33
	s_cbranch_scc1 .LBB16_37
; %bb.39:                               ;   in Loop: Header=BB16_38 Depth=1
	s_load_dword s26, s[18:19], 0x0
	s_waitcnt lgkmcnt(0)
	s_add_i32 s25, s15, s25
	s_add_i32 s24, s26, s24
	s_branch .LBB16_37
.LBB16_40:
	s_endpgm
	.section	.rodata,"a",@progbits
	.p2align	6, 0x0
	.amdhsa_kernel _ZN2at6native6mbtopk10gatherTopKIajLi1EEEvNS_4cuda6detail10TensorInfoIKT_T0_EES8_S8_bjS8_NS5_IS6_S8_EES8_NS5_IlS8_EES8_jjPS6_PjSD_j
		.amdhsa_group_segment_fixed_size 1068
		.amdhsa_private_segment_fixed_size 0
		.amdhsa_kernarg_size 984
		.amdhsa_user_sgpr_count 6
		.amdhsa_user_sgpr_private_segment_buffer 1
		.amdhsa_user_sgpr_dispatch_ptr 0
		.amdhsa_user_sgpr_queue_ptr 0
		.amdhsa_user_sgpr_kernarg_segment_ptr 1
		.amdhsa_user_sgpr_dispatch_id 0
		.amdhsa_user_sgpr_flat_scratch_init 0
		.amdhsa_user_sgpr_private_segment_size 0
		.amdhsa_uses_dynamic_stack 0
		.amdhsa_system_sgpr_private_segment_wavefront_offset 0
		.amdhsa_system_sgpr_workgroup_id_x 1
		.amdhsa_system_sgpr_workgroup_id_y 1
		.amdhsa_system_sgpr_workgroup_id_z 1
		.amdhsa_system_sgpr_workgroup_info 0
		.amdhsa_system_vgpr_workitem_id 0
		.amdhsa_next_free_vgpr 21
		.amdhsa_next_free_sgpr 38
		.amdhsa_reserve_vcc 1
		.amdhsa_reserve_flat_scratch 0
		.amdhsa_float_round_mode_32 0
		.amdhsa_float_round_mode_16_64 0
		.amdhsa_float_denorm_mode_32 3
		.amdhsa_float_denorm_mode_16_64 3
		.amdhsa_dx10_clamp 1
		.amdhsa_ieee_mode 1
		.amdhsa_fp16_overflow 0
		.amdhsa_exception_fp_ieee_invalid_op 0
		.amdhsa_exception_fp_denorm_src 0
		.amdhsa_exception_fp_ieee_div_zero 0
		.amdhsa_exception_fp_ieee_overflow 0
		.amdhsa_exception_fp_ieee_underflow 0
		.amdhsa_exception_fp_ieee_inexact 0
		.amdhsa_exception_int_div_zero 0
	.end_amdhsa_kernel
	.section	.text._ZN2at6native6mbtopk10gatherTopKIajLi1EEEvNS_4cuda6detail10TensorInfoIKT_T0_EES8_S8_bjS8_NS5_IS6_S8_EES8_NS5_IlS8_EES8_jjPS6_PjSD_j,"axG",@progbits,_ZN2at6native6mbtopk10gatherTopKIajLi1EEEvNS_4cuda6detail10TensorInfoIKT_T0_EES8_S8_bjS8_NS5_IS6_S8_EES8_NS5_IlS8_EES8_jjPS6_PjSD_j,comdat
.Lfunc_end16:
	.size	_ZN2at6native6mbtopk10gatherTopKIajLi1EEEvNS_4cuda6detail10TensorInfoIKT_T0_EES8_S8_bjS8_NS5_IS6_S8_EES8_NS5_IlS8_EES8_jjPS6_PjSD_j, .Lfunc_end16-_ZN2at6native6mbtopk10gatherTopKIajLi1EEEvNS_4cuda6detail10TensorInfoIKT_T0_EES8_S8_bjS8_NS5_IS6_S8_EES8_NS5_IlS8_EES8_jjPS6_PjSD_j
                                        ; -- End function
	.set _ZN2at6native6mbtopk10gatherTopKIajLi1EEEvNS_4cuda6detail10TensorInfoIKT_T0_EES8_S8_bjS8_NS5_IS6_S8_EES8_NS5_IlS8_EES8_jjPS6_PjSD_j.num_vgpr, 21
	.set _ZN2at6native6mbtopk10gatherTopKIajLi1EEEvNS_4cuda6detail10TensorInfoIKT_T0_EES8_S8_bjS8_NS5_IS6_S8_EES8_NS5_IlS8_EES8_jjPS6_PjSD_j.num_agpr, 0
	.set _ZN2at6native6mbtopk10gatherTopKIajLi1EEEvNS_4cuda6detail10TensorInfoIKT_T0_EES8_S8_bjS8_NS5_IS6_S8_EES8_NS5_IlS8_EES8_jjPS6_PjSD_j.numbered_sgpr, 38
	.set _ZN2at6native6mbtopk10gatherTopKIajLi1EEEvNS_4cuda6detail10TensorInfoIKT_T0_EES8_S8_bjS8_NS5_IS6_S8_EES8_NS5_IlS8_EES8_jjPS6_PjSD_j.num_named_barrier, 0
	.set _ZN2at6native6mbtopk10gatherTopKIajLi1EEEvNS_4cuda6detail10TensorInfoIKT_T0_EES8_S8_bjS8_NS5_IS6_S8_EES8_NS5_IlS8_EES8_jjPS6_PjSD_j.private_seg_size, 0
	.set _ZN2at6native6mbtopk10gatherTopKIajLi1EEEvNS_4cuda6detail10TensorInfoIKT_T0_EES8_S8_bjS8_NS5_IS6_S8_EES8_NS5_IlS8_EES8_jjPS6_PjSD_j.uses_vcc, 1
	.set _ZN2at6native6mbtopk10gatherTopKIajLi1EEEvNS_4cuda6detail10TensorInfoIKT_T0_EES8_S8_bjS8_NS5_IS6_S8_EES8_NS5_IlS8_EES8_jjPS6_PjSD_j.uses_flat_scratch, 0
	.set _ZN2at6native6mbtopk10gatherTopKIajLi1EEEvNS_4cuda6detail10TensorInfoIKT_T0_EES8_S8_bjS8_NS5_IS6_S8_EES8_NS5_IlS8_EES8_jjPS6_PjSD_j.has_dyn_sized_stack, 0
	.set _ZN2at6native6mbtopk10gatherTopKIajLi1EEEvNS_4cuda6detail10TensorInfoIKT_T0_EES8_S8_bjS8_NS5_IS6_S8_EES8_NS5_IlS8_EES8_jjPS6_PjSD_j.has_recursion, 0
	.set _ZN2at6native6mbtopk10gatherTopKIajLi1EEEvNS_4cuda6detail10TensorInfoIKT_T0_EES8_S8_bjS8_NS5_IS6_S8_EES8_NS5_IlS8_EES8_jjPS6_PjSD_j.has_indirect_call, 0
	.section	.AMDGPU.csdata,"",@progbits
; Kernel info:
; codeLenInByte = 1996
; TotalNumSgprs: 42
; NumVgprs: 21
; ScratchSize: 0
; MemoryBound: 0
; FloatMode: 240
; IeeeMode: 1
; LDSByteSize: 1068 bytes/workgroup (compile time only)
; SGPRBlocks: 5
; VGPRBlocks: 5
; NumSGPRsForWavesPerEU: 42
; NumVGPRsForWavesPerEU: 21
; Occupancy: 10
; WaveLimiterHint : 1
; COMPUTE_PGM_RSRC2:SCRATCH_EN: 0
; COMPUTE_PGM_RSRC2:USER_SGPR: 6
; COMPUTE_PGM_RSRC2:TRAP_HANDLER: 0
; COMPUTE_PGM_RSRC2:TGID_X_EN: 1
; COMPUTE_PGM_RSRC2:TGID_Y_EN: 1
; COMPUTE_PGM_RSRC2:TGID_Z_EN: 1
; COMPUTE_PGM_RSRC2:TIDIG_COMP_CNT: 0
	.section	.text._ZN2at6native6sbtopk10gatherTopKIajLi1ELb0EEEvNS_4cuda6detail10TensorInfoIKT_T0_EES8_S8_bS8_S8_NS5_IS6_S8_EES8_NS5_IlS8_EES8_PS6_,"axG",@progbits,_ZN2at6native6sbtopk10gatherTopKIajLi1ELb0EEEvNS_4cuda6detail10TensorInfoIKT_T0_EES8_S8_bS8_S8_NS5_IS6_S8_EES8_NS5_IlS8_EES8_PS6_,comdat
	.protected	_ZN2at6native6sbtopk10gatherTopKIajLi1ELb0EEEvNS_4cuda6detail10TensorInfoIKT_T0_EES8_S8_bS8_S8_NS5_IS6_S8_EES8_NS5_IlS8_EES8_PS6_ ; -- Begin function _ZN2at6native6sbtopk10gatherTopKIajLi1ELb0EEEvNS_4cuda6detail10TensorInfoIKT_T0_EES8_S8_bS8_S8_NS5_IS6_S8_EES8_NS5_IlS8_EES8_PS6_
	.globl	_ZN2at6native6sbtopk10gatherTopKIajLi1ELb0EEEvNS_4cuda6detail10TensorInfoIKT_T0_EES8_S8_bS8_S8_NS5_IS6_S8_EES8_NS5_IlS8_EES8_PS6_
	.p2align	8
	.type	_ZN2at6native6sbtopk10gatherTopKIajLi1ELb0EEEvNS_4cuda6detail10TensorInfoIKT_T0_EES8_S8_bS8_S8_NS5_IS6_S8_EES8_NS5_IlS8_EES8_PS6_,@function
_ZN2at6native6sbtopk10gatherTopKIajLi1ELb0EEEvNS_4cuda6detail10TensorInfoIKT_T0_EES8_S8_bS8_S8_NS5_IS6_S8_EES8_NS5_IlS8_EES8_PS6_: ; @_ZN2at6native6sbtopk10gatherTopKIajLi1ELb0EEEvNS_4cuda6detail10TensorInfoIKT_T0_EES8_S8_bS8_S8_NS5_IS6_S8_EES8_NS5_IlS8_EES8_PS6_
; %bb.0:
	s_load_dwordx2 s[14:15], s[4:5], 0x2b8
	s_load_dwordx4 s[36:39], s[4:5], 0xd8
	s_add_u32 s12, s4, 0x2b8
	s_addc_u32 s13, s5, 0
	s_waitcnt lgkmcnt(0)
	s_mul_i32 s0, s15, s8
	s_add_i32 s0, s0, s7
	s_mul_i32 s0, s0, s14
	s_add_i32 s7, s0, s6
	s_cmp_ge_u32 s7, s39
	s_cbranch_scc1 .LBB17_411
; %bb.1:
	s_load_dwordx2 s[0:1], s[4:5], 0x1d0
                                        ; implicit-def: $vgpr51 : SGPR spill to VGPR lane
	s_mov_b32 s50, 0
	v_cmp_eq_u32_e64 s[8:9], 0, v0
	s_waitcnt lgkmcnt(0)
	v_writelane_b32 v51, s0, 0
	v_writelane_b32 v51, s1, 1
	s_load_dword s49, s[4:5], 0xe8
	s_load_dwordx2 s[0:1], s[4:5], 0xf0
	s_waitcnt lgkmcnt(0)
	v_writelane_b32 v51, s0, 2
	v_writelane_b32 v51, s1, 3
	s_mov_b64 s[0:1], s[4:5]
	v_writelane_b32 v51, s0, 4
	s_load_dword s4, s[4:5], 0x6c
	v_writelane_b32 v51, s1, 5
	s_load_dwordx2 s[0:1], s[0:1], 0x0
	s_mov_b64 s[2:3], exec
	v_writelane_b32 v51, s8, 6
	v_writelane_b32 v51, s9, 7
	s_and_b64 s[8:9], s[2:3], s[8:9]
	s_mov_b64 exec, s[8:9]
; %bb.2:
	v_mov_b32_e32 v1, 0
	v_mov_b32_e32 v2, s36
	v_mov_b32_e32 v3, v1
	ds_write_b96 v1, v[1:3] offset:4096
; %bb.3:
	s_or_b64 exec, exec, s[2:3]
	s_waitcnt lgkmcnt(0)
	s_mul_i32 s4, s4, s7
	s_add_u32 s40, s0, s4
	s_addc_u32 s41, s1, 0
	s_barrier
	s_load_dword s0, s[12:13], 0xc
	s_bitcmp1_b32 s38, 0
	v_writelane_b32 v51, s7, 8
	s_cselect_b64 s[2:3], -1, 0
	v_writelane_b32 v51, s2, 9
	v_writelane_b32 v51, s3, 10
	s_xor_b64 s[2:3], s[2:3], -1
	v_mbcnt_lo_u32_b32 v1, -1, 0
	v_writelane_b32 v51, s2, 11
	v_mbcnt_hi_u32_b32 v21, -1, v1
	v_writelane_b32 v51, s3, 12
	s_waitcnt lgkmcnt(0)
	s_and_b32 s33, s0, 0xffff
	v_cmp_gt_u32_e32 vcc, 64, v0
	v_cmp_gt_i32_e64 s[2:3], 4, v21
	s_lshl_b32 s51, s33, 2
	s_bfe_u32 s4, s0, 0xa0006
	s_and_b64 s[2:3], vcc, s[2:3]
	v_writelane_b32 v51, s2, 13
	s_cmpk_gt_u32 s36, 0xc00
	v_writelane_b32 v51, s3, 14
	s_cselect_b64 s[2:3], -1, 0
	v_writelane_b32 v51, s2, 15
	v_writelane_b32 v51, s3, 16
	v_cmp_gt_u32_e64 s[2:3], s36, v0
	v_writelane_b32 v51, s2, 17
	s_cmp_gt_u32 s33, 63
	v_writelane_b32 v51, s3, 18
	s_cselect_b64 s[2:3], -1, 0
	v_mul_lo_u32 v22, s49, v0
	v_writelane_b32 v51, s2, 19
	v_writelane_b32 v51, s3, 20
	v_cmp_gt_u32_e64 s[2:3], 2, v0
	v_writelane_b32 v51, s2, 21
	v_writelane_b32 v51, s3, 22
	s_add_i32 s2, s33, -1
	v_mov_b32_e32 v1, s41
	v_add_co_u32_e32 v13, vcc, s40, v22
	v_writelane_b32 v51, s2, 23
	s_add_i32 s2, s2, s36
	v_addc_co_u32_e32 v14, vcc, 0, v1, vcc
	v_lshrrev_b32_e32 v1, 2, v0
	s_cmp_lt_u32 s6, s14
	v_and_b32_e32 v1, 0xf0, v1
	s_cselect_b32 s3, 12, 18
	v_or_b32_e32 v24, 0xc00, v1
	s_add_u32 s6, s12, s3
	v_add_u32_e32 v1, 2, v0
	s_addc_u32 s7, s13, 0
	v_max_u32_e32 v1, s36, v1
	v_lshlrev_b64 v[3:4], v21, -1
	v_writelane_b32 v51, s6, 24
	v_xad_u32 v1, v0, -1, v1
	v_writelane_b32 v51, s7, 25
	v_cmp_lt_u32_e64 s[6:7], 31, v1
	v_not_b32_e32 v19, v3
	v_add_u32_e32 v3, -4, v1
	v_writelane_b32 v51, s6, 26
	v_not_b32_e32 v18, v4
	v_lshrrev_b32_e32 v4, 2, v3
	v_writelane_b32 v51, s7, 27
	v_cmp_lt_u32_e64 s[6:7], 11, v3
	v_cvt_f32_u32_e32 v3, s51
	v_writelane_b32 v51, s49, 28
	v_writelane_b32 v51, s49, 29
	v_add_u32_e32 v4, 1, v4
	v_writelane_b32 v51, s49, 30
	v_rcp_iflag_f32_e32 v3, v3
	v_and_b32_e32 v5, 3, v4
	v_writelane_b32 v51, s6, 31
	s_add_i32 s3, s4, -1
	v_writelane_b32 v51, s7, 32
	v_cmp_ne_u32_e64 s[6:7], 0, v5
	s_bfe_u32 s5, s33, 0x30006
	s_and_b32 s3, s3, 0xffff
	v_writelane_b32 v51, s6, 33
	s_cmp_gt_u32 s3, 6
	v_writelane_b32 v51, s7, 34
	s_cselect_b64 s[6:7], -1, 0
	v_mul_f32_e32 v3, 0x4f7ffffe, v3
	v_writelane_b32 v51, s6, 35
	s_and_b32 s19, s4, 0x3f8
	v_cvt_u32_f32_e32 v3, v3
	v_writelane_b32 v51, s7, 36
	s_cmp_lg_u32 s5, 0
	v_writelane_b32 v51, s5, 37
	s_cselect_b64 s[4:5], -1, 0
	v_writelane_b32 v51, s4, 38
	v_writelane_b32 v51, s5, 39
	s_sub_i32 s3, 0, s51
	v_readfirstlane_b32 s4, v3
	s_mul_i32 s3, s3, s4
	s_mul_hi_u32 s3, s4, s3
	s_add_i32 s3, s4, s3
	v_writelane_b32 v51, s3, 40
	s_mul_hi_u32 s3, s36, s3
	s_mul_i32 s3, s3, s51
	v_cvt_f32_u32_e32 v3, s33
	s_sub_i32 s3, s36, s3
	s_sub_i32 s4, s3, s51
	s_cmp_ge_u32 s3, s51
	s_cselect_b32 s3, s4, s3
	v_rcp_iflag_f32_e32 v3, v3
	s_sub_i32 s4, s3, s51
	s_cmp_ge_u32 s3, s51
	s_cselect_b32 s3, s4, s3
	v_lshlrev_b32_e32 v20, 2, v0
	s_sub_i32 s21, s36, s3
	v_mul_f32_e32 v3, 0x4f7ffffe, v3
	v_cmp_gt_u32_e64 s[4:5], s21, v20
	v_cvt_u32_f32_e32 v3, v3
	v_writelane_b32 v51, s4, 41
	v_add_u32_e32 v28, s21, v0
	v_writelane_b32 v51, s5, 42
	v_cmp_gt_u32_e64 s[4:5], s36, v28
	v_writelane_b32 v51, s4, 43
	v_writelane_b32 v51, s5, 44
	s_sub_i32 s4, 0, s33
	v_readfirstlane_b32 s5, v3
	s_mul_i32 s4, s4, s5
	s_mul_hi_u32 s4, s5, s4
	s_add_i32 s4, s5, s4
	v_writelane_b32 v51, s4, 45
	s_mul_hi_u32 s4, s2, s4
	s_mul_i32 s4, s4, s33
	s_sub_i32 s4, s2, s4
	s_sub_i32 s5, s4, s33
	s_cmp_ge_u32 s4, s33
	v_mul_lo_u32 v3, s49, v20
	s_cselect_b32 s4, s5, s4
	s_sub_i32 s5, s4, s33
	s_cmp_ge_u32 s4, s33
	s_cselect_b32 s4, s5, s4
	v_add_u32_e32 v30, s49, v3
	v_or_b32_e32 v3, 2, v20
	s_sub_i32 s10, s2, s4
	v_mul_lo_u32 v31, s49, v3
	v_or_b32_e32 v3, 3, v20
	s_add_i32 s2, s33, s36
	v_and_b32_e32 v27, 0x7ffffffc, v4
	v_mul_lo_u32 v4, v28, s49
	v_mul_lo_u32 v32, s49, v3
	v_add_u32_e32 v3, s2, v0
	v_subrev_u32_e32 v3, s3, v3
	v_cmp_gt_u32_e64 s[4:5], s10, v0
	v_mul_lo_u32 v35, s49, v3
	v_and_b32_e32 v25, -4, v1
	v_writelane_b32 v51, s4, 46
	v_lshlrev_b32_e32 v2, 2, v21
	v_mov_b32_e32 v6, s41
	v_add_co_u32_e32 v15, vcc, s40, v4
	v_writelane_b32 v51, s5, 47
	s_mul_i32 s48, s49, s33
	v_cmp_ne_u32_e64 s[2:3], v1, v25
	v_cmp_eq_u32_e64 s[0:1], 0, v21
	v_mov_b32_e32 v23, 0
	v_and_b32_e32 v17, 0x100, v2
	v_add_u32_e32 v26, v0, v25
	s_mov_b32 s20, 6
	v_addc_co_u32_e32 v16, vcc, 0, v6, vcc
	v_lshlrev_b32_e32 v29, 2, v5
	s_lshl_b32 s11, s48, 2
	v_lshlrev_b32_e32 v33, 2, v22
	v_or_b32_e32 v36, 0xc00, v2
	s_mov_b64 s[58:59], 0
	v_mov_b32_e32 v40, s37
	s_movk_i32 s4, 0x80
	v_mov_b32_e32 v37, 8
	v_writelane_b32 v51, s2, 48
	v_mov_b32_e32 v39, 0
	v_mov_b32_e32 v34, 0
	;; [unrolled: 1-line block ×3, first 2 shown]
                                        ; implicit-def: $sgpr60_sgpr61
                                        ; implicit-def: $sgpr62_sgpr63
                                        ; implicit-def: $sgpr64_sgpr65
                                        ; implicit-def: $sgpr66_sgpr67
	v_writelane_b32 v51, s3, 49
                                        ; implicit-def: $sgpr68_sgpr69
                                        ; implicit-def: $sgpr70_sgpr71
                                        ; implicit-def: $sgpr72_sgpr73
                                        ; implicit-def: $sgpr74_sgpr75
                                        ; implicit-def: $sgpr76_sgpr77
                                        ; implicit-def: $sgpr78_sgpr79
	s_branch .LBB17_6
.LBB17_4:                               ;   in Loop: Header=BB17_6 Depth=1
	s_or_b64 exec, exec, s[14:15]
	s_andn2_b64 s[8:9], s[78:79], exec
	s_and_b64 s[12:13], s[12:13], exec
	s_or_b64 s[78:79], s[8:9], s[12:13]
	s_andn2_b64 s[76:77], s[76:77], exec
	s_andn2_b64 s[74:75], s[74:75], exec
	;; [unrolled: 1-line block ×4, first 2 shown]
	s_orn2_b64 s[6:7], s[6:7], exec
	v_mov_b32_e32 v40, v4
.LBB17_5:                               ;   in Loop: Header=BB17_6 Depth=1
	s_or_b64 exec, exec, s[2:3]
	s_and_b64 s[2:3], exec, s[6:7]
	s_or_b64 s[58:59], s[2:3], s[58:59]
	s_andn2_b64 s[2:3], s[68:69], exec
	s_and_b64 s[6:7], s[78:79], exec
	s_or_b64 s[68:69], s[2:3], s[6:7]
	s_andn2_b64 s[2:3], s[66:67], exec
	s_and_b64 s[6:7], s[76:77], exec
	;; [unrolled: 3-line block ×5, first 2 shown]
	s_or_b64 s[60:61], s[2:3], s[6:7]
	s_andn2_b64 exec, exec, s[58:59]
	s_cbranch_execz .LBB17_407
.LBB17_6:                               ; =>This Loop Header: Depth=1
                                        ;     Child Loop BB17_11 Depth 2
                                        ;     Child Loop BB17_32 Depth 2
	;; [unrolled: 1-line block ×26, first 2 shown]
	ds_read_b64 v[1:2], v23 offset:4096
	s_waitcnt lgkmcnt(0)
	v_readfirstlane_b32 s16, v1
	s_cmp_lg_u32 s16, 0
	s_cbranch_scc1 .LBB17_51
; %bb.7:                                ;   in Loop: Header=BB17_6 Depth=1
	v_readlane_b32 s2, v51, 15
	v_readlane_b32 s3, v51, 16
	s_and_b64 vcc, exec, s[2:3]
	s_cbranch_vccz .LBB17_19
; %bb.8:                                ;   in Loop: Header=BB17_6 Depth=1
	s_movk_i32 s5, 0xc01
	v_cmp_gt_u32_e32 vcc, s5, v2
	s_mov_b64 s[2:3], 0
	s_mov_b64 s[6:7], 0
	s_cbranch_vccz .LBB17_20
; %bb.9:                                ;   in Loop: Header=BB17_6 Depth=1
	v_readlane_b32 s6, v51, 24
	v_readlane_b32 s7, v51, 25
	s_nop 4
	global_load_ushort v1, v23, s[6:7]
	global_load_ubyte v4, v[13:14], off
	s_mov_b64 s[12:13], 0
	v_mov_b32_e32 v5, v0
	s_waitcnt vmcnt(1)
	v_add_u32_e32 v2, v0, v1
	v_mul_lo_u32 v2, s49, v2
	v_mul_lo_u32 v3, s49, v1
	s_branch .LBB17_11
.LBB17_10:                              ;   in Loop: Header=BB17_11 Depth=2
	s_or_b64 exec, exec, s[6:7]
	v_add_u32_e32 v2, v2, v3
	v_mov_b32_e32 v4, v6
	s_andn2_b64 exec, exec, s[12:13]
	s_cbranch_execz .LBB17_26
.LBB17_11:                              ;   Parent Loop BB17_6 Depth=1
                                        ; =>  This Inner Loop Header: Depth=2
	v_add_u32_e32 v5, v5, v1
	v_cmp_gt_u32_e64 s[6:7], s36, v5
	v_cmp_le_u32_e32 vcc, s36, v5
	s_waitcnt lgkmcnt(0)
	v_mov_b32_e32 v7, 0
	v_mov_b32_e32 v6, 0
	s_and_saveexec_b64 s[8:9], s[6:7]
	s_cbranch_execz .LBB17_13
; %bb.12:                               ;   in Loop: Header=BB17_11 Depth=2
	global_load_ubyte v6, v2, s[40:41]
.LBB17_13:                              ;   in Loop: Header=BB17_11 Depth=2
	s_or_b64 exec, exec, s[8:9]
	s_waitcnt vmcnt(0)
	v_add_u32_sdwa v8, sext(v4), s4 dst_sel:DWORD dst_unused:UNUSED_PAD src0_sel:BYTE_0 src1_sel:DWORD
	v_and_b32_e32 v8, v8, v38
	v_cmp_eq_u32_e64 s[26:27], v8, v34
	s_cmp_lg_u64 s[26:27], 0
	s_cselect_b64 s[6:7], -1, 0
	s_and_b64 s[6:7], s[0:1], s[6:7]
	s_and_saveexec_b64 s[14:15], s[6:7]
	s_cbranch_execz .LBB17_17
; %bb.14:                               ;   in Loop: Header=BB17_11 Depth=2
	s_mov_b64 s[16:17], exec
	v_mbcnt_lo_u32_b32 v7, s16, 0
	v_mbcnt_hi_u32_b32 v7, s17, v7
	s_bcnt1_i32_b64 s5, s[26:27]
	v_cmp_eq_u32_e64 s[6:7], 0, v7
                                        ; implicit-def: $vgpr8
	s_and_saveexec_b64 s[8:9], s[6:7]
; %bb.15:                               ;   in Loop: Header=BB17_11 Depth=2
	s_bcnt1_i32_b64 s6, s[16:17]
	s_mul_i32 s6, s5, s6
	v_mov_b32_e32 v8, s6
	ds_add_rtn_u32 v8, v23, v8 offset:4104
; %bb.16:                               ;   in Loop: Header=BB17_11 Depth=2
	s_or_b64 exec, exec, s[8:9]
	s_waitcnt lgkmcnt(0)
	v_readfirstlane_b32 s6, v8
	v_mov_b32_e32 v8, s6
	v_mad_u32_u24 v7, s5, v7, v8
.LBB17_17:                              ;   in Loop: Header=BB17_11 Depth=2
	s_or_b64 exec, exec, s[14:15]
	ds_bpermute_b32 v7, v17, v7
	s_and_b64 s[6:7], exec, vcc
	s_or_b64 s[12:13], s[6:7], s[12:13]
	s_and_saveexec_b64 s[6:7], s[26:27]
	s_cbranch_execz .LBB17_10
; %bb.18:                               ;   in Loop: Header=BB17_11 Depth=2
	v_and_b32_e32 v9, s26, v19
	v_and_b32_e32 v8, s27, v18
	v_bcnt_u32_b32 v9, v9, 0
	v_bcnt_u32_b32 v8, v8, v9
	s_waitcnt lgkmcnt(0)
	v_add_u32_e32 v7, v7, v8
	ds_write_b8 v7, v4
	s_branch .LBB17_10
.LBB17_19:                              ;   in Loop: Header=BB17_6 Depth=1
	s_mov_b64 s[2:3], -1
	s_mov_b64 s[6:7], 0
.LBB17_20:                              ;   in Loop: Header=BB17_6 Depth=1
	s_and_b64 vcc, exec, s[2:3]
	s_cbranch_vccz .LBB17_49
.LBB17_21:                              ;   in Loop: Header=BB17_6 Depth=1
	s_mov_b64 s[26:27], exec
	v_readlane_b32 s2, v51, 17
	v_readlane_b32 s3, v51, 18
	s_and_b64 s[2:3], s[26:27], s[2:3]
	s_mov_b64 exec, s[2:3]
	s_cbranch_execz .LBB17_46
; %bb.22:                               ;   in Loop: Header=BB17_6 Depth=1
	v_readlane_b32 s2, v51, 24
	v_readlane_b32 s3, v51, 25
	s_nop 4
	global_load_ushort v1, v23, s[2:3]
	global_load_ubyte v42, v[13:14], off
	v_mov_b32_e32 v2, v0
	s_waitcnt vmcnt(1)
	v_readfirstlane_b32 s5, v1
	v_add_u32_e32 v1, v0, v1
	v_cmp_gt_u32_e32 vcc, s36, v1
	s_and_saveexec_b64 s[30:31], vcc
	s_cbranch_execz .LBB17_45
; %bb.23:                               ;   in Loop: Header=BB17_6 Depth=1
	s_mov_b64 s[6:7], 0
	s_mul_i32 s8, s49, s5
                                        ; implicit-def: $vgpr2
                                        ; implicit-def: $vgpr5
                                        ; implicit-def: $vgpr4
                                        ; implicit-def: $vgpr3
	s_mov_b64 s[2:3], exec
	v_readlane_b32 s12, v51, 26
	v_readlane_b32 s13, v51, 27
	s_and_b64 s[12:13], s[2:3], s[12:13]
	s_xor_b64 s[34:35], s[12:13], s[2:3]
	s_mov_b64 exec, s[12:13]
	s_cbranch_execnz .LBB17_29
; %bb.24:                               ;   in Loop: Header=BB17_6 Depth=1
	s_andn2_saveexec_b64 s[2:3], s[34:35]
	s_cbranch_execnz .LBB17_40
.LBB17_25:                              ;   in Loop: Header=BB17_6 Depth=1
	s_or_b64 exec, exec, s[2:3]
	s_and_saveexec_b64 s[2:3], s[6:7]
	s_cbranch_execnz .LBB17_41
	s_branch .LBB17_44
.LBB17_26:                              ;   in Loop: Header=BB17_6 Depth=1
	s_or_b64 exec, exec, s[12:13]
	s_waitcnt lgkmcnt(0)
	s_barrier
	s_mov_b64 s[6:7], exec
	v_readlane_b32 s8, v51, 6
	v_readlane_b32 s9, v51, 7
	s_and_b64 s[8:9], s[6:7], s[8:9]
	s_mov_b64 exec, s[8:9]
	s_cbranch_execz .LBB17_28
; %bb.27:                               ;   in Loop: Header=BB17_6 Depth=1
	ds_read_b32 v1, v23 offset:4104
	s_waitcnt lgkmcnt(0)
	ds_write_b32 v23, v1 offset:4096
.LBB17_28:                              ;   in Loop: Header=BB17_6 Depth=1
	s_or_b64 exec, exec, s[6:7]
	s_waitcnt lgkmcnt(0)
	s_barrier
	s_mov_b64 s[6:7], -1
	s_and_b64 vcc, exec, s[2:3]
	s_cbranch_vccnz .LBB17_21
	s_branch .LBB17_49
.LBB17_29:                              ;   in Loop: Header=BB17_6 Depth=1
	v_cvt_f32_u32_e32 v2, s5
	s_sub_i32 s3, 0, s5
	v_add_u32_e32 v3, s5, v1
	v_max_u32_e32 v3, s36, v3
	v_rcp_iflag_f32_e32 v2, v2
	s_lshl_b32 s2, s5, 1
	v_sub_u32_e32 v3, v3, v0
	v_cmp_ne_u32_e32 vcc, s2, v3
	v_mul_f32_e32 v2, 0x4f7ffffe, v2
	v_cvt_u32_f32_e32 v2, v2
	v_cndmask_b32_e64 v6, 0, 1, vcc
	v_or_b32_e32 v6, s2, v6
	v_sub_u32_e32 v3, v3, v6
	v_mul_lo_u32 v4, s3, v2
	s_not_b32 s6, s8
	s_ashr_i32 s14, s6, 31
	s_abs_i32 s9, s8
	v_mul_hi_u32 v4, v2, v4
	v_mul_lo_u32 v5, s49, v1
	s_cmp_eq_u32 s5, 1
	s_cselect_b64 s[12:13], -1, 0
	v_add_u32_e32 v2, v2, v4
	v_mul_hi_u32 v4, v3, v2
	v_xor_b32_e32 v5, s14, v5
	s_mov_b64 s[2:3], -1
                                        ; implicit-def: $vgpr2
	v_mul_lo_u32 v6, v4, s5
	v_add_u32_e32 v7, 1, v4
	v_sub_u32_e32 v3, v3, v6
	v_subrev_u32_e32 v6, s5, v3
	v_cmp_le_u32_e64 s[6:7], s5, v3
	v_cndmask_b32_e64 v4, v4, v7, s[6:7]
	v_cndmask_b32_e64 v3, v3, v6, s[6:7]
	v_add_u32_e32 v6, 1, v4
	v_cmp_le_u32_e64 s[6:7], s5, v3
	v_cndmask_b32_e64 v3, v4, v6, s[6:7]
	v_addc_co_u32_e32 v3, vcc, 0, v3, vcc
	v_mul_hi_u32 v4, s9, v3
	v_mul_lo_u32 v3, s9, v3
	v_cmp_eq_u32_e32 vcc, 0, v4
	v_cmp_le_u32_e64 s[6:7], v3, v5
	s_and_b64 s[12:13], vcc, s[12:13]
	s_and_b64 s[12:13], s[12:13], s[6:7]
	v_mov_b32_e32 v4, v0
	s_and_saveexec_b64 s[6:7], s[12:13]
	s_cbranch_execz .LBB17_39
; %bb.30:                               ;   in Loop: Header=BB17_6 Depth=1
	v_add_u32_e32 v4, 3, v1
	v_add_u32_e32 v3, 2, v1
	;; [unrolled: 1-line block ×3, first 2 shown]
	v_mov_b32_e32 v8, v4
	s_waitcnt vmcnt(0)
	v_lshlrev_b32_e32 v43, 24, v42
	v_mov_b32_e32 v9, 0
	v_mov_b32_e32 v7, v3
	;; [unrolled: 1-line block ×4, first 2 shown]
                                        ; implicit-def: $vgpr42
	s_mov_b64 s[42:43], exec
	v_readlane_b32 s2, v51, 31
	v_readlane_b32 s3, v51, 32
	s_and_b64 s[2:3], s[42:43], s[2:3]
	s_mov_b64 exec, s[2:3]
	s_cbranch_execz .LBB17_34
; %bb.31:                               ;   in Loop: Header=BB17_6 Depth=1
	v_mov_b32_e32 v8, v4
	s_mov_b32 s2, 0
	s_mov_b64 s[80:81], 0
	v_mov_b32_e32 v41, v27
	v_mov_b32_e32 v7, v3
	;; [unrolled: 1-line block ×4, first 2 shown]
	v_readlane_b32 s3, v51, 28
	v_readlane_b32 s9, v51, 29
	;; [unrolled: 1-line block ×3, first 2 shown]
	s_mov_b32 s13, 0xc0c0004
	s_mov_b32 s14, 0xc0c0007
.LBB17_32:                              ;   Parent Loop BB17_6 Depth=1
                                        ; =>  This Inner Loop Header: Depth=2
	v_mul_lo_u32 v2, v5, s49
	v_mul_lo_u32 v9, v6, s3
	;; [unrolled: 1-line block ×3, first 2 shown]
	v_mov_b32_e32 v12, s41
	v_add_co_u32_e32 v2, vcc, s40, v2
	v_addc_co_u32_e32 v3, vcc, 0, v12, vcc
	v_mul_lo_u32 v4, v8, s12
	v_add_co_u32_e32 v9, vcc, s40, v9
	v_addc_co_u32_e32 v10, vcc, 0, v12, vcc
	v_add_co_u32_e32 v44, vcc, s40, v11
	v_addc_co_u32_e32 v45, vcc, 0, v12, vcc
	v_add_co_u32_e32 v46, vcc, s40, v4
	global_load_ubyte v4, v[44:45], off
	s_nop 0
	global_load_ubyte v9, v[9:10], off
	v_add_u32_e32 v10, 4, v7
	global_load_ubyte v2, v[2:3], off
	v_add_u32_e32 v3, 4, v6
	v_mul_lo_u32 v42, v10, s9
	v_mul_lo_u32 v10, v3, s3
	v_addc_co_u32_e32 v47, vcc, 0, v12, vcc
	v_add_u32_e32 v11, 4, v8
	v_mul_lo_u32 v44, v11, s12
	v_add_u32_e32 v41, -4, v41
	s_waitcnt vmcnt(1)
	v_perm_b32 v4, v9, v4, s13
	s_waitcnt vmcnt(0)
	v_perm_b32 v2, v43, v2, s14
	v_lshl_or_b32 v9, v4, 16, v2
	v_add_u32_e32 v2, 4, v5
	v_mul_lo_u32 v2, v2, s49
	v_add_u32_e32 v4, s2, v0
	s_add_i32 s2, s2, 16
	v_add_co_u32_e32 v2, vcc, s40, v2
	v_addc_co_u32_e32 v3, vcc, 0, v12, vcc
	v_add_co_u32_e32 v10, vcc, s40, v10
	v_addc_co_u32_e32 v11, vcc, 0, v12, vcc
	;; [unrolled: 2-line block ×3, first 2 shown]
	global_load_ubyte v46, v[46:47], off
	s_nop 0
	global_load_ubyte v2, v[2:3], off
	s_nop 0
	;; [unrolled: 2-line block ×3, first 2 shown]
	global_load_ubyte v10, v[10:11], off
	v_add_co_u32_e32 v44, vcc, s40, v44
	v_addc_co_u32_e32 v45, vcc, 0, v12, vcc
	v_add_u32_e32 v11, 8, v7
	v_add_u32_e32 v42, 8, v8
	v_mul_lo_u32 v50, v42, s12
	v_mul_lo_u32 v11, v11, s9
	s_waitcnt vmcnt(2)
	v_perm_b32 v2, v46, v2, s13
	s_waitcnt vmcnt(0)
	v_perm_b32 v3, v10, v3, s13
	v_lshl_or_b32 v10, v3, 16, v2
	v_add_u32_e32 v2, 8, v5
	v_mul_lo_u32 v2, v2, s49
	v_add_u32_e32 v3, 8, v6
	v_mul_lo_u32 v3, v3, s3
	v_add_co_u32_e32 v42, vcc, s40, v2
	v_addc_co_u32_e32 v43, vcc, 0, v12, vcc
	v_add_co_u32_e32 v46, vcc, s40, v3
	v_addc_co_u32_e32 v47, vcc, 0, v12, vcc
	v_add_co_u32_e32 v48, vcc, s40, v11
	global_load_ubyte v11, v[42:43], off
	s_nop 0
	global_load_ubyte v42, v[44:45], off
	v_addc_co_u32_e32 v49, vcc, 0, v12, vcc
	v_add_u32_e32 v45, 12, v8
	v_add_co_u32_e32 v2, vcc, s40, v50
	v_addc_co_u32_e32 v3, vcc, 0, v12, vcc
	v_add_u32_e32 v44, 12, v7
	v_add_u32_e32 v8, 16, v8
	;; [unrolled: 1-line block ×3, first 2 shown]
	s_waitcnt vmcnt(0)
	v_perm_b32 v11, v42, v11, s13
	global_load_ubyte v42, v[48:49], off
	global_load_ubyte v43, v[46:47], off
	v_mul_lo_u32 v49, v45, s12
	v_mul_lo_u32 v47, v44, s9
	s_waitcnt vmcnt(0)
	v_perm_b32 v42, v43, v42, s13
	v_lshl_or_b32 v11, v42, 16, v11
	v_add_u32_e32 v42, 12, v5
	v_mul_lo_u32 v42, v42, s49
	v_add_u32_e32 v43, 12, v6
	v_mul_lo_u32 v45, v43, s3
	v_add_u32_e32 v6, 16, v6
	v_add_co_u32_e32 v43, vcc, s40, v42
	v_addc_co_u32_e32 v44, vcc, 0, v12, vcc
	v_add_co_u32_e32 v45, vcc, s40, v45
	v_addc_co_u32_e32 v46, vcc, 0, v12, vcc
	;; [unrolled: 2-line block ×4, first 2 shown]
	global_load_ubyte v42, v[49:50], off
	global_load_ubyte v12, v[45:46], off
	s_nop 0
	global_load_ubyte v44, v[43:44], off
	v_cmp_eq_u32_e32 vcc, 0, v41
	global_load_ubyte v45, v[47:48], off
	v_add_u32_e32 v5, 16, v5
	global_load_ubyte v2, v[2:3], off
	s_or_b64 s[80:81], vcc, s[80:81]
	s_waitcnt vmcnt(2)
	v_perm_b32 v43, v44, v12, s13
	s_waitcnt vmcnt(1)
	v_perm_b32 v3, v12, v45, s13
	v_perm_b32 v46, v45, v42, s13
	s_waitcnt vmcnt(0)
	v_perm_b32 v2, v2, v44, s13
	v_lshl_or_b32 v12, v3, 16, v2
	v_lshl_or_b32 v43, v46, 16, v43
	ds_write_b128 v4, v[9:12]
	v_mov_b32_e32 v9, s2
	s_andn2_b64 exec, exec, s[80:81]
	s_cbranch_execnz .LBB17_32
; %bb.33:                               ;   in Loop: Header=BB17_6 Depth=1
	s_or_b64 exec, exec, s[80:81]
.LBB17_34:                              ;   in Loop: Header=BB17_6 Depth=1
	s_or_b64 exec, exec, s[42:43]
	s_mov_b64 s[2:3], exec
	v_readlane_b32 s12, v51, 33
	v_readlane_b32 s13, v51, 34
	s_and_b64 s[12:13], s[2:3], s[12:13]
	s_mov_b64 exec, s[12:13]
	s_cbranch_execz .LBB17_38
; %bb.35:                               ;   in Loop: Header=BB17_6 Depth=1
	v_add_u32_e32 v2, v0, v9
	s_mov_b64 s[12:13], 0
	v_mov_b32_e32 v3, v29
	v_readlane_b32 s9, v51, 28
	v_readlane_b32 s14, v51, 29
	;; [unrolled: 1-line block ×3, first 2 shown]
	s_mov_b32 s16, 0xc0c0004
	s_mov_b32 s17, 0xc0c0007
.LBB17_36:                              ;   Parent Loop BB17_6 Depth=1
                                        ; =>  This Inner Loop Header: Depth=2
	v_mul_lo_u32 v9, v5, s49
	v_mul_lo_u32 v11, v6, s9
	;; [unrolled: 1-line block ×3, first 2 shown]
	v_mov_b32_e32 v45, s41
	v_add_co_u32_e32 v9, vcc, s40, v9
	v_addc_co_u32_e32 v10, vcc, 0, v45, vcc
	v_mul_lo_u32 v4, v8, s15
	v_add_co_u32_e32 v11, vcc, s40, v11
	v_addc_co_u32_e32 v12, vcc, 0, v45, vcc
	v_add_co_u32_e32 v41, vcc, s40, v41
	v_addc_co_u32_e32 v42, vcc, 0, v45, vcc
	;; [unrolled: 2-line block ×3, first 2 shown]
	global_load_ubyte v4, v[11:12], off
	s_nop 0
	global_load_ubyte v11, v[41:42], off
	s_nop 0
	;; [unrolled: 2-line block ×3, first 2 shown]
	global_load_ubyte v9, v[9:10], off
	v_add_u32_e32 v3, -4, v3
	v_cmp_eq_u32_e32 vcc, 0, v3
	v_add_u32_e32 v8, 4, v8
	v_add_u32_e32 v7, 4, v7
	;; [unrolled: 1-line block ×4, first 2 shown]
	s_or_b64 s[12:13], vcc, s[12:13]
	s_waitcnt vmcnt(1)
	v_perm_b32 v12, v11, v42, s16
	s_waitcnt vmcnt(0)
	v_perm_b32 v10, v9, v4, s16
	v_perm_b32 v4, v4, v11, s16
	;; [unrolled: 1-line block ×3, first 2 shown]
	v_lshl_or_b32 v4, v4, 16, v9
	v_lshl_or_b32 v43, v12, 16, v10
	ds_write_b32 v2, v4
	v_add_u32_e32 v2, 4, v2
	s_andn2_b64 exec, exec, s[12:13]
	s_cbranch_execnz .LBB17_36
; %bb.37:                               ;   in Loop: Header=BB17_6 Depth=1
	s_or_b64 exec, exec, s[12:13]
.LBB17_38:                              ;   in Loop: Header=BB17_6 Depth=1
	s_or_b64 exec, exec, s[2:3]
	v_readlane_b32 s2, v51, 48
	v_add_u32_e32 v1, v1, v25
	v_readlane_b32 s3, v51, 49
	v_add_u32_e32 v2, -1, v1
	s_orn2_b64 s[2:3], s[2:3], exec
	v_mov_b32_e32 v4, v26
.LBB17_39:                              ;   in Loop: Header=BB17_6 Depth=1
	s_or_b64 exec, exec, s[6:7]
	v_mov_b32_e32 v3, s8
	s_and_b64 s[6:7], s[2:3], exec
	s_waitcnt vmcnt(0)
	v_mov_b32_e32 v5, v42
	s_andn2_saveexec_b64 s[2:3], s[34:35]
	s_cbranch_execz .LBB17_25
.LBB17_40:                              ;   in Loop: Header=BB17_6 Depth=1
	v_mov_b32_e32 v3, s8
	s_or_b64 s[6:7], s[6:7], exec
	s_waitcnt vmcnt(0)
	v_mov_b32_e32 v5, v42
	v_mov_b32_e32 v4, v0
	s_or_b64 exec, exec, s[2:3]
	s_and_saveexec_b64 s[2:3], s[6:7]
	s_cbranch_execz .LBB17_44
.LBB17_41:                              ;   in Loop: Header=BB17_6 Depth=1
	v_mul_lo_u32 v2, s49, v1
	s_sub_i32 s8, 0, s5
	s_mov_b64 s[6:7], 0
.LBB17_42:                              ;   Parent Loop BB17_6 Depth=1
                                        ; =>  This Inner Loop Header: Depth=2
	global_load_ubyte v42, v2, s[40:41]
	v_mov_b32_e32 v6, v1
	v_add_u32_e32 v1, s5, v6
	v_cmp_le_u32_e32 vcc, s36, v1
	ds_write_b8 v4, v5
	v_add_u32_e32 v2, v2, v3
	s_or_b64 s[6:7], vcc, s[6:7]
	v_mov_b32_e32 v4, v6
	s_waitcnt vmcnt(0)
	v_mov_b32_e32 v5, v42
	s_andn2_b64 exec, exec, s[6:7]
	s_cbranch_execnz .LBB17_42
; %bb.43:                               ;   in Loop: Header=BB17_6 Depth=1
	s_or_b64 exec, exec, s[6:7]
	v_add_u32_e32 v2, s8, v1
.LBB17_44:                              ;   in Loop: Header=BB17_6 Depth=1
	s_or_b64 exec, exec, s[2:3]
.LBB17_45:                              ;   in Loop: Header=BB17_6 Depth=1
	s_or_b64 exec, exec, s[30:31]
	s_waitcnt vmcnt(0)
	ds_write_b8 v2, v42
.LBB17_46:                              ;   in Loop: Header=BB17_6 Depth=1
	s_or_b64 exec, exec, s[26:27]
	s_waitcnt lgkmcnt(0)
	s_barrier
	s_mov_b64 s[2:3], exec
	v_readlane_b32 s6, v51, 6
	v_readlane_b32 s7, v51, 7
	s_and_b64 s[6:7], s[2:3], s[6:7]
	s_mov_b64 exec, s[6:7]
; %bb.47:                               ;   in Loop: Header=BB17_6 Depth=1
	v_mov_b32_e32 v1, s36
	ds_write_b32 v23, v1 offset:4096
; %bb.48:                               ;   in Loop: Header=BB17_6 Depth=1
	s_or_b64 exec, exec, s[2:3]
	s_mov_b64 s[6:7], -1
	s_waitcnt lgkmcnt(0)
	s_barrier
.LBB17_49:                              ;   in Loop: Header=BB17_6 Depth=1
	s_mov_b32 s16, 0
	s_and_b64 vcc, exec, s[6:7]
	s_cbranch_vccz .LBB17_51
; %bb.50:                               ;   in Loop: Header=BB17_6 Depth=1
	ds_read_b32 v1, v23 offset:4096
	s_waitcnt lgkmcnt(0)
	v_readfirstlane_b32 s16, v1
.LBB17_51:                              ;   in Loop: Header=BB17_6 Depth=1
	s_cmp_lt_i32 s16, 1
	s_mov_b64 s[2:3], -1
                                        ; implicit-def: $vgpr4
	s_cbranch_scc1 .LBB17_61
; %bb.52:                               ;   in Loop: Header=BB17_6 Depth=1
	s_and_b64 vcc, exec, s[2:3]
	s_cbranch_vccnz .LBB17_72
.LBB17_53:                              ;   in Loop: Header=BB17_6 Depth=1
	s_lshl_b32 s5, s50, 6
	s_and_saveexec_b64 s[2:3], s[0:1]
.LBB17_54:                              ;   in Loop: Header=BB17_6 Depth=1
	v_lshl_add_u32 v5, s5, 2, v24
	ds_write_b128 v5, v[1:4]
.LBB17_55:                              ;   in Loop: Header=BB17_6 Depth=1
	s_or_b64 exec, exec, s[2:3]
	s_waitcnt lgkmcnt(0)
	s_barrier
	s_mov_b64 s[2:3], exec
	v_readlane_b32 s6, v51, 13
	v_readlane_b32 s7, v51, 14
	s_and_b64 s[6:7], s[2:3], s[6:7]
	s_mov_b64 exec, s[6:7]
	s_cbranch_execz .LBB17_86
; %bb.56:                               ;   in Loop: Header=BB17_6 Depth=1
	v_readlane_b32 s6, v51, 19
	v_readlane_b32 s7, v51, 20
	s_andn2_b64 vcc, exec, s[6:7]
	v_mov_b32_e32 v1, 0
	s_cbranch_vccnz .LBB17_85
; %bb.57:                               ;   in Loop: Header=BB17_6 Depth=1
	v_readlane_b32 s6, v51, 35
	v_readlane_b32 s7, v51, 36
	s_andn2_b64 vcc, exec, s[6:7]
	s_cbranch_vccnz .LBB17_81
; %bb.58:                               ;   in Loop: Header=BB17_6 Depth=1
	v_lshl_add_u32 v2, s50, 8, v36
	s_mov_b32 s6, 0
	v_mov_b32_e32 v1, 0
.LBB17_59:                              ;   Parent Loop BB17_6 Depth=1
                                        ; =>  This Inner Loop Header: Depth=2
	ds_read2_b32 v[3:4], v2 offset1:4
	ds_read2_b32 v[5:6], v2 offset0:8 offset1:12
	ds_read2_b32 v[7:8], v2 offset0:16 offset1:20
	;; [unrolled: 1-line block ×3, first 2 shown]
	s_add_i32 s6, s6, 8
	s_waitcnt lgkmcnt(3)
	v_add3_u32 v1, v3, v1, v4
	s_waitcnt lgkmcnt(2)
	v_add3_u32 v1, v5, v1, v6
	s_waitcnt lgkmcnt(1)
	v_add3_u32 v1, v7, v1, v8
	v_add_u32_e32 v2, 0x80, v2
	s_cmp_eq_u32 s19, s6
	s_waitcnt lgkmcnt(0)
	v_add3_u32 v1, v9, v1, v10
	s_cbranch_scc0 .LBB17_59
; %bb.60:                               ;   in Loop: Header=BB17_6 Depth=1
	s_mov_b32 s6, s19
	s_branch .LBB17_82
.LBB17_61:                              ;   in Loop: Header=BB17_6 Depth=1
	v_mov_b32_e32 v1, 0
	v_mov_b32_e32 v2, 0
	;; [unrolled: 1-line block ×4, first 2 shown]
	s_mov_b64 s[80:81], exec
	v_readlane_b32 s2, v51, 41
	v_readlane_b32 s3, v51, 42
	s_and_b64 s[2:3], s[80:81], s[2:3]
	s_mov_b64 exec, s[2:3]
	s_cbranch_execz .LBB17_65
; %bb.62:                               ;   in Loop: Header=BB17_6 Depth=1
	s_mov_b32 s2, 0
	s_mov_b64 s[82:83], 0
	s_mov_b32 s3, 0
	s_mov_b32 s5, 0
	;; [unrolled: 1-line block ×4, first 2 shown]
	v_mov_b32_e32 v5, v20
.LBB17_63:                              ;   Parent Loop BB17_6 Depth=1
                                        ; =>  This Inner Loop Header: Depth=2
	v_add_u32_e32 v1, s2, v33
	global_load_sbyte v1, v1, s[40:41]
	v_add_u32_e32 v2, s2, v30
	global_load_sbyte v2, v2, s[40:41]
	;; [unrolled: 2-line block ×4, first 2 shown]
	v_add_u32_e32 v5, s51, v5
	s_add_i32 s2, s2, s11
	s_waitcnt vmcnt(3)
	v_add_u32_e32 v1, 0x80, v1
	v_and_b32_e32 v6, v1, v38
	s_waitcnt vmcnt(2)
	v_add_u32_e32 v2, 0x80, v2
	v_bfe_u32 v1, v1, s20, 2
	s_waitcnt vmcnt(1)
	v_add_u32_e32 v3, 0x80, v3
	v_cmp_eq_u32_e32 vcc, v6, v34
	v_and_b32_e32 v6, v2, v38
	v_bfe_u32 v2, v2, s20, 2
	v_cmp_eq_u32_e64 s[34:35], 0, v1
	s_waitcnt vmcnt(0)
	v_add_u32_e32 v4, 0x80, v4
	v_cmp_eq_u32_e64 s[6:7], v6, v34
	v_and_b32_e32 v6, v3, v38
	v_bfe_u32 v3, v3, s20, 2
	s_and_b64 s[12:13], vcc, s[34:35]
	v_cmp_eq_u32_e64 s[34:35], 0, v2
	v_cmp_eq_u32_e64 s[26:27], v6, v34
	v_and_b32_e32 v6, v4, v38
	v_bfe_u32 v4, v4, s20, 2
	s_and_b64 s[14:15], s[6:7], s[34:35]
	v_cmp_eq_u32_e64 s[34:35], 0, v3
	v_cmp_eq_u32_e64 s[30:31], v6, v34
	s_and_b64 s[22:23], s[26:27], s[34:35]
	v_cmp_eq_u32_e64 s[34:35], 0, v4
	v_cndmask_b32_e64 v6, 0, 1, s[12:13]
	s_and_b64 s[24:25], s[30:31], s[34:35]
	v_cmp_ne_u32_e64 s[34:35], 0, v6
	v_cndmask_b32_e64 v6, 0, 1, s[14:15]
	s_bcnt1_i32_b64 s12, s[34:35]
	v_cmp_ne_u32_e64 s[34:35], 0, v6
	v_cndmask_b32_e64 v6, 0, 1, s[22:23]
	s_bcnt1_i32_b64 s13, s[34:35]
	;; [unrolled: 3-line block ×3, first 2 shown]
	v_cmp_ne_u32_e64 s[34:35], 0, v6
	s_add_i32 s9, s9, s12
	s_bcnt1_i32_b64 s15, s[34:35]
	s_add_i32 s9, s9, s13
	v_cmp_eq_u32_e64 s[34:35], 1, v1
	s_add_i32 s9, s9, s14
	s_and_b64 s[12:13], vcc, s[34:35]
	v_cmp_eq_u32_e64 s[34:35], 1, v2
	s_add_i32 s9, s9, s15
	s_and_b64 s[14:15], s[6:7], s[34:35]
	v_cmp_eq_u32_e64 s[34:35], 1, v3
	s_and_b64 s[22:23], s[26:27], s[34:35]
	v_cmp_eq_u32_e64 s[34:35], 1, v4
	v_cndmask_b32_e64 v6, 0, 1, s[12:13]
	s_and_b64 s[24:25], s[30:31], s[34:35]
	v_cmp_ne_u32_e64 s[34:35], 0, v6
	v_cndmask_b32_e64 v6, 0, 1, s[14:15]
	s_bcnt1_i32_b64 s12, s[34:35]
	v_cmp_ne_u32_e64 s[34:35], 0, v6
	v_cndmask_b32_e64 v6, 0, 1, s[22:23]
	s_bcnt1_i32_b64 s13, s[34:35]
	;; [unrolled: 3-line block ×3, first 2 shown]
	v_cmp_ne_u32_e64 s[34:35], 0, v6
	s_add_i32 s8, s8, s12
	s_bcnt1_i32_b64 s15, s[34:35]
	s_add_i32 s8, s8, s13
	v_cmp_eq_u32_e64 s[34:35], 2, v1
	s_add_i32 s8, s8, s14
	s_and_b64 s[12:13], vcc, s[34:35]
	v_cmp_eq_u32_e64 s[34:35], 2, v2
	s_add_i32 s8, s8, s15
	s_and_b64 s[14:15], s[6:7], s[34:35]
	v_cmp_eq_u32_e64 s[34:35], 2, v3
	s_and_b64 s[22:23], s[26:27], s[34:35]
	v_cmp_eq_u32_e64 s[34:35], 2, v4
	v_cndmask_b32_e64 v6, 0, 1, s[12:13]
	s_and_b64 s[24:25], s[30:31], s[34:35]
	v_cmp_ne_u32_e64 s[34:35], 0, v6
	v_cndmask_b32_e64 v6, 0, 1, s[14:15]
	s_bcnt1_i32_b64 s12, s[34:35]
	v_cmp_ne_u32_e64 s[34:35], 0, v6
	v_cndmask_b32_e64 v6, 0, 1, s[22:23]
	s_bcnt1_i32_b64 s13, s[34:35]
	;; [unrolled: 3-line block ×3, first 2 shown]
	v_cmp_ne_u32_e64 s[34:35], 0, v6
	s_bcnt1_i32_b64 s15, s[34:35]
	s_add_i32 s5, s5, s12
	v_cmp_eq_u32_e64 s[34:35], 3, v1
	s_add_i32 s5, s5, s13
	s_and_b64 s[12:13], vcc, s[34:35]
	v_cmp_eq_u32_e32 vcc, 3, v2
	s_add_i32 s5, s5, s14
	s_and_b64 s[6:7], s[6:7], vcc
	v_cmp_eq_u32_e32 vcc, 3, v3
	s_add_i32 s5, s5, s15
	s_and_b64 s[14:15], s[26:27], vcc
	v_cmp_eq_u32_e32 vcc, 3, v4
	v_cndmask_b32_e64 v1, 0, 1, s[12:13]
	s_and_b64 s[22:23], s[30:31], vcc
	v_cmp_ne_u32_e32 vcc, 0, v1
	v_cndmask_b32_e64 v1, 0, 1, s[6:7]
	s_bcnt1_i32_b64 s12, vcc
	v_cmp_ne_u32_e32 vcc, 0, v1
	v_cndmask_b32_e64 v1, 0, 1, s[14:15]
	s_bcnt1_i32_b64 s6, vcc
	v_cmp_ne_u32_e32 vcc, 0, v1
	v_cndmask_b32_e64 v1, 0, 1, s[22:23]
	s_add_i32 s3, s3, s12
	s_bcnt1_i32_b64 s7, vcc
	v_cmp_ne_u32_e32 vcc, 0, v1
	s_add_i32 s3, s3, s6
	s_bcnt1_i32_b64 s13, vcc
	s_add_i32 s3, s3, s7
	s_add_i32 s3, s3, s13
	v_cmp_le_u32_e32 vcc, s21, v5
	s_or_b64 s[82:83], vcc, s[82:83]
	v_mov_b32_e32 v1, s9
	v_mov_b32_e32 v2, s8
	v_mov_b32_e32 v3, s5
	v_mov_b32_e32 v4, s3
	s_andn2_b64 exec, exec, s[82:83]
	s_cbranch_execnz .LBB17_63
; %bb.64:                               ;   in Loop: Header=BB17_6 Depth=1
	s_or_b64 exec, exec, s[82:83]
.LBB17_65:                              ;   in Loop: Header=BB17_6 Depth=1
	s_or_b64 exec, exec, s[80:81]
	s_mov_b64 s[2:3], exec
	v_readlane_b32 s6, v51, 43
	v_readlane_b32 s7, v51, 44
	s_and_b64 s[6:7], s[2:3], s[6:7]
	s_mov_b64 exec, s[6:7]
	s_cbranch_execz .LBB17_71
; %bb.66:                               ;   in Loop: Header=BB17_6 Depth=1
	global_load_ubyte v8, v[15:16], off
	s_mov_b64 s[12:13], 0
	v_mov_b32_e32 v5, v35
	v_mov_b32_e32 v6, v28
	s_branch .LBB17_68
.LBB17_67:                              ;   in Loop: Header=BB17_68 Depth=2
	s_or_b64 exec, exec, s[8:9]
	s_waitcnt vmcnt(0)
	v_add_u32_sdwa v8, sext(v8), s4 dst_sel:DWORD dst_unused:UNUSED_PAD src0_sel:BYTE_0 src1_sel:DWORD
	s_and_b64 s[6:7], exec, vcc
	v_and_b32_e32 v9, v8, v38
	v_bfe_u32 v8, v8, s20, 2
	s_or_b64 s[12:13], s[6:7], s[12:13]
	v_cmp_eq_u32_e32 vcc, v9, v34
	v_cmp_eq_u32_e64 s[6:7], 0, v8
	s_and_b64 s[6:7], vcc, s[6:7]
	v_cndmask_b32_e64 v9, 0, 1, s[6:7]
	v_cmp_ne_u32_e64 s[6:7], 0, v9
	s_bcnt1_i32_b64 s5, s[6:7]
	v_cmp_eq_u32_e64 s[6:7], 1, v8
	s_and_b64 s[6:7], vcc, s[6:7]
	v_cndmask_b32_e64 v9, 0, 1, s[6:7]
	v_cmp_ne_u32_e64 s[6:7], 0, v9
	v_add_u32_e32 v1, s5, v1
	s_bcnt1_i32_b64 s5, s[6:7]
	v_cmp_eq_u32_e64 s[6:7], 2, v8
	s_and_b64 s[6:7], vcc, s[6:7]
	v_cndmask_b32_e64 v9, 0, 1, s[6:7]
	v_cmp_ne_u32_e64 s[6:7], 0, v9
	v_add_u32_e32 v2, s5, v2
	s_bcnt1_i32_b64 s5, s[6:7]
	v_cmp_eq_u32_e64 s[6:7], 3, v8
	s_and_b64 s[6:7], vcc, s[6:7]
	v_cndmask_b32_e64 v8, 0, 1, s[6:7]
	v_cmp_ne_u32_e32 vcc, 0, v8
	v_add_u32_e32 v3, s5, v3
	s_bcnt1_i32_b64 s5, vcc
	v_add_u32_e32 v4, s5, v4
	v_add_u32_e32 v5, s48, v5
	v_mov_b32_e32 v8, v7
	s_andn2_b64 exec, exec, s[12:13]
	s_cbranch_execz .LBB17_70
.LBB17_68:                              ;   Parent Loop BB17_6 Depth=1
                                        ; =>  This Inner Loop Header: Depth=2
	v_add_u32_e32 v6, s33, v6
	v_cmp_gt_u32_e64 s[6:7], s36, v6
	v_cmp_le_u32_e32 vcc, s36, v6
	v_mov_b32_e32 v7, 0
	s_and_saveexec_b64 s[8:9], s[6:7]
	s_cbranch_execz .LBB17_67
; %bb.69:                               ;   in Loop: Header=BB17_68 Depth=2
	global_load_ubyte v7, v5, s[40:41]
	s_branch .LBB17_67
.LBB17_70:                              ;   in Loop: Header=BB17_6 Depth=1
	s_or_b64 exec, exec, s[12:13]
.LBB17_71:                              ;   in Loop: Header=BB17_6 Depth=1
	s_or_b64 exec, exec, s[2:3]
	s_branch .LBB17_53
.LBB17_72:                              ;   in Loop: Header=BB17_6 Depth=1
	v_readlane_b32 s2, v51, 40
	s_mul_hi_u32 s2, s16, s2
	s_mul_i32 s2, s2, s51
	s_sub_i32 s2, s16, s2
	s_sub_i32 s3, s2, s51
	s_cmp_ge_u32 s2, s51
	s_cselect_b32 s2, s3, s2
	s_sub_i32 s3, s2, s51
	s_cmp_ge_u32 s2, s51
	s_cselect_b32 s2, s3, s2
	s_sub_i32 s2, s16, s2
	v_cmp_gt_u32_e32 vcc, s2, v20
	v_mov_b32_e32 v1, 0
	v_mov_b32_e32 v2, 0
	;; [unrolled: 1-line block ×4, first 2 shown]
	s_and_saveexec_b64 s[80:81], vcc
	s_cbranch_execz .LBB17_76
; %bb.73:                               ;   in Loop: Header=BB17_6 Depth=1
	s_mov_b32 s3, 0
	s_mov_b64 s[82:83], 0
	s_mov_b32 s5, 0
	s_mov_b32 s8, 0
	s_mov_b32 s9, 0
	v_mov_b32_e32 v5, v20
.LBB17_74:                              ;   Parent Loop BB17_6 Depth=1
                                        ; =>  This Inner Loop Header: Depth=2
	ds_read_b32 v1, v5
	v_add_u32_e32 v5, s51, v5
	s_waitcnt lgkmcnt(0)
	v_add_u32_sdwa v2, sext(v1), s4 dst_sel:DWORD dst_unused:UNUSED_PAD src0_sel:BYTE_0 src1_sel:DWORD
	v_add_u32_sdwa v3, sext(v1), s4 dst_sel:DWORD dst_unused:UNUSED_PAD src0_sel:BYTE_1 src1_sel:DWORD
	v_and_b32_e32 v6, v2, v38
	v_bfe_u32 v2, v2, s20, 2
	v_add_u32_sdwa v4, sext(v1), s4 dst_sel:DWORD dst_unused:UNUSED_PAD src0_sel:BYTE_2 src1_sel:DWORD
	v_cmp_eq_u32_e32 vcc, v6, v34
	v_and_b32_e32 v6, v3, v38
	v_bfe_u32 v3, v3, s20, 2
	v_cmp_eq_u32_e64 s[34:35], 0, v2
	v_add_u32_sdwa v1, sext(v1), s4 dst_sel:DWORD dst_unused:UNUSED_PAD src0_sel:BYTE_3 src1_sel:DWORD
	v_cmp_eq_u32_e64 s[6:7], v6, v34
	v_and_b32_e32 v6, v4, v38
	v_bfe_u32 v4, v4, s20, 2
	s_and_b64 s[12:13], vcc, s[34:35]
	v_cmp_eq_u32_e64 s[34:35], 0, v3
	v_cmp_eq_u32_e64 s[26:27], v6, v34
	v_and_b32_e32 v6, v1, v38
	v_bfe_u32 v1, v1, s20, 2
	s_and_b64 s[14:15], s[6:7], s[34:35]
	v_cmp_eq_u32_e64 s[34:35], 0, v4
	v_cmp_eq_u32_e64 s[30:31], v6, v34
	s_and_b64 s[22:23], s[26:27], s[34:35]
	v_cmp_eq_u32_e64 s[34:35], 0, v1
	v_cndmask_b32_e64 v6, 0, 1, s[12:13]
	s_and_b64 s[24:25], s[30:31], s[34:35]
	v_cmp_ne_u32_e64 s[34:35], 0, v6
	v_cndmask_b32_e64 v6, 0, 1, s[14:15]
	s_bcnt1_i32_b64 s12, s[34:35]
	v_cmp_ne_u32_e64 s[34:35], 0, v6
	v_cndmask_b32_e64 v6, 0, 1, s[22:23]
	s_bcnt1_i32_b64 s13, s[34:35]
	;; [unrolled: 3-line block ×3, first 2 shown]
	v_cmp_ne_u32_e64 s[34:35], 0, v6
	s_add_i32 s9, s9, s12
	s_bcnt1_i32_b64 s15, s[34:35]
	s_add_i32 s9, s9, s13
	v_cmp_eq_u32_e64 s[34:35], 1, v2
	s_add_i32 s9, s9, s14
	s_and_b64 s[12:13], vcc, s[34:35]
	v_cmp_eq_u32_e64 s[34:35], 1, v3
	s_add_i32 s9, s9, s15
	s_and_b64 s[14:15], s[6:7], s[34:35]
	v_cmp_eq_u32_e64 s[34:35], 1, v4
	s_and_b64 s[22:23], s[26:27], s[34:35]
	v_cmp_eq_u32_e64 s[34:35], 1, v1
	v_cndmask_b32_e64 v6, 0, 1, s[12:13]
	s_and_b64 s[24:25], s[30:31], s[34:35]
	v_cmp_ne_u32_e64 s[34:35], 0, v6
	v_cndmask_b32_e64 v6, 0, 1, s[14:15]
	s_bcnt1_i32_b64 s12, s[34:35]
	v_cmp_ne_u32_e64 s[34:35], 0, v6
	v_cndmask_b32_e64 v6, 0, 1, s[22:23]
	s_bcnt1_i32_b64 s13, s[34:35]
	;; [unrolled: 3-line block ×3, first 2 shown]
	v_cmp_ne_u32_e64 s[34:35], 0, v6
	s_add_i32 s8, s8, s12
	s_bcnt1_i32_b64 s15, s[34:35]
	s_add_i32 s8, s8, s13
	v_cmp_eq_u32_e64 s[34:35], 2, v2
	s_add_i32 s8, s8, s14
	s_and_b64 s[12:13], vcc, s[34:35]
	v_cmp_eq_u32_e64 s[34:35], 2, v3
	s_add_i32 s8, s8, s15
	s_and_b64 s[14:15], s[6:7], s[34:35]
	v_cmp_eq_u32_e64 s[34:35], 2, v4
	s_and_b64 s[22:23], s[26:27], s[34:35]
	v_cmp_eq_u32_e64 s[34:35], 2, v1
	v_cndmask_b32_e64 v6, 0, 1, s[12:13]
	s_and_b64 s[24:25], s[30:31], s[34:35]
	v_cmp_ne_u32_e64 s[34:35], 0, v6
	v_cndmask_b32_e64 v6, 0, 1, s[14:15]
	s_bcnt1_i32_b64 s12, s[34:35]
	v_cmp_ne_u32_e64 s[34:35], 0, v6
	v_cndmask_b32_e64 v6, 0, 1, s[22:23]
	s_bcnt1_i32_b64 s13, s[34:35]
	;; [unrolled: 3-line block ×3, first 2 shown]
	v_cmp_ne_u32_e64 s[34:35], 0, v6
	s_bcnt1_i32_b64 s15, s[34:35]
	s_add_i32 s5, s5, s12
	v_cmp_eq_u32_e64 s[34:35], 3, v2
	s_add_i32 s5, s5, s13
	s_and_b64 s[12:13], vcc, s[34:35]
	v_cmp_eq_u32_e32 vcc, 3, v3
	s_add_i32 s5, s5, s14
	s_and_b64 s[6:7], s[6:7], vcc
	v_cmp_eq_u32_e32 vcc, 3, v4
	s_add_i32 s5, s5, s15
	s_and_b64 s[14:15], s[26:27], vcc
	v_cmp_eq_u32_e32 vcc, 3, v1
	v_cndmask_b32_e64 v1, 0, 1, s[12:13]
	s_and_b64 s[22:23], s[30:31], vcc
	v_cmp_ne_u32_e32 vcc, 0, v1
	v_cndmask_b32_e64 v1, 0, 1, s[6:7]
	s_bcnt1_i32_b64 s12, vcc
	v_cmp_ne_u32_e32 vcc, 0, v1
	v_cndmask_b32_e64 v1, 0, 1, s[14:15]
	s_bcnt1_i32_b64 s6, vcc
	v_cmp_ne_u32_e32 vcc, 0, v1
	v_cndmask_b32_e64 v1, 0, 1, s[22:23]
	s_add_i32 s3, s3, s12
	s_bcnt1_i32_b64 s7, vcc
	v_cmp_ne_u32_e32 vcc, 0, v1
	s_add_i32 s3, s3, s6
	s_bcnt1_i32_b64 s13, vcc
	s_add_i32 s3, s3, s7
	s_add_i32 s3, s3, s13
	v_cmp_le_u32_e32 vcc, s2, v5
	s_or_b64 s[82:83], vcc, s[82:83]
	v_mov_b32_e32 v1, s9
	v_mov_b32_e32 v2, s8
	;; [unrolled: 1-line block ×4, first 2 shown]
	s_andn2_b64 exec, exec, s[82:83]
	s_cbranch_execnz .LBB17_74
; %bb.75:                               ;   in Loop: Header=BB17_6 Depth=1
	s_or_b64 exec, exec, s[82:83]
.LBB17_76:                              ;   in Loop: Header=BB17_6 Depth=1
	s_or_b64 exec, exec, s[80:81]
	v_add_u32_e32 v5, s2, v0
	v_cmp_gt_u32_e32 vcc, s16, v5
	s_and_saveexec_b64 s[12:13], vcc
	s_cbranch_execz .LBB17_80
; %bb.77:                               ;   in Loop: Header=BB17_6 Depth=1
	s_mov_b64 s[14:15], 0
.LBB17_78:                              ;   Parent Loop BB17_6 Depth=1
                                        ; =>  This Inner Loop Header: Depth=2
	ds_read_i8 v6, v5
	v_add_u32_e32 v5, s33, v5
	s_waitcnt lgkmcnt(0)
	v_add_u32_e32 v6, 0x80, v6
	v_and_b32_e32 v7, v6, v38
	v_bfe_u32 v6, v6, s20, 2
	v_cmp_eq_u32_e32 vcc, v7, v34
	v_cmp_eq_u32_e64 s[6:7], 0, v6
	s_and_b64 s[2:3], vcc, s[6:7]
	v_cndmask_b32_e64 v7, 0, 1, s[2:3]
	v_cmp_ne_u32_e64 s[6:7], 0, v7
	s_bcnt1_i32_b64 s2, s[6:7]
	v_cmp_eq_u32_e64 s[6:7], 1, v6
	v_add_u32_e32 v1, s2, v1
	s_and_b64 s[2:3], vcc, s[6:7]
	v_cndmask_b32_e64 v7, 0, 1, s[2:3]
	v_cmp_ne_u32_e64 s[6:7], 0, v7
	s_bcnt1_i32_b64 s2, s[6:7]
	v_cmp_eq_u32_e64 s[6:7], 2, v6
	v_add_u32_e32 v2, s2, v2
	;; [unrolled: 6-line block ×3, first 2 shown]
	s_and_b64 s[2:3], vcc, s[6:7]
	v_cndmask_b32_e64 v6, 0, 1, s[2:3]
	v_cmp_ne_u32_e32 vcc, 0, v6
	s_bcnt1_i32_b64 s2, vcc
	v_cmp_le_u32_e32 vcc, s16, v5
	v_add_u32_e32 v4, s2, v4
	s_or_b64 s[14:15], vcc, s[14:15]
	s_andn2_b64 exec, exec, s[14:15]
	s_cbranch_execnz .LBB17_78
; %bb.79:                               ;   in Loop: Header=BB17_6 Depth=1
	s_or_b64 exec, exec, s[14:15]
.LBB17_80:                              ;   in Loop: Header=BB17_6 Depth=1
	s_or_b64 exec, exec, s[12:13]
	s_lshl_b32 s5, s50, 6
	s_and_saveexec_b64 s[2:3], s[0:1]
	s_cbranch_execnz .LBB17_54
	s_branch .LBB17_55
.LBB17_81:                              ;   in Loop: Header=BB17_6 Depth=1
	v_mov_b32_e32 v1, 0
	s_mov_b32 s6, 0
.LBB17_82:                              ;   in Loop: Header=BB17_6 Depth=1
	v_readlane_b32 s8, v51, 38
	v_readlane_b32 s9, v51, 39
	s_andn2_b64 vcc, exec, s[8:9]
	s_cbranch_vccnz .LBB17_85
; %bb.83:                               ;   in Loop: Header=BB17_6 Depth=1
	s_lshl_b32 s7, s50, 8
	s_lshl_b32 s6, s6, 4
	s_add_i32 s7, s7, s6
	v_add_u32_e32 v2, s7, v36
	v_readlane_b32 s6, v51, 37
.LBB17_84:                              ;   Parent Loop BB17_6 Depth=1
                                        ; =>  This Inner Loop Header: Depth=2
	ds_read_b32 v3, v2
	s_add_i32 s6, s6, -1
	v_add_u32_e32 v2, 16, v2
	s_cmp_lg_u32 s6, 0
	s_waitcnt lgkmcnt(0)
	v_add_u32_e32 v1, v3, v1
	s_cbranch_scc1 .LBB17_84
.LBB17_85:                              ;   in Loop: Header=BB17_6 Depth=1
	v_add_lshl_u32 v2, s5, v21, 2
	ds_write_b32 v2, v1 offset:3072
.LBB17_86:                              ;   in Loop: Header=BB17_6 Depth=1
	s_or_b64 exec, exec, s[2:3]
	s_lshl_b32 s2, s5, 2
	v_mov_b32_e32 v1, s2
	s_waitcnt lgkmcnt(0)
	s_barrier
	ds_read_b128 v[1:4], v1 offset:3072
	v_readlane_b32 s2, v51, 11
	s_lshl_b32 s38, 3, s20
	v_readlane_b32 s3, v51, 12
	s_not_b32 s39, s38
	s_waitcnt lgkmcnt(0)
	v_readfirstlane_b32 s18, v1
	v_readfirstlane_b32 s46, v2
	v_readfirstlane_b32 s47, v3
	v_readfirstlane_b32 s5, v4
	v_cmp_eq_u32_e64 s[26:27], 1, v40
	s_mov_b64 s[86:87], -1
	s_mov_b64 s[30:31], 0
	s_andn2_b64 vcc, exec, s[2:3]
	s_mov_b64 s[80:81], 0
	s_mov_b64 s[34:35], 0
                                        ; implicit-def: $sgpr82_sgpr83
                                        ; implicit-def: $sgpr84_sgpr85
                                        ; implicit-def: $vgpr4
                                        ; implicit-def: $vgpr1
                                        ; implicit-def: $vgpr3
                                        ; implicit-def: $vgpr2
                                        ; implicit-def: $vgpr5
	s_cbranch_vccnz .LBB17_244
; %bb.87:                               ;   in Loop: Header=BB17_6 Depth=1
	s_cmp_eq_u32 s18, 1
	s_cselect_b64 s[2:3], -1, 0
	s_and_b64 s[6:7], s[2:3], s[26:27]
	s_mov_b64 s[2:3], -1
	v_mov_b32_e32 v3, v34
	v_mov_b32_e32 v2, v38
	;; [unrolled: 1-line block ×3, first 2 shown]
                                        ; implicit-def: $sgpr84_sgpr85
                                        ; implicit-def: $sgpr82_sgpr83
	s_and_saveexec_b64 s[12:13], s[6:7]
	s_cbranch_execz .LBB17_113
; %bb.88:                               ;   in Loop: Header=BB17_6 Depth=1
	ds_read_b32 v1, v23 offset:4096
	s_waitcnt lgkmcnt(0)
	s_barrier
	v_readfirstlane_b32 s8, v1
	s_mov_b64 s[2:3], exec
	v_readlane_b32 s14, v51, 21
	v_readlane_b32 s15, v51, 22
	s_and_b64 s[14:15], s[2:3], s[14:15]
	s_mov_b64 exec, s[14:15]
; %bb.89:                               ;   in Loop: Header=BB17_6 Depth=1
	ds_write_b8 v0, v23 offset:3072
; %bb.90:                               ;   in Loop: Header=BB17_6 Depth=1
	s_or_b64 exec, exec, s[2:3]
	v_and_b32_e32 v3, s39, v34
	v_or_b32_e32 v2, s38, v38
	s_mov_b64 s[82:83], -1
	s_mov_b64 s[84:85], 0
	s_cmp_eq_u32 s8, 0
	s_mov_b64 s[2:3], 0
	s_mov_b64 s[14:15], -1
	s_waitcnt lgkmcnt(0)
	s_barrier
                                        ; implicit-def: $vgpr5
	s_cbranch_scc1 .LBB17_101
; %bb.91:                               ;   in Loop: Header=BB17_6 Depth=1
	v_readlane_b32 s2, v51, 23
	s_add_i32 s2, s8, s2
	v_readlane_b32 s3, v51, 45
	s_mul_hi_u32 s3, s2, s3
	s_mul_i32 s3, s3, s33
	s_sub_i32 s3, s2, s3
	s_sub_i32 s9, s3, s33
	s_cmp_ge_u32 s3, s33
	s_cselect_b32 s3, s9, s3
	s_sub_i32 s9, s3, s33
	s_cmp_ge_u32 s3, s33
	s_cselect_b32 s3, s9, s3
	s_sub_i32 s9, s2, s3
	v_cmp_gt_u32_e32 vcc, s9, v0
	s_mov_b64 s[14:15], 0
	s_mov_b64 s[2:3], 0
                                        ; implicit-def: $vgpr5
	s_and_saveexec_b64 s[16:17], vcc
	s_cbranch_execz .LBB17_100
; %bb.92:                               ;   in Loop: Header=BB17_6 Depth=1
	v_mov_b32_e32 v1, v0
                                        ; implicit-def: $sgpr24_sgpr25
	s_branch .LBB17_95
.LBB17_93:                              ;   in Loop: Header=BB17_95 Depth=2
	s_or_b64 exec, exec, s[22:23]
	s_waitcnt lgkmcnt(0)
	s_barrier
	ds_read_u16 v4, v23 offset:3072
	s_mov_b64 s[22:23], -1
	s_waitcnt lgkmcnt(0)
	s_barrier
	v_cmp_ne_u32_sdwa s[28:29], v4, v23 src0_sel:BYTE_0 src1_sel:DWORD
	s_and_b64 vcc, exec, s[28:29]
	s_mov_b64 s[28:29], -1
	s_cbranch_vccz .LBB17_98
.LBB17_94:                              ;   in Loop: Header=BB17_95 Depth=2
	s_and_b64 s[22:23], exec, s[22:23]
	s_or_b64 s[2:3], s[22:23], s[2:3]
	s_andn2_b64 s[22:23], s[24:25], exec
	s_and_b64 s[24:25], s[28:29], exec
	s_or_b64 s[24:25], s[22:23], s[24:25]
	s_andn2_b64 exec, exec, s[2:3]
	s_cbranch_execz .LBB17_99
.LBB17_95:                              ;   Parent Loop BB17_6 Depth=1
                                        ; =>  This Inner Loop Header: Depth=2
	v_cmp_gt_u32_e32 vcc, s8, v1
	s_and_saveexec_b64 s[22:23], vcc
	s_cbranch_execz .LBB17_93
; %bb.96:                               ;   in Loop: Header=BB17_95 Depth=2
	ds_read_u8 v4, v1
	s_waitcnt lgkmcnt(0)
	v_add_u32_sdwa v5, sext(v4), s4 dst_sel:DWORD dst_unused:UNUSED_PAD src0_sel:BYTE_0 src1_sel:DWORD
	v_and_b32_e32 v5, v5, v2
	v_cmp_eq_u32_e32 vcc, v5, v3
	s_and_b64 exec, exec, vcc
	s_cbranch_execz .LBB17_93
; %bb.97:                               ;   in Loop: Header=BB17_95 Depth=2
	v_lshlrev_b16_e32 v4, 8, v4
	v_or_b32_e32 v4, 1, v4
	ds_write_b16 v23, v4 offset:3072
	s_branch .LBB17_93
.LBB17_98:                              ;   in Loop: Header=BB17_95 Depth=2
	v_add_u32_e32 v1, s33, v1
	v_cmp_le_u32_e32 vcc, s9, v1
	s_mov_b64 s[28:29], 0
	s_orn2_b64 s[22:23], vcc, exec
	s_branch .LBB17_94
.LBB17_99:                              ;   in Loop: Header=BB17_6 Depth=1
	s_or_b64 exec, exec, s[2:3]
	v_lshrrev_b32_sdwa v5, v37, v4 dst_sel:DWORD dst_unused:UNUSED_PAD src0_sel:DWORD src1_sel:WORD_0
	s_and_b64 s[2:3], s[24:25], exec
.LBB17_100:                             ;   in Loop: Header=BB17_6 Depth=1
	s_or_b64 exec, exec, s[16:17]
.LBB17_101:                             ;   in Loop: Header=BB17_6 Depth=1
	s_and_b64 vcc, exec, s[14:15]
	s_cbranch_vccz .LBB17_112
; %bb.102:                              ;   in Loop: Header=BB17_6 Depth=1
                                        ; implicit-def: $vgpr5
	s_mov_b64 s[14:15], exec
	v_readlane_b32 s8, v51, 46
	v_readlane_b32 s9, v51, 47
	s_and_b64 s[8:9], s[14:15], s[8:9]
	s_mov_b64 exec, s[8:9]
	s_cbranch_execz .LBB17_111
; %bb.103:                              ;   in Loop: Header=BB17_6 Depth=1
	s_mov_b64 s[16:17], 0
	v_mov_b32_e32 v1, v22
	v_mov_b32_e32 v4, v0
                                        ; implicit-def: $sgpr24_sgpr25
	s_branch .LBB17_106
.LBB17_104:                             ;   in Loop: Header=BB17_106 Depth=2
	s_or_b64 exec, exec, s[22:23]
	s_waitcnt lgkmcnt(0)
	s_barrier
	ds_read_u16 v5, v23 offset:3072
	s_mov_b64 s[22:23], -1
	s_mov_b64 s[28:29], -1
	s_waitcnt lgkmcnt(0)
	s_barrier
	v_cmp_ne_u32_sdwa s[8:9], v5, v23 src0_sel:BYTE_0 src1_sel:DWORD
	s_and_b64 vcc, exec, s[8:9]
	s_cbranch_vccz .LBB17_109
.LBB17_105:                             ;   in Loop: Header=BB17_106 Depth=2
	s_and_b64 s[8:9], exec, s[22:23]
	s_or_b64 s[16:17], s[8:9], s[16:17]
	s_andn2_b64 s[8:9], s[24:25], exec
	s_and_b64 s[22:23], s[28:29], exec
	s_or_b64 s[24:25], s[8:9], s[22:23]
	s_andn2_b64 exec, exec, s[16:17]
	s_cbranch_execz .LBB17_110
.LBB17_106:                             ;   Parent Loop BB17_6 Depth=1
                                        ; =>  This Inner Loop Header: Depth=2
	v_cmp_gt_u32_e32 vcc, s36, v4
	s_and_saveexec_b64 s[22:23], vcc
	s_cbranch_execz .LBB17_104
; %bb.107:                              ;   in Loop: Header=BB17_106 Depth=2
	global_load_ubyte v5, v1, s[40:41]
	s_waitcnt vmcnt(0)
	v_add_u32_sdwa v6, sext(v5), s4 dst_sel:DWORD dst_unused:UNUSED_PAD src0_sel:BYTE_0 src1_sel:DWORD
	v_and_b32_e32 v6, v6, v2
	v_cmp_eq_u32_e32 vcc, v6, v3
	s_and_b64 exec, exec, vcc
	s_cbranch_execz .LBB17_104
; %bb.108:                              ;   in Loop: Header=BB17_106 Depth=2
	v_lshlrev_b16_e32 v5, 8, v5
	v_or_b32_e32 v5, 1, v5
	ds_write_b16 v23, v5 offset:3072
	s_branch .LBB17_104
.LBB17_109:                             ;   in Loop: Header=BB17_106 Depth=2
	v_add_u32_e32 v4, s33, v4
	v_cmp_le_u32_e32 vcc, s10, v4
	v_add_u32_e32 v1, s48, v1
	s_mov_b64 s[28:29], 0
	s_orn2_b64 s[22:23], vcc, exec
	s_branch .LBB17_105
.LBB17_110:                             ;   in Loop: Header=BB17_6 Depth=1
	s_or_b64 exec, exec, s[16:17]
	s_andn2_b64 s[2:3], s[2:3], exec
	s_and_b64 s[8:9], s[24:25], exec
	v_lshrrev_b32_sdwa v5, v37, v5 dst_sel:DWORD dst_unused:UNUSED_PAD src0_sel:DWORD src1_sel:WORD_0
	s_or_b64 s[2:3], s[2:3], s[8:9]
.LBB17_111:                             ;   in Loop: Header=BB17_6 Depth=1
	s_or_b64 exec, exec, s[14:15]
	s_mov_b64 s[82:83], 0
	s_mov_b64 s[84:85], -1
.LBB17_112:                             ;   in Loop: Header=BB17_6 Depth=1
	s_orn2_b64 s[2:3], s[2:3], exec
.LBB17_113:                             ;   in Loop: Header=BB17_6 Depth=1
	s_or_b64 exec, exec, s[12:13]
	s_mov_b64 s[86:87], 0
	s_mov_b64 s[80:81], 0
	;; [unrolled: 1-line block ×3, first 2 shown]
                                        ; implicit-def: $vgpr4
                                        ; implicit-def: $vgpr1
	s_and_saveexec_b64 s[88:89], s[2:3]
	s_cbranch_execz .LBB17_243
; %bb.114:                              ;   in Loop: Header=BB17_6 Depth=1
	s_xor_b64 s[8:9], s[6:7], -1
	s_mov_b64 s[6:7], 0
	v_mov_b32_e32 v4, 1
	v_mov_b32_e32 v1, 1
	s_and_saveexec_b64 s[2:3], s[8:9]
	s_cbranch_execz .LBB17_123
; %bb.115:                              ;   in Loop: Header=BB17_6 Depth=1
	v_cmp_ge_u32_e32 vcc, s18, v40
	s_and_saveexec_b64 s[6:7], vcc
	s_xor_b64 s[6:7], exec, s[6:7]
	s_cbranch_execz .LBB17_120
; %bb.116:                              ;   in Loop: Header=BB17_6 Depth=1
	ds_read_b32 v1, v23 offset:4096
	v_and_b32_e32 v3, s39, v3
	v_or_b32_e32 v2, s38, v2
	s_waitcnt lgkmcnt(0)
	v_cmp_ne_u32_e32 vcc, 0, v1
	s_cbranch_vccnz .LBB17_120
; %bb.117:                              ;   in Loop: Header=BB17_6 Depth=1
	s_mov_b64 s[8:9], exec
	v_readlane_b32 s12, v51, 6
	v_readlane_b32 s13, v51, 7
	s_and_b64 s[12:13], s[8:9], s[12:13]
	s_mov_b64 exec, s[12:13]
; %bb.118:                              ;   in Loop: Header=BB17_6 Depth=1
	v_mov_b32_e32 v1, s18
	ds_write_b32 v23, v1 offset:4100
; %bb.119:                              ;   in Loop: Header=BB17_6 Depth=1
	s_or_b64 exec, exec, s[8:9]
	s_waitcnt lgkmcnt(0)
	s_barrier
.LBB17_120:                             ;   in Loop: Header=BB17_6 Depth=1
	s_or_saveexec_b64 s[6:7], s[6:7]
	s_mov_b64 s[12:13], 0
	v_mov_b32_e32 v1, 8
	v_mov_b32_e32 v4, v40
	s_xor_b64 exec, exec, s[6:7]
; %bb.121:                              ;   in Loop: Header=BB17_6 Depth=1
	s_mov_b64 s[12:13], exec
	v_subrev_u32_e32 v4, s18, v40
	v_mov_b32_e32 v1, 0
; %bb.122:                              ;   in Loop: Header=BB17_6 Depth=1
	s_or_b64 exec, exec, s[6:7]
	s_and_b64 s[6:7], s[12:13], exec
.LBB17_123:                             ;   in Loop: Header=BB17_6 Depth=1
	s_or_b64 exec, exec, s[2:3]
	s_mov_b64 s[2:3], -1
                                        ; implicit-def: $sgpr34_sgpr35
                                        ; implicit-def: $sgpr80_sgpr81
	s_and_saveexec_b64 s[8:9], s[6:7]
	s_xor_b64 s[6:7], exec, s[8:9]
	s_cbranch_execz .LBB17_240
; %bb.124:                              ;   in Loop: Header=BB17_6 Depth=1
	s_cmp_eq_u32 s46, 1
	s_cselect_b64 s[2:3], -1, 0
	v_cmp_eq_u32_e32 vcc, 1, v4
	s_and_b64 s[14:15], s[2:3], vcc
	s_mov_b64 s[2:3], -1
                                        ; implicit-def: $sgpr80_sgpr81
                                        ; implicit-def: $sgpr34_sgpr35
	s_and_saveexec_b64 s[12:13], s[14:15]
	s_cbranch_execz .LBB17_150
; %bb.125:                              ;   in Loop: Header=BB17_6 Depth=1
	ds_read_b32 v5, v23 offset:4096
	s_waitcnt lgkmcnt(0)
	s_barrier
	v_readfirstlane_b32 s8, v5
	s_mov_b64 s[2:3], exec
	v_readlane_b32 s16, v51, 21
	v_readlane_b32 s17, v51, 22
	s_and_b64 s[16:17], s[2:3], s[16:17]
	s_mov_b64 exec, s[16:17]
; %bb.126:                              ;   in Loop: Header=BB17_6 Depth=1
	ds_write_b8 v0, v23 offset:3072
; %bb.127:                              ;   in Loop: Header=BB17_6 Depth=1
	s_or_b64 exec, exec, s[2:3]
	v_and_b32_e32 v3, s39, v3
	v_lshl_or_b32 v3, 1, s20, v3
	v_or_b32_e32 v2, s38, v2
	s_mov_b64 s[34:35], -1
	s_mov_b64 s[80:81], 0
	s_cmp_eq_u32 s8, 0
	s_mov_b64 s[16:17], 0
	s_mov_b64 s[2:3], -1
	s_waitcnt lgkmcnt(0)
	s_barrier
                                        ; implicit-def: $vgpr5
	s_cbranch_scc1 .LBB17_138
; %bb.128:                              ;   in Loop: Header=BB17_6 Depth=1
	v_readlane_b32 s2, v51, 23
	s_add_i32 s2, s8, s2
	v_readlane_b32 s3, v51, 45
	s_mul_hi_u32 s3, s2, s3
	s_mul_i32 s3, s3, s33
	s_sub_i32 s3, s2, s3
	s_sub_i32 s9, s3, s33
	s_cmp_ge_u32 s3, s33
	s_cselect_b32 s3, s9, s3
	s_sub_i32 s9, s3, s33
	s_cmp_ge_u32 s3, s33
	s_cselect_b32 s3, s9, s3
	s_sub_i32 s9, s2, s3
	v_cmp_gt_u32_e32 vcc, s9, v0
	s_mov_b64 s[2:3], 0
                                        ; implicit-def: $vgpr5
	s_and_saveexec_b64 s[24:25], vcc
	s_cbranch_execz .LBB17_137
; %bb.129:                              ;   in Loop: Header=BB17_6 Depth=1
	v_mov_b32_e32 v5, v0
                                        ; implicit-def: $sgpr28_sgpr29
	s_branch .LBB17_132
.LBB17_130:                             ;   in Loop: Header=BB17_132 Depth=2
	s_or_b64 exec, exec, s[42:43]
	s_waitcnt lgkmcnt(0)
	s_barrier
	ds_read_u16 v6, v23 offset:3072
	s_mov_b64 s[22:23], -1
	s_waitcnt lgkmcnt(0)
	s_barrier
	v_cmp_ne_u32_sdwa s[42:43], v6, v23 src0_sel:BYTE_0 src1_sel:DWORD
	s_and_b64 vcc, exec, s[42:43]
	s_mov_b64 s[42:43], -1
	s_cbranch_vccz .LBB17_135
.LBB17_131:                             ;   in Loop: Header=BB17_132 Depth=2
	s_and_b64 s[22:23], exec, s[22:23]
	s_or_b64 s[16:17], s[22:23], s[16:17]
	s_andn2_b64 s[22:23], s[28:29], exec
	s_and_b64 s[28:29], s[42:43], exec
	s_or_b64 s[28:29], s[22:23], s[28:29]
	s_andn2_b64 exec, exec, s[16:17]
	s_cbranch_execz .LBB17_136
.LBB17_132:                             ;   Parent Loop BB17_6 Depth=1
                                        ; =>  This Inner Loop Header: Depth=2
	v_cmp_gt_u32_e32 vcc, s8, v5
	s_and_saveexec_b64 s[42:43], vcc
	s_cbranch_execz .LBB17_130
; %bb.133:                              ;   in Loop: Header=BB17_132 Depth=2
	ds_read_u8 v6, v5
	s_waitcnt lgkmcnt(0)
	v_add_u32_sdwa v7, sext(v6), s4 dst_sel:DWORD dst_unused:UNUSED_PAD src0_sel:BYTE_0 src1_sel:DWORD
	v_and_b32_e32 v7, v7, v2
	v_cmp_eq_u32_e32 vcc, v7, v3
	s_and_b64 exec, exec, vcc
	s_cbranch_execz .LBB17_130
; %bb.134:                              ;   in Loop: Header=BB17_132 Depth=2
	v_lshlrev_b16_e32 v6, 8, v6
	v_or_b32_e32 v6, 1, v6
	ds_write_b16 v23, v6 offset:3072
	s_branch .LBB17_130
.LBB17_135:                             ;   in Loop: Header=BB17_132 Depth=2
	v_add_u32_e32 v5, s33, v5
	v_cmp_le_u32_e32 vcc, s9, v5
	s_mov_b64 s[42:43], 0
	s_orn2_b64 s[22:23], vcc, exec
	s_branch .LBB17_131
.LBB17_136:                             ;   in Loop: Header=BB17_6 Depth=1
	s_or_b64 exec, exec, s[16:17]
	v_lshrrev_b32_sdwa v5, v37, v6 dst_sel:DWORD dst_unused:UNUSED_PAD src0_sel:DWORD src1_sel:WORD_0
	s_and_b64 s[16:17], s[28:29], exec
.LBB17_137:                             ;   in Loop: Header=BB17_6 Depth=1
	s_or_b64 exec, exec, s[24:25]
.LBB17_138:                             ;   in Loop: Header=BB17_6 Depth=1
	s_and_b64 vcc, exec, s[2:3]
	s_cbranch_vccz .LBB17_149
; %bb.139:                              ;   in Loop: Header=BB17_6 Depth=1
                                        ; implicit-def: $vgpr5
	s_mov_b64 s[2:3], exec
	v_readlane_b32 s8, v51, 46
	v_readlane_b32 s9, v51, 47
	s_and_b64 s[8:9], s[2:3], s[8:9]
	s_mov_b64 exec, s[8:9]
	s_cbranch_execz .LBB17_148
; %bb.140:                              ;   in Loop: Header=BB17_6 Depth=1
	s_mov_b64 s[24:25], 0
	v_mov_b32_e32 v5, v22
	v_mov_b32_e32 v6, v0
                                        ; implicit-def: $sgpr28_sgpr29
	s_branch .LBB17_143
.LBB17_141:                             ;   in Loop: Header=BB17_143 Depth=2
	s_or_b64 exec, exec, s[34:35]
	s_waitcnt lgkmcnt(0)
	s_barrier
	ds_read_u16 v7, v23 offset:3072
	s_mov_b64 s[22:23], -1
	s_mov_b64 s[34:35], -1
	s_waitcnt lgkmcnt(0)
	s_barrier
	v_cmp_eq_u32_sdwa s[8:9], v7, v23 src0_sel:BYTE_0 src1_sel:DWORD
	s_and_b64 vcc, exec, s[8:9]
	s_cbranch_vccnz .LBB17_146
.LBB17_142:                             ;   in Loop: Header=BB17_143 Depth=2
	s_and_b64 s[8:9], exec, s[22:23]
	s_or_b64 s[24:25], s[8:9], s[24:25]
	s_andn2_b64 s[8:9], s[28:29], exec
	s_and_b64 s[22:23], s[34:35], exec
	s_or_b64 s[28:29], s[8:9], s[22:23]
	s_andn2_b64 exec, exec, s[24:25]
	s_cbranch_execz .LBB17_147
.LBB17_143:                             ;   Parent Loop BB17_6 Depth=1
                                        ; =>  This Inner Loop Header: Depth=2
	v_cmp_gt_u32_e32 vcc, s36, v6
	s_and_saveexec_b64 s[34:35], vcc
	s_cbranch_execz .LBB17_141
; %bb.144:                              ;   in Loop: Header=BB17_143 Depth=2
	global_load_ubyte v7, v5, s[40:41]
	s_waitcnt vmcnt(0)
	v_add_u32_sdwa v8, sext(v7), s4 dst_sel:DWORD dst_unused:UNUSED_PAD src0_sel:BYTE_0 src1_sel:DWORD
	v_and_b32_e32 v8, v8, v2
	v_cmp_eq_u32_e32 vcc, v8, v3
	s_and_b64 exec, exec, vcc
	s_cbranch_execz .LBB17_141
; %bb.145:                              ;   in Loop: Header=BB17_143 Depth=2
	v_lshlrev_b16_e32 v7, 8, v7
	v_or_b32_e32 v7, 1, v7
	ds_write_b16 v23, v7 offset:3072
	s_branch .LBB17_141
.LBB17_146:                             ;   in Loop: Header=BB17_143 Depth=2
	v_add_u32_e32 v6, s33, v6
	v_cmp_le_u32_e32 vcc, s10, v6
	v_add_u32_e32 v5, s48, v5
	s_mov_b64 s[34:35], 0
	s_orn2_b64 s[22:23], vcc, exec
	s_branch .LBB17_142
.LBB17_147:                             ;   in Loop: Header=BB17_6 Depth=1
	s_or_b64 exec, exec, s[24:25]
	s_andn2_b64 s[8:9], s[16:17], exec
	s_and_b64 s[16:17], s[28:29], exec
	v_lshrrev_b32_sdwa v5, v37, v7 dst_sel:DWORD dst_unused:UNUSED_PAD src0_sel:DWORD src1_sel:WORD_0
	s_or_b64 s[16:17], s[8:9], s[16:17]
.LBB17_148:                             ;   in Loop: Header=BB17_6 Depth=1
	s_or_b64 exec, exec, s[2:3]
	s_mov_b64 s[34:35], 0
	s_mov_b64 s[80:81], -1
.LBB17_149:                             ;   in Loop: Header=BB17_6 Depth=1
	s_orn2_b64 s[2:3], s[16:17], exec
.LBB17_150:                             ;   in Loop: Header=BB17_6 Depth=1
	s_or_b64 exec, exec, s[12:13]
	s_mov_b64 s[12:13], 0
	s_and_saveexec_b64 s[90:91], s[2:3]
	s_cbranch_execz .LBB17_239
; %bb.151:                              ;   in Loop: Header=BB17_6 Depth=1
	s_xor_b64 s[8:9], s[14:15], -1
	v_mov_b32_e32 v6, 1
	v_mov_b32_e32 v1, 1
	s_and_saveexec_b64 s[2:3], s[8:9]
	s_cbranch_execz .LBB17_160
; %bb.152:                              ;   in Loop: Header=BB17_6 Depth=1
	v_cmp_ge_u32_e32 vcc, s46, v4
	s_and_saveexec_b64 s[8:9], vcc
	s_xor_b64 s[12:13], exec, s[8:9]
	s_cbranch_execz .LBB17_157
; %bb.153:                              ;   in Loop: Header=BB17_6 Depth=1
	v_and_b32_e32 v1, s39, v3
	v_lshl_or_b32 v3, 1, s20, v1
	ds_read_b32 v1, v23 offset:4096
	v_or_b32_e32 v2, s38, v2
	s_waitcnt lgkmcnt(0)
	v_cmp_ne_u32_e32 vcc, 0, v1
	s_cbranch_vccnz .LBB17_157
; %bb.154:                              ;   in Loop: Header=BB17_6 Depth=1
	s_mov_b64 s[8:9], exec
	v_readlane_b32 s14, v51, 6
	v_readlane_b32 s15, v51, 7
	s_and_b64 s[14:15], s[8:9], s[14:15]
	s_mov_b64 exec, s[14:15]
; %bb.155:                              ;   in Loop: Header=BB17_6 Depth=1
	v_mov_b32_e32 v1, s46
	ds_write_b32 v23, v1 offset:4100
; %bb.156:                              ;   in Loop: Header=BB17_6 Depth=1
	s_or_b64 exec, exec, s[8:9]
	s_waitcnt lgkmcnt(0)
	s_barrier
.LBB17_157:                             ;   in Loop: Header=BB17_6 Depth=1
	s_or_saveexec_b64 s[12:13], s[12:13]
	s_mov_b64 s[14:15], 0
	v_mov_b32_e32 v1, 8
	s_xor_b64 exec, exec, s[12:13]
; %bb.158:                              ;   in Loop: Header=BB17_6 Depth=1
	s_mov_b64 s[14:15], exec
	v_subrev_u32_e32 v4, s46, v4
	v_mov_b32_e32 v1, 0
; %bb.159:                              ;   in Loop: Header=BB17_6 Depth=1
	s_or_b64 exec, exec, s[12:13]
	s_and_b64 s[12:13], s[14:15], exec
	v_mov_b32_e32 v6, v4
.LBB17_160:                             ;   in Loop: Header=BB17_6 Depth=1
	s_or_b64 exec, exec, s[2:3]
	s_mov_b64 s[2:3], -1
                                        ; implicit-def: $sgpr94_sgpr95
                                        ; implicit-def: $sgpr42_sgpr43
	s_and_saveexec_b64 s[92:93], s[12:13]
	s_cbranch_execz .LBB17_238
; %bb.161:                              ;   in Loop: Header=BB17_6 Depth=1
	s_cmp_eq_u32 s47, 1
	s_cselect_b64 s[2:3], -1, 0
	v_cmp_eq_u32_e32 vcc, 1, v6
	s_and_b64 s[14:15], s[2:3], vcc
	s_mov_b64 s[2:3], -1
                                        ; implicit-def: $sgpr42_sgpr43
                                        ; implicit-def: $sgpr94_sgpr95
	s_and_saveexec_b64 s[12:13], s[14:15]
	s_cbranch_execz .LBB17_187
; %bb.162:                              ;   in Loop: Header=BB17_6 Depth=1
	ds_read_b32 v4, v23 offset:4096
	s_waitcnt lgkmcnt(0)
	s_barrier
	v_readfirstlane_b32 s8, v4
	s_mov_b64 s[2:3], exec
	v_readlane_b32 s16, v51, 21
	v_readlane_b32 s17, v51, 22
	s_and_b64 s[16:17], s[2:3], s[16:17]
	s_mov_b64 exec, s[16:17]
; %bb.163:                              ;   in Loop: Header=BB17_6 Depth=1
	ds_write_b8 v0, v23 offset:3072
; %bb.164:                              ;   in Loop: Header=BB17_6 Depth=1
	s_or_b64 exec, exec, s[2:3]
	v_and_b32_e32 v3, s39, v3
	v_lshl_or_b32 v3, 2, s20, v3
	v_or_b32_e32 v2, s38, v2
	s_mov_b64 s[94:95], -1
	s_mov_b64 s[42:43], 0
	s_cmp_eq_u32 s8, 0
	s_mov_b64 s[16:17], 0
	s_mov_b64 s[2:3], -1
	s_waitcnt lgkmcnt(0)
	s_barrier
                                        ; implicit-def: $vgpr5
	s_cbranch_scc1 .LBB17_175
; %bb.165:                              ;   in Loop: Header=BB17_6 Depth=1
	v_readlane_b32 s2, v51, 23
	s_add_i32 s2, s8, s2
	v_readlane_b32 s3, v51, 45
	s_mul_hi_u32 s3, s2, s3
	s_mul_i32 s3, s3, s33
	s_sub_i32 s3, s2, s3
	s_sub_i32 s9, s3, s33
	s_cmp_ge_u32 s3, s33
	s_cselect_b32 s3, s9, s3
	s_sub_i32 s9, s3, s33
	s_cmp_ge_u32 s3, s33
	s_cselect_b32 s3, s9, s3
	s_sub_i32 s9, s2, s3
	v_cmp_gt_u32_e32 vcc, s9, v0
	s_mov_b64 s[2:3], 0
                                        ; implicit-def: $vgpr5
	s_and_saveexec_b64 s[24:25], vcc
	s_cbranch_execz .LBB17_174
; %bb.166:                              ;   in Loop: Header=BB17_6 Depth=1
	v_mov_b32_e32 v4, v0
                                        ; implicit-def: $sgpr28_sgpr29
	s_branch .LBB17_169
.LBB17_167:                             ;   in Loop: Header=BB17_169 Depth=2
	s_or_b64 exec, exec, s[44:45]
	s_waitcnt lgkmcnt(0)
	s_barrier
	ds_read_u16 v5, v23 offset:3072
	s_mov_b64 s[22:23], -1
	s_waitcnt lgkmcnt(0)
	s_barrier
	v_cmp_ne_u32_sdwa s[44:45], v5, v23 src0_sel:BYTE_0 src1_sel:DWORD
	s_and_b64 vcc, exec, s[44:45]
	s_mov_b64 s[44:45], -1
	s_cbranch_vccz .LBB17_172
.LBB17_168:                             ;   in Loop: Header=BB17_169 Depth=2
	s_and_b64 s[22:23], exec, s[22:23]
	s_or_b64 s[16:17], s[22:23], s[16:17]
	s_andn2_b64 s[22:23], s[28:29], exec
	s_and_b64 s[28:29], s[44:45], exec
	s_or_b64 s[28:29], s[22:23], s[28:29]
	s_andn2_b64 exec, exec, s[16:17]
	s_cbranch_execz .LBB17_173
.LBB17_169:                             ;   Parent Loop BB17_6 Depth=1
                                        ; =>  This Inner Loop Header: Depth=2
	v_cmp_gt_u32_e32 vcc, s8, v4
	s_and_saveexec_b64 s[44:45], vcc
	s_cbranch_execz .LBB17_167
; %bb.170:                              ;   in Loop: Header=BB17_169 Depth=2
	ds_read_u8 v5, v4
	s_waitcnt lgkmcnt(0)
	v_add_u32_sdwa v7, sext(v5), s4 dst_sel:DWORD dst_unused:UNUSED_PAD src0_sel:BYTE_0 src1_sel:DWORD
	v_and_b32_e32 v7, v7, v2
	v_cmp_eq_u32_e32 vcc, v7, v3
	s_and_b64 exec, exec, vcc
	s_cbranch_execz .LBB17_167
; %bb.171:                              ;   in Loop: Header=BB17_169 Depth=2
	v_lshlrev_b16_e32 v5, 8, v5
	v_or_b32_e32 v5, 1, v5
	ds_write_b16 v23, v5 offset:3072
	s_branch .LBB17_167
.LBB17_172:                             ;   in Loop: Header=BB17_169 Depth=2
	v_add_u32_e32 v4, s33, v4
	v_cmp_le_u32_e32 vcc, s9, v4
	s_mov_b64 s[44:45], 0
	s_orn2_b64 s[22:23], vcc, exec
	s_branch .LBB17_168
.LBB17_173:                             ;   in Loop: Header=BB17_6 Depth=1
	s_or_b64 exec, exec, s[16:17]
	v_lshrrev_b32_sdwa v5, v37, v5 dst_sel:DWORD dst_unused:UNUSED_PAD src0_sel:DWORD src1_sel:WORD_0
	s_and_b64 s[16:17], s[28:29], exec
.LBB17_174:                             ;   in Loop: Header=BB17_6 Depth=1
	s_or_b64 exec, exec, s[24:25]
.LBB17_175:                             ;   in Loop: Header=BB17_6 Depth=1
	s_and_b64 vcc, exec, s[2:3]
	s_cbranch_vccz .LBB17_186
; %bb.176:                              ;   in Loop: Header=BB17_6 Depth=1
                                        ; implicit-def: $vgpr5
	s_mov_b64 s[2:3], exec
	v_readlane_b32 s8, v51, 46
	v_readlane_b32 s9, v51, 47
	s_and_b64 s[8:9], s[2:3], s[8:9]
	s_mov_b64 exec, s[8:9]
	s_cbranch_execz .LBB17_185
; %bb.177:                              ;   in Loop: Header=BB17_6 Depth=1
	s_mov_b64 s[24:25], 0
	v_mov_b32_e32 v4, v22
	v_mov_b32_e32 v5, v0
                                        ; implicit-def: $sgpr28_sgpr29
	s_branch .LBB17_180
.LBB17_178:                             ;   in Loop: Header=BB17_180 Depth=2
	s_or_b64 exec, exec, s[42:43]
	s_waitcnt lgkmcnt(0)
	s_barrier
	ds_read_u16 v7, v23 offset:3072
	s_mov_b64 s[22:23], -1
	s_mov_b64 s[42:43], -1
	s_waitcnt lgkmcnt(0)
	s_barrier
	v_cmp_eq_u32_sdwa s[8:9], v7, v23 src0_sel:BYTE_0 src1_sel:DWORD
	s_and_b64 vcc, exec, s[8:9]
	s_cbranch_vccnz .LBB17_183
.LBB17_179:                             ;   in Loop: Header=BB17_180 Depth=2
	s_and_b64 s[8:9], exec, s[22:23]
	s_or_b64 s[24:25], s[8:9], s[24:25]
	s_andn2_b64 s[8:9], s[28:29], exec
	s_and_b64 s[22:23], s[42:43], exec
	s_or_b64 s[28:29], s[8:9], s[22:23]
	s_andn2_b64 exec, exec, s[24:25]
	s_cbranch_execz .LBB17_184
.LBB17_180:                             ;   Parent Loop BB17_6 Depth=1
                                        ; =>  This Inner Loop Header: Depth=2
	v_cmp_gt_u32_e32 vcc, s36, v5
	s_and_saveexec_b64 s[42:43], vcc
	s_cbranch_execz .LBB17_178
; %bb.181:                              ;   in Loop: Header=BB17_180 Depth=2
	global_load_ubyte v7, v4, s[40:41]
	s_waitcnt vmcnt(0)
	v_add_u32_sdwa v8, sext(v7), s4 dst_sel:DWORD dst_unused:UNUSED_PAD src0_sel:BYTE_0 src1_sel:DWORD
	v_and_b32_e32 v8, v8, v2
	v_cmp_eq_u32_e32 vcc, v8, v3
	s_and_b64 exec, exec, vcc
	s_cbranch_execz .LBB17_178
; %bb.182:                              ;   in Loop: Header=BB17_180 Depth=2
	v_lshlrev_b16_e32 v7, 8, v7
	v_or_b32_e32 v7, 1, v7
	ds_write_b16 v23, v7 offset:3072
	s_branch .LBB17_178
.LBB17_183:                             ;   in Loop: Header=BB17_180 Depth=2
	v_add_u32_e32 v5, s33, v5
	v_cmp_le_u32_e32 vcc, s10, v5
	v_add_u32_e32 v4, s48, v4
	s_mov_b64 s[42:43], 0
	s_orn2_b64 s[22:23], vcc, exec
	s_branch .LBB17_179
.LBB17_184:                             ;   in Loop: Header=BB17_6 Depth=1
	s_or_b64 exec, exec, s[24:25]
	s_andn2_b64 s[8:9], s[16:17], exec
	s_and_b64 s[16:17], s[28:29], exec
	v_lshrrev_b32_sdwa v5, v37, v7 dst_sel:DWORD dst_unused:UNUSED_PAD src0_sel:DWORD src1_sel:WORD_0
	s_or_b64 s[16:17], s[8:9], s[16:17]
.LBB17_185:                             ;   in Loop: Header=BB17_6 Depth=1
	s_or_b64 exec, exec, s[2:3]
	s_mov_b64 s[94:95], 0
	s_mov_b64 s[42:43], -1
.LBB17_186:                             ;   in Loop: Header=BB17_6 Depth=1
	s_orn2_b64 s[2:3], s[16:17], exec
.LBB17_187:                             ;   in Loop: Header=BB17_6 Depth=1
	s_or_b64 exec, exec, s[12:13]
	s_mov_b64 s[12:13], 0
	s_and_saveexec_b64 s[44:45], s[2:3]
	s_cbranch_execz .LBB17_237
; %bb.188:                              ;   in Loop: Header=BB17_6 Depth=1
	s_xor_b64 s[8:9], s[14:15], -1
	v_mov_b32_e32 v4, 1
	v_mov_b32_e32 v1, 1
	s_and_saveexec_b64 s[2:3], s[8:9]
	s_cbranch_execz .LBB17_197
; %bb.189:                              ;   in Loop: Header=BB17_6 Depth=1
	v_cmp_ge_u32_e32 vcc, s47, v6
	s_and_saveexec_b64 s[8:9], vcc
	s_xor_b64 s[12:13], exec, s[8:9]
	s_cbranch_execz .LBB17_194
; %bb.190:                              ;   in Loop: Header=BB17_6 Depth=1
	v_and_b32_e32 v1, s39, v3
	v_lshl_or_b32 v3, 2, s20, v1
	ds_read_b32 v1, v23 offset:4096
	v_or_b32_e32 v2, s38, v2
	s_waitcnt lgkmcnt(0)
	v_cmp_ne_u32_e32 vcc, 0, v1
	s_cbranch_vccnz .LBB17_194
; %bb.191:                              ;   in Loop: Header=BB17_6 Depth=1
	s_mov_b64 s[8:9], exec
	v_readlane_b32 s14, v51, 6
	v_readlane_b32 s15, v51, 7
	s_and_b64 s[14:15], s[8:9], s[14:15]
	s_mov_b64 exec, s[14:15]
; %bb.192:                              ;   in Loop: Header=BB17_6 Depth=1
	v_mov_b32_e32 v1, s47
	ds_write_b32 v23, v1 offset:4100
; %bb.193:                              ;   in Loop: Header=BB17_6 Depth=1
	s_or_b64 exec, exec, s[8:9]
	s_waitcnt lgkmcnt(0)
	s_barrier
.LBB17_194:                             ;   in Loop: Header=BB17_6 Depth=1
	s_or_saveexec_b64 s[12:13], s[12:13]
	s_mov_b64 s[14:15], 0
	v_mov_b32_e32 v1, 8
	s_xor_b64 exec, exec, s[12:13]
; %bb.195:                              ;   in Loop: Header=BB17_6 Depth=1
	s_mov_b64 s[14:15], exec
	v_subrev_u32_e32 v6, s47, v6
	v_mov_b32_e32 v1, 0
; %bb.196:                              ;   in Loop: Header=BB17_6 Depth=1
	s_or_b64 exec, exec, s[12:13]
	s_and_b64 s[12:13], s[14:15], exec
	v_mov_b32_e32 v4, v6
.LBB17_197:                             ;   in Loop: Header=BB17_6 Depth=1
	s_or_b64 exec, exec, s[2:3]
	s_mov_b64 s[2:3], -1
                                        ; implicit-def: $sgpr24_sgpr25
                                        ; implicit-def: $sgpr16_sgpr17
	s_and_saveexec_b64 s[14:15], s[12:13]
	s_cbranch_execz .LBB17_236
; %bb.198:                              ;   in Loop: Header=BB17_6 Depth=1
	s_cmp_eq_u32 s5, 1
	s_cselect_b64 s[2:3], -1, 0
	v_cmp_eq_u32_e32 vcc, 1, v4
	s_and_b64 s[22:23], s[2:3], vcc
	s_mov_b64 s[52:53], -1
                                        ; implicit-def: $sgpr24_sgpr25
                                        ; implicit-def: $sgpr16_sgpr17
	s_and_saveexec_b64 s[28:29], s[22:23]
	s_cbranch_execz .LBB17_224
; %bb.199:                              ;   in Loop: Header=BB17_6 Depth=1
	ds_read_b32 v5, v23 offset:4096
	s_waitcnt lgkmcnt(0)
	s_barrier
	v_readfirstlane_b32 s12, v5
	s_mov_b64 s[2:3], exec
	v_readlane_b32 s8, v51, 21
	v_readlane_b32 s9, v51, 22
	s_and_b64 s[8:9], s[2:3], s[8:9]
	s_mov_b64 exec, s[8:9]
; %bb.200:                              ;   in Loop: Header=BB17_6 Depth=1
	ds_write_b8 v0, v23 offset:3072
; %bb.201:                              ;   in Loop: Header=BB17_6 Depth=1
	s_or_b64 exec, exec, s[2:3]
	v_or_b32_e32 v3, s38, v3
	v_or_b32_e32 v2, s38, v2
	s_mov_b64 s[16:17], -1
	s_mov_b64 s[24:25], 0
	s_cmp_eq_u32 s12, 0
	s_mov_b64 s[2:3], 0
	s_waitcnt lgkmcnt(0)
	s_barrier
                                        ; implicit-def: $vgpr5
	s_cbranch_scc1 .LBB17_212
; %bb.202:                              ;   in Loop: Header=BB17_6 Depth=1
	v_readlane_b32 s2, v51, 23
	s_add_i32 s2, s12, s2
	v_readlane_b32 s3, v51, 45
	s_mul_hi_u32 s3, s2, s3
	s_mul_i32 s3, s3, s33
	s_sub_i32 s3, s2, s3
	s_sub_i32 s8, s3, s33
	s_cmp_ge_u32 s3, s33
	s_cselect_b32 s3, s8, s3
	s_sub_i32 s8, s3, s33
	s_cmp_ge_u32 s3, s33
	s_cselect_b32 s3, s8, s3
	s_sub_i32 s13, s2, s3
	v_cmp_gt_u32_e32 vcc, s13, v0
	s_mov_b64 s[52:53], 0
	s_mov_b64 s[2:3], 0
                                        ; implicit-def: $vgpr5
	s_and_saveexec_b64 s[54:55], vcc
	s_cbranch_execz .LBB17_211
; %bb.203:                              ;   in Loop: Header=BB17_6 Depth=1
	v_writelane_b32 v51, s22, 50
	v_mov_b32_e32 v5, v0
	v_writelane_b32 v51, s23, 51
                                        ; implicit-def: $sgpr56_sgpr57
	s_branch .LBB17_206
.LBB17_204:                             ;   in Loop: Header=BB17_206 Depth=2
	s_or_b64 exec, exec, s[22:23]
	s_waitcnt lgkmcnt(0)
	s_barrier
	ds_read_u16 v6, v23 offset:3072
	s_mov_b64 s[22:23], -1
	s_waitcnt lgkmcnt(0)
	s_barrier
	v_cmp_ne_u32_sdwa s[8:9], v6, v23 src0_sel:BYTE_0 src1_sel:DWORD
	s_and_b64 vcc, exec, s[8:9]
	s_mov_b64 s[8:9], -1
	s_cbranch_vccz .LBB17_209
.LBB17_205:                             ;   in Loop: Header=BB17_206 Depth=2
	s_and_b64 s[22:23], exec, s[22:23]
	s_or_b64 s[2:3], s[22:23], s[2:3]
	s_andn2_b64 s[22:23], s[56:57], exec
	s_and_b64 s[8:9], s[8:9], exec
	s_or_b64 s[56:57], s[22:23], s[8:9]
	s_andn2_b64 exec, exec, s[2:3]
	s_cbranch_execz .LBB17_210
.LBB17_206:                             ;   Parent Loop BB17_6 Depth=1
                                        ; =>  This Inner Loop Header: Depth=2
	v_cmp_gt_u32_e32 vcc, s12, v5
	s_and_saveexec_b64 s[22:23], vcc
	s_cbranch_execz .LBB17_204
; %bb.207:                              ;   in Loop: Header=BB17_206 Depth=2
	ds_read_u8 v6, v5
	s_waitcnt lgkmcnt(0)
	v_add_u32_sdwa v7, sext(v6), s4 dst_sel:DWORD dst_unused:UNUSED_PAD src0_sel:BYTE_0 src1_sel:DWORD
	v_and_b32_e32 v7, v7, v2
	v_cmp_eq_u32_e32 vcc, v7, v3
	s_and_b64 exec, exec, vcc
	s_cbranch_execz .LBB17_204
; %bb.208:                              ;   in Loop: Header=BB17_206 Depth=2
	v_lshlrev_b16_e32 v6, 8, v6
	v_or_b32_e32 v6, 1, v6
	ds_write_b16 v23, v6 offset:3072
	s_branch .LBB17_204
.LBB17_209:                             ;   in Loop: Header=BB17_206 Depth=2
	v_add_u32_e32 v5, s33, v5
	v_cmp_le_u32_e32 vcc, s13, v5
	s_mov_b64 s[8:9], 0
	s_orn2_b64 s[22:23], vcc, exec
	s_branch .LBB17_205
.LBB17_210:                             ;   in Loop: Header=BB17_6 Depth=1
	s_or_b64 exec, exec, s[2:3]
	v_readlane_b32 s22, v51, 50
	v_lshrrev_b32_sdwa v5, v37, v6 dst_sel:DWORD dst_unused:UNUSED_PAD src0_sel:DWORD src1_sel:WORD_0
	s_and_b64 s[2:3], s[56:57], exec
	v_readlane_b32 s23, v51, 51
.LBB17_211:                             ;   in Loop: Header=BB17_6 Depth=1
	s_or_b64 exec, exec, s[54:55]
.LBB17_212:                             ;   in Loop: Header=BB17_6 Depth=1
	s_and_b64 vcc, exec, s[52:53]
	s_cbranch_vccz .LBB17_223
; %bb.213:                              ;   in Loop: Header=BB17_6 Depth=1
                                        ; implicit-def: $vgpr5
	s_mov_b64 s[16:17], exec
	v_readlane_b32 s8, v51, 46
	v_readlane_b32 s9, v51, 47
	s_and_b64 s[8:9], s[16:17], s[8:9]
	s_mov_b64 exec, s[8:9]
	s_cbranch_execz .LBB17_222
; %bb.214:                              ;   in Loop: Header=BB17_6 Depth=1
	s_mov_b64 s[56:57], s[22:23]
	s_mov_b64 s[24:25], 0
	v_mov_b32_e32 v5, v22
	v_mov_b32_e32 v6, v0
                                        ; implicit-def: $sgpr52_sgpr53
	s_branch .LBB17_217
.LBB17_215:                             ;   in Loop: Header=BB17_217 Depth=2
	s_or_b64 exec, exec, s[22:23]
	s_waitcnt lgkmcnt(0)
	s_barrier
	ds_read_u16 v7, v23 offset:3072
	s_mov_b64 s[22:23], -1
	s_mov_b64 s[54:55], -1
	s_waitcnt lgkmcnt(0)
	s_barrier
	v_cmp_eq_u32_sdwa s[8:9], v7, v23 src0_sel:BYTE_0 src1_sel:DWORD
	s_and_b64 vcc, exec, s[8:9]
	s_cbranch_vccnz .LBB17_220
.LBB17_216:                             ;   in Loop: Header=BB17_217 Depth=2
	s_and_b64 s[8:9], exec, s[22:23]
	s_or_b64 s[24:25], s[8:9], s[24:25]
	s_andn2_b64 s[8:9], s[52:53], exec
	s_and_b64 s[12:13], s[54:55], exec
	s_or_b64 s[52:53], s[8:9], s[12:13]
	s_andn2_b64 exec, exec, s[24:25]
	s_cbranch_execz .LBB17_221
.LBB17_217:                             ;   Parent Loop BB17_6 Depth=1
                                        ; =>  This Inner Loop Header: Depth=2
	v_cmp_gt_u32_e32 vcc, s36, v6
	s_and_saveexec_b64 s[22:23], vcc
	s_cbranch_execz .LBB17_215
; %bb.218:                              ;   in Loop: Header=BB17_217 Depth=2
	global_load_ubyte v7, v5, s[40:41]
	s_waitcnt vmcnt(0)
	v_add_u32_sdwa v8, sext(v7), s4 dst_sel:DWORD dst_unused:UNUSED_PAD src0_sel:BYTE_0 src1_sel:DWORD
	v_and_b32_e32 v8, v8, v2
	v_cmp_eq_u32_e32 vcc, v8, v3
	s_and_b64 exec, exec, vcc
	s_cbranch_execz .LBB17_215
; %bb.219:                              ;   in Loop: Header=BB17_217 Depth=2
	v_lshlrev_b16_e32 v7, 8, v7
	v_or_b32_e32 v7, 1, v7
	ds_write_b16 v23, v7 offset:3072
	s_branch .LBB17_215
.LBB17_220:                             ;   in Loop: Header=BB17_217 Depth=2
	v_add_u32_e32 v6, s33, v6
	v_cmp_le_u32_e32 vcc, s10, v6
	v_add_u32_e32 v5, s48, v5
	s_mov_b64 s[54:55], 0
	s_orn2_b64 s[22:23], vcc, exec
	s_branch .LBB17_216
.LBB17_221:                             ;   in Loop: Header=BB17_6 Depth=1
	s_or_b64 exec, exec, s[24:25]
	s_andn2_b64 s[2:3], s[2:3], exec
	s_and_b64 s[8:9], s[52:53], exec
	v_lshrrev_b32_sdwa v5, v37, v7 dst_sel:DWORD dst_unused:UNUSED_PAD src0_sel:DWORD src1_sel:WORD_0
	s_or_b64 s[2:3], s[2:3], s[8:9]
	s_mov_b64 s[22:23], s[56:57]
.LBB17_222:                             ;   in Loop: Header=BB17_6 Depth=1
	s_or_b64 exec, exec, s[16:17]
	s_mov_b64 s[16:17], 0
	s_mov_b64 s[24:25], -1
.LBB17_223:                             ;   in Loop: Header=BB17_6 Depth=1
	s_orn2_b64 s[52:53], s[2:3], exec
.LBB17_224:                             ;   in Loop: Header=BB17_6 Depth=1
	s_or_b64 exec, exec, s[28:29]
	s_mov_b64 s[28:29], 0
	s_and_saveexec_b64 s[2:3], s[52:53]
	s_cbranch_execz .LBB17_235
; %bb.225:                              ;   in Loop: Header=BB17_6 Depth=1
	s_xor_b64 s[8:9], s[22:23], -1
	v_mov_b32_e32 v1, 1
	v_mov_b32_e32 v6, 1
	s_and_saveexec_b64 s[12:13], s[8:9]
	s_cbranch_execz .LBB17_234
; %bb.226:                              ;   in Loop: Header=BB17_6 Depth=1
	v_cmp_ge_u32_e32 vcc, s5, v4
	s_and_saveexec_b64 s[8:9], vcc
	s_xor_b64 s[28:29], exec, s[8:9]
	s_cbranch_execz .LBB17_231
; %bb.227:                              ;   in Loop: Header=BB17_6 Depth=1
	ds_read_b32 v1, v23 offset:4096
	v_or_b32_e32 v3, s38, v3
	v_or_b32_e32 v2, s38, v2
	s_waitcnt lgkmcnt(0)
	v_cmp_ne_u32_e32 vcc, 0, v1
	s_cbranch_vccnz .LBB17_231
; %bb.228:                              ;   in Loop: Header=BB17_6 Depth=1
	s_mov_b64 s[8:9], exec
	v_readlane_b32 s22, v51, 6
	v_readlane_b32 s23, v51, 7
	s_and_b64 s[22:23], s[8:9], s[22:23]
	s_mov_b64 exec, s[22:23]
; %bb.229:                              ;   in Loop: Header=BB17_6 Depth=1
	v_mov_b32_e32 v1, s5
	ds_write_b32 v23, v1 offset:4100
; %bb.230:                              ;   in Loop: Header=BB17_6 Depth=1
	s_or_b64 exec, exec, s[8:9]
	s_waitcnt lgkmcnt(0)
	s_barrier
.LBB17_231:                             ;   in Loop: Header=BB17_6 Depth=1
	s_andn2_saveexec_b64 s[22:23], s[28:29]
; %bb.232:                              ;   in Loop: Header=BB17_6 Depth=1
	v_subrev_u32_e32 v4, s5, v4
; %bb.233:                              ;   in Loop: Header=BB17_6 Depth=1
	s_or_b64 exec, exec, s[22:23]
	v_mov_b32_e32 v1, 8
	v_mov_b32_e32 v6, v4
.LBB17_234:                             ;   in Loop: Header=BB17_6 Depth=1
	s_or_b64 exec, exec, s[12:13]
	s_mov_b64 s[28:29], exec
	v_mov_b32_e32 v4, v6
.LBB17_235:                             ;   in Loop: Header=BB17_6 Depth=1
	s_or_b64 exec, exec, s[2:3]
	s_orn2_b64 s[2:3], s[28:29], exec
.LBB17_236:                             ;   in Loop: Header=BB17_6 Depth=1
	s_or_b64 exec, exec, s[14:15]
	s_andn2_b64 s[8:9], s[42:43], exec
	s_and_b64 s[12:13], s[24:25], exec
	s_or_b64 s[42:43], s[8:9], s[12:13]
	s_andn2_b64 s[8:9], s[94:95], exec
	s_and_b64 s[12:13], s[16:17], exec
	s_or_b64 s[94:95], s[8:9], s[12:13]
	s_and_b64 s[12:13], s[2:3], exec
	v_mov_b32_e32 v6, v4
.LBB17_237:                             ;   in Loop: Header=BB17_6 Depth=1
	s_or_b64 exec, exec, s[44:45]
	s_orn2_b64 s[2:3], s[12:13], exec
.LBB17_238:                             ;   in Loop: Header=BB17_6 Depth=1
	s_or_b64 exec, exec, s[92:93]
	s_andn2_b64 s[8:9], s[80:81], exec
	s_and_b64 s[12:13], s[42:43], exec
	s_or_b64 s[80:81], s[8:9], s[12:13]
	s_andn2_b64 s[8:9], s[34:35], exec
	s_and_b64 s[12:13], s[94:95], exec
	s_or_b64 s[34:35], s[8:9], s[12:13]
	s_and_b64 s[12:13], s[2:3], exec
	v_mov_b32_e32 v4, v6
.LBB17_239:                             ;   in Loop: Header=BB17_6 Depth=1
	s_or_b64 exec, exec, s[90:91]
	s_orn2_b64 s[2:3], s[12:13], exec
.LBB17_240:                             ;   in Loop: Header=BB17_6 Depth=1
	s_or_b64 exec, exec, s[6:7]
	s_mov_b64 s[6:7], 0
	s_mov_b64 s[12:13], 0
	s_and_saveexec_b64 s[8:9], s[2:3]
	s_xor_b64 s[2:3], exec, s[8:9]
; %bb.241:                              ;   in Loop: Header=BB17_6 Depth=1
	v_cmp_eq_u32_e32 vcc, 8, v1
	v_cmp_ne_u32_e64 s[6:7], 8, v1
	s_and_b64 s[12:13], s[6:7], exec
	s_and_b64 s[6:7], vcc, exec
; %bb.242:                              ;   in Loop: Header=BB17_6 Depth=1
	s_or_b64 exec, exec, s[2:3]
	s_andn2_b64 s[2:3], s[84:85], exec
	s_and_b64 s[8:9], s[80:81], exec
	s_or_b64 s[84:85], s[2:3], s[8:9]
	s_andn2_b64 s[2:3], s[82:83], exec
	s_and_b64 s[8:9], s[34:35], exec
	s_or_b64 s[82:83], s[2:3], s[8:9]
	s_and_b64 s[34:35], s[12:13], exec
	s_and_b64 s[80:81], s[6:7], exec
.LBB17_243:                             ;   in Loop: Header=BB17_6 Depth=1
	s_or_b64 exec, exec, s[88:89]
.LBB17_244:                             ;   in Loop: Header=BB17_6 Depth=1
	s_and_b64 vcc, exec, s[86:87]
	s_cbranch_vccz .LBB17_257
; %bb.245:                              ;   in Loop: Header=BB17_6 Depth=1
	s_cmp_eq_u32 s5, 1
	s_cselect_b64 s[2:3], -1, 0
	s_and_b64 s[6:7], s[2:3], s[26:27]
	s_mov_b64 s[2:3], -1
                                        ; implicit-def: $sgpr26_sgpr27
                                        ; implicit-def: $sgpr30_sgpr31
	s_and_saveexec_b64 s[12:13], s[6:7]
	s_cbranch_execz .LBB17_272
; %bb.246:                              ;   in Loop: Header=BB17_6 Depth=1
	ds_read_b32 v1, v23 offset:4096
	s_waitcnt lgkmcnt(0)
	s_barrier
	v_readfirstlane_b32 s42, v1
	s_mov_b64 s[2:3], exec
	v_readlane_b32 s8, v51, 21
	v_readlane_b32 s9, v51, 22
	s_and_b64 s[8:9], s[2:3], s[8:9]
	s_mov_b64 exec, s[8:9]
; %bb.247:                              ;   in Loop: Header=BB17_6 Depth=1
	ds_write_b8 v0, v23 offset:3072
; %bb.248:                              ;   in Loop: Header=BB17_6 Depth=1
	s_or_b64 exec, exec, s[2:3]
	v_or_b32_e32 v34, s38, v34
	v_or_b32_e32 v38, s38, v38
	s_mov_b64 s[30:31], -1
	s_mov_b64 s[26:27], 0
	s_cmp_eq_u32 s42, 0
	s_mov_b64 s[14:15], 0
	s_mov_b64 s[2:3], -1
	s_waitcnt lgkmcnt(0)
	s_barrier
                                        ; implicit-def: $vgpr39
	s_cbranch_scc1 .LBB17_260
; %bb.249:                              ;   in Loop: Header=BB17_6 Depth=1
	v_readlane_b32 s2, v51, 23
	s_add_i32 s2, s42, s2
	v_readlane_b32 s3, v51, 45
	s_mul_hi_u32 s3, s2, s3
	s_mul_i32 s3, s3, s33
	s_sub_i32 s3, s2, s3
	s_sub_i32 s8, s3, s33
	s_cmp_ge_u32 s3, s33
	s_cselect_b32 s3, s8, s3
	s_sub_i32 s8, s3, s33
	s_cmp_ge_u32 s3, s33
	s_cselect_b32 s3, s8, s3
	s_sub_i32 s43, s2, s3
	v_cmp_gt_u32_e32 vcc, s43, v0
	s_mov_b64 s[2:3], 0
                                        ; implicit-def: $vgpr39
	s_and_saveexec_b64 s[16:17], vcc
	s_cbranch_execz .LBB17_259
; %bb.250:                              ;   in Loop: Header=BB17_6 Depth=1
	v_mov_b32_e32 v1, v0
                                        ; implicit-def: $sgpr24_sgpr25
	s_branch .LBB17_253
.LBB17_251:                             ;   in Loop: Header=BB17_253 Depth=2
	s_or_b64 exec, exec, s[28:29]
	s_waitcnt lgkmcnt(0)
	s_barrier
	ds_read_u16 v2, v23 offset:3072
	s_mov_b64 s[8:9], -1
	s_waitcnt lgkmcnt(0)
	s_barrier
	v_cmp_ne_u32_sdwa s[22:23], v2, v23 src0_sel:BYTE_0 src1_sel:DWORD
	s_and_b64 vcc, exec, s[22:23]
	s_mov_b64 s[22:23], -1
	s_cbranch_vccz .LBB17_256
.LBB17_252:                             ;   in Loop: Header=BB17_253 Depth=2
	s_and_b64 s[8:9], exec, s[8:9]
	s_or_b64 s[14:15], s[8:9], s[14:15]
	s_andn2_b64 s[8:9], s[24:25], exec
	s_and_b64 s[22:23], s[22:23], exec
	s_or_b64 s[24:25], s[8:9], s[22:23]
	s_andn2_b64 exec, exec, s[14:15]
	s_cbranch_execz .LBB17_258
.LBB17_253:                             ;   Parent Loop BB17_6 Depth=1
                                        ; =>  This Inner Loop Header: Depth=2
	v_cmp_gt_u32_e32 vcc, s42, v1
	s_and_saveexec_b64 s[28:29], vcc
	s_cbranch_execz .LBB17_251
; %bb.254:                              ;   in Loop: Header=BB17_253 Depth=2
	ds_read_u8 v2, v1
	s_waitcnt lgkmcnt(0)
	v_add_u32_sdwa v3, sext(v2), s4 dst_sel:DWORD dst_unused:UNUSED_PAD src0_sel:BYTE_0 src1_sel:DWORD
	v_and_b32_e32 v3, v3, v38
	v_cmp_eq_u32_e32 vcc, v3, v34
	s_and_b64 exec, exec, vcc
	s_cbranch_execz .LBB17_251
; %bb.255:                              ;   in Loop: Header=BB17_253 Depth=2
	v_lshlrev_b16_e32 v2, 8, v2
	v_or_b32_e32 v2, 1, v2
	ds_write_b16 v23, v2 offset:3072
	s_branch .LBB17_251
.LBB17_256:                             ;   in Loop: Header=BB17_253 Depth=2
	v_add_u32_e32 v1, s33, v1
	v_cmp_le_u32_e32 vcc, s43, v1
	s_mov_b64 s[22:23], 0
	s_orn2_b64 s[8:9], vcc, exec
	s_branch .LBB17_252
.LBB17_257:                             ;   in Loop: Header=BB17_6 Depth=1
	s_mov_b64 s[26:27], 0
	v_mov_b32_e32 v34, v3
	v_mov_b32_e32 v38, v2
	;; [unrolled: 1-line block ×3, first 2 shown]
	s_and_saveexec_b64 s[2:3], s[80:81]
	s_cbranch_execnz .LBB17_403
	s_branch .LBB17_404
.LBB17_258:                             ;   in Loop: Header=BB17_6 Depth=1
	s_or_b64 exec, exec, s[14:15]
	v_lshrrev_b32_sdwa v39, v37, v2 dst_sel:DWORD dst_unused:UNUSED_PAD src0_sel:DWORD src1_sel:WORD_0
	s_and_b64 s[14:15], s[24:25], exec
.LBB17_259:                             ;   in Loop: Header=BB17_6 Depth=1
	s_or_b64 exec, exec, s[16:17]
.LBB17_260:                             ;   in Loop: Header=BB17_6 Depth=1
	s_and_b64 vcc, exec, s[2:3]
	s_cbranch_vccz .LBB17_271
; %bb.261:                              ;   in Loop: Header=BB17_6 Depth=1
                                        ; implicit-def: $vgpr39
	s_mov_b64 s[2:3], exec
	v_readlane_b32 s8, v51, 46
	v_readlane_b32 s9, v51, 47
	s_and_b64 s[8:9], s[2:3], s[8:9]
	s_mov_b64 exec, s[8:9]
	s_cbranch_execz .LBB17_270
; %bb.262:                              ;   in Loop: Header=BB17_6 Depth=1
	s_mov_b64 s[16:17], 0
	v_mov_b32_e32 v1, v22
	v_mov_b32_e32 v2, v0
                                        ; implicit-def: $sgpr24_sgpr25
	s_branch .LBB17_265
.LBB17_263:                             ;   in Loop: Header=BB17_265 Depth=2
	s_or_b64 exec, exec, s[26:27]
	s_waitcnt lgkmcnt(0)
	s_barrier
	ds_read_u16 v3, v23 offset:3072
	s_mov_b64 s[22:23], -1
	s_mov_b64 s[26:27], -1
	s_waitcnt lgkmcnt(0)
	s_barrier
	v_cmp_ne_u32_sdwa s[8:9], v3, v23 src0_sel:BYTE_0 src1_sel:DWORD
	s_and_b64 vcc, exec, s[8:9]
	s_cbranch_vccz .LBB17_268
.LBB17_264:                             ;   in Loop: Header=BB17_265 Depth=2
	s_and_b64 s[8:9], exec, s[22:23]
	s_or_b64 s[16:17], s[8:9], s[16:17]
	s_andn2_b64 s[8:9], s[24:25], exec
	s_and_b64 s[22:23], s[26:27], exec
	s_or_b64 s[24:25], s[8:9], s[22:23]
	s_andn2_b64 exec, exec, s[16:17]
	s_cbranch_execz .LBB17_269
.LBB17_265:                             ;   Parent Loop BB17_6 Depth=1
                                        ; =>  This Inner Loop Header: Depth=2
	v_cmp_gt_u32_e32 vcc, s36, v2
	s_and_saveexec_b64 s[26:27], vcc
	s_cbranch_execz .LBB17_263
; %bb.266:                              ;   in Loop: Header=BB17_265 Depth=2
	global_load_ubyte v3, v1, s[40:41]
	s_waitcnt vmcnt(0)
	v_add_u32_sdwa v4, sext(v3), s4 dst_sel:DWORD dst_unused:UNUSED_PAD src0_sel:BYTE_0 src1_sel:DWORD
	v_and_b32_e32 v4, v4, v38
	v_cmp_eq_u32_e32 vcc, v4, v34
	s_and_b64 exec, exec, vcc
	s_cbranch_execz .LBB17_263
; %bb.267:                              ;   in Loop: Header=BB17_265 Depth=2
	v_lshlrev_b16_e32 v3, 8, v3
	v_or_b32_e32 v3, 1, v3
	ds_write_b16 v23, v3 offset:3072
	s_branch .LBB17_263
.LBB17_268:                             ;   in Loop: Header=BB17_265 Depth=2
	v_add_u32_e32 v2, s33, v2
	v_cmp_le_u32_e32 vcc, s10, v2
	v_add_u32_e32 v1, s48, v1
	s_mov_b64 s[26:27], 0
	s_orn2_b64 s[22:23], vcc, exec
	s_branch .LBB17_264
.LBB17_269:                             ;   in Loop: Header=BB17_6 Depth=1
	s_or_b64 exec, exec, s[16:17]
	s_andn2_b64 s[8:9], s[14:15], exec
	s_and_b64 s[14:15], s[24:25], exec
	v_lshrrev_b32_sdwa v39, v37, v3 dst_sel:DWORD dst_unused:UNUSED_PAD src0_sel:DWORD src1_sel:WORD_0
	s_or_b64 s[14:15], s[8:9], s[14:15]
.LBB17_270:                             ;   in Loop: Header=BB17_6 Depth=1
	s_or_b64 exec, exec, s[2:3]
	s_mov_b64 s[30:31], 0
	s_mov_b64 s[26:27], -1
.LBB17_271:                             ;   in Loop: Header=BB17_6 Depth=1
	s_orn2_b64 s[2:3], s[14:15], exec
.LBB17_272:                             ;   in Loop: Header=BB17_6 Depth=1
	s_or_b64 exec, exec, s[12:13]
                                        ; implicit-def: $vgpr4
                                        ; implicit-def: $vgpr1
	s_and_saveexec_b64 s[82:83], s[2:3]
	s_cbranch_execz .LBB17_402
; %bb.273:                              ;   in Loop: Header=BB17_6 Depth=1
	s_xor_b64 s[8:9], s[6:7], -1
	s_mov_b64 s[6:7], 0
	v_mov_b32_e32 v4, 1
	v_mov_b32_e32 v1, 1
	s_and_saveexec_b64 s[2:3], s[8:9]
	s_cbranch_execz .LBB17_282
; %bb.274:                              ;   in Loop: Header=BB17_6 Depth=1
	v_cmp_ge_u32_e32 vcc, s5, v40
	s_and_saveexec_b64 s[6:7], vcc
	s_xor_b64 s[6:7], exec, s[6:7]
	s_cbranch_execz .LBB17_279
; %bb.275:                              ;   in Loop: Header=BB17_6 Depth=1
	ds_read_b32 v1, v23 offset:4096
	v_or_b32_e32 v34, s38, v34
	v_or_b32_e32 v38, s38, v38
	s_waitcnt lgkmcnt(0)
	v_cmp_ne_u32_e32 vcc, 0, v1
	s_cbranch_vccnz .LBB17_279
; %bb.276:                              ;   in Loop: Header=BB17_6 Depth=1
	s_mov_b64 s[8:9], exec
	v_readlane_b32 s12, v51, 6
	v_readlane_b32 s13, v51, 7
	s_and_b64 s[12:13], s[8:9], s[12:13]
	s_mov_b64 exec, s[12:13]
; %bb.277:                              ;   in Loop: Header=BB17_6 Depth=1
	v_mov_b32_e32 v1, s5
	ds_write_b32 v23, v1 offset:4100
; %bb.278:                              ;   in Loop: Header=BB17_6 Depth=1
	s_or_b64 exec, exec, s[8:9]
	s_waitcnt lgkmcnt(0)
	s_barrier
.LBB17_279:                             ;   in Loop: Header=BB17_6 Depth=1
	s_or_saveexec_b64 s[6:7], s[6:7]
	s_mov_b64 s[12:13], 0
	v_mov_b32_e32 v1, 5
	s_xor_b64 exec, exec, s[6:7]
; %bb.280:                              ;   in Loop: Header=BB17_6 Depth=1
	v_subrev_u32_e32 v40, s5, v40
	v_mov_b32_e32 v1, 0
	s_mov_b64 s[12:13], exec
; %bb.281:                              ;   in Loop: Header=BB17_6 Depth=1
	s_or_b64 exec, exec, s[6:7]
	s_and_b64 s[6:7], s[12:13], exec
	v_mov_b32_e32 v4, v40
.LBB17_282:                             ;   in Loop: Header=BB17_6 Depth=1
	s_or_b64 exec, exec, s[2:3]
	s_mov_b64 s[2:3], -1
                                        ; implicit-def: $sgpr84_sgpr85
                                        ; implicit-def: $sgpr86_sgpr87
	s_and_saveexec_b64 s[8:9], s[6:7]
	s_xor_b64 s[6:7], exec, s[8:9]
	s_cbranch_execz .LBB17_399
; %bb.283:                              ;   in Loop: Header=BB17_6 Depth=1
	s_cmp_eq_u32 s47, 1
	s_cselect_b64 s[2:3], -1, 0
	v_cmp_eq_u32_e32 vcc, 1, v4
	s_and_b64 s[14:15], s[2:3], vcc
	s_mov_b64 s[2:3], -1
                                        ; implicit-def: $sgpr86_sgpr87
                                        ; implicit-def: $sgpr84_sgpr85
	s_and_saveexec_b64 s[12:13], s[14:15]
	s_cbranch_execz .LBB17_309
; %bb.284:                              ;   in Loop: Header=BB17_6 Depth=1
	ds_read_b32 v2, v23 offset:4096
	s_waitcnt lgkmcnt(0)
	s_barrier
	v_readfirstlane_b32 s5, v2
	s_mov_b64 s[2:3], exec
	v_readlane_b32 s8, v51, 21
	v_readlane_b32 s9, v51, 22
	s_and_b64 s[8:9], s[2:3], s[8:9]
	s_mov_b64 exec, s[8:9]
; %bb.285:                              ;   in Loop: Header=BB17_6 Depth=1
	ds_write_b8 v0, v23 offset:3072
; %bb.286:                              ;   in Loop: Header=BB17_6 Depth=1
	s_or_b64 exec, exec, s[2:3]
	v_and_b32_e32 v2, s39, v34
	v_lshl_or_b32 v34, 2, s20, v2
	v_or_b32_e32 v38, s38, v38
	s_mov_b64 s[84:85], -1
	s_mov_b64 s[86:87], 0
	s_cmp_eq_u32 s5, 0
	s_mov_b64 s[16:17], 0
	s_mov_b64 s[2:3], -1
	s_waitcnt lgkmcnt(0)
	s_barrier
                                        ; implicit-def: $vgpr39
	s_cbranch_scc1 .LBB17_297
; %bb.287:                              ;   in Loop: Header=BB17_6 Depth=1
	v_readlane_b32 s2, v51, 23
	s_add_i32 s2, s5, s2
	v_readlane_b32 s3, v51, 45
	s_mul_hi_u32 s3, s2, s3
	s_mul_i32 s3, s3, s33
	s_sub_i32 s3, s2, s3
	s_sub_i32 s8, s3, s33
	s_cmp_ge_u32 s3, s33
	s_cselect_b32 s3, s8, s3
	s_sub_i32 s8, s3, s33
	s_cmp_ge_u32 s3, s33
	s_cselect_b32 s3, s8, s3
	s_sub_i32 s44, s2, s3
	v_cmp_gt_u32_e32 vcc, s44, v0
	s_mov_b64 s[2:3], 0
                                        ; implicit-def: $vgpr39
	s_and_saveexec_b64 s[24:25], vcc
	s_cbranch_execz .LBB17_296
; %bb.288:                              ;   in Loop: Header=BB17_6 Depth=1
	v_mov_b32_e32 v2, v0
                                        ; implicit-def: $sgpr28_sgpr29
	s_branch .LBB17_291
.LBB17_289:                             ;   in Loop: Header=BB17_291 Depth=2
	s_or_b64 exec, exec, s[42:43]
	s_waitcnt lgkmcnt(0)
	s_barrier
	ds_read_u16 v3, v23 offset:3072
	s_mov_b64 s[8:9], -1
	s_waitcnt lgkmcnt(0)
	s_barrier
	v_cmp_ne_u32_sdwa s[22:23], v3, v23 src0_sel:BYTE_0 src1_sel:DWORD
	s_and_b64 vcc, exec, s[22:23]
	s_mov_b64 s[22:23], -1
	s_cbranch_vccz .LBB17_294
.LBB17_290:                             ;   in Loop: Header=BB17_291 Depth=2
	s_and_b64 s[8:9], exec, s[8:9]
	s_or_b64 s[16:17], s[8:9], s[16:17]
	s_andn2_b64 s[8:9], s[28:29], exec
	s_and_b64 s[22:23], s[22:23], exec
	s_or_b64 s[28:29], s[8:9], s[22:23]
	s_andn2_b64 exec, exec, s[16:17]
	s_cbranch_execz .LBB17_295
.LBB17_291:                             ;   Parent Loop BB17_6 Depth=1
                                        ; =>  This Inner Loop Header: Depth=2
	v_cmp_gt_u32_e32 vcc, s5, v2
	s_and_saveexec_b64 s[42:43], vcc
	s_cbranch_execz .LBB17_289
; %bb.292:                              ;   in Loop: Header=BB17_291 Depth=2
	ds_read_u8 v3, v2
	s_waitcnt lgkmcnt(0)
	v_add_u32_sdwa v5, sext(v3), s4 dst_sel:DWORD dst_unused:UNUSED_PAD src0_sel:BYTE_0 src1_sel:DWORD
	v_and_b32_e32 v5, v5, v38
	v_cmp_eq_u32_e32 vcc, v5, v34
	s_and_b64 exec, exec, vcc
	s_cbranch_execz .LBB17_289
; %bb.293:                              ;   in Loop: Header=BB17_291 Depth=2
	v_lshlrev_b16_e32 v3, 8, v3
	v_or_b32_e32 v3, 1, v3
	ds_write_b16 v23, v3 offset:3072
	s_branch .LBB17_289
.LBB17_294:                             ;   in Loop: Header=BB17_291 Depth=2
	v_add_u32_e32 v2, s33, v2
	v_cmp_le_u32_e32 vcc, s44, v2
	s_mov_b64 s[22:23], 0
	s_orn2_b64 s[8:9], vcc, exec
	s_branch .LBB17_290
.LBB17_295:                             ;   in Loop: Header=BB17_6 Depth=1
	s_or_b64 exec, exec, s[16:17]
	v_lshrrev_b32_sdwa v39, v37, v3 dst_sel:DWORD dst_unused:UNUSED_PAD src0_sel:DWORD src1_sel:WORD_0
	s_and_b64 s[16:17], s[28:29], exec
.LBB17_296:                             ;   in Loop: Header=BB17_6 Depth=1
	s_or_b64 exec, exec, s[24:25]
.LBB17_297:                             ;   in Loop: Header=BB17_6 Depth=1
	s_and_b64 vcc, exec, s[2:3]
	s_cbranch_vccz .LBB17_308
; %bb.298:                              ;   in Loop: Header=BB17_6 Depth=1
                                        ; implicit-def: $vgpr39
	s_mov_b64 s[2:3], exec
	v_readlane_b32 s8, v51, 46
	v_readlane_b32 s9, v51, 47
	s_and_b64 s[8:9], s[2:3], s[8:9]
	s_mov_b64 exec, s[8:9]
	s_cbranch_execz .LBB17_307
; %bb.299:                              ;   in Loop: Header=BB17_6 Depth=1
	s_mov_b64 s[24:25], 0
	v_mov_b32_e32 v2, v22
	v_mov_b32_e32 v3, v0
                                        ; implicit-def: $sgpr28_sgpr29
	s_branch .LBB17_302
.LBB17_300:                             ;   in Loop: Header=BB17_302 Depth=2
	s_or_b64 exec, exec, s[42:43]
	s_waitcnt lgkmcnt(0)
	s_barrier
	ds_read_u16 v5, v23 offset:3072
	s_mov_b64 s[22:23], -1
	s_mov_b64 s[42:43], -1
	s_waitcnt lgkmcnt(0)
	s_barrier
	v_cmp_eq_u32_sdwa s[8:9], v5, v23 src0_sel:BYTE_0 src1_sel:DWORD
	s_and_b64 vcc, exec, s[8:9]
	s_cbranch_vccnz .LBB17_305
.LBB17_301:                             ;   in Loop: Header=BB17_302 Depth=2
	s_and_b64 s[8:9], exec, s[22:23]
	s_or_b64 s[24:25], s[8:9], s[24:25]
	s_andn2_b64 s[8:9], s[28:29], exec
	s_and_b64 s[22:23], s[42:43], exec
	s_or_b64 s[28:29], s[8:9], s[22:23]
	s_andn2_b64 exec, exec, s[24:25]
	s_cbranch_execz .LBB17_306
.LBB17_302:                             ;   Parent Loop BB17_6 Depth=1
                                        ; =>  This Inner Loop Header: Depth=2
	v_cmp_gt_u32_e32 vcc, s36, v3
	s_and_saveexec_b64 s[42:43], vcc
	s_cbranch_execz .LBB17_300
; %bb.303:                              ;   in Loop: Header=BB17_302 Depth=2
	global_load_ubyte v5, v2, s[40:41]
	s_waitcnt vmcnt(0)
	v_add_u32_sdwa v6, sext(v5), s4 dst_sel:DWORD dst_unused:UNUSED_PAD src0_sel:BYTE_0 src1_sel:DWORD
	v_and_b32_e32 v6, v6, v38
	v_cmp_eq_u32_e32 vcc, v6, v34
	s_and_b64 exec, exec, vcc
	s_cbranch_execz .LBB17_300
; %bb.304:                              ;   in Loop: Header=BB17_302 Depth=2
	v_lshlrev_b16_e32 v5, 8, v5
	v_or_b32_e32 v5, 1, v5
	ds_write_b16 v23, v5 offset:3072
	s_branch .LBB17_300
.LBB17_305:                             ;   in Loop: Header=BB17_302 Depth=2
	v_add_u32_e32 v3, s33, v3
	v_cmp_le_u32_e32 vcc, s10, v3
	v_add_u32_e32 v2, s48, v2
	s_mov_b64 s[42:43], 0
	s_orn2_b64 s[22:23], vcc, exec
	s_branch .LBB17_301
.LBB17_306:                             ;   in Loop: Header=BB17_6 Depth=1
	s_or_b64 exec, exec, s[24:25]
	s_andn2_b64 s[8:9], s[16:17], exec
	s_and_b64 s[16:17], s[28:29], exec
	v_lshrrev_b32_sdwa v39, v37, v5 dst_sel:DWORD dst_unused:UNUSED_PAD src0_sel:DWORD src1_sel:WORD_0
	s_or_b64 s[16:17], s[8:9], s[16:17]
.LBB17_307:                             ;   in Loop: Header=BB17_6 Depth=1
	s_or_b64 exec, exec, s[2:3]
	s_mov_b64 s[84:85], 0
	s_mov_b64 s[86:87], -1
.LBB17_308:                             ;   in Loop: Header=BB17_6 Depth=1
	s_orn2_b64 s[2:3], s[16:17], exec
.LBB17_309:                             ;   in Loop: Header=BB17_6 Depth=1
	s_or_b64 exec, exec, s[12:13]
	s_mov_b64 s[12:13], 0
	s_and_saveexec_b64 s[88:89], s[2:3]
	s_cbranch_execz .LBB17_398
; %bb.310:                              ;   in Loop: Header=BB17_6 Depth=1
	s_xor_b64 s[8:9], s[14:15], -1
	v_mov_b32_e32 v2, 1
	v_mov_b32_e32 v1, 1
	s_and_saveexec_b64 s[2:3], s[8:9]
	s_cbranch_execz .LBB17_319
; %bb.311:                              ;   in Loop: Header=BB17_6 Depth=1
	v_cmp_ge_u32_e32 vcc, s47, v4
	s_and_saveexec_b64 s[8:9], vcc
	s_xor_b64 s[12:13], exec, s[8:9]
	s_cbranch_execz .LBB17_316
; %bb.312:                              ;   in Loop: Header=BB17_6 Depth=1
	v_and_b32_e32 v1, s39, v34
	v_lshl_or_b32 v34, 2, s20, v1
	ds_read_b32 v1, v23 offset:4096
	v_or_b32_e32 v38, s38, v38
	s_waitcnt lgkmcnt(0)
	v_cmp_ne_u32_e32 vcc, 0, v1
	s_cbranch_vccnz .LBB17_316
; %bb.313:                              ;   in Loop: Header=BB17_6 Depth=1
	s_mov_b64 s[8:9], exec
	v_readlane_b32 s14, v51, 6
	v_readlane_b32 s15, v51, 7
	s_and_b64 s[14:15], s[8:9], s[14:15]
	s_mov_b64 exec, s[14:15]
; %bb.314:                              ;   in Loop: Header=BB17_6 Depth=1
	v_mov_b32_e32 v1, s47
	ds_write_b32 v23, v1 offset:4100
; %bb.315:                              ;   in Loop: Header=BB17_6 Depth=1
	s_or_b64 exec, exec, s[8:9]
	s_waitcnt lgkmcnt(0)
	s_barrier
.LBB17_316:                             ;   in Loop: Header=BB17_6 Depth=1
	s_or_saveexec_b64 s[12:13], s[12:13]
	s_mov_b64 s[14:15], 0
	v_mov_b32_e32 v1, 5
	s_xor_b64 exec, exec, s[12:13]
; %bb.317:                              ;   in Loop: Header=BB17_6 Depth=1
	v_subrev_u32_e32 v4, s47, v4
	v_mov_b32_e32 v1, 0
	s_mov_b64 s[14:15], exec
; %bb.318:                              ;   in Loop: Header=BB17_6 Depth=1
	s_or_b64 exec, exec, s[12:13]
	s_and_b64 s[12:13], s[14:15], exec
	v_mov_b32_e32 v2, v4
.LBB17_319:                             ;   in Loop: Header=BB17_6 Depth=1
	s_or_b64 exec, exec, s[2:3]
	s_mov_b64 s[2:3], -1
                                        ; implicit-def: $sgpr92_sgpr93
                                        ; implicit-def: $sgpr94_sgpr95
	s_and_saveexec_b64 s[90:91], s[12:13]
	s_cbranch_execz .LBB17_397
; %bb.320:                              ;   in Loop: Header=BB17_6 Depth=1
	s_cmp_eq_u32 s46, 1
	s_cselect_b64 s[2:3], -1, 0
	v_cmp_eq_u32_e32 vcc, 1, v2
	s_and_b64 s[14:15], s[2:3], vcc
	s_mov_b64 s[2:3], -1
                                        ; implicit-def: $sgpr94_sgpr95
                                        ; implicit-def: $sgpr92_sgpr93
	s_and_saveexec_b64 s[12:13], s[14:15]
	s_cbranch_execz .LBB17_346
; %bb.321:                              ;   in Loop: Header=BB17_6 Depth=1
	ds_read_b32 v3, v23 offset:4096
	s_waitcnt lgkmcnt(0)
	s_barrier
	v_readfirstlane_b32 s5, v3
	s_mov_b64 s[2:3], exec
	v_readlane_b32 s8, v51, 21
	v_readlane_b32 s9, v51, 22
	s_and_b64 s[8:9], s[2:3], s[8:9]
	s_mov_b64 exec, s[8:9]
; %bb.322:                              ;   in Loop: Header=BB17_6 Depth=1
	ds_write_b8 v0, v23 offset:3072
; %bb.323:                              ;   in Loop: Header=BB17_6 Depth=1
	s_or_b64 exec, exec, s[2:3]
	v_and_b32_e32 v3, s39, v34
	v_lshl_or_b32 v34, 1, s20, v3
	v_or_b32_e32 v38, s38, v38
	s_mov_b64 s[92:93], -1
	s_mov_b64 s[94:95], 0
	s_cmp_eq_u32 s5, 0
	s_mov_b64 s[16:17], 0
	s_mov_b64 s[2:3], -1
	s_waitcnt lgkmcnt(0)
	s_barrier
                                        ; implicit-def: $vgpr39
	s_cbranch_scc1 .LBB17_334
; %bb.324:                              ;   in Loop: Header=BB17_6 Depth=1
	v_readlane_b32 s2, v51, 23
	s_add_i32 s2, s5, s2
	v_readlane_b32 s3, v51, 45
	s_mul_hi_u32 s3, s2, s3
	s_mul_i32 s3, s3, s33
	s_sub_i32 s3, s2, s3
	s_sub_i32 s8, s3, s33
	s_cmp_ge_u32 s3, s33
	s_cselect_b32 s3, s8, s3
	s_sub_i32 s8, s3, s33
	s_cmp_ge_u32 s3, s33
	s_cselect_b32 s3, s8, s3
	s_sub_i32 s44, s2, s3
	v_cmp_gt_u32_e32 vcc, s44, v0
	s_mov_b64 s[2:3], 0
                                        ; implicit-def: $vgpr39
	s_and_saveexec_b64 s[24:25], vcc
	s_cbranch_execz .LBB17_333
; %bb.325:                              ;   in Loop: Header=BB17_6 Depth=1
	v_mov_b32_e32 v3, v0
                                        ; implicit-def: $sgpr28_sgpr29
	s_branch .LBB17_328
.LBB17_326:                             ;   in Loop: Header=BB17_328 Depth=2
	s_or_b64 exec, exec, s[42:43]
	s_waitcnt lgkmcnt(0)
	s_barrier
	ds_read_u16 v4, v23 offset:3072
	s_mov_b64 s[8:9], -1
	s_waitcnt lgkmcnt(0)
	s_barrier
	v_cmp_ne_u32_sdwa s[22:23], v4, v23 src0_sel:BYTE_0 src1_sel:DWORD
	s_and_b64 vcc, exec, s[22:23]
	s_mov_b64 s[22:23], -1
	s_cbranch_vccz .LBB17_331
.LBB17_327:                             ;   in Loop: Header=BB17_328 Depth=2
	s_and_b64 s[8:9], exec, s[8:9]
	s_or_b64 s[16:17], s[8:9], s[16:17]
	s_andn2_b64 s[8:9], s[28:29], exec
	s_and_b64 s[22:23], s[22:23], exec
	s_or_b64 s[28:29], s[8:9], s[22:23]
	s_andn2_b64 exec, exec, s[16:17]
	s_cbranch_execz .LBB17_332
.LBB17_328:                             ;   Parent Loop BB17_6 Depth=1
                                        ; =>  This Inner Loop Header: Depth=2
	v_cmp_gt_u32_e32 vcc, s5, v3
	s_and_saveexec_b64 s[42:43], vcc
	s_cbranch_execz .LBB17_326
; %bb.329:                              ;   in Loop: Header=BB17_328 Depth=2
	ds_read_u8 v4, v3
	s_waitcnt lgkmcnt(0)
	v_add_u32_sdwa v5, sext(v4), s4 dst_sel:DWORD dst_unused:UNUSED_PAD src0_sel:BYTE_0 src1_sel:DWORD
	v_and_b32_e32 v5, v5, v38
	v_cmp_eq_u32_e32 vcc, v5, v34
	s_and_b64 exec, exec, vcc
	s_cbranch_execz .LBB17_326
; %bb.330:                              ;   in Loop: Header=BB17_328 Depth=2
	v_lshlrev_b16_e32 v4, 8, v4
	v_or_b32_e32 v4, 1, v4
	ds_write_b16 v23, v4 offset:3072
	s_branch .LBB17_326
.LBB17_331:                             ;   in Loop: Header=BB17_328 Depth=2
	v_add_u32_e32 v3, s33, v3
	v_cmp_le_u32_e32 vcc, s44, v3
	s_mov_b64 s[22:23], 0
	s_orn2_b64 s[8:9], vcc, exec
	s_branch .LBB17_327
.LBB17_332:                             ;   in Loop: Header=BB17_6 Depth=1
	s_or_b64 exec, exec, s[16:17]
	v_lshrrev_b32_sdwa v39, v37, v4 dst_sel:DWORD dst_unused:UNUSED_PAD src0_sel:DWORD src1_sel:WORD_0
	s_and_b64 s[16:17], s[28:29], exec
.LBB17_333:                             ;   in Loop: Header=BB17_6 Depth=1
	s_or_b64 exec, exec, s[24:25]
.LBB17_334:                             ;   in Loop: Header=BB17_6 Depth=1
	s_and_b64 vcc, exec, s[2:3]
	s_cbranch_vccz .LBB17_345
; %bb.335:                              ;   in Loop: Header=BB17_6 Depth=1
                                        ; implicit-def: $vgpr39
	s_mov_b64 s[2:3], exec
	v_readlane_b32 s8, v51, 46
	v_readlane_b32 s9, v51, 47
	s_and_b64 s[8:9], s[2:3], s[8:9]
	s_mov_b64 exec, s[8:9]
	s_cbranch_execz .LBB17_344
; %bb.336:                              ;   in Loop: Header=BB17_6 Depth=1
	s_mov_b64 s[24:25], 0
	v_mov_b32_e32 v3, v22
	v_mov_b32_e32 v4, v0
                                        ; implicit-def: $sgpr28_sgpr29
	s_branch .LBB17_339
.LBB17_337:                             ;   in Loop: Header=BB17_339 Depth=2
	s_or_b64 exec, exec, s[42:43]
	s_waitcnt lgkmcnt(0)
	s_barrier
	ds_read_u16 v5, v23 offset:3072
	s_mov_b64 s[22:23], -1
	s_mov_b64 s[42:43], -1
	s_waitcnt lgkmcnt(0)
	s_barrier
	v_cmp_eq_u32_sdwa s[8:9], v5, v23 src0_sel:BYTE_0 src1_sel:DWORD
	s_and_b64 vcc, exec, s[8:9]
	s_cbranch_vccnz .LBB17_342
.LBB17_338:                             ;   in Loop: Header=BB17_339 Depth=2
	s_and_b64 s[8:9], exec, s[22:23]
	s_or_b64 s[24:25], s[8:9], s[24:25]
	s_andn2_b64 s[8:9], s[28:29], exec
	s_and_b64 s[22:23], s[42:43], exec
	s_or_b64 s[28:29], s[8:9], s[22:23]
	s_andn2_b64 exec, exec, s[24:25]
	s_cbranch_execz .LBB17_343
.LBB17_339:                             ;   Parent Loop BB17_6 Depth=1
                                        ; =>  This Inner Loop Header: Depth=2
	v_cmp_gt_u32_e32 vcc, s36, v4
	s_and_saveexec_b64 s[42:43], vcc
	s_cbranch_execz .LBB17_337
; %bb.340:                              ;   in Loop: Header=BB17_339 Depth=2
	global_load_ubyte v5, v3, s[40:41]
	s_waitcnt vmcnt(0)
	v_add_u32_sdwa v6, sext(v5), s4 dst_sel:DWORD dst_unused:UNUSED_PAD src0_sel:BYTE_0 src1_sel:DWORD
	v_and_b32_e32 v6, v6, v38
	v_cmp_eq_u32_e32 vcc, v6, v34
	s_and_b64 exec, exec, vcc
	s_cbranch_execz .LBB17_337
; %bb.341:                              ;   in Loop: Header=BB17_339 Depth=2
	v_lshlrev_b16_e32 v5, 8, v5
	v_or_b32_e32 v5, 1, v5
	ds_write_b16 v23, v5 offset:3072
	s_branch .LBB17_337
.LBB17_342:                             ;   in Loop: Header=BB17_339 Depth=2
	v_add_u32_e32 v4, s33, v4
	v_cmp_le_u32_e32 vcc, s10, v4
	v_add_u32_e32 v3, s48, v3
	s_mov_b64 s[42:43], 0
	s_orn2_b64 s[22:23], vcc, exec
	s_branch .LBB17_338
.LBB17_343:                             ;   in Loop: Header=BB17_6 Depth=1
	s_or_b64 exec, exec, s[24:25]
	s_andn2_b64 s[8:9], s[16:17], exec
	s_and_b64 s[16:17], s[28:29], exec
	v_lshrrev_b32_sdwa v39, v37, v5 dst_sel:DWORD dst_unused:UNUSED_PAD src0_sel:DWORD src1_sel:WORD_0
	s_or_b64 s[16:17], s[8:9], s[16:17]
.LBB17_344:                             ;   in Loop: Header=BB17_6 Depth=1
	s_or_b64 exec, exec, s[2:3]
	s_mov_b64 s[92:93], 0
	s_mov_b64 s[94:95], -1
.LBB17_345:                             ;   in Loop: Header=BB17_6 Depth=1
	s_orn2_b64 s[2:3], s[16:17], exec
.LBB17_346:                             ;   in Loop: Header=BB17_6 Depth=1
	s_or_b64 exec, exec, s[12:13]
	s_mov_b64 s[12:13], 0
	s_and_saveexec_b64 s[42:43], s[2:3]
	s_cbranch_execz .LBB17_396
; %bb.347:                              ;   in Loop: Header=BB17_6 Depth=1
	s_xor_b64 s[8:9], s[14:15], -1
	v_mov_b32_e32 v3, 1
	v_mov_b32_e32 v1, 1
	s_and_saveexec_b64 s[2:3], s[8:9]
	s_cbranch_execz .LBB17_356
; %bb.348:                              ;   in Loop: Header=BB17_6 Depth=1
	v_cmp_ge_u32_e32 vcc, s46, v2
	s_and_saveexec_b64 s[8:9], vcc
	s_xor_b64 s[12:13], exec, s[8:9]
	s_cbranch_execz .LBB17_353
; %bb.349:                              ;   in Loop: Header=BB17_6 Depth=1
	v_and_b32_e32 v1, s39, v34
	v_lshl_or_b32 v34, 1, s20, v1
	ds_read_b32 v1, v23 offset:4096
	v_or_b32_e32 v38, s38, v38
	s_waitcnt lgkmcnt(0)
	v_cmp_ne_u32_e32 vcc, 0, v1
	s_cbranch_vccnz .LBB17_353
; %bb.350:                              ;   in Loop: Header=BB17_6 Depth=1
	s_mov_b64 s[8:9], exec
	v_readlane_b32 s14, v51, 6
	v_readlane_b32 s15, v51, 7
	s_and_b64 s[14:15], s[8:9], s[14:15]
	s_mov_b64 exec, s[14:15]
; %bb.351:                              ;   in Loop: Header=BB17_6 Depth=1
	v_mov_b32_e32 v1, s46
	ds_write_b32 v23, v1 offset:4100
; %bb.352:                              ;   in Loop: Header=BB17_6 Depth=1
	s_or_b64 exec, exec, s[8:9]
	s_waitcnt lgkmcnt(0)
	s_barrier
.LBB17_353:                             ;   in Loop: Header=BB17_6 Depth=1
	s_or_saveexec_b64 s[12:13], s[12:13]
	s_mov_b64 s[14:15], 0
	v_mov_b32_e32 v1, 5
	s_xor_b64 exec, exec, s[12:13]
; %bb.354:                              ;   in Loop: Header=BB17_6 Depth=1
	v_subrev_u32_e32 v2, s46, v2
	v_mov_b32_e32 v1, 0
	s_mov_b64 s[14:15], exec
; %bb.355:                              ;   in Loop: Header=BB17_6 Depth=1
	s_or_b64 exec, exec, s[12:13]
	s_and_b64 s[12:13], s[14:15], exec
	v_mov_b32_e32 v3, v2
.LBB17_356:                             ;   in Loop: Header=BB17_6 Depth=1
	s_or_b64 exec, exec, s[2:3]
	s_mov_b64 s[2:3], -1
                                        ; implicit-def: $sgpr16_sgpr17
                                        ; implicit-def: $sgpr14_sgpr15
	s_and_saveexec_b64 s[44:45], s[12:13]
	s_cbranch_execz .LBB17_395
; %bb.357:                              ;   in Loop: Header=BB17_6 Depth=1
	s_cmp_eq_u32 s18, 1
	s_cselect_b64 s[2:3], -1, 0
	v_cmp_eq_u32_e32 vcc, 1, v3
	s_and_b64 s[12:13], s[2:3], vcc
	s_mov_b64 s[28:29], -1
                                        ; implicit-def: $sgpr16_sgpr17
                                        ; implicit-def: $sgpr14_sgpr15
	s_and_saveexec_b64 s[24:25], s[12:13]
	s_cbranch_execz .LBB17_383
; %bb.358:                              ;   in Loop: Header=BB17_6 Depth=1
	ds_read_b32 v2, v23 offset:4096
	s_waitcnt lgkmcnt(0)
	s_barrier
	v_readfirstlane_b32 s5, v2
	s_mov_b64 s[2:3], exec
	v_readlane_b32 s8, v51, 21
	v_readlane_b32 s9, v51, 22
	s_and_b64 s[8:9], s[2:3], s[8:9]
	s_mov_b64 exec, s[8:9]
; %bb.359:                              ;   in Loop: Header=BB17_6 Depth=1
	ds_write_b8 v0, v23 offset:3072
; %bb.360:                              ;   in Loop: Header=BB17_6 Depth=1
	s_or_b64 exec, exec, s[2:3]
	v_and_b32_e32 v34, s39, v34
	v_or_b32_e32 v38, s38, v38
	s_mov_b64 s[14:15], -1
	s_mov_b64 s[16:17], 0
	s_cmp_eq_u32 s5, 0
	s_mov_b64 s[28:29], 0
	s_mov_b64 s[2:3], -1
	s_waitcnt lgkmcnt(0)
	s_barrier
                                        ; implicit-def: $vgpr39
	s_cbranch_scc1 .LBB17_371
; %bb.361:                              ;   in Loop: Header=BB17_6 Depth=1
	v_readlane_b32 s2, v51, 23
	s_add_i32 s2, s5, s2
	v_readlane_b32 s3, v51, 45
	s_mul_hi_u32 s3, s2, s3
	s_mul_i32 s3, s3, s33
	s_sub_i32 s3, s2, s3
	s_sub_i32 s8, s3, s33
	s_cmp_ge_u32 s3, s33
	s_cselect_b32 s3, s8, s3
	s_sub_i32 s8, s3, s33
	s_cmp_ge_u32 s3, s33
	s_cselect_b32 s3, s8, s3
	s_sub_i32 s46, s2, s3
	v_cmp_gt_u32_e32 vcc, s46, v0
	s_mov_b64 s[2:3], 0
                                        ; implicit-def: $vgpr39
	s_and_saveexec_b64 s[52:53], vcc
	s_cbranch_execz .LBB17_370
; %bb.362:                              ;   in Loop: Header=BB17_6 Depth=1
	v_mov_b32_e32 v2, v0
                                        ; implicit-def: $sgpr54_sgpr55
	s_branch .LBB17_365
.LBB17_363:                             ;   in Loop: Header=BB17_365 Depth=2
	s_or_b64 exec, exec, s[56:57]
	s_waitcnt lgkmcnt(0)
	s_barrier
	ds_read_u16 v4, v23 offset:3072
	s_mov_b64 s[8:9], -1
	s_waitcnt lgkmcnt(0)
	s_barrier
	v_cmp_ne_u32_sdwa s[22:23], v4, v23 src0_sel:BYTE_0 src1_sel:DWORD
	s_and_b64 vcc, exec, s[22:23]
	s_mov_b64 s[22:23], -1
	s_cbranch_vccz .LBB17_368
.LBB17_364:                             ;   in Loop: Header=BB17_365 Depth=2
	s_and_b64 s[8:9], exec, s[8:9]
	s_or_b64 s[28:29], s[8:9], s[28:29]
	s_andn2_b64 s[8:9], s[54:55], exec
	s_and_b64 s[22:23], s[22:23], exec
	s_or_b64 s[54:55], s[8:9], s[22:23]
	s_andn2_b64 exec, exec, s[28:29]
	s_cbranch_execz .LBB17_369
.LBB17_365:                             ;   Parent Loop BB17_6 Depth=1
                                        ; =>  This Inner Loop Header: Depth=2
	v_cmp_gt_u32_e32 vcc, s5, v2
	s_and_saveexec_b64 s[56:57], vcc
	s_cbranch_execz .LBB17_363
; %bb.366:                              ;   in Loop: Header=BB17_365 Depth=2
	ds_read_u8 v4, v2
	s_waitcnt lgkmcnt(0)
	v_add_u32_sdwa v5, sext(v4), s4 dst_sel:DWORD dst_unused:UNUSED_PAD src0_sel:BYTE_0 src1_sel:DWORD
	v_and_b32_e32 v5, v5, v38
	v_cmp_eq_u32_e32 vcc, v5, v34
	s_and_b64 exec, exec, vcc
	s_cbranch_execz .LBB17_363
; %bb.367:                              ;   in Loop: Header=BB17_365 Depth=2
	v_lshlrev_b16_e32 v4, 8, v4
	v_or_b32_e32 v4, 1, v4
	ds_write_b16 v23, v4 offset:3072
	s_branch .LBB17_363
.LBB17_368:                             ;   in Loop: Header=BB17_365 Depth=2
	v_add_u32_e32 v2, s33, v2
	v_cmp_le_u32_e32 vcc, s46, v2
	s_mov_b64 s[22:23], 0
	s_orn2_b64 s[8:9], vcc, exec
	s_branch .LBB17_364
.LBB17_369:                             ;   in Loop: Header=BB17_6 Depth=1
	s_or_b64 exec, exec, s[28:29]
	v_lshrrev_b32_sdwa v39, v37, v4 dst_sel:DWORD dst_unused:UNUSED_PAD src0_sel:DWORD src1_sel:WORD_0
	s_and_b64 s[28:29], s[54:55], exec
.LBB17_370:                             ;   in Loop: Header=BB17_6 Depth=1
	s_or_b64 exec, exec, s[52:53]
.LBB17_371:                             ;   in Loop: Header=BB17_6 Depth=1
	s_and_b64 vcc, exec, s[2:3]
	s_cbranch_vccz .LBB17_382
; %bb.372:                              ;   in Loop: Header=BB17_6 Depth=1
                                        ; implicit-def: $vgpr39
	s_mov_b64 s[2:3], exec
	v_readlane_b32 s8, v51, 46
	v_readlane_b32 s9, v51, 47
	s_and_b64 s[8:9], s[2:3], s[8:9]
	s_mov_b64 exec, s[8:9]
	s_cbranch_execz .LBB17_381
; %bb.373:                              ;   in Loop: Header=BB17_6 Depth=1
	s_mov_b64 s[14:15], 0
	v_mov_b32_e32 v2, v22
	v_mov_b32_e32 v4, v0
                                        ; implicit-def: $sgpr16_sgpr17
	s_branch .LBB17_376
.LBB17_374:                             ;   in Loop: Header=BB17_376 Depth=2
	s_or_b64 exec, exec, s[52:53]
	s_waitcnt lgkmcnt(0)
	s_barrier
	ds_read_u16 v5, v23 offset:3072
	s_mov_b64 s[22:23], -1
	s_mov_b64 s[52:53], -1
	s_waitcnt lgkmcnt(0)
	s_barrier
	v_cmp_eq_u32_sdwa s[8:9], v5, v23 src0_sel:BYTE_0 src1_sel:DWORD
	s_and_b64 vcc, exec, s[8:9]
	s_cbranch_vccnz .LBB17_379
.LBB17_375:                             ;   in Loop: Header=BB17_376 Depth=2
	s_and_b64 s[8:9], exec, s[22:23]
	s_or_b64 s[14:15], s[8:9], s[14:15]
	s_andn2_b64 s[8:9], s[16:17], exec
	s_and_b64 s[16:17], s[52:53], exec
	s_or_b64 s[16:17], s[8:9], s[16:17]
	s_andn2_b64 exec, exec, s[14:15]
	s_cbranch_execz .LBB17_380
.LBB17_376:                             ;   Parent Loop BB17_6 Depth=1
                                        ; =>  This Inner Loop Header: Depth=2
	v_cmp_gt_u32_e32 vcc, s36, v4
	s_and_saveexec_b64 s[52:53], vcc
	s_cbranch_execz .LBB17_374
; %bb.377:                              ;   in Loop: Header=BB17_376 Depth=2
	global_load_ubyte v5, v2, s[40:41]
	s_waitcnt vmcnt(0)
	v_add_u32_sdwa v6, sext(v5), s4 dst_sel:DWORD dst_unused:UNUSED_PAD src0_sel:BYTE_0 src1_sel:DWORD
	v_and_b32_e32 v6, v6, v38
	v_cmp_eq_u32_e32 vcc, v6, v34
	s_and_b64 exec, exec, vcc
	s_cbranch_execz .LBB17_374
; %bb.378:                              ;   in Loop: Header=BB17_376 Depth=2
	v_lshlrev_b16_e32 v5, 8, v5
	v_or_b32_e32 v5, 1, v5
	ds_write_b16 v23, v5 offset:3072
	s_branch .LBB17_374
.LBB17_379:                             ;   in Loop: Header=BB17_376 Depth=2
	v_add_u32_e32 v4, s33, v4
	v_cmp_le_u32_e32 vcc, s10, v4
	v_add_u32_e32 v2, s48, v2
	s_mov_b64 s[52:53], 0
	s_orn2_b64 s[22:23], vcc, exec
	s_branch .LBB17_375
.LBB17_380:                             ;   in Loop: Header=BB17_6 Depth=1
	s_or_b64 exec, exec, s[14:15]
	s_andn2_b64 s[8:9], s[28:29], exec
	s_and_b64 s[14:15], s[16:17], exec
	v_lshrrev_b32_sdwa v39, v37, v5 dst_sel:DWORD dst_unused:UNUSED_PAD src0_sel:DWORD src1_sel:WORD_0
	s_or_b64 s[28:29], s[8:9], s[14:15]
.LBB17_381:                             ;   in Loop: Header=BB17_6 Depth=1
	s_or_b64 exec, exec, s[2:3]
	s_mov_b64 s[14:15], 0
	s_mov_b64 s[16:17], -1
.LBB17_382:                             ;   in Loop: Header=BB17_6 Depth=1
	s_orn2_b64 s[28:29], s[28:29], exec
.LBB17_383:                             ;   in Loop: Header=BB17_6 Depth=1
	s_or_b64 exec, exec, s[24:25]
	s_mov_b64 s[24:25], 0
	s_and_saveexec_b64 s[2:3], s[28:29]
	s_cbranch_execz .LBB17_394
; %bb.384:                              ;   in Loop: Header=BB17_6 Depth=1
	s_xor_b64 s[8:9], s[12:13], -1
	v_mov_b32_e32 v1, 1
	v_mov_b32_e32 v2, 1
	s_and_saveexec_b64 s[12:13], s[8:9]
	s_cbranch_execz .LBB17_393
; %bb.385:                              ;   in Loop: Header=BB17_6 Depth=1
	v_cmp_ge_u32_e32 vcc, s18, v3
	s_and_saveexec_b64 s[8:9], vcc
	s_xor_b64 s[24:25], exec, s[8:9]
	s_cbranch_execz .LBB17_390
; %bb.386:                              ;   in Loop: Header=BB17_6 Depth=1
	ds_read_b32 v1, v23 offset:4096
	v_and_b32_e32 v34, s39, v34
	v_or_b32_e32 v38, s38, v38
	s_waitcnt lgkmcnt(0)
	v_cmp_ne_u32_e32 vcc, 0, v1
	s_cbranch_vccnz .LBB17_390
; %bb.387:                              ;   in Loop: Header=BB17_6 Depth=1
	s_mov_b64 s[8:9], exec
	v_readlane_b32 s22, v51, 6
	v_readlane_b32 s23, v51, 7
	s_and_b64 s[22:23], s[8:9], s[22:23]
	s_mov_b64 exec, s[22:23]
; %bb.388:                              ;   in Loop: Header=BB17_6 Depth=1
	v_mov_b32_e32 v1, s18
	ds_write_b32 v23, v1 offset:4100
; %bb.389:                              ;   in Loop: Header=BB17_6 Depth=1
	s_or_b64 exec, exec, s[8:9]
	s_waitcnt lgkmcnt(0)
	s_barrier
.LBB17_390:                             ;   in Loop: Header=BB17_6 Depth=1
	s_andn2_saveexec_b64 s[22:23], s[24:25]
; %bb.391:                              ;   in Loop: Header=BB17_6 Depth=1
	v_subrev_u32_e32 v3, s18, v3
; %bb.392:                              ;   in Loop: Header=BB17_6 Depth=1
	s_or_b64 exec, exec, s[22:23]
	v_mov_b32_e32 v1, 5
	v_mov_b32_e32 v2, v3
.LBB17_393:                             ;   in Loop: Header=BB17_6 Depth=1
	s_or_b64 exec, exec, s[12:13]
	s_mov_b64 s[24:25], exec
	v_mov_b32_e32 v3, v2
.LBB17_394:                             ;   in Loop: Header=BB17_6 Depth=1
	s_or_b64 exec, exec, s[2:3]
	s_orn2_b64 s[2:3], s[24:25], exec
.LBB17_395:                             ;   in Loop: Header=BB17_6 Depth=1
	s_or_b64 exec, exec, s[44:45]
	s_andn2_b64 s[8:9], s[94:95], exec
	s_and_b64 s[12:13], s[16:17], exec
	s_or_b64 s[94:95], s[8:9], s[12:13]
	s_andn2_b64 s[8:9], s[92:93], exec
	s_and_b64 s[12:13], s[14:15], exec
	s_or_b64 s[92:93], s[8:9], s[12:13]
	s_and_b64 s[12:13], s[2:3], exec
	v_mov_b32_e32 v2, v3
.LBB17_396:                             ;   in Loop: Header=BB17_6 Depth=1
	s_or_b64 exec, exec, s[42:43]
	s_orn2_b64 s[2:3], s[12:13], exec
.LBB17_397:                             ;   in Loop: Header=BB17_6 Depth=1
	s_or_b64 exec, exec, s[90:91]
	s_andn2_b64 s[8:9], s[86:87], exec
	s_and_b64 s[12:13], s[94:95], exec
	s_or_b64 s[86:87], s[8:9], s[12:13]
	s_andn2_b64 s[8:9], s[84:85], exec
	s_and_b64 s[12:13], s[92:93], exec
	s_or_b64 s[84:85], s[8:9], s[12:13]
	s_and_b64 s[12:13], s[2:3], exec
	v_mov_b32_e32 v4, v2
.LBB17_398:                             ;   in Loop: Header=BB17_6 Depth=1
	s_or_b64 exec, exec, s[88:89]
	s_orn2_b64 s[2:3], s[12:13], exec
.LBB17_399:                             ;   in Loop: Header=BB17_6 Depth=1
	s_or_b64 exec, exec, s[6:7]
	s_mov_b64 s[6:7], s[80:81]
	s_mov_b64 s[12:13], s[34:35]
	s_and_saveexec_b64 s[14:15], s[2:3]
; %bb.400:                              ;   in Loop: Header=BB17_6 Depth=1
	v_cmp_ne_u32_e64 s[6:7], 5, v1
	v_cmp_eq_u32_e32 vcc, 5, v1
	s_andn2_b64 s[2:3], s[34:35], exec
	s_and_b64 s[6:7], s[6:7], exec
	s_or_b64 s[12:13], s[2:3], s[6:7]
	s_andn2_b64 s[2:3], s[80:81], exec
	s_and_b64 s[6:7], vcc, exec
	s_or_b64 s[6:7], s[2:3], s[6:7]
; %bb.401:                              ;   in Loop: Header=BB17_6 Depth=1
	s_or_b64 exec, exec, s[14:15]
	s_andn2_b64 s[2:3], s[26:27], exec
	s_and_b64 s[8:9], s[86:87], exec
	s_or_b64 s[26:27], s[2:3], s[8:9]
	s_andn2_b64 s[2:3], s[30:31], exec
	s_and_b64 s[8:9], s[84:85], exec
	s_or_b64 s[30:31], s[2:3], s[8:9]
	;; [unrolled: 3-line block ×4, first 2 shown]
.LBB17_402:                             ;   in Loop: Header=BB17_6 Depth=1
	s_or_b64 exec, exec, s[82:83]
	s_mov_b64 s[82:83], 0
	s_mov_b64 s[84:85], 0
	s_and_saveexec_b64 s[2:3], s[80:81]
.LBB17_403:                             ;   in Loop: Header=BB17_6 Depth=1
	v_mov_b32_e32 v1, 0
	s_or_b64 s[34:35], s[34:35], exec
.LBB17_404:                             ;   in Loop: Header=BB17_6 Depth=1
	s_or_b64 exec, exec, s[2:3]
	s_andn2_b64 s[2:3], s[76:77], exec
	s_and_b64 s[8:9], s[26:27], exec
	s_or_b64 s[76:77], s[2:3], s[8:9]
	s_andn2_b64 s[2:3], s[74:75], exec
	s_and_b64 s[8:9], s[30:31], exec
	s_or_b64 s[74:75], s[2:3], s[8:9]
	;; [unrolled: 3-line block ×3, first 2 shown]
	s_andn2_b64 s[2:3], s[70:71], exec
	s_and_b64 s[8:9], s[82:83], exec
	s_mov_b64 s[6:7], -1
	s_andn2_b64 s[78:79], s[78:79], exec
	s_or_b64 s[70:71], s[2:3], s[8:9]
	v_mov_b32_e32 v40, v4
	s_and_saveexec_b64 s[2:3], s[34:35]
	s_xor_b64 s[2:3], exec, s[2:3]
	s_cbranch_execz .LBB17_5
; %bb.405:                              ;   in Loop: Header=BB17_6 Depth=1
	v_cmp_eq_u32_e32 vcc, 0, v1
	s_mov_b64 s[12:13], -1
	s_and_saveexec_b64 s[14:15], vcc
	s_cbranch_execz .LBB17_4
; %bb.406:                              ;   in Loop: Header=BB17_6 Depth=1
	s_xor_b32 s50, s50, 1
	s_add_i32 s5, s20, -2
	s_cmp_eq_u32 s20, 0
	s_cselect_b64 s[6:7], -1, 0
	s_xor_b64 s[12:13], exec, -1
	s_orn2_b64 s[6:7], s[6:7], exec
	s_mov_b32 s20, s5
	s_branch .LBB17_4
.LBB17_407:
	s_or_b64 exec, exec, s[58:59]
	s_xor_b64 s[6:7], s[66:67], -1
	s_xor_b64 s[18:19], s[64:65], -1
	s_xor_b64 s[8:9], s[62:63], -1
	s_xor_b64 s[4:5], s[60:61], -1
	s_xor_b64 s[2:3], s[68:69], -1
	s_mov_b64 s[12:13], 0
	s_and_saveexec_b64 s[10:11], s[4:5]
	s_xor_b64 s[10:11], exec, s[10:11]
	s_cbranch_execnz .LBB17_412
; %bb.408:
	s_andn2_saveexec_b64 s[0:1], s[10:11]
	s_cbranch_execnz .LBB17_431
.LBB17_409:
	s_or_b64 exec, exec, s[0:1]
	s_and_saveexec_b64 s[0:1], s[12:13]
.LBB17_410:
	; divergent unreachable
.LBB17_411:
	s_endpgm
.LBB17_412:
	s_mov_b64 s[14:15], 0
	s_and_saveexec_b64 s[4:5], s[8:9]
	s_xor_b64 s[12:13], exec, s[4:5]
	s_cbranch_execz .LBB17_429
; %bb.413:
	s_mov_b64 s[16:17], 0
	s_and_saveexec_b64 s[4:5], s[18:19]
	s_xor_b64 s[14:15], exec, s[4:5]
	s_cbranch_execz .LBB17_427
; %bb.414:
	;; [unrolled: 5-line block ×3, first 2 shown]
	s_and_saveexec_b64 s[4:5], s[2:3]
	s_xor_b64 s[2:3], exec, s[4:5]
; %bb.416:
	v_xor_b32_e32 v39, 0xffffff80, v34
; %bb.417:
	s_or_b64 exec, exec, s[2:3]
	s_mov_b64 s[2:3], exec
	v_readlane_b32 s4, v51, 6
	v_readlane_b32 s5, v51, 7
	;; [unrolled: 1-line block ×3, first 2 shown]
	s_and_b64 s[4:5], s[2:3], s[4:5]
	v_readlane_b32 s47, v51, 10
	s_mov_b64 exec, s[4:5]
; %bb.418:
	v_mov_b32_e32 v1, 0
	ds_write_b32 v1, v1 offset:4108
; %bb.419:
	s_or_b64 exec, exec, s[2:3]
	v_mov_b32_e32 v3, 0
	s_waitcnt lgkmcnt(0)
	s_barrier
	s_mov_b64 s[2:3], exec
	v_readlane_b32 s4, v51, 17
	v_readlane_b32 s5, v51, 18
	s_and_b64 s[4:5], s[2:3], s[4:5]
	s_mov_b64 exec, s[4:5]
	s_cbranch_execz .LBB17_421
; %bb.420:
	global_load_ubyte v3, v[13:14], off
.LBB17_421:
	s_or_b64 exec, exec, s[2:3]
	v_readlane_b32 s4, v51, 4
	v_readlane_b32 s5, v51, 5
	s_load_dword s2, s[4:5], 0x15c
	s_load_dword s3, s[4:5], 0x23c
	s_add_i32 s34, s36, 63
	s_load_dword s35, s[4:5], 0x2a8
	s_load_dword s38, s[4:5], 0x1c8
	v_readlane_b32 s5, v51, 8
	s_andn2_b32 s34, s34, 63
	s_waitcnt lgkmcnt(0)
	s_mul_i32 s4, s2, s5
	v_readlane_b32 s6, v51, 2
	s_mul_i32 s2, s3, s5
	s_mov_b32 s3, 0
	v_readlane_b32 s7, v51, 3
	s_add_u32 s8, s6, s4
	s_addc_u32 s9, s7, 0
	s_lshl_b64 s[2:3], s[2:3], 3
	v_readlane_b32 s4, v51, 0
	v_readlane_b32 s5, v51, 1
	s_add_u32 s39, s4, s2
	s_addc_u32 s42, s5, s3
	v_cmp_gt_u32_e32 vcc, s34, v0
	s_mov_b64 s[2:3], -1
	s_mov_b64 s[4:5], 0
	s_and_saveexec_b64 s[20:21], vcc
	s_cbranch_execnz .LBB17_432
; %bb.422:
	s_or_b64 exec, exec, s[20:21]
	s_and_saveexec_b64 s[6:7], s[2:3]
	s_cbranch_execnz .LBB17_447
.LBB17_423:
	s_or_b64 exec, exec, s[6:7]
	s_and_saveexec_b64 s[0:1], s[4:5]
	s_xor_b64 s[0:1], exec, s[0:1]
	s_cbranch_execnz .LBB17_470
.LBB17_424:
	s_or_b64 exec, exec, s[0:1]
	s_and_b64 s[18:19], s[18:19], exec
.LBB17_425:
	s_andn2_saveexec_b64 s[0:1], s[16:17]
	s_cbranch_execnz .LBB17_472
.LBB17_426:
	s_or_b64 exec, exec, s[0:1]
	s_and_b64 s[16:17], s[18:19], exec
.LBB17_427:
	s_andn2_saveexec_b64 s[0:1], s[14:15]
	s_cbranch_execnz .LBB17_471
.LBB17_428:
	s_or_b64 exec, exec, s[0:1]
	s_and_b64 s[14:15], s[16:17], exec
.LBB17_429:
	s_andn2_saveexec_b64 s[0:1], s[12:13]
	s_cbranch_execnz .LBB17_466
.LBB17_430:
	s_or_b64 exec, exec, s[0:1]
	s_and_b64 s[12:13], s[14:15], exec
	s_andn2_saveexec_b64 s[0:1], s[10:11]
	s_cbranch_execz .LBB17_409
.LBB17_431:
	s_or_b64 s[12:13], s[12:13], exec
	s_trap 2
	s_or_b64 exec, exec, s[0:1]
	s_and_saveexec_b64 s[0:1], s[12:13]
	s_cbranch_execnz .LBB17_410
	s_branch .LBB17_411
.LBB17_432:
	v_add_u32_e32 v1, s33, v0
	v_mul_lo_u32 v5, s49, v1
	s_movk_i32 s43, 0x80
	v_add_u32_sdwa v4, sext(v39), s43 dst_sel:DWORD dst_unused:UNUSED_PAD src0_sel:BYTE_0 src1_sel:DWORD
	s_mov_b64 s[22:23], 0
	v_mov_b32_e32 v2, 0
	v_mov_b32_e32 v1, v0
                                        ; implicit-def: $sgpr24_sgpr25
                                        ; implicit-def: $vgpr8
	s_branch .LBB17_434
.LBB17_433:                             ;   in Loop: Header=BB17_434 Depth=1
	s_or_b64 exec, exec, s[26:27]
	s_xor_b64 s[4:5], s[6:7], -1
	s_and_b64 s[2:3], exec, s[2:3]
	s_or_b64 s[22:23], s[2:3], s[22:23]
	s_andn2_b64 s[2:3], s[24:25], exec
	s_and_b64 s[4:5], s[4:5], exec
	s_or_b64 s[24:25], s[2:3], s[4:5]
	v_mov_b32_e32 v3, v7
	v_mov_b32_e32 v1, v6
	s_andn2_b64 exec, exec, s[22:23]
	s_cbranch_execz .LBB17_446
.LBB17_434:                             ; =>This Inner Loop Header: Depth=1
	v_add_u32_e32 v6, s33, v1
	v_cmp_gt_u32_e64 s[4:5], s36, v6
	v_mov_b32_e32 v7, 0
	s_and_saveexec_b64 s[2:3], s[4:5]
	s_cbranch_execz .LBB17_436
; %bb.435:                              ;   in Loop: Header=BB17_434 Depth=1
	global_load_ubyte v7, v5, s[40:41]
.LBB17_436:                             ;   in Loop: Header=BB17_434 Depth=1
	s_or_b64 exec, exec, s[2:3]
	s_waitcnt vmcnt(0)
	v_add_u32_sdwa v9, sext(v3), s43 dst_sel:DWORD dst_unused:UNUSED_PAD src0_sel:BYTE_0 src1_sel:DWORD
	v_cmp_gt_u32_e64 s[6:7], v9, v4
	v_cndmask_b32_e64 v10, 0, 1, s[6:7]
	v_cmp_lt_u32_e64 s[6:7], v9, v4
	v_cndmask_b32_e64 v9, 0, 1, s[6:7]
	v_cndmask_b32_e64 v9, v9, v10, s[46:47]
	v_and_b32_e32 v9, 1, v9
	v_cmp_gt_u32_e64 s[4:5], s36, v1
	v_cmp_eq_u32_e64 s[6:7], 1, v9
	s_and_b64 s[26:27], s[4:5], s[6:7]
	v_cndmask_b32_e64 v9, 0, 1, s[26:27]
	v_cmp_ne_u32_e64 s[4:5], 0, v9
	s_cmp_lg_u64 s[4:5], 0
	s_cselect_b64 s[2:3], -1, 0
	s_and_b64 s[6:7], s[0:1], s[2:3]
	s_and_saveexec_b64 s[2:3], s[6:7]
	s_cbranch_execz .LBB17_440
; %bb.437:                              ;   in Loop: Header=BB17_434 Depth=1
	s_mov_b64 s[30:31], exec
	s_waitcnt lgkmcnt(0)
	v_mbcnt_lo_u32_b32 v8, s30, 0
	v_mbcnt_hi_u32_b32 v8, s31, v8
	s_bcnt1_i32_b64 s44, s[4:5]
	v_cmp_eq_u32_e64 s[6:7], 0, v8
                                        ; implicit-def: $vgpr9
	s_and_saveexec_b64 s[28:29], s[6:7]
; %bb.438:                              ;   in Loop: Header=BB17_434 Depth=1
	s_bcnt1_i32_b64 s6, s[30:31]
	s_mul_i32 s6, s44, s6
	v_mov_b32_e32 v9, s6
	ds_add_rtn_u32 v9, v2, v9 offset:4108
; %bb.439:                              ;   in Loop: Header=BB17_434 Depth=1
	s_or_b64 exec, exec, s[28:29]
	s_waitcnt lgkmcnt(0)
	v_readfirstlane_b32 s6, v9
	v_mov_b32_e32 v9, s6
	v_mad_u32_u24 v8, s44, v8, v9
.LBB17_440:                             ;   in Loop: Header=BB17_434 Depth=1
	s_or_b64 exec, exec, s[2:3]
	s_waitcnt lgkmcnt(0)
	ds_bpermute_b32 v8, v17, v8
	s_mov_b64 s[2:3], -1
	s_mov_b64 s[28:29], -1
	s_and_saveexec_b64 s[6:7], s[26:27]
	s_cbranch_execz .LBB17_444
; %bb.441:                              ;   in Loop: Header=BB17_434 Depth=1
	v_and_b32_e32 v10, s4, v19
	v_and_b32_e32 v9, s5, v18
	v_bcnt_u32_b32 v10, v10, 0
	v_bcnt_u32_b32 v9, v9, v10
	s_waitcnt lgkmcnt(0)
	v_add_u32_e32 v9, v8, v9
	v_cmp_gt_u32_e64 s[4:5], s37, v9
	s_mov_b64 s[26:27], 0
	s_and_saveexec_b64 s[28:29], s[4:5]
; %bb.442:                              ;   in Loop: Header=BB17_434 Depth=1
	v_mul_lo_u32 v11, v9, s38
	v_mul_lo_u32 v9, v9, s35
	v_mov_b32_e32 v10, v2
	s_mov_b64 s[26:27], exec
	global_store_byte v11, v3, s[8:9]
	v_lshlrev_b64 v[9:10], 3, v[9:10]
	v_mov_b32_e32 v3, s42
	v_add_co_u32_e64 v9, s[4:5], s39, v9
	v_addc_co_u32_e64 v10, s[4:5], v3, v10, s[4:5]
	global_store_dwordx2 v[9:10], v[1:2], off
; %bb.443:                              ;   in Loop: Header=BB17_434 Depth=1
	s_or_b64 exec, exec, s[28:29]
	s_orn2_b64 s[28:29], s[26:27], exec
.LBB17_444:                             ;   in Loop: Header=BB17_434 Depth=1
	s_or_b64 exec, exec, s[6:7]
	s_mov_b64 s[6:7], -1
	s_and_saveexec_b64 s[26:27], s[28:29]
	s_cbranch_execz .LBB17_433
; %bb.445:                              ;   in Loop: Header=BB17_434 Depth=1
	v_cmp_le_u32_e64 s[4:5], s34, v6
	v_add_u32_e32 v5, s48, v5
	s_xor_b64 s[6:7], exec, -1
	s_orn2_b64 s[2:3], s[4:5], exec
	s_branch .LBB17_433
.LBB17_446:
	s_or_b64 exec, exec, s[22:23]
	s_mov_b64 s[4:5], exec
	s_orn2_b64 s[2:3], s[24:25], exec
	s_or_b64 exec, exec, s[20:21]
	s_and_saveexec_b64 s[6:7], s[2:3]
	s_cbranch_execz .LBB17_423
.LBB17_447:
	v_mov_b32_e32 v6, 0
	s_waitcnt vmcnt(0) lgkmcnt(0)
	s_barrier
	s_mov_b64 s[2:3], exec
	v_readlane_b32 s18, v51, 17
	v_readlane_b32 s19, v51, 18
	s_and_b64 s[18:19], s[2:3], s[18:19]
	s_mov_b64 exec, s[18:19]
	s_cbranch_execz .LBB17_449
; %bb.448:
	global_load_ubyte v6, v[13:14], off
.LBB17_449:
	s_or_b64 exec, exec, s[2:3]
	s_mov_b64 s[2:3], 0
	s_and_saveexec_b64 s[18:19], vcc
	s_cbranch_execz .LBB17_469
; %bb.450:
	v_add_u32_e32 v1, s33, v0
	v_mul_lo_u32 v2, s49, v1
	s_mov_b64 s[20:21], 0
	v_mov_b32_e32 v1, 0
                                        ; implicit-def: $sgpr22_sgpr23
                                        ; implicit-def: $vgpr5
	s_branch .LBB17_453
.LBB17_451:                             ;   in Loop: Header=BB17_453 Depth=1
	s_or_b64 exec, exec, s[26:27]
	s_orn2_b64 s[28:29], s[28:29], exec
	s_orn2_b64 s[26:27], s[24:25], exec
.LBB17_452:                             ;   in Loop: Header=BB17_453 Depth=1
	s_or_b64 exec, exec, s[2:3]
	s_xor_b64 s[2:3], s[28:29], -1
	s_and_b64 s[24:25], exec, s[26:27]
	s_or_b64 s[20:21], s[24:25], s[20:21]
	s_andn2_b64 s[22:23], s[22:23], exec
	s_and_b64 s[2:3], s[2:3], exec
	s_or_b64 s[22:23], s[22:23], s[2:3]
	v_mov_b32_e32 v0, v3
	v_mov_b32_e32 v6, v4
	s_andn2_b64 exec, exec, s[20:21]
	s_cbranch_execz .LBB17_467
.LBB17_453:                             ; =>This Inner Loop Header: Depth=1
	v_add_u32_e32 v3, s33, v0
	v_cmp_gt_u32_e32 vcc, s36, v3
	v_mov_b32_e32 v4, 0
	s_and_saveexec_b64 s[2:3], vcc
	s_cbranch_execz .LBB17_455
; %bb.454:                              ;   in Loop: Header=BB17_453 Depth=1
	global_load_ubyte v4, v2, s[40:41]
.LBB17_455:                             ;   in Loop: Header=BB17_453 Depth=1
	s_or_b64 exec, exec, s[2:3]
	v_cmp_gt_u32_e32 vcc, s36, v0
	s_waitcnt vmcnt(0)
	v_cmp_eq_u16_sdwa s[2:3], v6, v39 src0_sel:BYTE_0 src1_sel:BYTE_0
	s_and_b64 s[24:25], vcc, s[2:3]
	v_cndmask_b32_e64 v6, 0, 1, s[24:25]
	v_cmp_ne_u32_e32 vcc, 0, v6
	s_cmp_lg_u64 vcc, 0
	s_cselect_b64 s[2:3], -1, 0
	s_and_b64 s[2:3], s[0:1], s[2:3]
	s_and_saveexec_b64 s[26:27], s[2:3]
	s_cbranch_execz .LBB17_459
; %bb.456:                              ;   in Loop: Header=BB17_453 Depth=1
	s_mov_b64 s[30:31], exec
	v_mbcnt_lo_u32_b32 v5, s30, 0
	v_mbcnt_hi_u32_b32 v5, s31, v5
	s_bcnt1_i32_b64 s43, vcc
	v_cmp_eq_u32_e64 s[2:3], 0, v5
                                        ; implicit-def: $vgpr6
	s_and_saveexec_b64 s[28:29], s[2:3]
; %bb.457:                              ;   in Loop: Header=BB17_453 Depth=1
	s_bcnt1_i32_b64 s2, s[30:31]
	s_mul_i32 s2, s43, s2
	v_mov_b32_e32 v6, s2
	ds_add_rtn_u32 v6, v1, v6 offset:4108
; %bb.458:                              ;   in Loop: Header=BB17_453 Depth=1
	s_or_b64 exec, exec, s[28:29]
	s_waitcnt lgkmcnt(0)
	v_readfirstlane_b32 s2, v6
	v_mov_b32_e32 v6, s2
	v_mad_u32_u24 v5, s43, v5, v6
.LBB17_459:                             ;   in Loop: Header=BB17_453 Depth=1
	s_or_b64 exec, exec, s[26:27]
	ds_bpermute_b32 v5, v17, v5
	s_cmp_eq_u64 vcc, 0
	s_cselect_b64 s[28:29], -1, 0
	s_mov_b64 s[26:27], -1
	s_waitcnt lgkmcnt(0)
	v_cmp_gt_u32_e64 s[2:3], s37, v5
	s_or_b64 s[30:31], s[28:29], s[2:3]
	s_mov_b64 s[28:29], -1
	s_and_saveexec_b64 s[2:3], s[30:31]
	s_cbranch_execz .LBB17_452
; %bb.460:                              ;   in Loop: Header=BB17_453 Depth=1
	v_and_b32_e32 v7, vcc_lo, v19
	v_and_b32_e32 v6, vcc_hi, v18
	v_bcnt_u32_b32 v7, v7, 0
	v_bcnt_u32_b32 v6, v6, v7
	v_sub_u32_e32 v7, s37, v5
	v_cmp_gt_u32_e32 vcc, v7, v6
	s_and_b64 s[44:45], s[24:25], vcc
	s_mov_b64 s[24:25], -1
	s_mov_b64 s[30:31], -1
	s_and_saveexec_b64 s[26:27], s[44:45]
	s_cbranch_execz .LBB17_464
; %bb.461:                              ;   in Loop: Header=BB17_453 Depth=1
	v_add_u32_e32 v6, v5, v6
	v_cmp_gt_u32_e32 vcc, s37, v6
	s_mov_b64 s[30:31], 0
	s_and_saveexec_b64 s[28:29], vcc
; %bb.462:                              ;   in Loop: Header=BB17_453 Depth=1
	v_mul_lo_u32 v8, v6, s38
	v_mul_lo_u32 v6, v6, s35
	v_mov_b32_e32 v7, v1
	s_mov_b64 s[30:31], exec
	global_store_byte v8, v39, s[8:9]
	v_lshlrev_b64 v[6:7], 3, v[6:7]
	v_mov_b32_e32 v8, s42
	v_add_co_u32_e32 v6, vcc, s39, v6
	v_addc_co_u32_e32 v7, vcc, v8, v7, vcc
	global_store_dwordx2 v[6:7], v[0:1], off
; %bb.463:                              ;   in Loop: Header=BB17_453 Depth=1
	s_or_b64 exec, exec, s[28:29]
	s_xor_b64 s[28:29], exec, -1
	s_orn2_b64 s[30:31], s[30:31], exec
.LBB17_464:                             ;   in Loop: Header=BB17_453 Depth=1
	s_or_b64 exec, exec, s[26:27]
	s_and_saveexec_b64 s[26:27], s[30:31]
	s_cbranch_execz .LBB17_451
; %bb.465:                              ;   in Loop: Header=BB17_453 Depth=1
	v_cmp_le_u32_e32 vcc, s34, v3
	v_add_u32_e32 v2, s48, v2
	s_or_b64 s[28:29], s[28:29], exec
	s_orn2_b64 s[24:25], vcc, exec
	s_branch .LBB17_451
.LBB17_466:
	s_or_b64 s[14:15], s[14:15], exec
	s_trap 2
	s_branch .LBB17_430
.LBB17_467:
	s_or_b64 exec, exec, s[20:21]
	s_mov_b64 s[0:1], 0
	s_and_saveexec_b64 s[2:3], s[22:23]
	s_xor_b64 s[2:3], exec, s[2:3]
	s_cbranch_execnz .LBB17_473
.LBB17_468:
	s_or_b64 exec, exec, s[2:3]
	s_and_b64 s[2:3], s[0:1], exec
.LBB17_469:
	s_or_b64 exec, exec, s[18:19]
	s_and_b64 s[18:19], s[2:3], exec
	s_andn2_b64 s[4:5], s[4:5], exec
	s_or_b64 exec, exec, s[6:7]
	s_and_saveexec_b64 s[0:1], s[4:5]
	s_xor_b64 s[0:1], exec, s[0:1]
	s_cbranch_execz .LBB17_424
.LBB17_470:
	s_trap 2
	s_or_b64 s[18:19], s[18:19], exec
	s_branch .LBB17_424
.LBB17_471:
	s_or_b64 s[16:17], s[16:17], exec
	s_trap 2
	s_branch .LBB17_428
.LBB17_472:
	s_trap 2
	s_or_b64 s[18:19], s[18:19], exec
	s_branch .LBB17_426
.LBB17_473:
	s_mov_b64 s[0:1], exec
	s_trap 2
	s_branch .LBB17_468
	.section	.rodata,"a",@progbits
	.p2align	6, 0x0
	.amdhsa_kernel _ZN2at6native6sbtopk10gatherTopKIajLi1ELb0EEEvNS_4cuda6detail10TensorInfoIKT_T0_EES8_S8_bS8_S8_NS5_IS6_S8_EES8_NS5_IlS8_EES8_PS6_
		.amdhsa_group_segment_fixed_size 4112
		.amdhsa_private_segment_fixed_size 0
		.amdhsa_kernarg_size 952
		.amdhsa_user_sgpr_count 6
		.amdhsa_user_sgpr_private_segment_buffer 1
		.amdhsa_user_sgpr_dispatch_ptr 0
		.amdhsa_user_sgpr_queue_ptr 0
		.amdhsa_user_sgpr_kernarg_segment_ptr 1
		.amdhsa_user_sgpr_dispatch_id 0
		.amdhsa_user_sgpr_flat_scratch_init 0
		.amdhsa_user_sgpr_private_segment_size 0
		.amdhsa_uses_dynamic_stack 0
		.amdhsa_system_sgpr_private_segment_wavefront_offset 0
		.amdhsa_system_sgpr_workgroup_id_x 1
		.amdhsa_system_sgpr_workgroup_id_y 1
		.amdhsa_system_sgpr_workgroup_id_z 1
		.amdhsa_system_sgpr_workgroup_info 0
		.amdhsa_system_vgpr_workitem_id 0
		.amdhsa_next_free_vgpr 52
		.amdhsa_next_free_sgpr 96
		.amdhsa_reserve_vcc 1
		.amdhsa_reserve_flat_scratch 0
		.amdhsa_float_round_mode_32 0
		.amdhsa_float_round_mode_16_64 0
		.amdhsa_float_denorm_mode_32 3
		.amdhsa_float_denorm_mode_16_64 3
		.amdhsa_dx10_clamp 1
		.amdhsa_ieee_mode 1
		.amdhsa_fp16_overflow 0
		.amdhsa_exception_fp_ieee_invalid_op 0
		.amdhsa_exception_fp_denorm_src 0
		.amdhsa_exception_fp_ieee_div_zero 0
		.amdhsa_exception_fp_ieee_overflow 0
		.amdhsa_exception_fp_ieee_underflow 0
		.amdhsa_exception_fp_ieee_inexact 0
		.amdhsa_exception_int_div_zero 0
	.end_amdhsa_kernel
	.section	.text._ZN2at6native6sbtopk10gatherTopKIajLi1ELb0EEEvNS_4cuda6detail10TensorInfoIKT_T0_EES8_S8_bS8_S8_NS5_IS6_S8_EES8_NS5_IlS8_EES8_PS6_,"axG",@progbits,_ZN2at6native6sbtopk10gatherTopKIajLi1ELb0EEEvNS_4cuda6detail10TensorInfoIKT_T0_EES8_S8_bS8_S8_NS5_IS6_S8_EES8_NS5_IlS8_EES8_PS6_,comdat
.Lfunc_end17:
	.size	_ZN2at6native6sbtopk10gatherTopKIajLi1ELb0EEEvNS_4cuda6detail10TensorInfoIKT_T0_EES8_S8_bS8_S8_NS5_IS6_S8_EES8_NS5_IlS8_EES8_PS6_, .Lfunc_end17-_ZN2at6native6sbtopk10gatherTopKIajLi1ELb0EEEvNS_4cuda6detail10TensorInfoIKT_T0_EES8_S8_bS8_S8_NS5_IS6_S8_EES8_NS5_IlS8_EES8_PS6_
                                        ; -- End function
	.set _ZN2at6native6sbtopk10gatherTopKIajLi1ELb0EEEvNS_4cuda6detail10TensorInfoIKT_T0_EES8_S8_bS8_S8_NS5_IS6_S8_EES8_NS5_IlS8_EES8_PS6_.num_vgpr, 52
	.set _ZN2at6native6sbtopk10gatherTopKIajLi1ELb0EEEvNS_4cuda6detail10TensorInfoIKT_T0_EES8_S8_bS8_S8_NS5_IS6_S8_EES8_NS5_IlS8_EES8_PS6_.num_agpr, 0
	.set _ZN2at6native6sbtopk10gatherTopKIajLi1ELb0EEEvNS_4cuda6detail10TensorInfoIKT_T0_EES8_S8_bS8_S8_NS5_IS6_S8_EES8_NS5_IlS8_EES8_PS6_.numbered_sgpr, 96
	.set _ZN2at6native6sbtopk10gatherTopKIajLi1ELb0EEEvNS_4cuda6detail10TensorInfoIKT_T0_EES8_S8_bS8_S8_NS5_IS6_S8_EES8_NS5_IlS8_EES8_PS6_.num_named_barrier, 0
	.set _ZN2at6native6sbtopk10gatherTopKIajLi1ELb0EEEvNS_4cuda6detail10TensorInfoIKT_T0_EES8_S8_bS8_S8_NS5_IS6_S8_EES8_NS5_IlS8_EES8_PS6_.private_seg_size, 0
	.set _ZN2at6native6sbtopk10gatherTopKIajLi1ELb0EEEvNS_4cuda6detail10TensorInfoIKT_T0_EES8_S8_bS8_S8_NS5_IS6_S8_EES8_NS5_IlS8_EES8_PS6_.uses_vcc, 1
	.set _ZN2at6native6sbtopk10gatherTopKIajLi1ELb0EEEvNS_4cuda6detail10TensorInfoIKT_T0_EES8_S8_bS8_S8_NS5_IS6_S8_EES8_NS5_IlS8_EES8_PS6_.uses_flat_scratch, 0
	.set _ZN2at6native6sbtopk10gatherTopKIajLi1ELb0EEEvNS_4cuda6detail10TensorInfoIKT_T0_EES8_S8_bS8_S8_NS5_IS6_S8_EES8_NS5_IlS8_EES8_PS6_.has_dyn_sized_stack, 0
	.set _ZN2at6native6sbtopk10gatherTopKIajLi1ELb0EEEvNS_4cuda6detail10TensorInfoIKT_T0_EES8_S8_bS8_S8_NS5_IS6_S8_EES8_NS5_IlS8_EES8_PS6_.has_recursion, 0
	.set _ZN2at6native6sbtopk10gatherTopKIajLi1ELb0EEEvNS_4cuda6detail10TensorInfoIKT_T0_EES8_S8_bS8_S8_NS5_IS6_S8_EES8_NS5_IlS8_EES8_PS6_.has_indirect_call, 0
	.section	.AMDGPU.csdata,"",@progbits
; Kernel info:
; codeLenInByte = 15556
; TotalNumSgprs: 100
; NumVgprs: 52
; ScratchSize: 0
; MemoryBound: 0
; FloatMode: 240
; IeeeMode: 1
; LDSByteSize: 4112 bytes/workgroup (compile time only)
; SGPRBlocks: 12
; VGPRBlocks: 12
; NumSGPRsForWavesPerEU: 100
; NumVGPRsForWavesPerEU: 52
; Occupancy: 4
; WaveLimiterHint : 1
; COMPUTE_PGM_RSRC2:SCRATCH_EN: 0
; COMPUTE_PGM_RSRC2:USER_SGPR: 6
; COMPUTE_PGM_RSRC2:TRAP_HANDLER: 0
; COMPUTE_PGM_RSRC2:TGID_X_EN: 1
; COMPUTE_PGM_RSRC2:TGID_Y_EN: 1
; COMPUTE_PGM_RSRC2:TGID_Z_EN: 1
; COMPUTE_PGM_RSRC2:TIDIG_COMP_CNT: 0
	.section	.text._ZN2at6native6mbtopk23computeBlockDigitCountsIajjLi2EEEvNS_4cuda6detail10TensorInfoIKT_T0_EEjPjjS8_iijT1_PSB_Ps,"axG",@progbits,_ZN2at6native6mbtopk23computeBlockDigitCountsIajjLi2EEEvNS_4cuda6detail10TensorInfoIKT_T0_EEjPjjS8_iijT1_PSB_Ps,comdat
	.protected	_ZN2at6native6mbtopk23computeBlockDigitCountsIajjLi2EEEvNS_4cuda6detail10TensorInfoIKT_T0_EEjPjjS8_iijT1_PSB_Ps ; -- Begin function _ZN2at6native6mbtopk23computeBlockDigitCountsIajjLi2EEEvNS_4cuda6detail10TensorInfoIKT_T0_EEjPjjS8_iijT1_PSB_Ps
	.globl	_ZN2at6native6mbtopk23computeBlockDigitCountsIajjLi2EEEvNS_4cuda6detail10TensorInfoIKT_T0_EEjPjjS8_iijT1_PSB_Ps
	.p2align	8
	.type	_ZN2at6native6mbtopk23computeBlockDigitCountsIajjLi2EEEvNS_4cuda6detail10TensorInfoIKT_T0_EEjPjjS8_iijT1_PSB_Ps,@function
_ZN2at6native6mbtopk23computeBlockDigitCountsIajjLi2EEEvNS_4cuda6detail10TensorInfoIKT_T0_EEjPjjS8_iijT1_PSB_Ps: ; @_ZN2at6native6mbtopk23computeBlockDigitCountsIajjLi2EEEvNS_4cuda6detail10TensorInfoIKT_T0_EEjPjjS8_iijT1_PSB_Ps
; %bb.0:
	s_load_dwordx2 s[10:11], s[4:5], 0xf8
	s_load_dwordx4 s[12:15], s[4:5], 0xe8
	s_load_dwordx2 s[0:1], s[4:5], 0x110
	s_waitcnt lgkmcnt(0)
	v_cvt_f32_u32_e32 v1, s10
	s_sub_i32 s2, 0, s10
	s_mul_i32 s1, s1, s8
	s_add_i32 s1, s1, s7
	v_rcp_iflag_f32_e32 v1, v1
	s_mul_i32 s16, s1, s0
	s_add_i32 s16, s16, s6
	s_mov_b32 s7, 0
	v_mul_f32_e32 v1, 0x4f7ffffe, v1
	v_cvt_u32_f32_e32 v1, v1
	v_readfirstlane_b32 s0, v1
	s_mul_i32 s2, s2, s0
	s_mul_hi_u32 s1, s0, s2
	s_add_i32 s0, s0, s1
	s_mul_hi_u32 s0, s16, s0
	s_mul_i32 s1, s0, s10
	s_sub_i32 s1, s16, s1
	s_add_i32 s2, s0, 1
	s_sub_i32 s3, s1, s10
	s_cmp_ge_u32 s1, s10
	s_cselect_b32 s0, s2, s0
	s_cselect_b32 s1, s3, s1
	s_add_i32 s2, s0, 1
	s_cmp_ge_u32 s1, s10
	s_cselect_b32 s6, s2, s0
	s_cmp_ge_u32 s6, s12
	s_cbranch_scc1 .LBB18_27
; %bb.1:
	s_load_dword s18, s[4:5], 0xc
	s_load_dwordx4 s[0:3], s[4:5], 0x100
	s_lshl_b64 s[8:9], s[6:7], 2
	s_movk_i32 s7, 0x100
	v_cmp_gt_u32_e32 vcc, s7, v0
	s_waitcnt lgkmcnt(0)
	v_cvt_f32_u32_e32 v1, s18
	s_add_u32 s0, s0, s8
	s_addc_u32 s1, s1, s9
	v_rcp_iflag_f32_e32 v1, v1
	v_mul_f32_e32 v1, 0x4f7ffffe, v1
	v_cvt_u32_f32_e32 v1, v1
	v_readfirstlane_b32 s7, v1
	v_lshlrev_b32_e32 v1, 2, v0
	s_and_saveexec_b64 s[8:9], vcc
; %bb.2:
	v_mov_b32_e32 v2, 0
	ds_write_b32 v1, v2
; %bb.3:
	s_or_b64 exec, exec, s[8:9]
	s_load_dword s8, s[4:5], 0xd8
	s_mul_i32 s9, s6, s10
	s_sub_i32 s9, s16, s9
	s_add_i32 s17, s9, 1
	s_mul_i32 s9, s15, s9
	s_lshl_b32 s12, s9, 8
	s_waitcnt lgkmcnt(0)
	s_sub_i32 s9, s8, s12
	s_add_u32 s20, s9, 0xff
	s_addc_u32 s21, 0, 0
	s_lshr_b64 s[20:21], s[20:21], 8
	s_cmp_lt_u32 s17, s10
	s_cselect_b32 s17, s15, s20
	s_cmp_lt_i32 s17, 1
	s_mov_b32 s15, 0
	s_barrier
	s_cbranch_scc1 .LBB18_25
; %bb.4:
	s_sub_i32 s9, 0, s18
	s_mul_i32 s9, s9, s7
	s_mul_hi_u32 s9, s7, s9
	s_add_i32 s7, s7, s9
	s_load_dwordx2 s[20:21], s[4:5], 0x6c
	s_load_dwordx2 s[22:23], s[4:5], 0x0
	s_mul_hi_u32 s4, s6, s7
	s_load_dword s9, s[0:1], 0x0
	s_mul_i32 s0, s4, s18
	s_sub_i32 s0, s6, s0
	s_add_i32 s1, s4, 1
	s_sub_i32 s5, s0, s18
	s_cmp_ge_u32 s0, s18
	s_cselect_b32 s1, s1, s4
	s_cselect_b32 s0, s5, s0
	s_add_i32 s4, s1, 1
	s_cmp_ge_u32 s0, s18
	s_cselect_b32 s0, s4, s1
	s_mul_i32 s1, s0, s18
	s_sub_i32 s1, s6, s1
	s_waitcnt lgkmcnt(0)
	s_mul_i32 s1, s1, s21
	s_mul_i32 s0, s0, s20
	s_add_i32 s0, s0, s1
	s_add_u32 s4, s22, s0
	s_addc_u32 s5, s23, 0
	s_and_b32 s10, s14, 0xff
	s_cmp_lt_u32 s17, 4
	s_cbranch_scc1 .LBB18_19
; %bb.5:
	v_add_u32_e32 v6, s12, v0
	v_add_u32_e32 v2, 0x300, v6
	;; [unrolled: 1-line block ×4, first 2 shown]
	v_mul_lo_u32 v3, s13, v2
	v_mul_lo_u32 v4, s13, v4
	;; [unrolled: 1-line block ×4, first 2 shown]
	s_and_b32 s15, s17, 0x7ffffffc
	s_lshl_b32 s14, s13, 10
	s_mov_b32 s18, 0
	v_mov_b32_e32 v7, 1
	s_mov_b32 s19, 0
	s_branch .LBB18_7
.LBB18_6:                               ;   in Loop: Header=BB18_7 Depth=1
	s_or_b64 exec, exec, s[6:7]
	s_add_i32 s19, s19, 4
	s_add_i32 s18, s18, s14
	s_cmp_eq_u32 s15, s19
	v_add_u32_e32 v2, 0x400, v2
	s_cbranch_scc1 .LBB18_19
.LBB18_7:                               ; =>This Inner Loop Header: Depth=1
	v_add_u32_e32 v8, 0xfffffd00, v2
	v_cmp_gt_u32_e64 s[0:1], s8, v8
	s_and_saveexec_b64 s[6:7], s[0:1]
	s_cbranch_execz .LBB18_10
; %bb.8:                                ;   in Loop: Header=BB18_7 Depth=1
	v_add_u32_e32 v8, s18, v6
	global_load_sbyte v8, v8, s[4:5]
	s_waitcnt vmcnt(0)
	v_add_u32_e32 v8, 0x80, v8
	v_xor_b32_e32 v9, s9, v8
	v_and_b32_e32 v9, s11, v9
	v_cmp_eq_u32_e64 s[0:1], 0, v9
	s_and_b64 exec, exec, s[0:1]
; %bb.9:                                ;   in Loop: Header=BB18_7 Depth=1
	v_lshrrev_b32_e32 v8, s10, v8
	v_lshlrev_b32_e32 v8, 2, v8
	ds_add_u32 v8, v7
.LBB18_10:                              ;   in Loop: Header=BB18_7 Depth=1
	s_or_b64 exec, exec, s[6:7]
	v_add_u32_e32 v8, 0xfffffe00, v2
	v_cmp_gt_u32_e64 s[0:1], s8, v8
	s_and_saveexec_b64 s[6:7], s[0:1]
	s_cbranch_execz .LBB18_13
; %bb.11:                               ;   in Loop: Header=BB18_7 Depth=1
	v_add_u32_e32 v8, s18, v5
	global_load_sbyte v8, v8, s[4:5]
	s_waitcnt vmcnt(0)
	v_add_u32_e32 v8, 0x80, v8
	v_xor_b32_e32 v9, s9, v8
	v_and_b32_e32 v9, s11, v9
	v_cmp_eq_u32_e64 s[0:1], 0, v9
	s_and_b64 exec, exec, s[0:1]
; %bb.12:                               ;   in Loop: Header=BB18_7 Depth=1
	v_lshrrev_b32_e32 v8, s10, v8
	v_lshlrev_b32_e32 v8, 2, v8
	ds_add_u32 v8, v7
.LBB18_13:                              ;   in Loop: Header=BB18_7 Depth=1
	s_or_b64 exec, exec, s[6:7]
	v_add_u32_e32 v8, 0xffffff00, v2
	v_cmp_gt_u32_e64 s[0:1], s8, v8
	s_and_saveexec_b64 s[6:7], s[0:1]
	s_cbranch_execz .LBB18_16
; %bb.14:                               ;   in Loop: Header=BB18_7 Depth=1
	v_add_u32_e32 v8, s18, v4
	global_load_sbyte v8, v8, s[4:5]
	s_waitcnt vmcnt(0)
	v_add_u32_e32 v8, 0x80, v8
	v_xor_b32_e32 v9, s9, v8
	v_and_b32_e32 v9, s11, v9
	v_cmp_eq_u32_e64 s[0:1], 0, v9
	s_and_b64 exec, exec, s[0:1]
; %bb.15:                               ;   in Loop: Header=BB18_7 Depth=1
	v_lshrrev_b32_e32 v8, s10, v8
	v_lshlrev_b32_e32 v8, 2, v8
	ds_add_u32 v8, v7
.LBB18_16:                              ;   in Loop: Header=BB18_7 Depth=1
	s_or_b64 exec, exec, s[6:7]
	v_cmp_gt_u32_e64 s[0:1], s8, v2
	s_and_saveexec_b64 s[6:7], s[0:1]
	s_cbranch_execz .LBB18_6
; %bb.17:                               ;   in Loop: Header=BB18_7 Depth=1
	v_add_u32_e32 v8, s18, v3
	global_load_sbyte v8, v8, s[4:5]
	s_waitcnt vmcnt(0)
	v_add_u32_e32 v8, 0x80, v8
	v_xor_b32_e32 v9, s9, v8
	v_and_b32_e32 v9, s11, v9
	v_cmp_eq_u32_e64 s[0:1], 0, v9
	s_and_b64 exec, exec, s[0:1]
	s_cbranch_execz .LBB18_6
; %bb.18:                               ;   in Loop: Header=BB18_7 Depth=1
	v_lshrrev_b32_e32 v8, s10, v8
	v_lshlrev_b32_e32 v8, 2, v8
	ds_add_u32 v8, v7
	s_branch .LBB18_6
.LBB18_19:
	s_and_b32 s14, s17, 3
	s_cmp_eq_u32 s14, 0
	s_cbranch_scc1 .LBB18_25
; %bb.20:
	s_lshl_b32 s0, s15, 8
	s_add_i32 s0, s0, s12
	v_add_u32_e32 v2, s0, v0
	v_mul_lo_u32 v3, s13, v2
	s_lshl_b32 s12, s13, 8
	v_mov_b32_e32 v4, 1
	s_branch .LBB18_22
.LBB18_21:                              ;   in Loop: Header=BB18_22 Depth=1
	s_or_b64 exec, exec, s[6:7]
	s_add_i32 s14, s14, -1
	v_add_u32_e32 v3, s12, v3
	s_cmp_lg_u32 s14, 0
	v_add_u32_e32 v2, 0x100, v2
	s_cbranch_scc0 .LBB18_25
.LBB18_22:                              ; =>This Inner Loop Header: Depth=1
	v_cmp_gt_u32_e64 s[0:1], s8, v2
	s_and_saveexec_b64 s[6:7], s[0:1]
	s_cbranch_execz .LBB18_21
; %bb.23:                               ;   in Loop: Header=BB18_22 Depth=1
	global_load_sbyte v5, v3, s[4:5]
	s_waitcnt vmcnt(0)
	v_add_u32_e32 v5, 0x80, v5
	v_xor_b32_e32 v6, s9, v5
	v_and_b32_e32 v6, s11, v6
	v_cmp_eq_u32_e64 s[0:1], 0, v6
	s_and_b64 exec, exec, s[0:1]
	s_cbranch_execz .LBB18_21
; %bb.24:                               ;   in Loop: Header=BB18_22 Depth=1
	v_lshrrev_b32_e32 v5, s10, v5
	v_lshlrev_b32_e32 v5, 2, v5
	ds_add_u32 v5, v4
	s_branch .LBB18_21
.LBB18_25:
	s_waitcnt lgkmcnt(0)
	s_barrier
	s_and_saveexec_b64 s[0:1], vcc
	s_cbranch_execz .LBB18_27
; %bb.26:
	v_lshl_or_b32 v2, s16, 8, v0
	v_mov_b32_e32 v3, 0
	ds_read_b32 v5, v1
	v_lshlrev_b64 v[2:3], 1, v[2:3]
	v_mov_b32_e32 v4, s3
	v_add_co_u32_e32 v0, vcc, s2, v2
	v_addc_co_u32_e32 v1, vcc, v4, v3, vcc
	s_waitcnt lgkmcnt(0)
	global_store_short v[0:1], v5, off
.LBB18_27:
	s_endpgm
	.section	.rodata,"a",@progbits
	.p2align	6, 0x0
	.amdhsa_kernel _ZN2at6native6mbtopk23computeBlockDigitCountsIajjLi2EEEvNS_4cuda6detail10TensorInfoIKT_T0_EEjPjjS8_iijT1_PSB_Ps
		.amdhsa_group_segment_fixed_size 1024
		.amdhsa_private_segment_fixed_size 0
		.amdhsa_kernarg_size 528
		.amdhsa_user_sgpr_count 6
		.amdhsa_user_sgpr_private_segment_buffer 1
		.amdhsa_user_sgpr_dispatch_ptr 0
		.amdhsa_user_sgpr_queue_ptr 0
		.amdhsa_user_sgpr_kernarg_segment_ptr 1
		.amdhsa_user_sgpr_dispatch_id 0
		.amdhsa_user_sgpr_flat_scratch_init 0
		.amdhsa_user_sgpr_private_segment_size 0
		.amdhsa_uses_dynamic_stack 0
		.amdhsa_system_sgpr_private_segment_wavefront_offset 0
		.amdhsa_system_sgpr_workgroup_id_x 1
		.amdhsa_system_sgpr_workgroup_id_y 1
		.amdhsa_system_sgpr_workgroup_id_z 1
		.amdhsa_system_sgpr_workgroup_info 0
		.amdhsa_system_vgpr_workitem_id 0
		.amdhsa_next_free_vgpr 10
		.amdhsa_next_free_sgpr 24
		.amdhsa_reserve_vcc 1
		.amdhsa_reserve_flat_scratch 0
		.amdhsa_float_round_mode_32 0
		.amdhsa_float_round_mode_16_64 0
		.amdhsa_float_denorm_mode_32 3
		.amdhsa_float_denorm_mode_16_64 3
		.amdhsa_dx10_clamp 1
		.amdhsa_ieee_mode 1
		.amdhsa_fp16_overflow 0
		.amdhsa_exception_fp_ieee_invalid_op 0
		.amdhsa_exception_fp_denorm_src 0
		.amdhsa_exception_fp_ieee_div_zero 0
		.amdhsa_exception_fp_ieee_overflow 0
		.amdhsa_exception_fp_ieee_underflow 0
		.amdhsa_exception_fp_ieee_inexact 0
		.amdhsa_exception_int_div_zero 0
	.end_amdhsa_kernel
	.section	.text._ZN2at6native6mbtopk23computeBlockDigitCountsIajjLi2EEEvNS_4cuda6detail10TensorInfoIKT_T0_EEjPjjS8_iijT1_PSB_Ps,"axG",@progbits,_ZN2at6native6mbtopk23computeBlockDigitCountsIajjLi2EEEvNS_4cuda6detail10TensorInfoIKT_T0_EEjPjjS8_iijT1_PSB_Ps,comdat
.Lfunc_end18:
	.size	_ZN2at6native6mbtopk23computeBlockDigitCountsIajjLi2EEEvNS_4cuda6detail10TensorInfoIKT_T0_EEjPjjS8_iijT1_PSB_Ps, .Lfunc_end18-_ZN2at6native6mbtopk23computeBlockDigitCountsIajjLi2EEEvNS_4cuda6detail10TensorInfoIKT_T0_EEjPjjS8_iijT1_PSB_Ps
                                        ; -- End function
	.set _ZN2at6native6mbtopk23computeBlockDigitCountsIajjLi2EEEvNS_4cuda6detail10TensorInfoIKT_T0_EEjPjjS8_iijT1_PSB_Ps.num_vgpr, 10
	.set _ZN2at6native6mbtopk23computeBlockDigitCountsIajjLi2EEEvNS_4cuda6detail10TensorInfoIKT_T0_EEjPjjS8_iijT1_PSB_Ps.num_agpr, 0
	.set _ZN2at6native6mbtopk23computeBlockDigitCountsIajjLi2EEEvNS_4cuda6detail10TensorInfoIKT_T0_EEjPjjS8_iijT1_PSB_Ps.numbered_sgpr, 24
	.set _ZN2at6native6mbtopk23computeBlockDigitCountsIajjLi2EEEvNS_4cuda6detail10TensorInfoIKT_T0_EEjPjjS8_iijT1_PSB_Ps.num_named_barrier, 0
	.set _ZN2at6native6mbtopk23computeBlockDigitCountsIajjLi2EEEvNS_4cuda6detail10TensorInfoIKT_T0_EEjPjjS8_iijT1_PSB_Ps.private_seg_size, 0
	.set _ZN2at6native6mbtopk23computeBlockDigitCountsIajjLi2EEEvNS_4cuda6detail10TensorInfoIKT_T0_EEjPjjS8_iijT1_PSB_Ps.uses_vcc, 1
	.set _ZN2at6native6mbtopk23computeBlockDigitCountsIajjLi2EEEvNS_4cuda6detail10TensorInfoIKT_T0_EEjPjjS8_iijT1_PSB_Ps.uses_flat_scratch, 0
	.set _ZN2at6native6mbtopk23computeBlockDigitCountsIajjLi2EEEvNS_4cuda6detail10TensorInfoIKT_T0_EEjPjjS8_iijT1_PSB_Ps.has_dyn_sized_stack, 0
	.set _ZN2at6native6mbtopk23computeBlockDigitCountsIajjLi2EEEvNS_4cuda6detail10TensorInfoIKT_T0_EEjPjjS8_iijT1_PSB_Ps.has_recursion, 0
	.set _ZN2at6native6mbtopk23computeBlockDigitCountsIajjLi2EEEvNS_4cuda6detail10TensorInfoIKT_T0_EEjPjjS8_iijT1_PSB_Ps.has_indirect_call, 0
	.section	.AMDGPU.csdata,"",@progbits
; Kernel info:
; codeLenInByte = 1124
; TotalNumSgprs: 28
; NumVgprs: 10
; ScratchSize: 0
; MemoryBound: 0
; FloatMode: 240
; IeeeMode: 1
; LDSByteSize: 1024 bytes/workgroup (compile time only)
; SGPRBlocks: 3
; VGPRBlocks: 2
; NumSGPRsForWavesPerEU: 28
; NumVGPRsForWavesPerEU: 10
; Occupancy: 10
; WaveLimiterHint : 1
; COMPUTE_PGM_RSRC2:SCRATCH_EN: 0
; COMPUTE_PGM_RSRC2:USER_SGPR: 6
; COMPUTE_PGM_RSRC2:TRAP_HANDLER: 0
; COMPUTE_PGM_RSRC2:TGID_X_EN: 1
; COMPUTE_PGM_RSRC2:TGID_Y_EN: 1
; COMPUTE_PGM_RSRC2:TGID_Z_EN: 1
; COMPUTE_PGM_RSRC2:TIDIG_COMP_CNT: 0
	.section	.text._ZN2at6native6mbtopk10gatherTopKIajLi2EEEvNS_4cuda6detail10TensorInfoIKT_T0_EES8_S8_bjS8_NS5_IS6_S8_EES8_NS5_IlS8_EES8_jjPS6_PjSD_j,"axG",@progbits,_ZN2at6native6mbtopk10gatherTopKIajLi2EEEvNS_4cuda6detail10TensorInfoIKT_T0_EES8_S8_bjS8_NS5_IS6_S8_EES8_NS5_IlS8_EES8_jjPS6_PjSD_j,comdat
	.protected	_ZN2at6native6mbtopk10gatherTopKIajLi2EEEvNS_4cuda6detail10TensorInfoIKT_T0_EES8_S8_bjS8_NS5_IS6_S8_EES8_NS5_IlS8_EES8_jjPS6_PjSD_j ; -- Begin function _ZN2at6native6mbtopk10gatherTopKIajLi2EEEvNS_4cuda6detail10TensorInfoIKT_T0_EES8_S8_bjS8_NS5_IS6_S8_EES8_NS5_IlS8_EES8_jjPS6_PjSD_j
	.globl	_ZN2at6native6mbtopk10gatherTopKIajLi2EEEvNS_4cuda6detail10TensorInfoIKT_T0_EES8_S8_bjS8_NS5_IS6_S8_EES8_NS5_IlS8_EES8_jjPS6_PjSD_j
	.p2align	8
	.type	_ZN2at6native6mbtopk10gatherTopKIajLi2EEEvNS_4cuda6detail10TensorInfoIKT_T0_EES8_S8_bjS8_NS5_IS6_S8_EES8_NS5_IlS8_EES8_jjPS6_PjSD_j,@function
_ZN2at6native6mbtopk10gatherTopKIajLi2EEEvNS_4cuda6detail10TensorInfoIKT_T0_EES8_S8_bjS8_NS5_IS6_S8_EES8_NS5_IlS8_EES8_jjPS6_PjSD_j: ; @_ZN2at6native6mbtopk10gatherTopKIajLi2EEEvNS_4cuda6detail10TensorInfoIKT_T0_EES8_S8_bjS8_NS5_IS6_S8_EES8_NS5_IlS8_EES8_jjPS6_PjSD_j
; %bb.0:
	s_load_dwordx2 s[0:1], s[4:5], 0x2d8
	s_load_dword s2, s[4:5], 0x2d0
	s_waitcnt lgkmcnt(0)
	s_mul_i32 s1, s1, s8
	s_add_i32 s1, s1, s7
	s_mul_i32 s0, s1, s0
	s_add_i32 s0, s0, s6
	s_cmp_ge_u32 s0, s2
	s_cbranch_scc1 .LBB19_40
; %bb.1:
	s_load_dwordx8 s[8:15], s[4:5], 0x2a8
	s_load_dword s41, s[4:5], 0xc
	s_waitcnt lgkmcnt(0)
	v_cvt_f32_u32_e32 v1, s10
	s_sub_i32 s1, 0, s10
	v_rcp_iflag_f32_e32 v1, v1
	v_mul_f32_e32 v1, 0x4f7ffffe, v1
	v_cvt_u32_f32_e32 v1, v1
	v_readfirstlane_b32 s2, v1
	s_mul_i32 s1, s1, s2
	s_mul_hi_u32 s1, s2, s1
	s_add_i32 s2, s2, s1
	s_mul_hi_u32 s1, s0, s2
	s_mul_i32 s2, s1, s10
	s_sub_i32 s2, s0, s2
	s_add_i32 s3, s1, 1
	s_sub_i32 s6, s2, s10
	s_cmp_ge_u32 s2, s10
	s_cselect_b32 s1, s3, s1
	s_cselect_b32 s2, s6, s2
	s_add_i32 s3, s1, 1
	s_cmp_ge_u32 s2, s10
	s_cselect_b32 s11, s3, s1
	v_mov_b32_e32 v1, s11
	global_load_ubyte v6, v1, s[12:13]
	v_cvt_f32_u32_e32 v1, s41
	s_load_dwordx2 s[20:21], s[4:5], 0xf0
	s_load_dwordx2 s[28:29], s[4:5], 0x6c
	s_load_dwordx2 s[22:23], s[4:5], 0x0
	s_load_dwordx2 s[24:25], s[4:5], 0x23c
	s_load_dword s33, s[4:5], 0x1dc
	s_load_dwordx2 s[6:7], s[4:5], 0x1d0
	s_load_dwordx2 s[26:27], s[4:5], 0x15c
	s_load_dword s40, s[4:5], 0xfc
	s_mul_i32 s12, s11, s10
	v_rcp_iflag_f32_e32 v1, v1
	s_sub_i32 s45, s0, s12
	s_sub_i32 s0, 0, s41
	s_waitcnt lgkmcnt(0)
	v_cvt_f32_u32_e32 v2, s40
	v_mul_f32_e32 v1, 0x4f7ffffe, v1
	v_cvt_u32_f32_e32 v1, v1
	s_mov_b32 s13, 0
	v_cmp_eq_u32_e64 s[2:3], 0, v0
	v_readfirstlane_b32 s1, v1
	v_rcp_iflag_f32_e32 v1, v2
	v_cvt_f32_u32_e32 v2, s33
	s_mul_i32 s0, s0, s1
	s_mul_hi_u32 s0, s1, s0
	v_mul_f32_e32 v1, 0x4f7ffffe, v1
	v_cvt_u32_f32_e32 v1, v1
	v_rcp_iflag_f32_e32 v2, v2
	s_add_i32 s1, s1, s0
	s_mul_hi_u32 s44, s11, s1
	v_readfirstlane_b32 s1, v1
	v_mul_f32_e32 v1, 0x4f7ffffe, v2
	s_sub_i32 s0, 0, s40
	v_cvt_u32_f32_e32 v1, v1
	s_mul_i32 s0, s0, s1
	s_mul_hi_u32 s0, s1, s0
	s_add_i32 s1, s1, s0
	s_mul_hi_u32 s43, s11, s1
	s_sub_i32 s0, 0, s33
	v_readfirstlane_b32 s1, v1
	s_mul_i32 s0, s0, s1
	s_mul_hi_u32 s0, s1, s0
	s_add_i32 s1, s1, s0
	s_mul_hi_u32 s42, s11, s1
	v_cmp_ne_u32_e64 s[0:1], 0, v0
	s_and_saveexec_b64 s[30:31], s[2:3]
	s_cbranch_execz .LBB19_17
; %bb.2:
	s_load_dwordx2 s[34:35], s[4:5], 0x2c8
	s_lshl_b64 s[36:37], s[12:13], 2
	s_add_u32 s16, s14, s36
	s_addc_u32 s17, s15, s37
	s_mov_b32 s12, 0
	s_waitcnt lgkmcnt(0)
	s_add_u32 s18, s34, s36
	s_addc_u32 s19, s35, s37
	s_mov_b32 s46, 0
	s_cmp_lt_u32 s10, 4
	s_cbranch_scc1 .LBB19_14
; %bb.3:
	s_mov_b32 s47, 0
.LBB19_4:                               ; =>This Inner Loop Header: Depth=1
	s_add_u32 s38, s14, s36
	s_addc_u32 s39, s15, s37
	s_load_dwordx4 s[16:19], s[38:39], 0x0
	s_add_u32 s38, s34, s36
	s_addc_u32 s39, s35, s37
	s_cmp_ge_u32 s47, s45
	s_cbranch_scc0 .LBB19_11
; %bb.5:                                ;   in Loop: Header=BB19_4 Depth=1
	s_add_i32 s48, s47, 1
	s_cmp_ge_u32 s48, s45
	s_cbranch_scc0 .LBB19_12
.LBB19_6:                               ;   in Loop: Header=BB19_4 Depth=1
	s_add_i32 s48, s48, 1
	s_cmp_ge_u32 s48, s45
	s_cbranch_scc0 .LBB19_13
.LBB19_7:                               ;   in Loop: Header=BB19_4 Depth=1
	s_add_i32 s48, s48, 1
	s_cmp_ge_u32 s48, s45
	s_cbranch_scc1 .LBB19_9
.LBB19_8:                               ;   in Loop: Header=BB19_4 Depth=1
	s_load_dword s38, s[38:39], 0xc
	s_waitcnt lgkmcnt(0)
	s_add_i32 s13, s13, s19
	s_add_i32 s12, s38, s12
.LBB19_9:                               ;   in Loop: Header=BB19_4 Depth=1
	s_waitcnt lgkmcnt(0)
	s_add_i32 s16, s16, s46
	s_add_i32 s16, s16, s17
	;; [unrolled: 1-line block ×4, first 2 shown]
	s_add_u32 s14, s14, 16
	s_addc_u32 s15, s15, 0
	s_add_u32 s34, s34, 16
	s_addc_u32 s35, s35, 0
	s_add_i32 s39, s48, 4
	s_add_u32 s18, s34, s36
	s_addc_u32 s19, s35, s37
	s_add_u32 s16, s14, s36
	s_addc_u32 s17, s15, s37
	s_add_i32 s38, s48, 1
	s_cmp_ge_u32 s39, s10
	s_cbranch_scc1 .LBB19_15
; %bb.10:                               ;   in Loop: Header=BB19_4 Depth=1
	s_mov_b32 s47, s38
	s_branch .LBB19_4
.LBB19_11:                              ;   in Loop: Header=BB19_4 Depth=1
	s_load_dword s48, s[38:39], 0x0
	s_waitcnt lgkmcnt(0)
	s_add_i32 s13, s16, s13
	s_add_i32 s12, s48, s12
	;; [unrolled: 1-line block ×3, first 2 shown]
	s_cmp_ge_u32 s48, s45
	s_cbranch_scc1 .LBB19_6
.LBB19_12:                              ;   in Loop: Header=BB19_4 Depth=1
	s_load_dword s49, s[38:39], 0x4
	s_waitcnt lgkmcnt(0)
	s_add_i32 s13, s13, s17
	s_add_i32 s12, s49, s12
	;; [unrolled: 1-line block ×3, first 2 shown]
	s_cmp_ge_u32 s48, s45
	s_cbranch_scc1 .LBB19_7
.LBB19_13:                              ;   in Loop: Header=BB19_4 Depth=1
	s_load_dword s49, s[38:39], 0x8
	s_waitcnt lgkmcnt(0)
	s_add_i32 s13, s13, s18
	s_add_i32 s12, s49, s12
	;; [unrolled: 1-line block ×3, first 2 shown]
	s_cmp_ge_u32 s48, s45
	s_cbranch_scc0 .LBB19_8
	s_branch .LBB19_9
.LBB19_14:
	s_mov_b32 s14, 0
	s_cmp_ge_u32 s14, s10
	s_cbranch_scc0 .LBB19_38
	s_branch .LBB19_16
.LBB19_15:
	s_add_i32 s14, s47, 4
	s_cmp_ge_u32 s14, s10
	s_cbranch_scc0 .LBB19_38
.LBB19_16:
	v_mov_b32_e32 v1, s12
	v_mov_b32_e32 v2, s46
	;; [unrolled: 1-line block ×4, first 2 shown]
	ds_write_b96 v4, v[1:3] offset:1056
.LBB19_17:
	s_or_b64 exec, exec, s[30:31]
	s_load_dwordx4 s[12:15], s[4:5], 0xd8
	s_waitcnt lgkmcnt(0)
	s_mul_i32 s15, s9, s45
	s_lshl_b32 s15, s15, 8
	s_add_i32 s18, s45, 1
	s_mov_b32 s19, 0
	s_sub_i32 s16, s12, s15
	s_add_u32 s16, s16, 0xff
	s_addc_u32 s17, 0, 0
	s_lshr_b64 s[16:17], s[16:17], 8
	s_cmp_lt_u32 s18, s10
	s_cselect_b32 s9, s9, s16
	s_cmp_eq_u32 s9, 0
	s_waitcnt vmcnt(0)
	s_barrier
	s_cbranch_scc1 .LBB19_40
; %bb.18:
	s_mul_i32 s10, s44, s41
	s_sub_i32 s10, s11, s10
	s_add_i32 s16, s44, 1
	s_sub_i32 s17, s10, s41
	s_cmp_ge_u32 s10, s41
	s_cselect_b32 s16, s16, s44
	s_cselect_b32 s10, s17, s10
	s_add_i32 s17, s16, 1
	s_cmp_ge_u32 s10, s41
	s_cselect_b32 s10, s17, s16
	s_mul_i32 s16, s10, s41
	s_sub_i32 s16, s11, s16
	s_mul_i32 s16, s16, s29
	s_mul_i32 s10, s10, s28
	s_add_i32 s10, s10, s16
	s_mul_i32 s16, s43, s40
	s_sub_i32 s16, s11, s16
	s_add_i32 s17, s43, 1
	s_sub_i32 s18, s16, s40
	s_cmp_ge_u32 s16, s40
	s_cselect_b32 s17, s17, s43
	s_cselect_b32 s16, s18, s16
	s_add_i32 s18, s17, 1
	s_cmp_ge_u32 s16, s40
	s_cselect_b32 s16, s18, s17
	s_mul_i32 s17, s16, s40
	s_sub_i32 s17, s11, s17
	s_mul_i32 s17, s17, s27
	s_mul_i32 s16, s16, s26
	s_add_i32 s16, s16, s17
	;; [unrolled: 15-line block ×3, first 2 shown]
	s_add_u32 s10, s22, s10
	s_addc_u32 s11, s23, 0
	s_add_u32 s16, s20, s16
	v_mov_b32_e32 v5, 0
	s_addc_u32 s17, s21, 0
	s_lshl_b64 s[18:19], s[18:19], 3
	ds_read_b96 v[1:3], v5 offset:1056
	s_add_u32 s18, s6, s18
	s_addc_u32 s19, s7, s19
	v_lshrrev_b32_e32 v4, 1, v0
	s_bitcmp1_b32 s14, 0
	s_load_dword s14, s[4:5], 0xe8
	s_load_dword s21, s[4:5], 0x1c8
	v_and_b32_e32 v8, 0x7c, v4
	v_add_u32_e32 v4, -1, v0
	v_lshrrev_b32_e32 v10, 3, v4
	s_waitcnt lgkmcnt(0)
	v_add_u32_e32 v1, v1, v2
	v_lshrrev_b32_e32 v2, 3, v0
	v_and_b32_e32 v10, 0x1ffffffc, v10
	v_and_b32_e32 v2, 28, v2
	v_lshl_add_u32 v10, v4, 2, v10
	v_add_u32_e32 v4, s15, v0
	v_lshl_add_u32 v2, v0, 2, v2
	v_cmp_gt_u32_e64 s[4:5], 64, v0
	v_lshlrev_b32_e32 v9, 4, v0
	v_mul_lo_u32 v0, s14, v4
	s_movk_i32 s20, 0x80
	v_mbcnt_lo_u32_b32 v11, -1, 0
	v_add_u32_sdwa v7, sext(v6), s20 dst_sel:DWORD dst_unused:UNUSED_PAD src0_sel:BYTE_0 src1_sel:DWORD
	s_cselect_b64 s[6:7], -1, 0
	s_lshl_b32 s22, s14, 8
	v_mbcnt_hi_u32_b32 v11, -1, v11
                                        ; implicit-def: $vgpr12
	s_branch .LBB19_21
.LBB19_19:                              ;   in Loop: Header=BB19_21 Depth=1
	s_or_b64 exec, exec, s[14:15]
	v_add_u32_e32 v1, v15, v1
.LBB19_20:                              ;   in Loop: Header=BB19_21 Depth=1
	s_add_i32 s9, s9, -1
	v_add_u32_e32 v3, v14, v3
	v_add_u32_e32 v0, s22, v0
	s_cmp_lg_u32 s9, 0
	v_add_u32_e32 v4, 0x100, v4
	s_cbranch_scc0 .LBB19_40
.LBB19_21:                              ; =>This Inner Loop Header: Depth=1
	v_cmp_gt_u32_e32 vcc, s12, v4
	v_mov_b32_e32 v15, 0
	v_mov_b32_e32 v13, 0
	s_and_saveexec_b64 s[14:15], vcc
	s_cbranch_execz .LBB19_23
; %bb.22:                               ;   in Loop: Header=BB19_21 Depth=1
	global_load_ubyte v12, v0, s[10:11]
	s_waitcnt vmcnt(0)
	v_add_u32_sdwa v13, sext(v12), s20 dst_sel:DWORD dst_unused:UNUSED_PAD src0_sel:BYTE_0 src1_sel:DWORD
	v_cmp_gt_u32_e32 vcc, v13, v7
	v_cndmask_b32_e64 v14, 0, 1, vcc
	v_cmp_lt_u32_e32 vcc, v13, v7
	v_cndmask_b32_e64 v13, 0, 1, vcc
	v_cndmask_b32_e64 v13, v13, v14, s[6:7]
	v_cmp_eq_u16_sdwa s[24:25], v12, v6 src0_sel:DWORD src1_sel:BYTE_0
	v_and_b32_e32 v15, 1, v13
	v_cndmask_b32_e64 v13, 0, 1, s[24:25]
.LBB19_23:                              ;   in Loop: Header=BB19_21 Depth=1
	s_or_b64 exec, exec, s[14:15]
	ds_write_b32 v2, v15
	s_waitcnt vmcnt(0) lgkmcnt(0)
	s_barrier
	s_and_saveexec_b64 s[14:15], s[4:5]
	s_cbranch_execz .LBB19_25
; %bb.24:                               ;   in Loop: Header=BB19_21 Depth=1
	v_add_u32_e32 v14, v8, v9
	ds_read2_b32 v[16:17], v14 offset1:1
	ds_read2_b32 v[18:19], v14 offset0:2 offset1:3
	v_and_b32_e32 v20, 15, v11
	v_cmp_ne_u32_e32 vcc, 0, v20
	s_waitcnt lgkmcnt(1)
	v_add_u32_e32 v17, v17, v16
	s_waitcnt lgkmcnt(0)
	v_add3_u32 v17, v17, v18, v19
	v_bfe_i32 v19, v11, 4, 1
	; wave barrier
	s_nop 0
	v_mov_b32_dpp v18, v17 row_shr:1 row_mask:0xf bank_mask:0xf
	v_cndmask_b32_e32 v18, 0, v18, vcc
	v_add_u32_e32 v17, v18, v17
	v_cmp_lt_u32_e32 vcc, 1, v20
	s_nop 0
	v_mov_b32_dpp v18, v17 row_shr:2 row_mask:0xf bank_mask:0xf
	v_cndmask_b32_e32 v18, 0, v18, vcc
	v_add_u32_e32 v17, v17, v18
	v_cmp_lt_u32_e32 vcc, 3, v20
	s_nop 0
	v_mov_b32_dpp v18, v17 row_shr:4 row_mask:0xf bank_mask:0xf
	v_cndmask_b32_e32 v18, 0, v18, vcc
	v_add_u32_e32 v17, v17, v18
	v_cmp_lt_u32_e32 vcc, 7, v20
	s_nop 0
	v_mov_b32_dpp v18, v17 row_shr:8 row_mask:0xf bank_mask:0xf
	v_cndmask_b32_e32 v18, 0, v18, vcc
	v_add_u32_e32 v17, v17, v18
	v_cmp_lt_u32_e32 vcc, 31, v11
	s_nop 0
	v_mov_b32_dpp v18, v17 row_bcast:15 row_mask:0xf bank_mask:0xf
	v_and_b32_e32 v18, v19, v18
	v_add_u32_e32 v17, v17, v18
	v_and_b32_e32 v19, 64, v11
	s_nop 0
	v_mov_b32_dpp v18, v17 row_bcast:31 row_mask:0xf bank_mask:0xf
	v_cndmask_b32_e32 v18, 0, v18, vcc
	v_add_u32_e32 v17, v17, v18
	v_add_u32_e32 v18, -1, v11
	v_cmp_lt_i32_e32 vcc, v18, v19
	v_cndmask_b32_e32 v18, v18, v11, vcc
	v_lshlrev_b32_e32 v18, 2, v18
	ds_bpermute_b32 v17, v18, v17
	s_waitcnt lgkmcnt(0)
	v_add_u32_e32 v16, v17, v16
	v_cndmask_b32_e64 v18, v16, v15, s[2:3]
	ds_write_b32 v14, v18
	; wave barrier
	ds_read2_b32 v[16:17], v14 offset0:1 offset1:2
	ds_read_b32 v19, v14 offset:12
	s_waitcnt lgkmcnt(1)
	v_add_u32_e32 v16, v16, v18
	v_add_u32_e32 v17, v17, v16
	ds_write2_b32 v14, v16, v17 offset0:1 offset1:2
	s_waitcnt lgkmcnt(1)
	v_add_u32_e32 v16, v19, v17
	ds_write_b32 v14, v16 offset:12
.LBB19_25:                              ;   in Loop: Header=BB19_21 Depth=1
	s_or_b64 exec, exec, s[14:15]
	v_mov_b32_e32 v16, 0
	s_waitcnt lgkmcnt(0)
	s_barrier
	s_and_saveexec_b64 s[14:15], s[0:1]
; %bb.26:                               ;   in Loop: Header=BB19_21 Depth=1
	ds_read_b32 v16, v10
; %bb.27:                               ;   in Loop: Header=BB19_21 Depth=1
	s_or_b64 exec, exec, s[14:15]
	ds_read_b32 v14, v5 offset:1048
	v_cmp_ne_u32_e32 vcc, 0, v15
	s_waitcnt lgkmcnt(0)
	s_barrier
	s_and_saveexec_b64 s[14:15], vcc
	s_cbranch_execz .LBB19_29
; %bb.28:                               ;   in Loop: Header=BB19_21 Depth=1
	v_add_u32_e32 v15, v16, v3
	v_mul_lo_u32 v17, v15, s21
	v_mul_lo_u32 v15, v15, s8
	v_mov_b32_e32 v16, v5
	global_store_byte v17, v12, s[16:17]
	v_lshlrev_b64 v[15:16], 3, v[15:16]
	v_mov_b32_e32 v17, s19
	v_add_co_u32_e32 v15, vcc, s18, v15
	v_addc_co_u32_e32 v16, vcc, v17, v16, vcc
	global_store_dwordx2 v[15:16], v[4:5], off
.LBB19_29:                              ;   in Loop: Header=BB19_21 Depth=1
	s_or_b64 exec, exec, s[14:15]
	v_cmp_le_u32_e32 vcc, s13, v1
	s_cbranch_vccnz .LBB19_20
; %bb.30:                               ;   in Loop: Header=BB19_21 Depth=1
	ds_write_b32 v2, v13
	s_waitcnt vmcnt(0) lgkmcnt(0)
	s_barrier
	s_and_saveexec_b64 s[14:15], s[4:5]
	s_cbranch_execz .LBB19_32
; %bb.31:                               ;   in Loop: Header=BB19_21 Depth=1
	v_add_u32_e32 v19, v8, v9
	ds_read2_b32 v[15:16], v19 offset1:1
	ds_read2_b32 v[17:18], v19 offset0:2 offset1:3
	v_and_b32_e32 v20, 15, v11
	v_cmp_ne_u32_e32 vcc, 0, v20
	s_waitcnt lgkmcnt(1)
	v_add_u32_e32 v16, v16, v15
	s_waitcnt lgkmcnt(0)
	v_add3_u32 v16, v16, v17, v18
	v_bfe_i32 v18, v11, 4, 1
	; wave barrier
	s_nop 0
	v_mov_b32_dpp v17, v16 row_shr:1 row_mask:0xf bank_mask:0xf
	v_cndmask_b32_e32 v17, 0, v17, vcc
	v_add_u32_e32 v16, v17, v16
	v_cmp_lt_u32_e32 vcc, 1, v20
	s_nop 0
	v_mov_b32_dpp v17, v16 row_shr:2 row_mask:0xf bank_mask:0xf
	v_cndmask_b32_e32 v17, 0, v17, vcc
	v_add_u32_e32 v16, v16, v17
	v_cmp_lt_u32_e32 vcc, 3, v20
	;; [unrolled: 5-line block ×4, first 2 shown]
	s_nop 0
	v_mov_b32_dpp v17, v16 row_bcast:15 row_mask:0xf bank_mask:0xf
	v_and_b32_e32 v17, v18, v17
	v_add_u32_e32 v16, v16, v17
	v_and_b32_e32 v18, 64, v11
	s_nop 0
	v_mov_b32_dpp v17, v16 row_bcast:31 row_mask:0xf bank_mask:0xf
	v_cndmask_b32_e32 v17, 0, v17, vcc
	v_add_u32_e32 v16, v16, v17
	v_add_u32_e32 v17, -1, v11
	v_cmp_lt_i32_e32 vcc, v17, v18
	v_cndmask_b32_e32 v17, v17, v11, vcc
	v_lshlrev_b32_e32 v17, 2, v17
	ds_bpermute_b32 v16, v17, v16
	s_waitcnt lgkmcnt(0)
	v_add_u32_e32 v15, v16, v15
	v_cndmask_b32_e64 v17, v15, v13, s[2:3]
	ds_write_b32 v19, v17
	; wave barrier
	ds_read2_b32 v[15:16], v19 offset0:1 offset1:2
	ds_read_b32 v18, v19 offset:12
	s_waitcnt lgkmcnt(1)
	v_add_u32_e32 v15, v15, v17
	v_add_u32_e32 v16, v16, v15
	ds_write2_b32 v19, v15, v16 offset0:1 offset1:2
	s_waitcnt lgkmcnt(1)
	v_add_u32_e32 v15, v18, v16
	ds_write_b32 v19, v15 offset:12
.LBB19_32:                              ;   in Loop: Header=BB19_21 Depth=1
	s_or_b64 exec, exec, s[14:15]
	v_mov_b32_e32 v16, 0
	s_waitcnt lgkmcnt(0)
	s_barrier
	s_and_saveexec_b64 s[14:15], s[0:1]
; %bb.33:                               ;   in Loop: Header=BB19_21 Depth=1
	ds_read_b32 v16, v10
; %bb.34:                               ;   in Loop: Header=BB19_21 Depth=1
	s_or_b64 exec, exec, s[14:15]
	ds_read_b32 v15, v5 offset:1048
	v_cmp_ne_u32_e32 vcc, 0, v13
	s_waitcnt lgkmcnt(0)
	s_barrier
	s_and_saveexec_b64 s[14:15], vcc
	s_cbranch_execz .LBB19_19
; %bb.35:                               ;   in Loop: Header=BB19_21 Depth=1
	v_add_u32_e32 v13, v16, v1
	v_cmp_gt_u32_e32 vcc, s13, v13
	s_and_b64 exec, exec, vcc
	s_cbranch_execz .LBB19_19
; %bb.36:                               ;   in Loop: Header=BB19_21 Depth=1
	v_mul_lo_u32 v16, v13, s8
	v_mov_b32_e32 v17, v5
	v_mul_lo_u32 v18, v13, s21
	v_mov_b32_e32 v13, s19
	v_lshlrev_b64 v[16:17], 3, v[16:17]
	global_store_byte v18, v12, s[16:17]
	v_add_co_u32_e32 v16, vcc, s18, v16
	v_addc_co_u32_e32 v17, vcc, v13, v17, vcc
	global_store_dwordx2 v[16:17], v[4:5], off
	s_branch .LBB19_19
.LBB19_37:                              ;   in Loop: Header=BB19_38 Depth=1
	s_add_u32 s16, s16, 4
	s_addc_u32 s17, s17, 0
	s_waitcnt lgkmcnt(0)
	s_add_i32 s46, s15, s46
	s_add_u32 s18, s18, 4
	s_addc_u32 s19, s19, 0
	s_add_i32 s14, s14, 1
	s_cmp_lt_u32 s14, s10
	s_cbranch_scc0 .LBB19_16
.LBB19_38:                              ; =>This Inner Loop Header: Depth=1
	s_load_dword s15, s[16:17], 0x0
	s_cmp_ge_u32 s14, s45
	s_cbranch_scc1 .LBB19_37
; %bb.39:                               ;   in Loop: Header=BB19_38 Depth=1
	s_load_dword s34, s[18:19], 0x0
	s_waitcnt lgkmcnt(0)
	s_add_i32 s13, s15, s13
	s_add_i32 s12, s34, s12
	s_branch .LBB19_37
.LBB19_40:
	s_endpgm
	.section	.rodata,"a",@progbits
	.p2align	6, 0x0
	.amdhsa_kernel _ZN2at6native6mbtopk10gatherTopKIajLi2EEEvNS_4cuda6detail10TensorInfoIKT_T0_EES8_S8_bjS8_NS5_IS6_S8_EES8_NS5_IlS8_EES8_jjPS6_PjSD_j
		.amdhsa_group_segment_fixed_size 1068
		.amdhsa_private_segment_fixed_size 0
		.amdhsa_kernarg_size 984
		.amdhsa_user_sgpr_count 6
		.amdhsa_user_sgpr_private_segment_buffer 1
		.amdhsa_user_sgpr_dispatch_ptr 0
		.amdhsa_user_sgpr_queue_ptr 0
		.amdhsa_user_sgpr_kernarg_segment_ptr 1
		.amdhsa_user_sgpr_dispatch_id 0
		.amdhsa_user_sgpr_flat_scratch_init 0
		.amdhsa_user_sgpr_private_segment_size 0
		.amdhsa_uses_dynamic_stack 0
		.amdhsa_system_sgpr_private_segment_wavefront_offset 0
		.amdhsa_system_sgpr_workgroup_id_x 1
		.amdhsa_system_sgpr_workgroup_id_y 1
		.amdhsa_system_sgpr_workgroup_id_z 1
		.amdhsa_system_sgpr_workgroup_info 0
		.amdhsa_system_vgpr_workitem_id 0
		.amdhsa_next_free_vgpr 21
		.amdhsa_next_free_sgpr 50
		.amdhsa_reserve_vcc 1
		.amdhsa_reserve_flat_scratch 0
		.amdhsa_float_round_mode_32 0
		.amdhsa_float_round_mode_16_64 0
		.amdhsa_float_denorm_mode_32 3
		.amdhsa_float_denorm_mode_16_64 3
		.amdhsa_dx10_clamp 1
		.amdhsa_ieee_mode 1
		.amdhsa_fp16_overflow 0
		.amdhsa_exception_fp_ieee_invalid_op 0
		.amdhsa_exception_fp_denorm_src 0
		.amdhsa_exception_fp_ieee_div_zero 0
		.amdhsa_exception_fp_ieee_overflow 0
		.amdhsa_exception_fp_ieee_underflow 0
		.amdhsa_exception_fp_ieee_inexact 0
		.amdhsa_exception_int_div_zero 0
	.end_amdhsa_kernel
	.section	.text._ZN2at6native6mbtopk10gatherTopKIajLi2EEEvNS_4cuda6detail10TensorInfoIKT_T0_EES8_S8_bjS8_NS5_IS6_S8_EES8_NS5_IlS8_EES8_jjPS6_PjSD_j,"axG",@progbits,_ZN2at6native6mbtopk10gatherTopKIajLi2EEEvNS_4cuda6detail10TensorInfoIKT_T0_EES8_S8_bjS8_NS5_IS6_S8_EES8_NS5_IlS8_EES8_jjPS6_PjSD_j,comdat
.Lfunc_end19:
	.size	_ZN2at6native6mbtopk10gatherTopKIajLi2EEEvNS_4cuda6detail10TensorInfoIKT_T0_EES8_S8_bjS8_NS5_IS6_S8_EES8_NS5_IlS8_EES8_jjPS6_PjSD_j, .Lfunc_end19-_ZN2at6native6mbtopk10gatherTopKIajLi2EEEvNS_4cuda6detail10TensorInfoIKT_T0_EES8_S8_bjS8_NS5_IS6_S8_EES8_NS5_IlS8_EES8_jjPS6_PjSD_j
                                        ; -- End function
	.set _ZN2at6native6mbtopk10gatherTopKIajLi2EEEvNS_4cuda6detail10TensorInfoIKT_T0_EES8_S8_bjS8_NS5_IS6_S8_EES8_NS5_IlS8_EES8_jjPS6_PjSD_j.num_vgpr, 21
	.set _ZN2at6native6mbtopk10gatherTopKIajLi2EEEvNS_4cuda6detail10TensorInfoIKT_T0_EES8_S8_bjS8_NS5_IS6_S8_EES8_NS5_IlS8_EES8_jjPS6_PjSD_j.num_agpr, 0
	.set _ZN2at6native6mbtopk10gatherTopKIajLi2EEEvNS_4cuda6detail10TensorInfoIKT_T0_EES8_S8_bjS8_NS5_IS6_S8_EES8_NS5_IlS8_EES8_jjPS6_PjSD_j.numbered_sgpr, 50
	.set _ZN2at6native6mbtopk10gatherTopKIajLi2EEEvNS_4cuda6detail10TensorInfoIKT_T0_EES8_S8_bjS8_NS5_IS6_S8_EES8_NS5_IlS8_EES8_jjPS6_PjSD_j.num_named_barrier, 0
	.set _ZN2at6native6mbtopk10gatherTopKIajLi2EEEvNS_4cuda6detail10TensorInfoIKT_T0_EES8_S8_bjS8_NS5_IS6_S8_EES8_NS5_IlS8_EES8_jjPS6_PjSD_j.private_seg_size, 0
	.set _ZN2at6native6mbtopk10gatherTopKIajLi2EEEvNS_4cuda6detail10TensorInfoIKT_T0_EES8_S8_bjS8_NS5_IS6_S8_EES8_NS5_IlS8_EES8_jjPS6_PjSD_j.uses_vcc, 1
	.set _ZN2at6native6mbtopk10gatherTopKIajLi2EEEvNS_4cuda6detail10TensorInfoIKT_T0_EES8_S8_bjS8_NS5_IS6_S8_EES8_NS5_IlS8_EES8_jjPS6_PjSD_j.uses_flat_scratch, 0
	.set _ZN2at6native6mbtopk10gatherTopKIajLi2EEEvNS_4cuda6detail10TensorInfoIKT_T0_EES8_S8_bjS8_NS5_IS6_S8_EES8_NS5_IlS8_EES8_jjPS6_PjSD_j.has_dyn_sized_stack, 0
	.set _ZN2at6native6mbtopk10gatherTopKIajLi2EEEvNS_4cuda6detail10TensorInfoIKT_T0_EES8_S8_bjS8_NS5_IS6_S8_EES8_NS5_IlS8_EES8_jjPS6_PjSD_j.has_recursion, 0
	.set _ZN2at6native6mbtopk10gatherTopKIajLi2EEEvNS_4cuda6detail10TensorInfoIKT_T0_EES8_S8_bjS8_NS5_IS6_S8_EES8_NS5_IlS8_EES8_jjPS6_PjSD_j.has_indirect_call, 0
	.section	.AMDGPU.csdata,"",@progbits
; Kernel info:
; codeLenInByte = 2324
; TotalNumSgprs: 54
; NumVgprs: 21
; ScratchSize: 0
; MemoryBound: 0
; FloatMode: 240
; IeeeMode: 1
; LDSByteSize: 1068 bytes/workgroup (compile time only)
; SGPRBlocks: 6
; VGPRBlocks: 5
; NumSGPRsForWavesPerEU: 54
; NumVGPRsForWavesPerEU: 21
; Occupancy: 10
; WaveLimiterHint : 1
; COMPUTE_PGM_RSRC2:SCRATCH_EN: 0
; COMPUTE_PGM_RSRC2:USER_SGPR: 6
; COMPUTE_PGM_RSRC2:TRAP_HANDLER: 0
; COMPUTE_PGM_RSRC2:TGID_X_EN: 1
; COMPUTE_PGM_RSRC2:TGID_Y_EN: 1
; COMPUTE_PGM_RSRC2:TGID_Z_EN: 1
; COMPUTE_PGM_RSRC2:TIDIG_COMP_CNT: 0
	.section	.text._ZN2at6native6sbtopk10gatherTopKIajLi2ELb0EEEvNS_4cuda6detail10TensorInfoIKT_T0_EES8_S8_bS8_S8_NS5_IS6_S8_EES8_NS5_IlS8_EES8_PS6_,"axG",@progbits,_ZN2at6native6sbtopk10gatherTopKIajLi2ELb0EEEvNS_4cuda6detail10TensorInfoIKT_T0_EES8_S8_bS8_S8_NS5_IS6_S8_EES8_NS5_IlS8_EES8_PS6_,comdat
	.protected	_ZN2at6native6sbtopk10gatherTopKIajLi2ELb0EEEvNS_4cuda6detail10TensorInfoIKT_T0_EES8_S8_bS8_S8_NS5_IS6_S8_EES8_NS5_IlS8_EES8_PS6_ ; -- Begin function _ZN2at6native6sbtopk10gatherTopKIajLi2ELb0EEEvNS_4cuda6detail10TensorInfoIKT_T0_EES8_S8_bS8_S8_NS5_IS6_S8_EES8_NS5_IlS8_EES8_PS6_
	.globl	_ZN2at6native6sbtopk10gatherTopKIajLi2ELb0EEEvNS_4cuda6detail10TensorInfoIKT_T0_EES8_S8_bS8_S8_NS5_IS6_S8_EES8_NS5_IlS8_EES8_PS6_
	.p2align	8
	.type	_ZN2at6native6sbtopk10gatherTopKIajLi2ELb0EEEvNS_4cuda6detail10TensorInfoIKT_T0_EES8_S8_bS8_S8_NS5_IS6_S8_EES8_NS5_IlS8_EES8_PS6_,@function
_ZN2at6native6sbtopk10gatherTopKIajLi2ELb0EEEvNS_4cuda6detail10TensorInfoIKT_T0_EES8_S8_bS8_S8_NS5_IS6_S8_EES8_NS5_IlS8_EES8_PS6_: ; @_ZN2at6native6sbtopk10gatherTopKIajLi2ELb0EEEvNS_4cuda6detail10TensorInfoIKT_T0_EES8_S8_bS8_S8_NS5_IS6_S8_EES8_NS5_IlS8_EES8_PS6_
; %bb.0:
	s_load_dwordx2 s[14:15], s[4:5], 0x2b8
	s_load_dwordx4 s[36:39], s[4:5], 0xd8
	s_add_u32 s12, s4, 0x2b8
	s_addc_u32 s13, s5, 0
	s_waitcnt lgkmcnt(0)
	s_mul_i32 s0, s15, s8
	s_add_i32 s0, s0, s7
	s_mul_i32 s0, s0, s14
	s_add_i32 s16, s0, s6
	s_cmp_ge_u32 s16, s39
	s_cbranch_scc1 .LBB20_411
; %bb.1:
	s_load_dwordx2 s[8:9], s[4:5], 0x23c
                                        ; implicit-def: $vgpr51 : SGPR spill to VGPR lane
	s_load_dword s15, s[4:5], 0xc
	s_load_dword s52, s[4:5], 0xe8
	s_load_dwordx2 s[2:3], s[4:5], 0x6c
	s_load_dwordx2 s[0:1], s[4:5], 0x0
	s_load_dword s10, s[4:5], 0x1dc
	s_load_dword s11, s[4:5], 0xfc
	s_waitcnt lgkmcnt(0)
	v_cvt_f32_u32_e32 v1, s15
	s_mov_b32 s54, 0
	v_writelane_b32 v51, s8, 0
	v_writelane_b32 v51, s9, 1
	s_load_dwordx2 s[8:9], s[4:5], 0x1d0
	v_rcp_iflag_f32_e32 v1, v1
	v_cvt_f32_u32_e32 v2, s11
	v_mul_f32_e32 v1, 0x4f7ffffe, v1
	s_waitcnt lgkmcnt(0)
	v_writelane_b32 v51, s8, 2
	v_writelane_b32 v51, s9, 3
	s_load_dwordx2 s[8:9], s[4:5], 0x15c
	v_cvt_u32_f32_e32 v1, v1
	v_rcp_iflag_f32_e32 v2, v2
	s_waitcnt lgkmcnt(0)
	v_writelane_b32 v51, s8, 4
	v_writelane_b32 v51, s9, 5
	;; [unrolled: 1-line block ×4, first 2 shown]
	s_load_dwordx2 s[4:5], s[4:5], 0xf0
	v_readfirstlane_b32 s7, v1
	v_mul_f32_e32 v1, 0x4f7ffffe, v2
	v_cvt_f32_u32_e32 v2, s10
	v_cvt_u32_f32_e32 v1, v1
	s_waitcnt lgkmcnt(0)
	v_writelane_b32 v51, s4, 8
	v_writelane_b32 v51, s5, 9
	v_rcp_iflag_f32_e32 v2, v2
	s_sub_i32 s5, 0, s15
	s_mul_i32 s5, s5, s7
	s_mul_hi_u32 s5, s7, s5
	s_add_i32 s7, s7, s5
	v_readfirstlane_b32 s8, v1
	v_mul_f32_e32 v1, 0x4f7ffffe, v2
	s_mul_hi_u32 s5, s16, s7
	s_sub_i32 s7, 0, s11
	v_cvt_u32_f32_e32 v1, v1
	s_mul_i32 s7, s7, s8
	s_mul_hi_u32 s7, s8, s7
	s_add_i32 s8, s8, s7
	s_mul_hi_u32 s4, s16, s8
	s_sub_i32 s7, 0, s10
	v_readfirstlane_b32 s8, v1
	s_mul_i32 s7, s7, s8
	v_writelane_b32 v51, s11, 10
	s_mul_hi_u32 s7, s8, s7
	v_writelane_b32 v51, s4, 11
	s_add_i32 s8, s8, s7
	v_writelane_b32 v51, s10, 12
	s_mul_hi_u32 s4, s16, s8
	v_writelane_b32 v51, s4, 13
	v_cmp_eq_u32_e64 s[10:11], 0, v0
	s_mov_b64 s[8:9], exec
	v_writelane_b32 v51, s10, 14
	v_writelane_b32 v51, s11, 15
	s_and_b64 s[10:11], s[8:9], s[10:11]
	s_mov_b64 exec, s[10:11]
; %bb.2:
	v_mov_b32_e32 v1, 0
	v_mov_b32_e32 v2, s36
	;; [unrolled: 1-line block ×3, first 2 shown]
	ds_write_b96 v1, v[1:3] offset:4096
; %bb.3:
	s_or_b64 exec, exec, s[8:9]
	s_mul_i32 s7, s5, s15
	s_sub_i32 s7, s16, s7
	s_add_i32 s8, s5, 1
	s_sub_i32 s9, s7, s15
	s_cmp_ge_u32 s7, s15
	s_cselect_b32 s5, s8, s5
	s_cselect_b32 s7, s9, s7
	s_add_i32 s8, s5, 1
	s_cmp_ge_u32 s7, s15
	s_cselect_b32 s5, s8, s5
	s_mul_i32 s4, s5, s15
	s_sub_i32 s4, s16, s4
	s_mul_i32 s4, s4, s3
	s_mul_i32 s2, s5, s2
	s_add_i32 s2, s2, s4
	s_add_u32 s40, s0, s2
	s_addc_u32 s41, s1, 0
	s_waitcnt lgkmcnt(0)
	s_barrier
	s_load_dword s0, s[12:13], 0xc
	s_bitcmp1_b32 s38, 0
	v_writelane_b32 v51, s16, 16
	s_cselect_b64 s[2:3], -1, 0
	v_writelane_b32 v51, s2, 17
	v_writelane_b32 v51, s3, 18
	s_xor_b64 s[2:3], s[2:3], -1
	v_mbcnt_lo_u32_b32 v1, -1, 0
	v_writelane_b32 v51, s2, 19
	v_mbcnt_hi_u32_b32 v21, -1, v1
	v_writelane_b32 v51, s3, 20
	s_waitcnt lgkmcnt(0)
	s_and_b32 s33, s0, 0xffff
	v_cmp_gt_u32_e32 vcc, 64, v0
	v_cmp_gt_i32_e64 s[2:3], 4, v21
	s_lshl_b32 s55, s33, 2
	s_bfe_u32 s4, s0, 0xa0006
	s_and_b64 s[2:3], vcc, s[2:3]
	v_writelane_b32 v51, s2, 21
	s_cmpk_gt_u32 s36, 0xc00
	v_writelane_b32 v51, s3, 22
	s_cselect_b64 s[2:3], -1, 0
	v_writelane_b32 v51, s2, 23
	v_writelane_b32 v51, s3, 24
	v_cmp_gt_u32_e64 s[2:3], s36, v0
	v_writelane_b32 v51, s2, 25
	s_cmp_gt_u32 s33, 63
	v_writelane_b32 v51, s3, 26
	s_cselect_b64 s[2:3], -1, 0
	v_mul_lo_u32 v22, s52, v0
	v_writelane_b32 v51, s2, 27
	v_writelane_b32 v51, s3, 28
	v_cmp_gt_u32_e64 s[2:3], 2, v0
	v_writelane_b32 v51, s2, 29
	v_writelane_b32 v51, s3, 30
	s_add_i32 s2, s33, -1
	v_mov_b32_e32 v1, s41
	v_add_co_u32_e32 v13, vcc, s40, v22
	v_writelane_b32 v51, s2, 31
	s_add_i32 s2, s2, s36
	v_addc_co_u32_e32 v14, vcc, 0, v1, vcc
	v_lshrrev_b32_e32 v1, 2, v0
	s_cmp_lt_u32 s6, s14
	v_and_b32_e32 v1, 0xf0, v1
	s_cselect_b32 s3, 12, 18
	v_or_b32_e32 v24, 0xc00, v1
	s_add_u32 s6, s12, s3
	v_add_u32_e32 v1, 2, v0
	s_addc_u32 s7, s13, 0
	v_max_u32_e32 v1, s36, v1
	v_lshlrev_b64 v[3:4], v21, -1
	v_writelane_b32 v51, s6, 32
	v_xad_u32 v1, v0, -1, v1
	v_writelane_b32 v51, s7, 33
	v_cmp_lt_u32_e64 s[6:7], 31, v1
	v_not_b32_e32 v19, v3
	v_add_u32_e32 v3, -4, v1
	v_writelane_b32 v51, s6, 34
	v_not_b32_e32 v18, v4
	v_lshrrev_b32_e32 v4, 2, v3
	v_writelane_b32 v51, s7, 35
	v_cmp_lt_u32_e64 s[6:7], 11, v3
	v_cvt_f32_u32_e32 v3, s55
	v_writelane_b32 v51, s52, 36
	v_writelane_b32 v51, s52, 37
	v_add_u32_e32 v4, 1, v4
	v_writelane_b32 v51, s52, 38
	v_rcp_iflag_f32_e32 v3, v3
	v_and_b32_e32 v5, 3, v4
	v_writelane_b32 v51, s6, 39
	s_add_i32 s3, s4, -1
	v_writelane_b32 v51, s7, 40
	v_cmp_ne_u32_e64 s[6:7], 0, v5
	s_bfe_u32 s5, s33, 0x30006
	s_and_b32 s3, s3, 0xffff
	v_writelane_b32 v51, s6, 41
	s_cmp_gt_u32 s3, 6
	v_writelane_b32 v51, s7, 42
	s_cselect_b64 s[6:7], -1, 0
	v_mul_f32_e32 v3, 0x4f7ffffe, v3
	v_writelane_b32 v51, s6, 43
	s_and_b32 s21, s4, 0x3f8
	v_cvt_u32_f32_e32 v3, v3
	v_writelane_b32 v51, s7, 44
	s_cmp_lg_u32 s5, 0
	v_writelane_b32 v51, s5, 45
	s_cselect_b64 s[4:5], -1, 0
	v_writelane_b32 v51, s4, 46
	v_writelane_b32 v51, s5, 47
	s_sub_i32 s3, 0, s55
	v_readfirstlane_b32 s4, v3
	s_mul_i32 s3, s3, s4
	s_mul_hi_u32 s3, s4, s3
	s_add_i32 s3, s4, s3
	v_writelane_b32 v51, s3, 48
	s_mul_hi_u32 s3, s36, s3
	s_mul_i32 s3, s3, s55
	v_cvt_f32_u32_e32 v3, s33
	s_sub_i32 s3, s36, s3
	s_sub_i32 s4, s3, s55
	s_cmp_ge_u32 s3, s55
	s_cselect_b32 s3, s4, s3
	v_rcp_iflag_f32_e32 v3, v3
	s_sub_i32 s4, s3, s55
	s_cmp_ge_u32 s3, s55
	s_cselect_b32 s3, s4, s3
	v_lshlrev_b32_e32 v20, 2, v0
	s_sub_i32 s11, s36, s3
	v_mul_f32_e32 v3, 0x4f7ffffe, v3
	v_cmp_gt_u32_e64 s[4:5], s11, v20
	v_cvt_u32_f32_e32 v3, v3
	v_writelane_b32 v51, s4, 49
	v_add_u32_e32 v28, s11, v0
	v_writelane_b32 v51, s5, 50
	v_cmp_gt_u32_e64 s[4:5], s36, v28
	v_writelane_b32 v51, s4, 51
	v_writelane_b32 v51, s5, 52
	s_sub_i32 s4, 0, s33
	v_readfirstlane_b32 s5, v3
	s_mul_i32 s4, s4, s5
	s_mul_hi_u32 s4, s5, s4
	s_add_i32 s4, s5, s4
	v_writelane_b32 v51, s4, 53
	s_mul_hi_u32 s4, s2, s4
	s_mul_i32 s4, s4, s33
	s_sub_i32 s4, s2, s4
	s_sub_i32 s5, s4, s33
	s_cmp_ge_u32 s4, s33
	v_mul_lo_u32 v3, s52, v20
	s_cselect_b32 s4, s5, s4
	s_sub_i32 s5, s4, s33
	s_cmp_ge_u32 s4, s33
	s_cselect_b32 s4, s5, s4
	v_add_u32_e32 v31, s52, v3
	v_or_b32_e32 v3, 2, v20
	s_sub_i32 s4, s2, s4
	v_mul_lo_u32 v32, s52, v3
	v_or_b32_e32 v3, 3, v20
	s_add_i32 s2, s33, s36
	v_and_b32_e32 v27, 0x7ffffffc, v4
	v_mul_lo_u32 v4, v28, s52
	v_mul_lo_u32 v33, s52, v3
	v_add_u32_e32 v3, s2, v0
	v_subrev_u32_e32 v3, s3, v3
	v_cmp_gt_u32_e64 s[6:7], s4, v0
	v_mul_lo_u32 v35, s52, v3
	v_and_b32_e32 v25, -4, v1
	v_writelane_b32 v51, s6, 54
	v_lshlrev_b32_e32 v2, 2, v21
	v_mov_b32_e32 v6, s41
	v_add_co_u32_e32 v15, vcc, s40, v4
	v_writelane_b32 v51, s7, 55
	s_mul_i32 s53, s52, s33
	v_cmp_ne_u32_e64 s[2:3], v1, v25
	v_cmp_eq_u32_e64 s[0:1], 0, v21
	v_mov_b32_e32 v23, 0
	v_and_b32_e32 v17, 0x100, v2
	v_add_u32_e32 v26, v0, v25
	s_mov_b32 s10, 6
	v_addc_co_u32_e32 v16, vcc, 0, v6, vcc
	v_lshlrev_b32_e32 v30, 2, v5
	s_lshl_b32 s5, s53, 2
	v_lshlrev_b32_e32 v34, 2, v22
	v_or_b32_e32 v36, 0xc00, v2
	s_mov_b64 s[62:63], 0
	v_mov_b32_e32 v40, s37
	s_movk_i32 s18, 0x80
	v_mov_b32_e32 v37, 8
	v_mov_b32_e32 v39, 0
	;; [unrolled: 1-line block ×4, first 2 shown]
	v_writelane_b32 v51, s2, 56
                                        ; implicit-def: $sgpr64_sgpr65
                                        ; implicit-def: $sgpr66_sgpr67
                                        ; implicit-def: $sgpr70_sgpr71
                                        ; implicit-def: $sgpr72_sgpr73
                                        ; implicit-def: $sgpr68_sgpr69
                                        ; implicit-def: $sgpr74_sgpr75
                                        ; implicit-def: $sgpr76_sgpr77
                                        ; implicit-def: $sgpr78_sgpr79
	v_writelane_b32 v51, s3, 57
                                        ; implicit-def: $sgpr80_sgpr81
                                        ; implicit-def: $sgpr82_sgpr83
	s_branch .LBB20_6
.LBB20_4:                               ;   in Loop: Header=BB20_6 Depth=1
	s_or_b64 exec, exec, s[14:15]
	s_andn2_b64 s[8:9], s[82:83], exec
	s_and_b64 s[12:13], s[12:13], exec
	s_or_b64 s[82:83], s[8:9], s[12:13]
	s_andn2_b64 s[80:81], s[80:81], exec
	s_andn2_b64 s[78:79], s[78:79], exec
	;; [unrolled: 1-line block ×4, first 2 shown]
	s_orn2_b64 s[6:7], s[6:7], exec
	v_mov_b32_e32 v40, v4
.LBB20_5:                               ;   in Loop: Header=BB20_6 Depth=1
	s_or_b64 exec, exec, s[2:3]
	s_and_b64 s[2:3], exec, s[6:7]
	s_or_b64 s[62:63], s[2:3], s[62:63]
	s_andn2_b64 s[2:3], s[68:69], exec
	s_and_b64 s[6:7], s[82:83], exec
	s_or_b64 s[68:69], s[2:3], s[6:7]
	s_andn2_b64 s[2:3], s[72:73], exec
	s_and_b64 s[6:7], s[80:81], exec
	;; [unrolled: 3-line block ×5, first 2 shown]
	s_or_b64 s[64:65], s[2:3], s[6:7]
	s_andn2_b64 exec, exec, s[62:63]
	s_cbranch_execz .LBB20_407
.LBB20_6:                               ; =>This Loop Header: Depth=1
                                        ;     Child Loop BB20_11 Depth 2
                                        ;     Child Loop BB20_32 Depth 2
	;; [unrolled: 1-line block ×26, first 2 shown]
	ds_read_b64 v[1:2], v23 offset:4096
	s_waitcnt lgkmcnt(0)
	v_readfirstlane_b32 s16, v1
	s_cmp_lg_u32 s16, 0
	s_cbranch_scc1 .LBB20_51
; %bb.7:                                ;   in Loop: Header=BB20_6 Depth=1
	v_readlane_b32 s2, v51, 23
	v_readlane_b32 s3, v51, 24
	s_and_b64 vcc, exec, s[2:3]
	s_cbranch_vccz .LBB20_19
; %bb.8:                                ;   in Loop: Header=BB20_6 Depth=1
	s_movk_i32 s6, 0xc01
	v_cmp_gt_u32_e32 vcc, s6, v2
	s_mov_b64 s[2:3], 0
	s_mov_b64 s[6:7], 0
	s_cbranch_vccz .LBB20_20
; %bb.9:                                ;   in Loop: Header=BB20_6 Depth=1
	v_readlane_b32 s6, v51, 32
	v_readlane_b32 s7, v51, 33
	s_nop 4
	global_load_ushort v1, v23, s[6:7]
	global_load_ubyte v4, v[13:14], off
	s_mov_b64 s[12:13], 0
	v_mov_b32_e32 v5, v0
	s_waitcnt vmcnt(1)
	v_add_u32_e32 v2, v0, v1
	v_mul_lo_u32 v2, s52, v2
	v_mul_lo_u32 v3, s52, v1
	s_branch .LBB20_11
.LBB20_10:                              ;   in Loop: Header=BB20_11 Depth=2
	s_or_b64 exec, exec, s[6:7]
	v_add_u32_e32 v2, v2, v3
	v_mov_b32_e32 v4, v6
	s_andn2_b64 exec, exec, s[12:13]
	s_cbranch_execz .LBB20_26
.LBB20_11:                              ;   Parent Loop BB20_6 Depth=1
                                        ; =>  This Inner Loop Header: Depth=2
	v_add_u32_e32 v5, v5, v1
	v_cmp_gt_u32_e64 s[6:7], s36, v5
	v_cmp_le_u32_e32 vcc, s36, v5
	s_waitcnt lgkmcnt(0)
	v_mov_b32_e32 v7, 0
	v_mov_b32_e32 v6, 0
	s_and_saveexec_b64 s[8:9], s[6:7]
	s_cbranch_execz .LBB20_13
; %bb.12:                               ;   in Loop: Header=BB20_11 Depth=2
	global_load_ubyte v6, v2, s[40:41]
.LBB20_13:                              ;   in Loop: Header=BB20_11 Depth=2
	s_or_b64 exec, exec, s[8:9]
	s_waitcnt vmcnt(0)
	v_add_u32_sdwa v8, sext(v4), s18 dst_sel:DWORD dst_unused:UNUSED_PAD src0_sel:BYTE_0 src1_sel:DWORD
	v_and_b32_e32 v8, v8, v38
	v_cmp_eq_u32_e64 s[26:27], v8, v29
	s_cmp_lg_u64 s[26:27], 0
	s_cselect_b64 s[6:7], -1, 0
	s_and_b64 s[6:7], s[0:1], s[6:7]
	s_and_saveexec_b64 s[14:15], s[6:7]
	s_cbranch_execz .LBB20_17
; %bb.14:                               ;   in Loop: Header=BB20_11 Depth=2
	s_mov_b64 s[16:17], exec
	v_mbcnt_lo_u32_b32 v7, s16, 0
	v_mbcnt_hi_u32_b32 v7, s17, v7
	s_bcnt1_i32_b64 s19, s[26:27]
	v_cmp_eq_u32_e64 s[6:7], 0, v7
                                        ; implicit-def: $vgpr8
	s_and_saveexec_b64 s[8:9], s[6:7]
; %bb.15:                               ;   in Loop: Header=BB20_11 Depth=2
	s_bcnt1_i32_b64 s6, s[16:17]
	s_mul_i32 s6, s19, s6
	v_mov_b32_e32 v8, s6
	ds_add_rtn_u32 v8, v23, v8 offset:4104
; %bb.16:                               ;   in Loop: Header=BB20_11 Depth=2
	s_or_b64 exec, exec, s[8:9]
	s_waitcnt lgkmcnt(0)
	v_readfirstlane_b32 s6, v8
	v_mov_b32_e32 v8, s6
	v_mad_u32_u24 v7, s19, v7, v8
.LBB20_17:                              ;   in Loop: Header=BB20_11 Depth=2
	s_or_b64 exec, exec, s[14:15]
	ds_bpermute_b32 v7, v17, v7
	s_and_b64 s[6:7], exec, vcc
	s_or_b64 s[12:13], s[6:7], s[12:13]
	s_and_saveexec_b64 s[6:7], s[26:27]
	s_cbranch_execz .LBB20_10
; %bb.18:                               ;   in Loop: Header=BB20_11 Depth=2
	v_and_b32_e32 v9, s26, v19
	v_and_b32_e32 v8, s27, v18
	v_bcnt_u32_b32 v9, v9, 0
	v_bcnt_u32_b32 v8, v8, v9
	s_waitcnt lgkmcnt(0)
	v_add_u32_e32 v7, v7, v8
	ds_write_b8 v7, v4
	s_branch .LBB20_10
.LBB20_19:                              ;   in Loop: Header=BB20_6 Depth=1
	s_mov_b64 s[2:3], -1
	s_mov_b64 s[6:7], 0
.LBB20_20:                              ;   in Loop: Header=BB20_6 Depth=1
	s_and_b64 vcc, exec, s[2:3]
	s_cbranch_vccz .LBB20_49
.LBB20_21:                              ;   in Loop: Header=BB20_6 Depth=1
	s_mov_b64 s[26:27], exec
	v_readlane_b32 s2, v51, 25
	v_readlane_b32 s3, v51, 26
	s_and_b64 s[2:3], s[26:27], s[2:3]
	s_mov_b64 exec, s[2:3]
	s_cbranch_execz .LBB20_46
; %bb.22:                               ;   in Loop: Header=BB20_6 Depth=1
	v_readlane_b32 s2, v51, 32
	v_readlane_b32 s3, v51, 33
	s_nop 4
	global_load_ushort v1, v23, s[2:3]
	global_load_ubyte v42, v[13:14], off
	v_mov_b32_e32 v2, v0
	s_waitcnt vmcnt(1)
	v_readfirstlane_b32 s8, v1
	v_add_u32_e32 v1, v0, v1
	v_cmp_gt_u32_e32 vcc, s36, v1
	s_and_saveexec_b64 s[30:31], vcc
	s_cbranch_execz .LBB20_45
; %bb.23:                               ;   in Loop: Header=BB20_6 Depth=1
	s_mov_b64 s[6:7], 0
	s_mul_i32 s9, s52, s8
                                        ; implicit-def: $vgpr2
                                        ; implicit-def: $vgpr5
                                        ; implicit-def: $vgpr4
                                        ; implicit-def: $vgpr3
	s_mov_b64 s[2:3], exec
	v_readlane_b32 s12, v51, 34
	v_readlane_b32 s13, v51, 35
	s_and_b64 s[12:13], s[2:3], s[12:13]
	s_xor_b64 s[34:35], s[12:13], s[2:3]
	s_mov_b64 exec, s[12:13]
	s_cbranch_execnz .LBB20_29
; %bb.24:                               ;   in Loop: Header=BB20_6 Depth=1
	s_andn2_saveexec_b64 s[2:3], s[34:35]
	s_cbranch_execnz .LBB20_40
.LBB20_25:                              ;   in Loop: Header=BB20_6 Depth=1
	s_or_b64 exec, exec, s[2:3]
	s_and_saveexec_b64 s[2:3], s[6:7]
	s_cbranch_execnz .LBB20_41
	s_branch .LBB20_44
.LBB20_26:                              ;   in Loop: Header=BB20_6 Depth=1
	s_or_b64 exec, exec, s[12:13]
	s_waitcnt lgkmcnt(0)
	s_barrier
	s_mov_b64 s[6:7], exec
	v_readlane_b32 s8, v51, 14
	v_readlane_b32 s9, v51, 15
	s_and_b64 s[8:9], s[6:7], s[8:9]
	s_mov_b64 exec, s[8:9]
	s_cbranch_execz .LBB20_28
; %bb.27:                               ;   in Loop: Header=BB20_6 Depth=1
	ds_read_b32 v1, v23 offset:4104
	s_waitcnt lgkmcnt(0)
	ds_write_b32 v23, v1 offset:4096
.LBB20_28:                              ;   in Loop: Header=BB20_6 Depth=1
	s_or_b64 exec, exec, s[6:7]
	s_waitcnt lgkmcnt(0)
	s_barrier
	s_mov_b64 s[6:7], -1
	s_and_b64 vcc, exec, s[2:3]
	s_cbranch_vccnz .LBB20_21
	s_branch .LBB20_49
.LBB20_29:                              ;   in Loop: Header=BB20_6 Depth=1
	v_cvt_f32_u32_e32 v2, s8
	s_sub_i32 s3, 0, s8
	v_add_u32_e32 v3, s8, v1
	v_max_u32_e32 v3, s36, v3
	v_rcp_iflag_f32_e32 v2, v2
	s_lshl_b32 s2, s8, 1
	v_sub_u32_e32 v3, v3, v0
	v_cmp_ne_u32_e32 vcc, s2, v3
	v_mul_f32_e32 v2, 0x4f7ffffe, v2
	v_cvt_u32_f32_e32 v2, v2
	v_cndmask_b32_e64 v6, 0, 1, vcc
	v_or_b32_e32 v6, s2, v6
	v_sub_u32_e32 v3, v3, v6
	v_mul_lo_u32 v4, s3, v2
	s_not_b32 s6, s9
	s_ashr_i32 s14, s6, 31
	s_abs_i32 s12, s9
	v_mul_hi_u32 v4, v2, v4
	v_mul_lo_u32 v5, s52, v1
	s_cmp_eq_u32 s8, 1
	s_mov_b64 s[2:3], -1
	v_add_u32_e32 v2, v2, v4
	v_mul_hi_u32 v4, v3, v2
	v_xor_b32_e32 v5, s14, v5
                                        ; implicit-def: $vgpr2
	v_mul_lo_u32 v6, v4, s8
	v_add_u32_e32 v7, 1, v4
	v_sub_u32_e32 v3, v3, v6
	v_subrev_u32_e32 v6, s8, v3
	v_cmp_le_u32_e64 s[6:7], s8, v3
	v_cndmask_b32_e64 v4, v4, v7, s[6:7]
	v_cndmask_b32_e64 v3, v3, v6, s[6:7]
	v_add_u32_e32 v6, 1, v4
	v_cmp_le_u32_e64 s[6:7], s8, v3
	v_cndmask_b32_e64 v3, v4, v6, s[6:7]
	v_addc_co_u32_e32 v3, vcc, 0, v3, vcc
	v_mul_hi_u32 v4, s12, v3
	v_mul_lo_u32 v3, s12, v3
	s_cselect_b64 s[12:13], -1, 0
	v_cmp_eq_u32_e32 vcc, 0, v4
	v_cmp_le_u32_e64 s[6:7], v3, v5
	s_and_b64 s[12:13], vcc, s[12:13]
	s_and_b64 s[12:13], s[12:13], s[6:7]
	v_mov_b32_e32 v4, v0
	s_and_saveexec_b64 s[6:7], s[12:13]
	s_cbranch_execz .LBB20_39
; %bb.30:                               ;   in Loop: Header=BB20_6 Depth=1
	v_add_u32_e32 v4, 3, v1
	v_add_u32_e32 v3, 2, v1
	;; [unrolled: 1-line block ×3, first 2 shown]
	v_mov_b32_e32 v8, v4
	s_waitcnt vmcnt(0)
	v_lshlrev_b32_e32 v43, 24, v42
	v_mov_b32_e32 v9, 0
	v_mov_b32_e32 v7, v3
	;; [unrolled: 1-line block ×4, first 2 shown]
                                        ; implicit-def: $vgpr42
	s_mov_b64 s[42:43], exec
	v_readlane_b32 s2, v51, 39
	v_readlane_b32 s3, v51, 40
	s_and_b64 s[2:3], s[42:43], s[2:3]
	s_mov_b64 exec, s[2:3]
	s_cbranch_execz .LBB20_34
; %bb.31:                               ;   in Loop: Header=BB20_6 Depth=1
	v_mov_b32_e32 v8, v4
	s_mov_b32 s2, 0
	s_mov_b64 s[44:45], 0
	v_mov_b32_e32 v41, v27
	v_mov_b32_e32 v7, v3
	;; [unrolled: 1-line block ×4, first 2 shown]
	v_readlane_b32 s3, v51, 36
	v_readlane_b32 s12, v51, 37
	;; [unrolled: 1-line block ×3, first 2 shown]
	s_mov_b32 s14, 0xc0c0004
	s_mov_b32 s15, 0xc0c0007
.LBB20_32:                              ;   Parent Loop BB20_6 Depth=1
                                        ; =>  This Inner Loop Header: Depth=2
	v_mul_lo_u32 v2, v5, s52
	v_mul_lo_u32 v9, v6, s3
	;; [unrolled: 1-line block ×3, first 2 shown]
	v_mov_b32_e32 v12, s41
	v_add_co_u32_e32 v2, vcc, s40, v2
	v_addc_co_u32_e32 v3, vcc, 0, v12, vcc
	v_mul_lo_u32 v4, v8, s13
	v_add_co_u32_e32 v9, vcc, s40, v9
	v_addc_co_u32_e32 v10, vcc, 0, v12, vcc
	v_add_co_u32_e32 v44, vcc, s40, v11
	v_addc_co_u32_e32 v45, vcc, 0, v12, vcc
	v_add_co_u32_e32 v46, vcc, s40, v4
	global_load_ubyte v4, v[44:45], off
	s_nop 0
	global_load_ubyte v9, v[9:10], off
	v_add_u32_e32 v10, 4, v7
	global_load_ubyte v2, v[2:3], off
	v_add_u32_e32 v3, 4, v6
	v_mul_lo_u32 v42, v10, s12
	v_mul_lo_u32 v10, v3, s3
	v_addc_co_u32_e32 v47, vcc, 0, v12, vcc
	v_add_u32_e32 v11, 4, v8
	v_mul_lo_u32 v44, v11, s13
	v_add_u32_e32 v41, -4, v41
	s_waitcnt vmcnt(1)
	v_perm_b32 v4, v9, v4, s14
	s_waitcnt vmcnt(0)
	v_perm_b32 v2, v43, v2, s15
	v_lshl_or_b32 v9, v4, 16, v2
	v_add_u32_e32 v2, 4, v5
	v_mul_lo_u32 v2, v2, s52
	v_add_u32_e32 v4, s2, v0
	s_add_i32 s2, s2, 16
	v_add_co_u32_e32 v2, vcc, s40, v2
	v_addc_co_u32_e32 v3, vcc, 0, v12, vcc
	v_add_co_u32_e32 v10, vcc, s40, v10
	v_addc_co_u32_e32 v11, vcc, 0, v12, vcc
	;; [unrolled: 2-line block ×3, first 2 shown]
	global_load_ubyte v46, v[46:47], off
	s_nop 0
	global_load_ubyte v2, v[2:3], off
	s_nop 0
	;; [unrolled: 2-line block ×3, first 2 shown]
	global_load_ubyte v10, v[10:11], off
	v_add_co_u32_e32 v44, vcc, s40, v44
	v_addc_co_u32_e32 v45, vcc, 0, v12, vcc
	v_add_u32_e32 v11, 8, v7
	v_add_u32_e32 v42, 8, v8
	v_mul_lo_u32 v50, v42, s13
	v_mul_lo_u32 v11, v11, s12
	s_waitcnt vmcnt(2)
	v_perm_b32 v2, v46, v2, s14
	s_waitcnt vmcnt(0)
	v_perm_b32 v3, v10, v3, s14
	v_lshl_or_b32 v10, v3, 16, v2
	v_add_u32_e32 v2, 8, v5
	v_mul_lo_u32 v2, v2, s52
	v_add_u32_e32 v3, 8, v6
	v_mul_lo_u32 v3, v3, s3
	v_add_co_u32_e32 v42, vcc, s40, v2
	v_addc_co_u32_e32 v43, vcc, 0, v12, vcc
	v_add_co_u32_e32 v46, vcc, s40, v3
	v_addc_co_u32_e32 v47, vcc, 0, v12, vcc
	v_add_co_u32_e32 v48, vcc, s40, v11
	global_load_ubyte v11, v[42:43], off
	s_nop 0
	global_load_ubyte v42, v[44:45], off
	v_addc_co_u32_e32 v49, vcc, 0, v12, vcc
	v_add_u32_e32 v45, 12, v8
	v_add_co_u32_e32 v2, vcc, s40, v50
	v_addc_co_u32_e32 v3, vcc, 0, v12, vcc
	v_add_u32_e32 v44, 12, v7
	v_add_u32_e32 v8, 16, v8
	;; [unrolled: 1-line block ×3, first 2 shown]
	s_waitcnt vmcnt(0)
	v_perm_b32 v11, v42, v11, s14
	global_load_ubyte v42, v[48:49], off
	global_load_ubyte v43, v[46:47], off
	v_mul_lo_u32 v49, v45, s13
	v_mul_lo_u32 v47, v44, s12
	s_waitcnt vmcnt(0)
	v_perm_b32 v42, v43, v42, s14
	v_lshl_or_b32 v11, v42, 16, v11
	v_add_u32_e32 v42, 12, v5
	v_mul_lo_u32 v42, v42, s52
	v_add_u32_e32 v43, 12, v6
	v_mul_lo_u32 v45, v43, s3
	v_add_u32_e32 v6, 16, v6
	v_add_co_u32_e32 v43, vcc, s40, v42
	v_addc_co_u32_e32 v44, vcc, 0, v12, vcc
	v_add_co_u32_e32 v45, vcc, s40, v45
	v_addc_co_u32_e32 v46, vcc, 0, v12, vcc
	;; [unrolled: 2-line block ×4, first 2 shown]
	global_load_ubyte v42, v[49:50], off
	global_load_ubyte v12, v[45:46], off
	s_nop 0
	global_load_ubyte v44, v[43:44], off
	v_cmp_eq_u32_e32 vcc, 0, v41
	global_load_ubyte v45, v[47:48], off
	v_add_u32_e32 v5, 16, v5
	global_load_ubyte v2, v[2:3], off
	s_or_b64 s[44:45], vcc, s[44:45]
	s_waitcnt vmcnt(2)
	v_perm_b32 v43, v44, v12, s14
	s_waitcnt vmcnt(1)
	v_perm_b32 v3, v12, v45, s14
	v_perm_b32 v46, v45, v42, s14
	s_waitcnt vmcnt(0)
	v_perm_b32 v2, v2, v44, s14
	v_lshl_or_b32 v12, v3, 16, v2
	v_lshl_or_b32 v43, v46, 16, v43
	ds_write_b128 v4, v[9:12]
	v_mov_b32_e32 v9, s2
	s_andn2_b64 exec, exec, s[44:45]
	s_cbranch_execnz .LBB20_32
; %bb.33:                               ;   in Loop: Header=BB20_6 Depth=1
	s_or_b64 exec, exec, s[44:45]
.LBB20_34:                              ;   in Loop: Header=BB20_6 Depth=1
	s_or_b64 exec, exec, s[42:43]
	s_mov_b64 s[2:3], exec
	v_readlane_b32 s12, v51, 41
	v_readlane_b32 s13, v51, 42
	s_and_b64 s[12:13], s[2:3], s[12:13]
	s_mov_b64 exec, s[12:13]
	s_cbranch_execz .LBB20_38
; %bb.35:                               ;   in Loop: Header=BB20_6 Depth=1
	v_add_u32_e32 v2, v0, v9
	s_mov_b64 s[12:13], 0
	v_mov_b32_e32 v3, v30
	v_readlane_b32 s14, v51, 36
	v_readlane_b32 s15, v51, 37
	v_readlane_b32 s16, v51, 38
	s_mov_b32 s17, 0xc0c0004
	s_mov_b32 s19, 0xc0c0007
.LBB20_36:                              ;   Parent Loop BB20_6 Depth=1
                                        ; =>  This Inner Loop Header: Depth=2
	v_mul_lo_u32 v9, v5, s52
	v_mul_lo_u32 v11, v6, s14
	;; [unrolled: 1-line block ×3, first 2 shown]
	v_mov_b32_e32 v45, s41
	v_add_co_u32_e32 v9, vcc, s40, v9
	v_addc_co_u32_e32 v10, vcc, 0, v45, vcc
	v_mul_lo_u32 v4, v8, s16
	v_add_co_u32_e32 v11, vcc, s40, v11
	v_addc_co_u32_e32 v12, vcc, 0, v45, vcc
	v_add_co_u32_e32 v41, vcc, s40, v41
	v_addc_co_u32_e32 v42, vcc, 0, v45, vcc
	;; [unrolled: 2-line block ×3, first 2 shown]
	global_load_ubyte v4, v[11:12], off
	s_nop 0
	global_load_ubyte v11, v[41:42], off
	s_nop 0
	;; [unrolled: 2-line block ×3, first 2 shown]
	global_load_ubyte v9, v[9:10], off
	v_add_u32_e32 v3, -4, v3
	v_cmp_eq_u32_e32 vcc, 0, v3
	v_add_u32_e32 v8, 4, v8
	v_add_u32_e32 v7, 4, v7
	;; [unrolled: 1-line block ×4, first 2 shown]
	s_or_b64 s[12:13], vcc, s[12:13]
	s_waitcnt vmcnt(1)
	v_perm_b32 v12, v11, v42, s17
	s_waitcnt vmcnt(0)
	v_perm_b32 v10, v9, v4, s17
	v_perm_b32 v4, v4, v11, s17
	v_perm_b32 v9, v43, v9, s19
	v_lshl_or_b32 v4, v4, 16, v9
	v_lshl_or_b32 v43, v12, 16, v10
	ds_write_b32 v2, v4
	v_add_u32_e32 v2, 4, v2
	s_andn2_b64 exec, exec, s[12:13]
	s_cbranch_execnz .LBB20_36
; %bb.37:                               ;   in Loop: Header=BB20_6 Depth=1
	s_or_b64 exec, exec, s[12:13]
.LBB20_38:                              ;   in Loop: Header=BB20_6 Depth=1
	s_or_b64 exec, exec, s[2:3]
	v_readlane_b32 s2, v51, 56
	v_add_u32_e32 v1, v1, v25
	v_readlane_b32 s3, v51, 57
	v_add_u32_e32 v2, -1, v1
	s_orn2_b64 s[2:3], s[2:3], exec
	v_mov_b32_e32 v4, v26
.LBB20_39:                              ;   in Loop: Header=BB20_6 Depth=1
	s_or_b64 exec, exec, s[6:7]
	v_mov_b32_e32 v3, s9
	s_and_b64 s[6:7], s[2:3], exec
	s_waitcnt vmcnt(0)
	v_mov_b32_e32 v5, v42
	s_andn2_saveexec_b64 s[2:3], s[34:35]
	s_cbranch_execz .LBB20_25
.LBB20_40:                              ;   in Loop: Header=BB20_6 Depth=1
	v_mov_b32_e32 v3, s9
	s_or_b64 s[6:7], s[6:7], exec
	s_waitcnt vmcnt(0)
	v_mov_b32_e32 v5, v42
	v_mov_b32_e32 v4, v0
	s_or_b64 exec, exec, s[2:3]
	s_and_saveexec_b64 s[2:3], s[6:7]
	s_cbranch_execz .LBB20_44
.LBB20_41:                              ;   in Loop: Header=BB20_6 Depth=1
	v_mul_lo_u32 v2, s52, v1
	s_sub_i32 s9, 0, s8
	s_mov_b64 s[6:7], 0
.LBB20_42:                              ;   Parent Loop BB20_6 Depth=1
                                        ; =>  This Inner Loop Header: Depth=2
	global_load_ubyte v42, v2, s[40:41]
	v_mov_b32_e32 v6, v1
	v_add_u32_e32 v1, s8, v6
	v_cmp_le_u32_e32 vcc, s36, v1
	ds_write_b8 v4, v5
	v_add_u32_e32 v2, v2, v3
	s_or_b64 s[6:7], vcc, s[6:7]
	v_mov_b32_e32 v4, v6
	s_waitcnt vmcnt(0)
	v_mov_b32_e32 v5, v42
	s_andn2_b64 exec, exec, s[6:7]
	s_cbranch_execnz .LBB20_42
; %bb.43:                               ;   in Loop: Header=BB20_6 Depth=1
	s_or_b64 exec, exec, s[6:7]
	v_add_u32_e32 v2, s9, v1
.LBB20_44:                              ;   in Loop: Header=BB20_6 Depth=1
	s_or_b64 exec, exec, s[2:3]
.LBB20_45:                              ;   in Loop: Header=BB20_6 Depth=1
	s_or_b64 exec, exec, s[30:31]
	s_waitcnt vmcnt(0)
	ds_write_b8 v2, v42
.LBB20_46:                              ;   in Loop: Header=BB20_6 Depth=1
	s_or_b64 exec, exec, s[26:27]
	s_waitcnt lgkmcnt(0)
	s_barrier
	s_mov_b64 s[2:3], exec
	v_readlane_b32 s6, v51, 14
	v_readlane_b32 s7, v51, 15
	s_and_b64 s[6:7], s[2:3], s[6:7]
	s_mov_b64 exec, s[6:7]
; %bb.47:                               ;   in Loop: Header=BB20_6 Depth=1
	v_mov_b32_e32 v1, s36
	ds_write_b32 v23, v1 offset:4096
; %bb.48:                               ;   in Loop: Header=BB20_6 Depth=1
	s_or_b64 exec, exec, s[2:3]
	s_mov_b64 s[6:7], -1
	s_waitcnt lgkmcnt(0)
	s_barrier
.LBB20_49:                              ;   in Loop: Header=BB20_6 Depth=1
	s_mov_b32 s16, 0
	s_and_b64 vcc, exec, s[6:7]
	s_cbranch_vccz .LBB20_51
; %bb.50:                               ;   in Loop: Header=BB20_6 Depth=1
	ds_read_b32 v1, v23 offset:4096
	s_waitcnt lgkmcnt(0)
	v_readfirstlane_b32 s16, v1
.LBB20_51:                              ;   in Loop: Header=BB20_6 Depth=1
	s_cmp_lt_i32 s16, 1
	s_mov_b64 s[2:3], -1
                                        ; implicit-def: $vgpr4
	s_cbranch_scc1 .LBB20_61
; %bb.52:                               ;   in Loop: Header=BB20_6 Depth=1
	s_and_b64 vcc, exec, s[2:3]
	s_cbranch_vccnz .LBB20_72
.LBB20_53:                              ;   in Loop: Header=BB20_6 Depth=1
	s_lshl_b32 s8, s54, 6
	s_and_saveexec_b64 s[2:3], s[0:1]
.LBB20_54:                              ;   in Loop: Header=BB20_6 Depth=1
	v_lshl_add_u32 v5, s8, 2, v24
	ds_write_b128 v5, v[1:4]
.LBB20_55:                              ;   in Loop: Header=BB20_6 Depth=1
	s_or_b64 exec, exec, s[2:3]
	s_waitcnt lgkmcnt(0)
	s_barrier
	s_mov_b64 s[6:7], exec
	v_readlane_b32 s2, v51, 21
	v_readlane_b32 s3, v51, 22
	s_and_b64 s[2:3], s[6:7], s[2:3]
	s_mov_b64 exec, s[2:3]
	s_cbranch_execz .LBB20_86
; %bb.56:                               ;   in Loop: Header=BB20_6 Depth=1
	v_readlane_b32 s2, v51, 27
	v_readlane_b32 s3, v51, 28
	v_mov_b32_e32 v1, 0
	s_andn2_b64 vcc, exec, s[2:3]
	s_cbranch_vccnz .LBB20_85
; %bb.57:                               ;   in Loop: Header=BB20_6 Depth=1
	v_readlane_b32 s2, v51, 43
	v_readlane_b32 s3, v51, 44
	s_andn2_b64 vcc, exec, s[2:3]
	s_cbranch_vccnz .LBB20_81
; %bb.58:                               ;   in Loop: Header=BB20_6 Depth=1
	v_lshl_add_u32 v2, s54, 8, v36
	s_mov_b32 s2, 0
	v_mov_b32_e32 v1, 0
.LBB20_59:                              ;   Parent Loop BB20_6 Depth=1
                                        ; =>  This Inner Loop Header: Depth=2
	ds_read2_b32 v[3:4], v2 offset1:4
	ds_read2_b32 v[5:6], v2 offset0:8 offset1:12
	s_add_i32 s2, s2, 8
	s_cmp_eq_u32 s21, s2
	s_waitcnt lgkmcnt(1)
	v_add3_u32 v1, v3, v1, v4
	ds_read2_b32 v[3:4], v2 offset0:16 offset1:20
	s_waitcnt lgkmcnt(1)
	v_add3_u32 v1, v5, v1, v6
	s_waitcnt lgkmcnt(0)
	v_add3_u32 v1, v3, v1, v4
	ds_read2_b32 v[3:4], v2 offset0:24 offset1:28
	v_add_u32_e32 v2, 0x80, v2
	s_waitcnt lgkmcnt(0)
	v_add3_u32 v1, v3, v1, v4
	s_cbranch_scc0 .LBB20_59
; %bb.60:                               ;   in Loop: Header=BB20_6 Depth=1
	s_mov_b32 s2, s21
	s_branch .LBB20_82
.LBB20_61:                              ;   in Loop: Header=BB20_6 Depth=1
	v_mov_b32_e32 v1, 0
	v_mov_b32_e32 v2, 0
	;; [unrolled: 1-line block ×4, first 2 shown]
	s_mov_b64 s[84:85], exec
	v_readlane_b32 s2, v51, 49
	v_readlane_b32 s3, v51, 50
	s_and_b64 s[2:3], s[84:85], s[2:3]
	s_mov_b64 exec, s[2:3]
	s_cbranch_execz .LBB20_65
; %bb.62:                               ;   in Loop: Header=BB20_6 Depth=1
	s_mov_b32 s2, 0
	s_mov_b64 s[86:87], 0
	s_mov_b32 s3, 0
	s_mov_b32 s8, 0
	;; [unrolled: 1-line block ×4, first 2 shown]
	v_mov_b32_e32 v5, v20
.LBB20_63:                              ;   Parent Loop BB20_6 Depth=1
                                        ; =>  This Inner Loop Header: Depth=2
	v_add_u32_e32 v1, s2, v34
	global_load_sbyte v1, v1, s[40:41]
	v_add_u32_e32 v2, s2, v31
	global_load_sbyte v2, v2, s[40:41]
	;; [unrolled: 2-line block ×4, first 2 shown]
	v_add_u32_e32 v5, s55, v5
	s_add_i32 s2, s2, s5
	s_waitcnt vmcnt(3)
	v_add_u32_e32 v1, 0x80, v1
	v_and_b32_e32 v6, v1, v38
	s_waitcnt vmcnt(2)
	v_add_u32_e32 v2, 0x80, v2
	v_bfe_u32 v1, v1, s10, 2
	s_waitcnt vmcnt(1)
	v_add_u32_e32 v3, 0x80, v3
	v_cmp_eq_u32_e32 vcc, v6, v29
	v_and_b32_e32 v6, v2, v38
	v_bfe_u32 v2, v2, s10, 2
	v_cmp_eq_u32_e64 s[34:35], 0, v1
	s_waitcnt vmcnt(0)
	v_add_u32_e32 v4, 0x80, v4
	v_cmp_eq_u32_e64 s[6:7], v6, v29
	v_and_b32_e32 v6, v3, v38
	v_bfe_u32 v3, v3, s10, 2
	s_and_b64 s[14:15], vcc, s[34:35]
	v_cmp_eq_u32_e64 s[34:35], 0, v2
	v_cmp_eq_u32_e64 s[26:27], v6, v29
	v_and_b32_e32 v6, v4, v38
	v_bfe_u32 v4, v4, s10, 2
	s_and_b64 s[22:23], s[6:7], s[34:35]
	v_cmp_eq_u32_e64 s[34:35], 0, v3
	v_cmp_eq_u32_e64 s[30:31], v6, v29
	s_and_b64 s[24:25], s[26:27], s[34:35]
	v_cmp_eq_u32_e64 s[34:35], 0, v4
	v_cndmask_b32_e64 v6, 0, 1, s[14:15]
	s_and_b64 s[28:29], s[30:31], s[34:35]
	v_cmp_ne_u32_e64 s[34:35], 0, v6
	v_cndmask_b32_e64 v6, 0, 1, s[22:23]
	s_bcnt1_i32_b64 s13, s[34:35]
	v_cmp_ne_u32_e64 s[34:35], 0, v6
	v_cndmask_b32_e64 v6, 0, 1, s[24:25]
	s_bcnt1_i32_b64 s14, s[34:35]
	;; [unrolled: 3-line block ×3, first 2 shown]
	v_cmp_ne_u32_e64 s[34:35], 0, v6
	s_add_i32 s12, s12, s13
	s_bcnt1_i32_b64 s17, s[34:35]
	s_add_i32 s12, s12, s14
	v_cmp_eq_u32_e64 s[34:35], 1, v1
	s_add_i32 s12, s12, s15
	s_and_b64 s[14:15], vcc, s[34:35]
	v_cmp_eq_u32_e64 s[34:35], 1, v2
	s_and_b64 s[22:23], s[6:7], s[34:35]
	v_cmp_eq_u32_e64 s[34:35], 1, v3
	s_and_b64 s[24:25], s[26:27], s[34:35]
	v_cmp_eq_u32_e64 s[34:35], 1, v4
	v_cndmask_b32_e64 v6, 0, 1, s[14:15]
	s_and_b64 s[28:29], s[30:31], s[34:35]
	v_cmp_ne_u32_e64 s[34:35], 0, v6
	v_cndmask_b32_e64 v6, 0, 1, s[22:23]
	s_bcnt1_i32_b64 s13, s[34:35]
	v_cmp_ne_u32_e64 s[34:35], 0, v6
	v_cndmask_b32_e64 v6, 0, 1, s[24:25]
	s_bcnt1_i32_b64 s14, s[34:35]
	;; [unrolled: 3-line block ×3, first 2 shown]
	v_cmp_ne_u32_e64 s[34:35], 0, v6
	s_add_i32 s9, s9, s13
	s_add_i32 s12, s12, s17
	s_bcnt1_i32_b64 s17, s[34:35]
	s_add_i32 s9, s9, s14
	v_cmp_eq_u32_e64 s[34:35], 2, v1
	s_add_i32 s9, s9, s15
	s_and_b64 s[14:15], vcc, s[34:35]
	v_cmp_eq_u32_e64 s[34:35], 2, v2
	s_and_b64 s[22:23], s[6:7], s[34:35]
	v_cmp_eq_u32_e64 s[34:35], 2, v3
	s_and_b64 s[24:25], s[26:27], s[34:35]
	v_cmp_eq_u32_e64 s[34:35], 2, v4
	v_cndmask_b32_e64 v6, 0, 1, s[14:15]
	s_and_b64 s[28:29], s[30:31], s[34:35]
	v_cmp_ne_u32_e64 s[34:35], 0, v6
	v_cndmask_b32_e64 v6, 0, 1, s[22:23]
	s_bcnt1_i32_b64 s13, s[34:35]
	v_cmp_ne_u32_e64 s[34:35], 0, v6
	v_cndmask_b32_e64 v6, 0, 1, s[24:25]
	s_bcnt1_i32_b64 s14, s[34:35]
	;; [unrolled: 3-line block ×3, first 2 shown]
	v_cmp_ne_u32_e64 s[34:35], 0, v6
	s_add_i32 s8, s8, s13
	s_add_i32 s9, s9, s17
	s_bcnt1_i32_b64 s17, s[34:35]
	s_add_i32 s8, s8, s14
	v_cmp_eq_u32_e64 s[34:35], 3, v1
	s_add_i32 s8, s8, s15
	s_and_b64 s[14:15], vcc, s[34:35]
	v_cmp_eq_u32_e32 vcc, 3, v2
	s_and_b64 s[6:7], s[6:7], vcc
	v_cmp_eq_u32_e32 vcc, 3, v3
	s_and_b64 s[22:23], s[26:27], vcc
	v_cmp_eq_u32_e32 vcc, 3, v4
	v_cndmask_b32_e64 v1, 0, 1, s[14:15]
	s_and_b64 s[24:25], s[30:31], vcc
	v_cmp_ne_u32_e32 vcc, 0, v1
	v_cndmask_b32_e64 v1, 0, 1, s[6:7]
	s_bcnt1_i32_b64 s13, vcc
	v_cmp_ne_u32_e32 vcc, 0, v1
	v_cndmask_b32_e64 v1, 0, 1, s[22:23]
	s_bcnt1_i32_b64 s6, vcc
	v_cmp_ne_u32_e32 vcc, 0, v1
	v_cndmask_b32_e64 v1, 0, 1, s[24:25]
	s_add_i32 s3, s3, s13
	s_bcnt1_i32_b64 s7, vcc
	v_cmp_ne_u32_e32 vcc, 0, v1
	s_add_i32 s3, s3, s6
	s_bcnt1_i32_b64 s14, vcc
	s_add_i32 s3, s3, s7
	s_add_i32 s8, s8, s17
	;; [unrolled: 1-line block ×3, first 2 shown]
	v_cmp_le_u32_e32 vcc, s11, v5
	s_or_b64 s[86:87], vcc, s[86:87]
	v_mov_b32_e32 v1, s12
	v_mov_b32_e32 v2, s9
	;; [unrolled: 1-line block ×4, first 2 shown]
	s_andn2_b64 exec, exec, s[86:87]
	s_cbranch_execnz .LBB20_63
; %bb.64:                               ;   in Loop: Header=BB20_6 Depth=1
	s_or_b64 exec, exec, s[86:87]
.LBB20_65:                              ;   in Loop: Header=BB20_6 Depth=1
	s_or_b64 exec, exec, s[84:85]
	s_mov_b64 s[2:3], exec
	v_readlane_b32 s6, v51, 51
	v_readlane_b32 s7, v51, 52
	s_and_b64 s[6:7], s[2:3], s[6:7]
	s_mov_b64 exec, s[6:7]
	s_cbranch_execz .LBB20_71
; %bb.66:                               ;   in Loop: Header=BB20_6 Depth=1
	global_load_ubyte v8, v[15:16], off
	s_mov_b64 s[12:13], 0
	v_mov_b32_e32 v5, v35
	v_mov_b32_e32 v6, v28
	s_branch .LBB20_68
.LBB20_67:                              ;   in Loop: Header=BB20_68 Depth=2
	s_or_b64 exec, exec, s[8:9]
	s_waitcnt vmcnt(0)
	v_add_u32_sdwa v8, sext(v8), s18 dst_sel:DWORD dst_unused:UNUSED_PAD src0_sel:BYTE_0 src1_sel:DWORD
	s_and_b64 s[6:7], exec, vcc
	v_and_b32_e32 v9, v8, v38
	v_bfe_u32 v8, v8, s10, 2
	s_or_b64 s[12:13], s[6:7], s[12:13]
	v_cmp_eq_u32_e32 vcc, v9, v29
	v_cmp_eq_u32_e64 s[6:7], 0, v8
	s_and_b64 s[6:7], vcc, s[6:7]
	v_cndmask_b32_e64 v9, 0, 1, s[6:7]
	v_cmp_ne_u32_e64 s[6:7], 0, v9
	s_bcnt1_i32_b64 s6, s[6:7]
	v_add_u32_e32 v1, s6, v1
	v_cmp_eq_u32_e64 s[6:7], 1, v8
	s_and_b64 s[6:7], vcc, s[6:7]
	v_cndmask_b32_e64 v9, 0, 1, s[6:7]
	v_cmp_ne_u32_e64 s[6:7], 0, v9
	s_bcnt1_i32_b64 s6, s[6:7]
	v_add_u32_e32 v2, s6, v2
	;; [unrolled: 6-line block ×3, first 2 shown]
	v_cmp_eq_u32_e64 s[6:7], 3, v8
	s_and_b64 s[6:7], vcc, s[6:7]
	v_cndmask_b32_e64 v8, 0, 1, s[6:7]
	v_cmp_ne_u32_e32 vcc, 0, v8
	s_bcnt1_i32_b64 s6, vcc
	v_add_u32_e32 v4, s6, v4
	v_add_u32_e32 v5, s53, v5
	v_mov_b32_e32 v8, v7
	s_andn2_b64 exec, exec, s[12:13]
	s_cbranch_execz .LBB20_70
.LBB20_68:                              ;   Parent Loop BB20_6 Depth=1
                                        ; =>  This Inner Loop Header: Depth=2
	v_add_u32_e32 v6, s33, v6
	v_cmp_gt_u32_e64 s[6:7], s36, v6
	v_cmp_le_u32_e32 vcc, s36, v6
	v_mov_b32_e32 v7, 0
	s_and_saveexec_b64 s[8:9], s[6:7]
	s_cbranch_execz .LBB20_67
; %bb.69:                               ;   in Loop: Header=BB20_68 Depth=2
	global_load_ubyte v7, v5, s[40:41]
	s_branch .LBB20_67
.LBB20_70:                              ;   in Loop: Header=BB20_6 Depth=1
	s_or_b64 exec, exec, s[12:13]
.LBB20_71:                              ;   in Loop: Header=BB20_6 Depth=1
	s_or_b64 exec, exec, s[2:3]
	s_branch .LBB20_53
.LBB20_72:                              ;   in Loop: Header=BB20_6 Depth=1
	v_readlane_b32 s2, v51, 48
	s_mul_hi_u32 s2, s16, s2
	s_mul_i32 s2, s2, s55
	s_sub_i32 s2, s16, s2
	s_sub_i32 s3, s2, s55
	s_cmp_ge_u32 s2, s55
	s_cselect_b32 s2, s3, s2
	s_sub_i32 s3, s2, s55
	s_cmp_ge_u32 s2, s55
	s_cselect_b32 s2, s3, s2
	s_sub_i32 s2, s16, s2
	v_cmp_gt_u32_e32 vcc, s2, v20
	v_mov_b32_e32 v1, 0
	v_mov_b32_e32 v2, 0
	;; [unrolled: 1-line block ×4, first 2 shown]
	s_and_saveexec_b64 s[84:85], vcc
	s_cbranch_execz .LBB20_76
; %bb.73:                               ;   in Loop: Header=BB20_6 Depth=1
	s_mov_b32 s3, 0
	s_mov_b64 s[86:87], 0
	s_mov_b32 s8, 0
	s_mov_b32 s9, 0
	;; [unrolled: 1-line block ×3, first 2 shown]
	v_mov_b32_e32 v5, v20
.LBB20_74:                              ;   Parent Loop BB20_6 Depth=1
                                        ; =>  This Inner Loop Header: Depth=2
	ds_read_b32 v1, v5
	v_add_u32_e32 v5, s55, v5
	s_waitcnt lgkmcnt(0)
	v_add_u32_sdwa v2, sext(v1), s18 dst_sel:DWORD dst_unused:UNUSED_PAD src0_sel:BYTE_0 src1_sel:DWORD
	v_add_u32_sdwa v3, sext(v1), s18 dst_sel:DWORD dst_unused:UNUSED_PAD src0_sel:BYTE_1 src1_sel:DWORD
	v_and_b32_e32 v6, v2, v38
	v_bfe_u32 v2, v2, s10, 2
	v_add_u32_sdwa v4, sext(v1), s18 dst_sel:DWORD dst_unused:UNUSED_PAD src0_sel:BYTE_2 src1_sel:DWORD
	v_cmp_eq_u32_e32 vcc, v6, v29
	v_and_b32_e32 v6, v3, v38
	v_bfe_u32 v3, v3, s10, 2
	v_cmp_eq_u32_e64 s[34:35], 0, v2
	v_add_u32_sdwa v1, sext(v1), s18 dst_sel:DWORD dst_unused:UNUSED_PAD src0_sel:BYTE_3 src1_sel:DWORD
	v_cmp_eq_u32_e64 s[6:7], v6, v29
	v_and_b32_e32 v6, v4, v38
	v_bfe_u32 v4, v4, s10, 2
	s_and_b64 s[14:15], vcc, s[34:35]
	v_cmp_eq_u32_e64 s[34:35], 0, v3
	v_cmp_eq_u32_e64 s[26:27], v6, v29
	v_and_b32_e32 v6, v1, v38
	v_bfe_u32 v1, v1, s10, 2
	s_and_b64 s[22:23], s[6:7], s[34:35]
	v_cmp_eq_u32_e64 s[34:35], 0, v4
	v_cmp_eq_u32_e64 s[30:31], v6, v29
	s_and_b64 s[24:25], s[26:27], s[34:35]
	v_cmp_eq_u32_e64 s[34:35], 0, v1
	v_cndmask_b32_e64 v6, 0, 1, s[14:15]
	s_and_b64 s[28:29], s[30:31], s[34:35]
	v_cmp_ne_u32_e64 s[34:35], 0, v6
	v_cndmask_b32_e64 v6, 0, 1, s[22:23]
	s_bcnt1_i32_b64 s13, s[34:35]
	v_cmp_ne_u32_e64 s[34:35], 0, v6
	v_cndmask_b32_e64 v6, 0, 1, s[24:25]
	s_bcnt1_i32_b64 s14, s[34:35]
	;; [unrolled: 3-line block ×3, first 2 shown]
	v_cmp_ne_u32_e64 s[34:35], 0, v6
	s_add_i32 s12, s12, s13
	s_bcnt1_i32_b64 s17, s[34:35]
	s_add_i32 s12, s12, s14
	v_cmp_eq_u32_e64 s[34:35], 1, v2
	s_add_i32 s12, s12, s15
	s_and_b64 s[14:15], vcc, s[34:35]
	v_cmp_eq_u32_e64 s[34:35], 1, v3
	s_and_b64 s[22:23], s[6:7], s[34:35]
	v_cmp_eq_u32_e64 s[34:35], 1, v4
	s_and_b64 s[24:25], s[26:27], s[34:35]
	v_cmp_eq_u32_e64 s[34:35], 1, v1
	v_cndmask_b32_e64 v6, 0, 1, s[14:15]
	s_and_b64 s[28:29], s[30:31], s[34:35]
	v_cmp_ne_u32_e64 s[34:35], 0, v6
	v_cndmask_b32_e64 v6, 0, 1, s[22:23]
	s_bcnt1_i32_b64 s13, s[34:35]
	v_cmp_ne_u32_e64 s[34:35], 0, v6
	v_cndmask_b32_e64 v6, 0, 1, s[24:25]
	s_bcnt1_i32_b64 s14, s[34:35]
	;; [unrolled: 3-line block ×3, first 2 shown]
	v_cmp_ne_u32_e64 s[34:35], 0, v6
	s_add_i32 s9, s9, s13
	s_add_i32 s12, s12, s17
	s_bcnt1_i32_b64 s17, s[34:35]
	s_add_i32 s9, s9, s14
	v_cmp_eq_u32_e64 s[34:35], 2, v2
	s_add_i32 s9, s9, s15
	s_and_b64 s[14:15], vcc, s[34:35]
	v_cmp_eq_u32_e64 s[34:35], 2, v3
	s_and_b64 s[22:23], s[6:7], s[34:35]
	v_cmp_eq_u32_e64 s[34:35], 2, v4
	s_and_b64 s[24:25], s[26:27], s[34:35]
	v_cmp_eq_u32_e64 s[34:35], 2, v1
	v_cndmask_b32_e64 v6, 0, 1, s[14:15]
	s_and_b64 s[28:29], s[30:31], s[34:35]
	v_cmp_ne_u32_e64 s[34:35], 0, v6
	v_cndmask_b32_e64 v6, 0, 1, s[22:23]
	s_bcnt1_i32_b64 s13, s[34:35]
	v_cmp_ne_u32_e64 s[34:35], 0, v6
	v_cndmask_b32_e64 v6, 0, 1, s[24:25]
	s_bcnt1_i32_b64 s14, s[34:35]
	;; [unrolled: 3-line block ×3, first 2 shown]
	v_cmp_ne_u32_e64 s[34:35], 0, v6
	s_add_i32 s8, s8, s13
	s_add_i32 s9, s9, s17
	s_bcnt1_i32_b64 s17, s[34:35]
	s_add_i32 s8, s8, s14
	v_cmp_eq_u32_e64 s[34:35], 3, v2
	s_add_i32 s8, s8, s15
	s_and_b64 s[14:15], vcc, s[34:35]
	v_cmp_eq_u32_e32 vcc, 3, v3
	s_and_b64 s[6:7], s[6:7], vcc
	v_cmp_eq_u32_e32 vcc, 3, v4
	s_and_b64 s[22:23], s[26:27], vcc
	v_cmp_eq_u32_e32 vcc, 3, v1
	v_cndmask_b32_e64 v1, 0, 1, s[14:15]
	s_and_b64 s[24:25], s[30:31], vcc
	v_cmp_ne_u32_e32 vcc, 0, v1
	v_cndmask_b32_e64 v1, 0, 1, s[6:7]
	s_bcnt1_i32_b64 s13, vcc
	v_cmp_ne_u32_e32 vcc, 0, v1
	v_cndmask_b32_e64 v1, 0, 1, s[22:23]
	s_bcnt1_i32_b64 s6, vcc
	v_cmp_ne_u32_e32 vcc, 0, v1
	v_cndmask_b32_e64 v1, 0, 1, s[24:25]
	s_add_i32 s3, s3, s13
	s_bcnt1_i32_b64 s7, vcc
	v_cmp_ne_u32_e32 vcc, 0, v1
	s_add_i32 s3, s3, s6
	s_bcnt1_i32_b64 s14, vcc
	s_add_i32 s3, s3, s7
	s_add_i32 s8, s8, s17
	;; [unrolled: 1-line block ×3, first 2 shown]
	v_cmp_le_u32_e32 vcc, s2, v5
	s_or_b64 s[86:87], vcc, s[86:87]
	v_mov_b32_e32 v1, s12
	v_mov_b32_e32 v2, s9
	;; [unrolled: 1-line block ×4, first 2 shown]
	s_andn2_b64 exec, exec, s[86:87]
	s_cbranch_execnz .LBB20_74
; %bb.75:                               ;   in Loop: Header=BB20_6 Depth=1
	s_or_b64 exec, exec, s[86:87]
.LBB20_76:                              ;   in Loop: Header=BB20_6 Depth=1
	s_or_b64 exec, exec, s[84:85]
	v_add_u32_e32 v5, s2, v0
	v_cmp_gt_u32_e32 vcc, s16, v5
	s_and_saveexec_b64 s[12:13], vcc
	s_cbranch_execz .LBB20_80
; %bb.77:                               ;   in Loop: Header=BB20_6 Depth=1
	s_mov_b64 s[14:15], 0
.LBB20_78:                              ;   Parent Loop BB20_6 Depth=1
                                        ; =>  This Inner Loop Header: Depth=2
	ds_read_i8 v6, v5
	v_add_u32_e32 v5, s33, v5
	s_waitcnt lgkmcnt(0)
	v_add_u32_e32 v6, 0x80, v6
	v_and_b32_e32 v7, v6, v38
	v_bfe_u32 v6, v6, s10, 2
	v_cmp_eq_u32_e32 vcc, v7, v29
	v_cmp_eq_u32_e64 s[6:7], 0, v6
	s_and_b64 s[2:3], vcc, s[6:7]
	v_cndmask_b32_e64 v7, 0, 1, s[2:3]
	v_cmp_ne_u32_e64 s[6:7], 0, v7
	s_bcnt1_i32_b64 s2, s[6:7]
	v_cmp_eq_u32_e64 s[6:7], 1, v6
	v_add_u32_e32 v1, s2, v1
	s_and_b64 s[2:3], vcc, s[6:7]
	v_cndmask_b32_e64 v7, 0, 1, s[2:3]
	v_cmp_ne_u32_e64 s[6:7], 0, v7
	s_bcnt1_i32_b64 s2, s[6:7]
	v_cmp_eq_u32_e64 s[6:7], 2, v6
	v_add_u32_e32 v2, s2, v2
	;; [unrolled: 6-line block ×3, first 2 shown]
	s_and_b64 s[2:3], vcc, s[6:7]
	v_cndmask_b32_e64 v6, 0, 1, s[2:3]
	v_cmp_ne_u32_e32 vcc, 0, v6
	s_bcnt1_i32_b64 s2, vcc
	v_cmp_le_u32_e32 vcc, s16, v5
	v_add_u32_e32 v4, s2, v4
	s_or_b64 s[14:15], vcc, s[14:15]
	s_andn2_b64 exec, exec, s[14:15]
	s_cbranch_execnz .LBB20_78
; %bb.79:                               ;   in Loop: Header=BB20_6 Depth=1
	s_or_b64 exec, exec, s[14:15]
.LBB20_80:                              ;   in Loop: Header=BB20_6 Depth=1
	s_or_b64 exec, exec, s[12:13]
	s_lshl_b32 s8, s54, 6
	s_and_saveexec_b64 s[2:3], s[0:1]
	s_cbranch_execnz .LBB20_54
	s_branch .LBB20_55
.LBB20_81:                              ;   in Loop: Header=BB20_6 Depth=1
	v_mov_b32_e32 v1, 0
	s_mov_b32 s2, 0
.LBB20_82:                              ;   in Loop: Header=BB20_6 Depth=1
	v_readlane_b32 s12, v51, 46
	v_readlane_b32 s13, v51, 47
	s_andn2_b64 vcc, exec, s[12:13]
	s_cbranch_vccnz .LBB20_85
; %bb.83:                               ;   in Loop: Header=BB20_6 Depth=1
	s_lshl_b32 s3, s54, 8
	s_lshl_b32 s2, s2, 4
	s_add_i32 s3, s3, s2
	v_add_u32_e32 v2, s3, v36
	v_readlane_b32 s2, v51, 45
.LBB20_84:                              ;   Parent Loop BB20_6 Depth=1
                                        ; =>  This Inner Loop Header: Depth=2
	ds_read_b32 v3, v2
	s_add_i32 s2, s2, -1
	v_add_u32_e32 v2, 16, v2
	s_cmp_lg_u32 s2, 0
	s_waitcnt lgkmcnt(0)
	v_add_u32_e32 v1, v3, v1
	s_cbranch_scc1 .LBB20_84
.LBB20_85:                              ;   in Loop: Header=BB20_6 Depth=1
	v_add_lshl_u32 v2, s8, v21, 2
	ds_write_b32 v2, v1 offset:3072
.LBB20_86:                              ;   in Loop: Header=BB20_6 Depth=1
	s_or_b64 exec, exec, s[6:7]
	s_lshl_b32 s2, s8, 2
	v_mov_b32_e32 v1, s2
	s_waitcnt lgkmcnt(0)
	s_barrier
	ds_read_b128 v[1:4], v1 offset:3072
	v_readlane_b32 s2, v51, 19
	s_lshl_b32 s38, 3, s10
	v_readlane_b32 s3, v51, 20
	s_not_b32 s39, s38
	s_waitcnt lgkmcnt(0)
	v_readfirstlane_b32 s20, v1
	v_readfirstlane_b32 s50, v2
	;; [unrolled: 1-line block ×4, first 2 shown]
	v_cmp_eq_u32_e64 s[26:27], 1, v40
	s_mov_b64 s[90:91], -1
	s_mov_b64 s[30:31], 0
	s_andn2_b64 vcc, exec, s[2:3]
	s_mov_b64 s[84:85], 0
	s_mov_b64 s[34:35], 0
                                        ; implicit-def: $sgpr86_sgpr87
                                        ; implicit-def: $sgpr88_sgpr89
                                        ; implicit-def: $vgpr4
                                        ; implicit-def: $vgpr1
                                        ; implicit-def: $vgpr3
                                        ; implicit-def: $vgpr2
                                        ; implicit-def: $vgpr5
	s_cbranch_vccnz .LBB20_244
; %bb.87:                               ;   in Loop: Header=BB20_6 Depth=1
	s_cmp_eq_u32 s20, 1
	s_cselect_b64 s[2:3], -1, 0
	s_and_b64 s[6:7], s[2:3], s[26:27]
	s_mov_b64 s[2:3], -1
	v_mov_b32_e32 v3, v29
	v_mov_b32_e32 v2, v38
	;; [unrolled: 1-line block ×3, first 2 shown]
                                        ; implicit-def: $sgpr88_sgpr89
                                        ; implicit-def: $sgpr86_sgpr87
	s_and_saveexec_b64 s[12:13], s[6:7]
	s_cbranch_execz .LBB20_113
; %bb.88:                               ;   in Loop: Header=BB20_6 Depth=1
	ds_read_b32 v1, v23 offset:4096
	s_waitcnt lgkmcnt(0)
	s_barrier
	v_readfirstlane_b32 s8, v1
	s_mov_b64 s[2:3], exec
	v_readlane_b32 s14, v51, 29
	v_readlane_b32 s15, v51, 30
	s_and_b64 s[14:15], s[2:3], s[14:15]
	s_mov_b64 exec, s[14:15]
; %bb.89:                               ;   in Loop: Header=BB20_6 Depth=1
	ds_write_b8 v0, v23 offset:3072
; %bb.90:                               ;   in Loop: Header=BB20_6 Depth=1
	s_or_b64 exec, exec, s[2:3]
	v_and_b32_e32 v3, s39, v29
	v_or_b32_e32 v2, s38, v38
	s_mov_b64 s[86:87], -1
	s_mov_b64 s[88:89], 0
	s_cmp_eq_u32 s8, 0
	s_mov_b64 s[2:3], 0
	s_mov_b64 s[14:15], -1
	s_waitcnt lgkmcnt(0)
	s_barrier
                                        ; implicit-def: $vgpr5
	s_cbranch_scc1 .LBB20_101
; %bb.91:                               ;   in Loop: Header=BB20_6 Depth=1
	v_readlane_b32 s2, v51, 31
	s_add_i32 s2, s8, s2
	v_readlane_b32 s3, v51, 53
	s_mul_hi_u32 s3, s2, s3
	s_mul_i32 s3, s3, s33
	s_sub_i32 s3, s2, s3
	s_sub_i32 s9, s3, s33
	s_cmp_ge_u32 s3, s33
	s_cselect_b32 s3, s9, s3
	s_sub_i32 s9, s3, s33
	s_cmp_ge_u32 s3, s33
	s_cselect_b32 s3, s9, s3
	s_sub_i32 s9, s2, s3
	v_cmp_gt_u32_e32 vcc, s9, v0
	s_mov_b64 s[14:15], 0
	s_mov_b64 s[2:3], 0
                                        ; implicit-def: $vgpr5
	s_and_saveexec_b64 s[16:17], vcc
	s_cbranch_execz .LBB20_100
; %bb.92:                               ;   in Loop: Header=BB20_6 Depth=1
	v_mov_b32_e32 v1, v0
                                        ; implicit-def: $sgpr24_sgpr25
	s_branch .LBB20_95
.LBB20_93:                              ;   in Loop: Header=BB20_95 Depth=2
	s_or_b64 exec, exec, s[22:23]
	s_waitcnt lgkmcnt(0)
	s_barrier
	ds_read_u16 v4, v23 offset:3072
	s_mov_b64 s[22:23], -1
	s_waitcnt lgkmcnt(0)
	s_barrier
	v_cmp_ne_u32_sdwa s[28:29], v4, v23 src0_sel:BYTE_0 src1_sel:DWORD
	s_and_b64 vcc, exec, s[28:29]
	s_mov_b64 s[28:29], -1
	s_cbranch_vccz .LBB20_98
.LBB20_94:                              ;   in Loop: Header=BB20_95 Depth=2
	s_and_b64 s[22:23], exec, s[22:23]
	s_or_b64 s[2:3], s[22:23], s[2:3]
	s_andn2_b64 s[22:23], s[24:25], exec
	s_and_b64 s[24:25], s[28:29], exec
	s_or_b64 s[24:25], s[22:23], s[24:25]
	s_andn2_b64 exec, exec, s[2:3]
	s_cbranch_execz .LBB20_99
.LBB20_95:                              ;   Parent Loop BB20_6 Depth=1
                                        ; =>  This Inner Loop Header: Depth=2
	v_cmp_gt_u32_e32 vcc, s8, v1
	s_and_saveexec_b64 s[22:23], vcc
	s_cbranch_execz .LBB20_93
; %bb.96:                               ;   in Loop: Header=BB20_95 Depth=2
	ds_read_u8 v4, v1
	s_waitcnt lgkmcnt(0)
	v_add_u32_sdwa v5, sext(v4), s18 dst_sel:DWORD dst_unused:UNUSED_PAD src0_sel:BYTE_0 src1_sel:DWORD
	v_and_b32_e32 v5, v5, v2
	v_cmp_eq_u32_e32 vcc, v5, v3
	s_and_b64 exec, exec, vcc
	s_cbranch_execz .LBB20_93
; %bb.97:                               ;   in Loop: Header=BB20_95 Depth=2
	v_lshlrev_b16_e32 v4, 8, v4
	v_or_b32_e32 v4, 1, v4
	ds_write_b16 v23, v4 offset:3072
	s_branch .LBB20_93
.LBB20_98:                              ;   in Loop: Header=BB20_95 Depth=2
	v_add_u32_e32 v1, s33, v1
	v_cmp_le_u32_e32 vcc, s9, v1
	s_mov_b64 s[28:29], 0
	s_orn2_b64 s[22:23], vcc, exec
	s_branch .LBB20_94
.LBB20_99:                              ;   in Loop: Header=BB20_6 Depth=1
	s_or_b64 exec, exec, s[2:3]
	v_lshrrev_b32_sdwa v5, v37, v4 dst_sel:DWORD dst_unused:UNUSED_PAD src0_sel:DWORD src1_sel:WORD_0
	s_and_b64 s[2:3], s[24:25], exec
.LBB20_100:                             ;   in Loop: Header=BB20_6 Depth=1
	s_or_b64 exec, exec, s[16:17]
.LBB20_101:                             ;   in Loop: Header=BB20_6 Depth=1
	s_and_b64 vcc, exec, s[14:15]
	s_cbranch_vccz .LBB20_112
; %bb.102:                              ;   in Loop: Header=BB20_6 Depth=1
                                        ; implicit-def: $vgpr5
	s_mov_b64 s[14:15], exec
	v_readlane_b32 s8, v51, 54
	v_readlane_b32 s9, v51, 55
	s_and_b64 s[8:9], s[14:15], s[8:9]
	s_mov_b64 exec, s[8:9]
	s_cbranch_execz .LBB20_111
; %bb.103:                              ;   in Loop: Header=BB20_6 Depth=1
	s_mov_b64 s[16:17], 0
	v_mov_b32_e32 v1, v22
	v_mov_b32_e32 v4, v0
                                        ; implicit-def: $sgpr24_sgpr25
	s_branch .LBB20_106
.LBB20_104:                             ;   in Loop: Header=BB20_106 Depth=2
	s_or_b64 exec, exec, s[22:23]
	s_waitcnt lgkmcnt(0)
	s_barrier
	ds_read_u16 v5, v23 offset:3072
	s_mov_b64 s[22:23], -1
	s_mov_b64 s[28:29], -1
	s_waitcnt lgkmcnt(0)
	s_barrier
	v_cmp_ne_u32_sdwa s[8:9], v5, v23 src0_sel:BYTE_0 src1_sel:DWORD
	s_and_b64 vcc, exec, s[8:9]
	s_cbranch_vccz .LBB20_109
.LBB20_105:                             ;   in Loop: Header=BB20_106 Depth=2
	s_and_b64 s[8:9], exec, s[22:23]
	s_or_b64 s[16:17], s[8:9], s[16:17]
	s_andn2_b64 s[8:9], s[24:25], exec
	s_and_b64 s[22:23], s[28:29], exec
	s_or_b64 s[24:25], s[8:9], s[22:23]
	s_andn2_b64 exec, exec, s[16:17]
	s_cbranch_execz .LBB20_110
.LBB20_106:                             ;   Parent Loop BB20_6 Depth=1
                                        ; =>  This Inner Loop Header: Depth=2
	v_cmp_gt_u32_e32 vcc, s36, v4
	s_and_saveexec_b64 s[22:23], vcc
	s_cbranch_execz .LBB20_104
; %bb.107:                              ;   in Loop: Header=BB20_106 Depth=2
	global_load_ubyte v5, v1, s[40:41]
	s_waitcnt vmcnt(0)
	v_add_u32_sdwa v6, sext(v5), s18 dst_sel:DWORD dst_unused:UNUSED_PAD src0_sel:BYTE_0 src1_sel:DWORD
	v_and_b32_e32 v6, v6, v2
	v_cmp_eq_u32_e32 vcc, v6, v3
	s_and_b64 exec, exec, vcc
	s_cbranch_execz .LBB20_104
; %bb.108:                              ;   in Loop: Header=BB20_106 Depth=2
	v_lshlrev_b16_e32 v5, 8, v5
	v_or_b32_e32 v5, 1, v5
	ds_write_b16 v23, v5 offset:3072
	s_branch .LBB20_104
.LBB20_109:                             ;   in Loop: Header=BB20_106 Depth=2
	v_add_u32_e32 v4, s33, v4
	v_cmp_le_u32_e32 vcc, s4, v4
	v_add_u32_e32 v1, s53, v1
	s_mov_b64 s[28:29], 0
	s_orn2_b64 s[22:23], vcc, exec
	s_branch .LBB20_105
.LBB20_110:                             ;   in Loop: Header=BB20_6 Depth=1
	s_or_b64 exec, exec, s[16:17]
	s_andn2_b64 s[2:3], s[2:3], exec
	s_and_b64 s[8:9], s[24:25], exec
	v_lshrrev_b32_sdwa v5, v37, v5 dst_sel:DWORD dst_unused:UNUSED_PAD src0_sel:DWORD src1_sel:WORD_0
	s_or_b64 s[2:3], s[2:3], s[8:9]
.LBB20_111:                             ;   in Loop: Header=BB20_6 Depth=1
	s_or_b64 exec, exec, s[14:15]
	s_mov_b64 s[86:87], 0
	s_mov_b64 s[88:89], -1
.LBB20_112:                             ;   in Loop: Header=BB20_6 Depth=1
	s_orn2_b64 s[2:3], s[2:3], exec
.LBB20_113:                             ;   in Loop: Header=BB20_6 Depth=1
	s_or_b64 exec, exec, s[12:13]
	s_mov_b64 s[90:91], 0
	s_mov_b64 s[84:85], 0
	;; [unrolled: 1-line block ×3, first 2 shown]
                                        ; implicit-def: $vgpr4
                                        ; implicit-def: $vgpr1
	s_and_saveexec_b64 s[92:93], s[2:3]
	s_cbranch_execz .LBB20_243
; %bb.114:                              ;   in Loop: Header=BB20_6 Depth=1
	s_xor_b64 s[8:9], s[6:7], -1
	s_mov_b64 s[6:7], 0
	v_mov_b32_e32 v4, 1
	v_mov_b32_e32 v1, 1
	s_and_saveexec_b64 s[2:3], s[8:9]
	s_cbranch_execz .LBB20_123
; %bb.115:                              ;   in Loop: Header=BB20_6 Depth=1
	v_cmp_ge_u32_e32 vcc, s20, v40
	s_and_saveexec_b64 s[6:7], vcc
	s_xor_b64 s[6:7], exec, s[6:7]
	s_cbranch_execz .LBB20_120
; %bb.116:                              ;   in Loop: Header=BB20_6 Depth=1
	ds_read_b32 v1, v23 offset:4096
	v_and_b32_e32 v3, s39, v3
	v_or_b32_e32 v2, s38, v2
	s_waitcnt lgkmcnt(0)
	v_cmp_ne_u32_e32 vcc, 0, v1
	s_cbranch_vccnz .LBB20_120
; %bb.117:                              ;   in Loop: Header=BB20_6 Depth=1
	s_mov_b64 s[8:9], exec
	v_readlane_b32 s12, v51, 14
	v_readlane_b32 s13, v51, 15
	s_and_b64 s[12:13], s[8:9], s[12:13]
	s_mov_b64 exec, s[12:13]
; %bb.118:                              ;   in Loop: Header=BB20_6 Depth=1
	v_mov_b32_e32 v1, s20
	ds_write_b32 v23, v1 offset:4100
; %bb.119:                              ;   in Loop: Header=BB20_6 Depth=1
	s_or_b64 exec, exec, s[8:9]
	s_waitcnt lgkmcnt(0)
	s_barrier
.LBB20_120:                             ;   in Loop: Header=BB20_6 Depth=1
	s_or_saveexec_b64 s[6:7], s[6:7]
	s_mov_b64 s[12:13], 0
	v_mov_b32_e32 v1, 8
	v_mov_b32_e32 v4, v40
	s_xor_b64 exec, exec, s[6:7]
; %bb.121:                              ;   in Loop: Header=BB20_6 Depth=1
	s_mov_b64 s[12:13], exec
	v_subrev_u32_e32 v4, s20, v40
	v_mov_b32_e32 v1, 0
; %bb.122:                              ;   in Loop: Header=BB20_6 Depth=1
	s_or_b64 exec, exec, s[6:7]
	s_and_b64 s[6:7], s[12:13], exec
.LBB20_123:                             ;   in Loop: Header=BB20_6 Depth=1
	s_or_b64 exec, exec, s[2:3]
	s_mov_b64 s[2:3], -1
                                        ; implicit-def: $sgpr34_sgpr35
                                        ; implicit-def: $sgpr84_sgpr85
	s_and_saveexec_b64 s[8:9], s[6:7]
	s_xor_b64 s[6:7], exec, s[8:9]
	s_cbranch_execz .LBB20_240
; %bb.124:                              ;   in Loop: Header=BB20_6 Depth=1
	s_cmp_eq_u32 s50, 1
	s_cselect_b64 s[2:3], -1, 0
	v_cmp_eq_u32_e32 vcc, 1, v4
	s_and_b64 s[14:15], s[2:3], vcc
	s_mov_b64 s[2:3], -1
                                        ; implicit-def: $sgpr84_sgpr85
                                        ; implicit-def: $sgpr34_sgpr35
	s_and_saveexec_b64 s[12:13], s[14:15]
	s_cbranch_execz .LBB20_150
; %bb.125:                              ;   in Loop: Header=BB20_6 Depth=1
	ds_read_b32 v5, v23 offset:4096
	s_waitcnt lgkmcnt(0)
	s_barrier
	v_readfirstlane_b32 s8, v5
	s_mov_b64 s[2:3], exec
	v_readlane_b32 s16, v51, 29
	v_readlane_b32 s17, v51, 30
	s_and_b64 s[16:17], s[2:3], s[16:17]
	s_mov_b64 exec, s[16:17]
; %bb.126:                              ;   in Loop: Header=BB20_6 Depth=1
	ds_write_b8 v0, v23 offset:3072
; %bb.127:                              ;   in Loop: Header=BB20_6 Depth=1
	s_or_b64 exec, exec, s[2:3]
	v_and_b32_e32 v3, s39, v3
	v_lshl_or_b32 v3, 1, s10, v3
	v_or_b32_e32 v2, s38, v2
	s_mov_b64 s[34:35], -1
	s_mov_b64 s[84:85], 0
	s_cmp_eq_u32 s8, 0
	s_mov_b64 s[16:17], 0
	s_mov_b64 s[2:3], -1
	s_waitcnt lgkmcnt(0)
	s_barrier
                                        ; implicit-def: $vgpr5
	s_cbranch_scc1 .LBB20_138
; %bb.128:                              ;   in Loop: Header=BB20_6 Depth=1
	v_readlane_b32 s2, v51, 31
	s_add_i32 s2, s8, s2
	v_readlane_b32 s3, v51, 53
	s_mul_hi_u32 s3, s2, s3
	s_mul_i32 s3, s3, s33
	s_sub_i32 s3, s2, s3
	s_sub_i32 s9, s3, s33
	s_cmp_ge_u32 s3, s33
	s_cselect_b32 s3, s9, s3
	s_sub_i32 s9, s3, s33
	s_cmp_ge_u32 s3, s33
	s_cselect_b32 s3, s9, s3
	s_sub_i32 s9, s2, s3
	v_cmp_gt_u32_e32 vcc, s9, v0
	s_mov_b64 s[2:3], 0
                                        ; implicit-def: $vgpr5
	s_and_saveexec_b64 s[24:25], vcc
	s_cbranch_execz .LBB20_137
; %bb.129:                              ;   in Loop: Header=BB20_6 Depth=1
	v_mov_b32_e32 v5, v0
                                        ; implicit-def: $sgpr28_sgpr29
	s_branch .LBB20_132
.LBB20_130:                             ;   in Loop: Header=BB20_132 Depth=2
	s_or_b64 exec, exec, s[42:43]
	s_waitcnt lgkmcnt(0)
	s_barrier
	ds_read_u16 v6, v23 offset:3072
	s_mov_b64 s[22:23], -1
	s_waitcnt lgkmcnt(0)
	s_barrier
	v_cmp_ne_u32_sdwa s[42:43], v6, v23 src0_sel:BYTE_0 src1_sel:DWORD
	s_and_b64 vcc, exec, s[42:43]
	s_mov_b64 s[42:43], -1
	s_cbranch_vccz .LBB20_135
.LBB20_131:                             ;   in Loop: Header=BB20_132 Depth=2
	s_and_b64 s[22:23], exec, s[22:23]
	s_or_b64 s[16:17], s[22:23], s[16:17]
	s_andn2_b64 s[22:23], s[28:29], exec
	s_and_b64 s[28:29], s[42:43], exec
	s_or_b64 s[28:29], s[22:23], s[28:29]
	s_andn2_b64 exec, exec, s[16:17]
	s_cbranch_execz .LBB20_136
.LBB20_132:                             ;   Parent Loop BB20_6 Depth=1
                                        ; =>  This Inner Loop Header: Depth=2
	v_cmp_gt_u32_e32 vcc, s8, v5
	s_and_saveexec_b64 s[42:43], vcc
	s_cbranch_execz .LBB20_130
; %bb.133:                              ;   in Loop: Header=BB20_132 Depth=2
	ds_read_u8 v6, v5
	s_waitcnt lgkmcnt(0)
	v_add_u32_sdwa v7, sext(v6), s18 dst_sel:DWORD dst_unused:UNUSED_PAD src0_sel:BYTE_0 src1_sel:DWORD
	v_and_b32_e32 v7, v7, v2
	v_cmp_eq_u32_e32 vcc, v7, v3
	s_and_b64 exec, exec, vcc
	s_cbranch_execz .LBB20_130
; %bb.134:                              ;   in Loop: Header=BB20_132 Depth=2
	v_lshlrev_b16_e32 v6, 8, v6
	v_or_b32_e32 v6, 1, v6
	ds_write_b16 v23, v6 offset:3072
	s_branch .LBB20_130
.LBB20_135:                             ;   in Loop: Header=BB20_132 Depth=2
	v_add_u32_e32 v5, s33, v5
	v_cmp_le_u32_e32 vcc, s9, v5
	s_mov_b64 s[42:43], 0
	s_orn2_b64 s[22:23], vcc, exec
	s_branch .LBB20_131
.LBB20_136:                             ;   in Loop: Header=BB20_6 Depth=1
	s_or_b64 exec, exec, s[16:17]
	v_lshrrev_b32_sdwa v5, v37, v6 dst_sel:DWORD dst_unused:UNUSED_PAD src0_sel:DWORD src1_sel:WORD_0
	s_and_b64 s[16:17], s[28:29], exec
.LBB20_137:                             ;   in Loop: Header=BB20_6 Depth=1
	s_or_b64 exec, exec, s[24:25]
.LBB20_138:                             ;   in Loop: Header=BB20_6 Depth=1
	s_and_b64 vcc, exec, s[2:3]
	s_cbranch_vccz .LBB20_149
; %bb.139:                              ;   in Loop: Header=BB20_6 Depth=1
                                        ; implicit-def: $vgpr5
	s_mov_b64 s[2:3], exec
	v_readlane_b32 s8, v51, 54
	v_readlane_b32 s9, v51, 55
	s_and_b64 s[8:9], s[2:3], s[8:9]
	s_mov_b64 exec, s[8:9]
	s_cbranch_execz .LBB20_148
; %bb.140:                              ;   in Loop: Header=BB20_6 Depth=1
	s_mov_b64 s[24:25], 0
	v_mov_b32_e32 v5, v22
	v_mov_b32_e32 v6, v0
                                        ; implicit-def: $sgpr28_sgpr29
	s_branch .LBB20_143
.LBB20_141:                             ;   in Loop: Header=BB20_143 Depth=2
	s_or_b64 exec, exec, s[34:35]
	s_waitcnt lgkmcnt(0)
	s_barrier
	ds_read_u16 v7, v23 offset:3072
	s_mov_b64 s[22:23], -1
	s_mov_b64 s[34:35], -1
	s_waitcnt lgkmcnt(0)
	s_barrier
	v_cmp_eq_u32_sdwa s[8:9], v7, v23 src0_sel:BYTE_0 src1_sel:DWORD
	s_and_b64 vcc, exec, s[8:9]
	s_cbranch_vccnz .LBB20_146
.LBB20_142:                             ;   in Loop: Header=BB20_143 Depth=2
	s_and_b64 s[8:9], exec, s[22:23]
	s_or_b64 s[24:25], s[8:9], s[24:25]
	s_andn2_b64 s[8:9], s[28:29], exec
	s_and_b64 s[22:23], s[34:35], exec
	s_or_b64 s[28:29], s[8:9], s[22:23]
	s_andn2_b64 exec, exec, s[24:25]
	s_cbranch_execz .LBB20_147
.LBB20_143:                             ;   Parent Loop BB20_6 Depth=1
                                        ; =>  This Inner Loop Header: Depth=2
	v_cmp_gt_u32_e32 vcc, s36, v6
	s_and_saveexec_b64 s[34:35], vcc
	s_cbranch_execz .LBB20_141
; %bb.144:                              ;   in Loop: Header=BB20_143 Depth=2
	global_load_ubyte v7, v5, s[40:41]
	s_waitcnt vmcnt(0)
	v_add_u32_sdwa v8, sext(v7), s18 dst_sel:DWORD dst_unused:UNUSED_PAD src0_sel:BYTE_0 src1_sel:DWORD
	v_and_b32_e32 v8, v8, v2
	v_cmp_eq_u32_e32 vcc, v8, v3
	s_and_b64 exec, exec, vcc
	s_cbranch_execz .LBB20_141
; %bb.145:                              ;   in Loop: Header=BB20_143 Depth=2
	v_lshlrev_b16_e32 v7, 8, v7
	v_or_b32_e32 v7, 1, v7
	ds_write_b16 v23, v7 offset:3072
	s_branch .LBB20_141
.LBB20_146:                             ;   in Loop: Header=BB20_143 Depth=2
	v_add_u32_e32 v6, s33, v6
	v_cmp_le_u32_e32 vcc, s4, v6
	v_add_u32_e32 v5, s53, v5
	s_mov_b64 s[34:35], 0
	s_orn2_b64 s[22:23], vcc, exec
	s_branch .LBB20_142
.LBB20_147:                             ;   in Loop: Header=BB20_6 Depth=1
	s_or_b64 exec, exec, s[24:25]
	s_andn2_b64 s[8:9], s[16:17], exec
	s_and_b64 s[16:17], s[28:29], exec
	v_lshrrev_b32_sdwa v5, v37, v7 dst_sel:DWORD dst_unused:UNUSED_PAD src0_sel:DWORD src1_sel:WORD_0
	s_or_b64 s[16:17], s[8:9], s[16:17]
.LBB20_148:                             ;   in Loop: Header=BB20_6 Depth=1
	s_or_b64 exec, exec, s[2:3]
	s_mov_b64 s[34:35], 0
	s_mov_b64 s[84:85], -1
.LBB20_149:                             ;   in Loop: Header=BB20_6 Depth=1
	s_orn2_b64 s[2:3], s[16:17], exec
.LBB20_150:                             ;   in Loop: Header=BB20_6 Depth=1
	s_or_b64 exec, exec, s[12:13]
	s_mov_b64 s[12:13], 0
	s_and_saveexec_b64 s[94:95], s[2:3]
	s_cbranch_execz .LBB20_239
; %bb.151:                              ;   in Loop: Header=BB20_6 Depth=1
	s_xor_b64 s[8:9], s[14:15], -1
	v_mov_b32_e32 v6, 1
	v_mov_b32_e32 v1, 1
	s_and_saveexec_b64 s[2:3], s[8:9]
	s_cbranch_execz .LBB20_160
; %bb.152:                              ;   in Loop: Header=BB20_6 Depth=1
	v_cmp_ge_u32_e32 vcc, s50, v4
	s_and_saveexec_b64 s[8:9], vcc
	s_xor_b64 s[12:13], exec, s[8:9]
	s_cbranch_execz .LBB20_157
; %bb.153:                              ;   in Loop: Header=BB20_6 Depth=1
	v_and_b32_e32 v1, s39, v3
	v_lshl_or_b32 v3, 1, s10, v1
	ds_read_b32 v1, v23 offset:4096
	v_or_b32_e32 v2, s38, v2
	s_waitcnt lgkmcnt(0)
	v_cmp_ne_u32_e32 vcc, 0, v1
	s_cbranch_vccnz .LBB20_157
; %bb.154:                              ;   in Loop: Header=BB20_6 Depth=1
	s_mov_b64 s[8:9], exec
	v_readlane_b32 s14, v51, 14
	v_readlane_b32 s15, v51, 15
	s_and_b64 s[14:15], s[8:9], s[14:15]
	s_mov_b64 exec, s[14:15]
; %bb.155:                              ;   in Loop: Header=BB20_6 Depth=1
	v_mov_b32_e32 v1, s50
	ds_write_b32 v23, v1 offset:4100
; %bb.156:                              ;   in Loop: Header=BB20_6 Depth=1
	s_or_b64 exec, exec, s[8:9]
	s_waitcnt lgkmcnt(0)
	s_barrier
.LBB20_157:                             ;   in Loop: Header=BB20_6 Depth=1
	s_or_saveexec_b64 s[12:13], s[12:13]
	s_mov_b64 s[14:15], 0
	v_mov_b32_e32 v1, 8
	s_xor_b64 exec, exec, s[12:13]
; %bb.158:                              ;   in Loop: Header=BB20_6 Depth=1
	s_mov_b64 s[14:15], exec
	v_subrev_u32_e32 v4, s50, v4
	v_mov_b32_e32 v1, 0
; %bb.159:                              ;   in Loop: Header=BB20_6 Depth=1
	s_or_b64 exec, exec, s[12:13]
	s_and_b64 s[12:13], s[14:15], exec
	v_mov_b32_e32 v6, v4
.LBB20_160:                             ;   in Loop: Header=BB20_6 Depth=1
	s_or_b64 exec, exec, s[2:3]
	s_mov_b64 s[2:3], -1
                                        ; implicit-def: $sgpr44_sgpr45
                                        ; implicit-def: $sgpr46_sgpr47
	s_and_saveexec_b64 s[42:43], s[12:13]
	s_cbranch_execz .LBB20_238
; %bb.161:                              ;   in Loop: Header=BB20_6 Depth=1
	s_cmp_eq_u32 s51, 1
	s_cselect_b64 s[2:3], -1, 0
	v_cmp_eq_u32_e32 vcc, 1, v6
	s_and_b64 s[14:15], s[2:3], vcc
	s_mov_b64 s[2:3], -1
                                        ; implicit-def: $sgpr46_sgpr47
                                        ; implicit-def: $sgpr44_sgpr45
	s_and_saveexec_b64 s[12:13], s[14:15]
	s_cbranch_execz .LBB20_187
; %bb.162:                              ;   in Loop: Header=BB20_6 Depth=1
	ds_read_b32 v4, v23 offset:4096
	s_waitcnt lgkmcnt(0)
	s_barrier
	v_readfirstlane_b32 s8, v4
	s_mov_b64 s[2:3], exec
	v_readlane_b32 s16, v51, 29
	v_readlane_b32 s17, v51, 30
	s_and_b64 s[16:17], s[2:3], s[16:17]
	s_mov_b64 exec, s[16:17]
; %bb.163:                              ;   in Loop: Header=BB20_6 Depth=1
	ds_write_b8 v0, v23 offset:3072
; %bb.164:                              ;   in Loop: Header=BB20_6 Depth=1
	s_or_b64 exec, exec, s[2:3]
	v_and_b32_e32 v3, s39, v3
	v_lshl_or_b32 v3, 2, s10, v3
	v_or_b32_e32 v2, s38, v2
	s_mov_b64 s[44:45], -1
	s_mov_b64 s[46:47], 0
	s_cmp_eq_u32 s8, 0
	s_mov_b64 s[16:17], 0
	s_mov_b64 s[2:3], -1
	s_waitcnt lgkmcnt(0)
	s_barrier
                                        ; implicit-def: $vgpr5
	s_cbranch_scc1 .LBB20_175
; %bb.165:                              ;   in Loop: Header=BB20_6 Depth=1
	v_readlane_b32 s2, v51, 31
	s_add_i32 s2, s8, s2
	v_readlane_b32 s3, v51, 53
	s_mul_hi_u32 s3, s2, s3
	s_mul_i32 s3, s3, s33
	s_sub_i32 s3, s2, s3
	s_sub_i32 s9, s3, s33
	s_cmp_ge_u32 s3, s33
	s_cselect_b32 s3, s9, s3
	s_sub_i32 s9, s3, s33
	s_cmp_ge_u32 s3, s33
	s_cselect_b32 s3, s9, s3
	s_sub_i32 s9, s2, s3
	v_cmp_gt_u32_e32 vcc, s9, v0
	s_mov_b64 s[2:3], 0
                                        ; implicit-def: $vgpr5
	s_and_saveexec_b64 s[24:25], vcc
	s_cbranch_execz .LBB20_174
; %bb.166:                              ;   in Loop: Header=BB20_6 Depth=1
	v_mov_b32_e32 v4, v0
                                        ; implicit-def: $sgpr28_sgpr29
	s_branch .LBB20_169
.LBB20_167:                             ;   in Loop: Header=BB20_169 Depth=2
	s_or_b64 exec, exec, s[48:49]
	s_waitcnt lgkmcnt(0)
	s_barrier
	ds_read_u16 v5, v23 offset:3072
	s_mov_b64 s[22:23], -1
	s_waitcnt lgkmcnt(0)
	s_barrier
	v_cmp_ne_u32_sdwa s[48:49], v5, v23 src0_sel:BYTE_0 src1_sel:DWORD
	s_and_b64 vcc, exec, s[48:49]
	s_mov_b64 s[48:49], -1
	s_cbranch_vccz .LBB20_172
.LBB20_168:                             ;   in Loop: Header=BB20_169 Depth=2
	s_and_b64 s[22:23], exec, s[22:23]
	s_or_b64 s[16:17], s[22:23], s[16:17]
	s_andn2_b64 s[22:23], s[28:29], exec
	s_and_b64 s[28:29], s[48:49], exec
	s_or_b64 s[28:29], s[22:23], s[28:29]
	s_andn2_b64 exec, exec, s[16:17]
	s_cbranch_execz .LBB20_173
.LBB20_169:                             ;   Parent Loop BB20_6 Depth=1
                                        ; =>  This Inner Loop Header: Depth=2
	v_cmp_gt_u32_e32 vcc, s8, v4
	s_and_saveexec_b64 s[48:49], vcc
	s_cbranch_execz .LBB20_167
; %bb.170:                              ;   in Loop: Header=BB20_169 Depth=2
	ds_read_u8 v5, v4
	s_waitcnt lgkmcnt(0)
	v_add_u32_sdwa v7, sext(v5), s18 dst_sel:DWORD dst_unused:UNUSED_PAD src0_sel:BYTE_0 src1_sel:DWORD
	v_and_b32_e32 v7, v7, v2
	v_cmp_eq_u32_e32 vcc, v7, v3
	s_and_b64 exec, exec, vcc
	s_cbranch_execz .LBB20_167
; %bb.171:                              ;   in Loop: Header=BB20_169 Depth=2
	v_lshlrev_b16_e32 v5, 8, v5
	v_or_b32_e32 v5, 1, v5
	ds_write_b16 v23, v5 offset:3072
	s_branch .LBB20_167
.LBB20_172:                             ;   in Loop: Header=BB20_169 Depth=2
	v_add_u32_e32 v4, s33, v4
	v_cmp_le_u32_e32 vcc, s9, v4
	s_mov_b64 s[48:49], 0
	s_orn2_b64 s[22:23], vcc, exec
	s_branch .LBB20_168
.LBB20_173:                             ;   in Loop: Header=BB20_6 Depth=1
	s_or_b64 exec, exec, s[16:17]
	v_lshrrev_b32_sdwa v5, v37, v5 dst_sel:DWORD dst_unused:UNUSED_PAD src0_sel:DWORD src1_sel:WORD_0
	s_and_b64 s[16:17], s[28:29], exec
.LBB20_174:                             ;   in Loop: Header=BB20_6 Depth=1
	s_or_b64 exec, exec, s[24:25]
.LBB20_175:                             ;   in Loop: Header=BB20_6 Depth=1
	s_and_b64 vcc, exec, s[2:3]
	s_cbranch_vccz .LBB20_186
; %bb.176:                              ;   in Loop: Header=BB20_6 Depth=1
                                        ; implicit-def: $vgpr5
	s_mov_b64 s[2:3], exec
	v_readlane_b32 s8, v51, 54
	v_readlane_b32 s9, v51, 55
	s_and_b64 s[8:9], s[2:3], s[8:9]
	s_mov_b64 exec, s[8:9]
	s_cbranch_execz .LBB20_185
; %bb.177:                              ;   in Loop: Header=BB20_6 Depth=1
	s_mov_b64 s[24:25], 0
	v_mov_b32_e32 v4, v22
	v_mov_b32_e32 v5, v0
                                        ; implicit-def: $sgpr28_sgpr29
	s_branch .LBB20_180
.LBB20_178:                             ;   in Loop: Header=BB20_180 Depth=2
	s_or_b64 exec, exec, s[44:45]
	s_waitcnt lgkmcnt(0)
	s_barrier
	ds_read_u16 v7, v23 offset:3072
	s_mov_b64 s[22:23], -1
	s_mov_b64 s[44:45], -1
	s_waitcnt lgkmcnt(0)
	s_barrier
	v_cmp_eq_u32_sdwa s[8:9], v7, v23 src0_sel:BYTE_0 src1_sel:DWORD
	s_and_b64 vcc, exec, s[8:9]
	s_cbranch_vccnz .LBB20_183
.LBB20_179:                             ;   in Loop: Header=BB20_180 Depth=2
	s_and_b64 s[8:9], exec, s[22:23]
	s_or_b64 s[24:25], s[8:9], s[24:25]
	s_andn2_b64 s[8:9], s[28:29], exec
	s_and_b64 s[22:23], s[44:45], exec
	s_or_b64 s[28:29], s[8:9], s[22:23]
	s_andn2_b64 exec, exec, s[24:25]
	s_cbranch_execz .LBB20_184
.LBB20_180:                             ;   Parent Loop BB20_6 Depth=1
                                        ; =>  This Inner Loop Header: Depth=2
	v_cmp_gt_u32_e32 vcc, s36, v5
	s_and_saveexec_b64 s[44:45], vcc
	s_cbranch_execz .LBB20_178
; %bb.181:                              ;   in Loop: Header=BB20_180 Depth=2
	global_load_ubyte v7, v4, s[40:41]
	s_waitcnt vmcnt(0)
	v_add_u32_sdwa v8, sext(v7), s18 dst_sel:DWORD dst_unused:UNUSED_PAD src0_sel:BYTE_0 src1_sel:DWORD
	v_and_b32_e32 v8, v8, v2
	v_cmp_eq_u32_e32 vcc, v8, v3
	s_and_b64 exec, exec, vcc
	s_cbranch_execz .LBB20_178
; %bb.182:                              ;   in Loop: Header=BB20_180 Depth=2
	v_lshlrev_b16_e32 v7, 8, v7
	v_or_b32_e32 v7, 1, v7
	ds_write_b16 v23, v7 offset:3072
	s_branch .LBB20_178
.LBB20_183:                             ;   in Loop: Header=BB20_180 Depth=2
	v_add_u32_e32 v5, s33, v5
	v_cmp_le_u32_e32 vcc, s4, v5
	v_add_u32_e32 v4, s53, v4
	s_mov_b64 s[44:45], 0
	s_orn2_b64 s[22:23], vcc, exec
	s_branch .LBB20_179
.LBB20_184:                             ;   in Loop: Header=BB20_6 Depth=1
	s_or_b64 exec, exec, s[24:25]
	s_andn2_b64 s[8:9], s[16:17], exec
	s_and_b64 s[16:17], s[28:29], exec
	v_lshrrev_b32_sdwa v5, v37, v7 dst_sel:DWORD dst_unused:UNUSED_PAD src0_sel:DWORD src1_sel:WORD_0
	s_or_b64 s[16:17], s[8:9], s[16:17]
.LBB20_185:                             ;   in Loop: Header=BB20_6 Depth=1
	s_or_b64 exec, exec, s[2:3]
	s_mov_b64 s[44:45], 0
	s_mov_b64 s[46:47], -1
.LBB20_186:                             ;   in Loop: Header=BB20_6 Depth=1
	s_orn2_b64 s[2:3], s[16:17], exec
.LBB20_187:                             ;   in Loop: Header=BB20_6 Depth=1
	s_or_b64 exec, exec, s[12:13]
	s_mov_b64 s[12:13], 0
	s_and_saveexec_b64 s[48:49], s[2:3]
	s_cbranch_execz .LBB20_237
; %bb.188:                              ;   in Loop: Header=BB20_6 Depth=1
	s_xor_b64 s[8:9], s[14:15], -1
	v_mov_b32_e32 v4, 1
	v_mov_b32_e32 v1, 1
	s_and_saveexec_b64 s[2:3], s[8:9]
	s_cbranch_execz .LBB20_197
; %bb.189:                              ;   in Loop: Header=BB20_6 Depth=1
	v_cmp_ge_u32_e32 vcc, s51, v6
	s_and_saveexec_b64 s[8:9], vcc
	s_xor_b64 s[12:13], exec, s[8:9]
	s_cbranch_execz .LBB20_194
; %bb.190:                              ;   in Loop: Header=BB20_6 Depth=1
	v_and_b32_e32 v1, s39, v3
	v_lshl_or_b32 v3, 2, s10, v1
	ds_read_b32 v1, v23 offset:4096
	v_or_b32_e32 v2, s38, v2
	s_waitcnt lgkmcnt(0)
	v_cmp_ne_u32_e32 vcc, 0, v1
	s_cbranch_vccnz .LBB20_194
; %bb.191:                              ;   in Loop: Header=BB20_6 Depth=1
	s_mov_b64 s[8:9], exec
	v_readlane_b32 s14, v51, 14
	v_readlane_b32 s15, v51, 15
	s_and_b64 s[14:15], s[8:9], s[14:15]
	s_mov_b64 exec, s[14:15]
; %bb.192:                              ;   in Loop: Header=BB20_6 Depth=1
	v_mov_b32_e32 v1, s51
	ds_write_b32 v23, v1 offset:4100
; %bb.193:                              ;   in Loop: Header=BB20_6 Depth=1
	s_or_b64 exec, exec, s[8:9]
	s_waitcnt lgkmcnt(0)
	s_barrier
.LBB20_194:                             ;   in Loop: Header=BB20_6 Depth=1
	s_or_saveexec_b64 s[12:13], s[12:13]
	s_mov_b64 s[14:15], 0
	v_mov_b32_e32 v1, 8
	s_xor_b64 exec, exec, s[12:13]
; %bb.195:                              ;   in Loop: Header=BB20_6 Depth=1
	s_mov_b64 s[14:15], exec
	v_subrev_u32_e32 v6, s51, v6
	v_mov_b32_e32 v1, 0
; %bb.196:                              ;   in Loop: Header=BB20_6 Depth=1
	s_or_b64 exec, exec, s[12:13]
	s_and_b64 s[12:13], s[14:15], exec
	v_mov_b32_e32 v4, v6
.LBB20_197:                             ;   in Loop: Header=BB20_6 Depth=1
	s_or_b64 exec, exec, s[2:3]
	s_mov_b64 s[2:3], -1
                                        ; implicit-def: $sgpr24_sgpr25
                                        ; implicit-def: $sgpr16_sgpr17
	s_and_saveexec_b64 s[14:15], s[12:13]
	s_cbranch_execz .LBB20_236
; %bb.198:                              ;   in Loop: Header=BB20_6 Depth=1
	s_cmp_eq_u32 s19, 1
	s_cselect_b64 s[2:3], -1, 0
	v_cmp_eq_u32_e32 vcc, 1, v4
	s_and_b64 s[22:23], s[2:3], vcc
	s_mov_b64 s[56:57], -1
                                        ; implicit-def: $sgpr24_sgpr25
                                        ; implicit-def: $sgpr16_sgpr17
	s_and_saveexec_b64 s[28:29], s[22:23]
	s_cbranch_execz .LBB20_224
; %bb.199:                              ;   in Loop: Header=BB20_6 Depth=1
	ds_read_b32 v5, v23 offset:4096
	s_waitcnt lgkmcnt(0)
	s_barrier
	v_readfirstlane_b32 s12, v5
	s_mov_b64 s[2:3], exec
	v_readlane_b32 s8, v51, 29
	v_readlane_b32 s9, v51, 30
	s_and_b64 s[8:9], s[2:3], s[8:9]
	s_mov_b64 exec, s[8:9]
; %bb.200:                              ;   in Loop: Header=BB20_6 Depth=1
	ds_write_b8 v0, v23 offset:3072
; %bb.201:                              ;   in Loop: Header=BB20_6 Depth=1
	s_or_b64 exec, exec, s[2:3]
	v_or_b32_e32 v3, s38, v3
	v_or_b32_e32 v2, s38, v2
	s_mov_b64 s[16:17], -1
	s_mov_b64 s[24:25], 0
	s_cmp_eq_u32 s12, 0
	s_mov_b64 s[2:3], 0
	s_waitcnt lgkmcnt(0)
	s_barrier
                                        ; implicit-def: $vgpr5
	s_cbranch_scc1 .LBB20_212
; %bb.202:                              ;   in Loop: Header=BB20_6 Depth=1
	v_readlane_b32 s2, v51, 31
	s_add_i32 s2, s12, s2
	v_readlane_b32 s3, v51, 53
	s_mul_hi_u32 s3, s2, s3
	s_mul_i32 s3, s3, s33
	s_sub_i32 s3, s2, s3
	s_sub_i32 s8, s3, s33
	s_cmp_ge_u32 s3, s33
	s_cselect_b32 s3, s8, s3
	s_sub_i32 s8, s3, s33
	s_cmp_ge_u32 s3, s33
	s_cselect_b32 s3, s8, s3
	s_sub_i32 s13, s2, s3
	v_cmp_gt_u32_e32 vcc, s13, v0
	s_mov_b64 s[56:57], 0
	s_mov_b64 s[2:3], 0
                                        ; implicit-def: $vgpr5
	s_and_saveexec_b64 s[58:59], vcc
	s_cbranch_execz .LBB20_211
; %bb.203:                              ;   in Loop: Header=BB20_6 Depth=1
	v_writelane_b32 v51, s22, 58
	v_mov_b32_e32 v5, v0
	v_writelane_b32 v51, s23, 59
                                        ; implicit-def: $sgpr60_sgpr61
	s_branch .LBB20_206
.LBB20_204:                             ;   in Loop: Header=BB20_206 Depth=2
	s_or_b64 exec, exec, s[22:23]
	s_waitcnt lgkmcnt(0)
	s_barrier
	ds_read_u16 v6, v23 offset:3072
	s_mov_b64 s[22:23], -1
	s_waitcnt lgkmcnt(0)
	s_barrier
	v_cmp_ne_u32_sdwa s[8:9], v6, v23 src0_sel:BYTE_0 src1_sel:DWORD
	s_and_b64 vcc, exec, s[8:9]
	s_mov_b64 s[8:9], -1
	s_cbranch_vccz .LBB20_209
.LBB20_205:                             ;   in Loop: Header=BB20_206 Depth=2
	s_and_b64 s[22:23], exec, s[22:23]
	s_or_b64 s[2:3], s[22:23], s[2:3]
	s_andn2_b64 s[22:23], s[60:61], exec
	s_and_b64 s[8:9], s[8:9], exec
	s_or_b64 s[60:61], s[22:23], s[8:9]
	s_andn2_b64 exec, exec, s[2:3]
	s_cbranch_execz .LBB20_210
.LBB20_206:                             ;   Parent Loop BB20_6 Depth=1
                                        ; =>  This Inner Loop Header: Depth=2
	v_cmp_gt_u32_e32 vcc, s12, v5
	s_and_saveexec_b64 s[22:23], vcc
	s_cbranch_execz .LBB20_204
; %bb.207:                              ;   in Loop: Header=BB20_206 Depth=2
	ds_read_u8 v6, v5
	s_waitcnt lgkmcnt(0)
	v_add_u32_sdwa v7, sext(v6), s18 dst_sel:DWORD dst_unused:UNUSED_PAD src0_sel:BYTE_0 src1_sel:DWORD
	v_and_b32_e32 v7, v7, v2
	v_cmp_eq_u32_e32 vcc, v7, v3
	s_and_b64 exec, exec, vcc
	s_cbranch_execz .LBB20_204
; %bb.208:                              ;   in Loop: Header=BB20_206 Depth=2
	v_lshlrev_b16_e32 v6, 8, v6
	v_or_b32_e32 v6, 1, v6
	ds_write_b16 v23, v6 offset:3072
	s_branch .LBB20_204
.LBB20_209:                             ;   in Loop: Header=BB20_206 Depth=2
	v_add_u32_e32 v5, s33, v5
	v_cmp_le_u32_e32 vcc, s13, v5
	s_mov_b64 s[8:9], 0
	s_orn2_b64 s[22:23], vcc, exec
	s_branch .LBB20_205
.LBB20_210:                             ;   in Loop: Header=BB20_6 Depth=1
	s_or_b64 exec, exec, s[2:3]
	v_readlane_b32 s22, v51, 58
	v_lshrrev_b32_sdwa v5, v37, v6 dst_sel:DWORD dst_unused:UNUSED_PAD src0_sel:DWORD src1_sel:WORD_0
	s_and_b64 s[2:3], s[60:61], exec
	v_readlane_b32 s23, v51, 59
.LBB20_211:                             ;   in Loop: Header=BB20_6 Depth=1
	s_or_b64 exec, exec, s[58:59]
.LBB20_212:                             ;   in Loop: Header=BB20_6 Depth=1
	s_and_b64 vcc, exec, s[56:57]
	s_cbranch_vccz .LBB20_223
; %bb.213:                              ;   in Loop: Header=BB20_6 Depth=1
                                        ; implicit-def: $vgpr5
	s_mov_b64 s[16:17], exec
	v_readlane_b32 s8, v51, 54
	v_readlane_b32 s9, v51, 55
	s_and_b64 s[8:9], s[16:17], s[8:9]
	s_mov_b64 exec, s[8:9]
	s_cbranch_execz .LBB20_222
; %bb.214:                              ;   in Loop: Header=BB20_6 Depth=1
	s_mov_b64 s[60:61], s[22:23]
	s_mov_b64 s[24:25], 0
	v_mov_b32_e32 v5, v22
	v_mov_b32_e32 v6, v0
                                        ; implicit-def: $sgpr56_sgpr57
	s_branch .LBB20_217
.LBB20_215:                             ;   in Loop: Header=BB20_217 Depth=2
	s_or_b64 exec, exec, s[22:23]
	s_waitcnt lgkmcnt(0)
	s_barrier
	ds_read_u16 v7, v23 offset:3072
	s_mov_b64 s[22:23], -1
	s_mov_b64 s[58:59], -1
	s_waitcnt lgkmcnt(0)
	s_barrier
	v_cmp_eq_u32_sdwa s[8:9], v7, v23 src0_sel:BYTE_0 src1_sel:DWORD
	s_and_b64 vcc, exec, s[8:9]
	s_cbranch_vccnz .LBB20_220
.LBB20_216:                             ;   in Loop: Header=BB20_217 Depth=2
	s_and_b64 s[8:9], exec, s[22:23]
	s_or_b64 s[24:25], s[8:9], s[24:25]
	s_andn2_b64 s[8:9], s[56:57], exec
	s_and_b64 s[12:13], s[58:59], exec
	s_or_b64 s[56:57], s[8:9], s[12:13]
	s_andn2_b64 exec, exec, s[24:25]
	s_cbranch_execz .LBB20_221
.LBB20_217:                             ;   Parent Loop BB20_6 Depth=1
                                        ; =>  This Inner Loop Header: Depth=2
	v_cmp_gt_u32_e32 vcc, s36, v6
	s_and_saveexec_b64 s[22:23], vcc
	s_cbranch_execz .LBB20_215
; %bb.218:                              ;   in Loop: Header=BB20_217 Depth=2
	global_load_ubyte v7, v5, s[40:41]
	s_waitcnt vmcnt(0)
	v_add_u32_sdwa v8, sext(v7), s18 dst_sel:DWORD dst_unused:UNUSED_PAD src0_sel:BYTE_0 src1_sel:DWORD
	v_and_b32_e32 v8, v8, v2
	v_cmp_eq_u32_e32 vcc, v8, v3
	s_and_b64 exec, exec, vcc
	s_cbranch_execz .LBB20_215
; %bb.219:                              ;   in Loop: Header=BB20_217 Depth=2
	v_lshlrev_b16_e32 v7, 8, v7
	v_or_b32_e32 v7, 1, v7
	ds_write_b16 v23, v7 offset:3072
	s_branch .LBB20_215
.LBB20_220:                             ;   in Loop: Header=BB20_217 Depth=2
	v_add_u32_e32 v6, s33, v6
	v_cmp_le_u32_e32 vcc, s4, v6
	v_add_u32_e32 v5, s53, v5
	s_mov_b64 s[58:59], 0
	s_orn2_b64 s[22:23], vcc, exec
	s_branch .LBB20_216
.LBB20_221:                             ;   in Loop: Header=BB20_6 Depth=1
	s_or_b64 exec, exec, s[24:25]
	s_andn2_b64 s[2:3], s[2:3], exec
	s_and_b64 s[8:9], s[56:57], exec
	v_lshrrev_b32_sdwa v5, v37, v7 dst_sel:DWORD dst_unused:UNUSED_PAD src0_sel:DWORD src1_sel:WORD_0
	s_or_b64 s[2:3], s[2:3], s[8:9]
	s_mov_b64 s[22:23], s[60:61]
.LBB20_222:                             ;   in Loop: Header=BB20_6 Depth=1
	s_or_b64 exec, exec, s[16:17]
	s_mov_b64 s[16:17], 0
	s_mov_b64 s[24:25], -1
.LBB20_223:                             ;   in Loop: Header=BB20_6 Depth=1
	s_orn2_b64 s[56:57], s[2:3], exec
.LBB20_224:                             ;   in Loop: Header=BB20_6 Depth=1
	s_or_b64 exec, exec, s[28:29]
	s_mov_b64 s[28:29], 0
	s_and_saveexec_b64 s[2:3], s[56:57]
	s_cbranch_execz .LBB20_235
; %bb.225:                              ;   in Loop: Header=BB20_6 Depth=1
	s_xor_b64 s[8:9], s[22:23], -1
	v_mov_b32_e32 v1, 1
	v_mov_b32_e32 v6, 1
	s_and_saveexec_b64 s[12:13], s[8:9]
	s_cbranch_execz .LBB20_234
; %bb.226:                              ;   in Loop: Header=BB20_6 Depth=1
	v_cmp_ge_u32_e32 vcc, s19, v4
	s_and_saveexec_b64 s[8:9], vcc
	s_xor_b64 s[28:29], exec, s[8:9]
	s_cbranch_execz .LBB20_231
; %bb.227:                              ;   in Loop: Header=BB20_6 Depth=1
	ds_read_b32 v1, v23 offset:4096
	v_or_b32_e32 v3, s38, v3
	v_or_b32_e32 v2, s38, v2
	s_waitcnt lgkmcnt(0)
	v_cmp_ne_u32_e32 vcc, 0, v1
	s_cbranch_vccnz .LBB20_231
; %bb.228:                              ;   in Loop: Header=BB20_6 Depth=1
	s_mov_b64 s[8:9], exec
	v_readlane_b32 s22, v51, 14
	v_readlane_b32 s23, v51, 15
	s_and_b64 s[22:23], s[8:9], s[22:23]
	s_mov_b64 exec, s[22:23]
; %bb.229:                              ;   in Loop: Header=BB20_6 Depth=1
	v_mov_b32_e32 v1, s19
	ds_write_b32 v23, v1 offset:4100
; %bb.230:                              ;   in Loop: Header=BB20_6 Depth=1
	s_or_b64 exec, exec, s[8:9]
	s_waitcnt lgkmcnt(0)
	s_barrier
.LBB20_231:                             ;   in Loop: Header=BB20_6 Depth=1
	s_andn2_saveexec_b64 s[22:23], s[28:29]
; %bb.232:                              ;   in Loop: Header=BB20_6 Depth=1
	v_subrev_u32_e32 v4, s19, v4
; %bb.233:                              ;   in Loop: Header=BB20_6 Depth=1
	s_or_b64 exec, exec, s[22:23]
	v_mov_b32_e32 v1, 8
	v_mov_b32_e32 v6, v4
.LBB20_234:                             ;   in Loop: Header=BB20_6 Depth=1
	s_or_b64 exec, exec, s[12:13]
	s_mov_b64 s[28:29], exec
	v_mov_b32_e32 v4, v6
.LBB20_235:                             ;   in Loop: Header=BB20_6 Depth=1
	s_or_b64 exec, exec, s[2:3]
	s_orn2_b64 s[2:3], s[28:29], exec
.LBB20_236:                             ;   in Loop: Header=BB20_6 Depth=1
	s_or_b64 exec, exec, s[14:15]
	s_andn2_b64 s[8:9], s[46:47], exec
	s_and_b64 s[12:13], s[24:25], exec
	s_or_b64 s[46:47], s[8:9], s[12:13]
	s_andn2_b64 s[8:9], s[44:45], exec
	s_and_b64 s[12:13], s[16:17], exec
	s_or_b64 s[44:45], s[8:9], s[12:13]
	s_and_b64 s[12:13], s[2:3], exec
	v_mov_b32_e32 v6, v4
.LBB20_237:                             ;   in Loop: Header=BB20_6 Depth=1
	s_or_b64 exec, exec, s[48:49]
	s_orn2_b64 s[2:3], s[12:13], exec
.LBB20_238:                             ;   in Loop: Header=BB20_6 Depth=1
	s_or_b64 exec, exec, s[42:43]
	s_andn2_b64 s[8:9], s[84:85], exec
	s_and_b64 s[12:13], s[46:47], exec
	s_or_b64 s[84:85], s[8:9], s[12:13]
	s_andn2_b64 s[8:9], s[34:35], exec
	s_and_b64 s[12:13], s[44:45], exec
	s_or_b64 s[34:35], s[8:9], s[12:13]
	s_and_b64 s[12:13], s[2:3], exec
	v_mov_b32_e32 v4, v6
.LBB20_239:                             ;   in Loop: Header=BB20_6 Depth=1
	s_or_b64 exec, exec, s[94:95]
	s_orn2_b64 s[2:3], s[12:13], exec
.LBB20_240:                             ;   in Loop: Header=BB20_6 Depth=1
	s_or_b64 exec, exec, s[6:7]
	s_mov_b64 s[6:7], 0
	s_mov_b64 s[12:13], 0
	s_and_saveexec_b64 s[8:9], s[2:3]
	s_xor_b64 s[2:3], exec, s[8:9]
; %bb.241:                              ;   in Loop: Header=BB20_6 Depth=1
	v_cmp_eq_u32_e32 vcc, 8, v1
	v_cmp_ne_u32_e64 s[6:7], 8, v1
	s_and_b64 s[12:13], s[6:7], exec
	s_and_b64 s[6:7], vcc, exec
; %bb.242:                              ;   in Loop: Header=BB20_6 Depth=1
	s_or_b64 exec, exec, s[2:3]
	s_andn2_b64 s[2:3], s[88:89], exec
	s_and_b64 s[8:9], s[84:85], exec
	s_or_b64 s[88:89], s[2:3], s[8:9]
	s_andn2_b64 s[2:3], s[86:87], exec
	s_and_b64 s[8:9], s[34:35], exec
	s_or_b64 s[86:87], s[2:3], s[8:9]
	s_and_b64 s[34:35], s[12:13], exec
	s_and_b64 s[84:85], s[6:7], exec
.LBB20_243:                             ;   in Loop: Header=BB20_6 Depth=1
	s_or_b64 exec, exec, s[92:93]
.LBB20_244:                             ;   in Loop: Header=BB20_6 Depth=1
	s_and_b64 vcc, exec, s[90:91]
	s_cbranch_vccz .LBB20_257
; %bb.245:                              ;   in Loop: Header=BB20_6 Depth=1
	s_cmp_eq_u32 s19, 1
	s_cselect_b64 s[2:3], -1, 0
	s_and_b64 s[6:7], s[2:3], s[26:27]
	s_mov_b64 s[2:3], -1
                                        ; implicit-def: $sgpr26_sgpr27
                                        ; implicit-def: $sgpr30_sgpr31
	s_and_saveexec_b64 s[12:13], s[6:7]
	s_cbranch_execz .LBB20_272
; %bb.246:                              ;   in Loop: Header=BB20_6 Depth=1
	ds_read_b32 v1, v23 offset:4096
	s_waitcnt lgkmcnt(0)
	s_barrier
	v_readfirstlane_b32 s42, v1
	s_mov_b64 s[2:3], exec
	v_readlane_b32 s8, v51, 29
	v_readlane_b32 s9, v51, 30
	s_and_b64 s[8:9], s[2:3], s[8:9]
	s_mov_b64 exec, s[8:9]
; %bb.247:                              ;   in Loop: Header=BB20_6 Depth=1
	ds_write_b8 v0, v23 offset:3072
; %bb.248:                              ;   in Loop: Header=BB20_6 Depth=1
	s_or_b64 exec, exec, s[2:3]
	v_or_b32_e32 v29, s38, v29
	v_or_b32_e32 v38, s38, v38
	s_mov_b64 s[30:31], -1
	s_mov_b64 s[26:27], 0
	s_cmp_eq_u32 s42, 0
	s_mov_b64 s[14:15], 0
	s_mov_b64 s[2:3], -1
	s_waitcnt lgkmcnt(0)
	s_barrier
                                        ; implicit-def: $vgpr39
	s_cbranch_scc1 .LBB20_260
; %bb.249:                              ;   in Loop: Header=BB20_6 Depth=1
	v_readlane_b32 s2, v51, 31
	s_add_i32 s2, s42, s2
	v_readlane_b32 s3, v51, 53
	s_mul_hi_u32 s3, s2, s3
	s_mul_i32 s3, s3, s33
	s_sub_i32 s3, s2, s3
	s_sub_i32 s8, s3, s33
	s_cmp_ge_u32 s3, s33
	s_cselect_b32 s3, s8, s3
	s_sub_i32 s8, s3, s33
	s_cmp_ge_u32 s3, s33
	s_cselect_b32 s3, s8, s3
	s_sub_i32 s43, s2, s3
	v_cmp_gt_u32_e32 vcc, s43, v0
	s_mov_b64 s[2:3], 0
                                        ; implicit-def: $vgpr39
	s_and_saveexec_b64 s[16:17], vcc
	s_cbranch_execz .LBB20_259
; %bb.250:                              ;   in Loop: Header=BB20_6 Depth=1
	v_mov_b32_e32 v1, v0
                                        ; implicit-def: $sgpr24_sgpr25
	s_branch .LBB20_253
.LBB20_251:                             ;   in Loop: Header=BB20_253 Depth=2
	s_or_b64 exec, exec, s[28:29]
	s_waitcnt lgkmcnt(0)
	s_barrier
	ds_read_u16 v2, v23 offset:3072
	s_mov_b64 s[8:9], -1
	s_waitcnt lgkmcnt(0)
	s_barrier
	v_cmp_ne_u32_sdwa s[22:23], v2, v23 src0_sel:BYTE_0 src1_sel:DWORD
	s_and_b64 vcc, exec, s[22:23]
	s_mov_b64 s[22:23], -1
	s_cbranch_vccz .LBB20_256
.LBB20_252:                             ;   in Loop: Header=BB20_253 Depth=2
	s_and_b64 s[8:9], exec, s[8:9]
	s_or_b64 s[14:15], s[8:9], s[14:15]
	s_andn2_b64 s[8:9], s[24:25], exec
	s_and_b64 s[22:23], s[22:23], exec
	s_or_b64 s[24:25], s[8:9], s[22:23]
	s_andn2_b64 exec, exec, s[14:15]
	s_cbranch_execz .LBB20_258
.LBB20_253:                             ;   Parent Loop BB20_6 Depth=1
                                        ; =>  This Inner Loop Header: Depth=2
	v_cmp_gt_u32_e32 vcc, s42, v1
	s_and_saveexec_b64 s[28:29], vcc
	s_cbranch_execz .LBB20_251
; %bb.254:                              ;   in Loop: Header=BB20_253 Depth=2
	ds_read_u8 v2, v1
	s_waitcnt lgkmcnt(0)
	v_add_u32_sdwa v3, sext(v2), s18 dst_sel:DWORD dst_unused:UNUSED_PAD src0_sel:BYTE_0 src1_sel:DWORD
	v_and_b32_e32 v3, v3, v38
	v_cmp_eq_u32_e32 vcc, v3, v29
	s_and_b64 exec, exec, vcc
	s_cbranch_execz .LBB20_251
; %bb.255:                              ;   in Loop: Header=BB20_253 Depth=2
	v_lshlrev_b16_e32 v2, 8, v2
	v_or_b32_e32 v2, 1, v2
	ds_write_b16 v23, v2 offset:3072
	s_branch .LBB20_251
.LBB20_256:                             ;   in Loop: Header=BB20_253 Depth=2
	v_add_u32_e32 v1, s33, v1
	v_cmp_le_u32_e32 vcc, s43, v1
	s_mov_b64 s[22:23], 0
	s_orn2_b64 s[8:9], vcc, exec
	s_branch .LBB20_252
.LBB20_257:                             ;   in Loop: Header=BB20_6 Depth=1
	s_mov_b64 s[26:27], 0
	v_mov_b32_e32 v29, v3
	v_mov_b32_e32 v38, v2
	;; [unrolled: 1-line block ×3, first 2 shown]
	s_and_saveexec_b64 s[2:3], s[84:85]
	s_cbranch_execnz .LBB20_403
	s_branch .LBB20_404
.LBB20_258:                             ;   in Loop: Header=BB20_6 Depth=1
	s_or_b64 exec, exec, s[14:15]
	v_lshrrev_b32_sdwa v39, v37, v2 dst_sel:DWORD dst_unused:UNUSED_PAD src0_sel:DWORD src1_sel:WORD_0
	s_and_b64 s[14:15], s[24:25], exec
.LBB20_259:                             ;   in Loop: Header=BB20_6 Depth=1
	s_or_b64 exec, exec, s[16:17]
.LBB20_260:                             ;   in Loop: Header=BB20_6 Depth=1
	s_and_b64 vcc, exec, s[2:3]
	s_cbranch_vccz .LBB20_271
; %bb.261:                              ;   in Loop: Header=BB20_6 Depth=1
                                        ; implicit-def: $vgpr39
	s_mov_b64 s[2:3], exec
	v_readlane_b32 s8, v51, 54
	v_readlane_b32 s9, v51, 55
	s_and_b64 s[8:9], s[2:3], s[8:9]
	s_mov_b64 exec, s[8:9]
	s_cbranch_execz .LBB20_270
; %bb.262:                              ;   in Loop: Header=BB20_6 Depth=1
	s_mov_b64 s[16:17], 0
	v_mov_b32_e32 v1, v22
	v_mov_b32_e32 v2, v0
                                        ; implicit-def: $sgpr24_sgpr25
	s_branch .LBB20_265
.LBB20_263:                             ;   in Loop: Header=BB20_265 Depth=2
	s_or_b64 exec, exec, s[26:27]
	s_waitcnt lgkmcnt(0)
	s_barrier
	ds_read_u16 v3, v23 offset:3072
	s_mov_b64 s[22:23], -1
	s_mov_b64 s[26:27], -1
	s_waitcnt lgkmcnt(0)
	s_barrier
	v_cmp_ne_u32_sdwa s[8:9], v3, v23 src0_sel:BYTE_0 src1_sel:DWORD
	s_and_b64 vcc, exec, s[8:9]
	s_cbranch_vccz .LBB20_268
.LBB20_264:                             ;   in Loop: Header=BB20_265 Depth=2
	s_and_b64 s[8:9], exec, s[22:23]
	s_or_b64 s[16:17], s[8:9], s[16:17]
	s_andn2_b64 s[8:9], s[24:25], exec
	s_and_b64 s[22:23], s[26:27], exec
	s_or_b64 s[24:25], s[8:9], s[22:23]
	s_andn2_b64 exec, exec, s[16:17]
	s_cbranch_execz .LBB20_269
.LBB20_265:                             ;   Parent Loop BB20_6 Depth=1
                                        ; =>  This Inner Loop Header: Depth=2
	v_cmp_gt_u32_e32 vcc, s36, v2
	s_and_saveexec_b64 s[26:27], vcc
	s_cbranch_execz .LBB20_263
; %bb.266:                              ;   in Loop: Header=BB20_265 Depth=2
	global_load_ubyte v3, v1, s[40:41]
	s_waitcnt vmcnt(0)
	v_add_u32_sdwa v4, sext(v3), s18 dst_sel:DWORD dst_unused:UNUSED_PAD src0_sel:BYTE_0 src1_sel:DWORD
	v_and_b32_e32 v4, v4, v38
	v_cmp_eq_u32_e32 vcc, v4, v29
	s_and_b64 exec, exec, vcc
	s_cbranch_execz .LBB20_263
; %bb.267:                              ;   in Loop: Header=BB20_265 Depth=2
	v_lshlrev_b16_e32 v3, 8, v3
	v_or_b32_e32 v3, 1, v3
	ds_write_b16 v23, v3 offset:3072
	s_branch .LBB20_263
.LBB20_268:                             ;   in Loop: Header=BB20_265 Depth=2
	v_add_u32_e32 v2, s33, v2
	v_cmp_le_u32_e32 vcc, s4, v2
	v_add_u32_e32 v1, s53, v1
	s_mov_b64 s[26:27], 0
	s_orn2_b64 s[22:23], vcc, exec
	s_branch .LBB20_264
.LBB20_269:                             ;   in Loop: Header=BB20_6 Depth=1
	s_or_b64 exec, exec, s[16:17]
	s_andn2_b64 s[8:9], s[14:15], exec
	s_and_b64 s[14:15], s[24:25], exec
	v_lshrrev_b32_sdwa v39, v37, v3 dst_sel:DWORD dst_unused:UNUSED_PAD src0_sel:DWORD src1_sel:WORD_0
	s_or_b64 s[14:15], s[8:9], s[14:15]
.LBB20_270:                             ;   in Loop: Header=BB20_6 Depth=1
	s_or_b64 exec, exec, s[2:3]
	s_mov_b64 s[30:31], 0
	s_mov_b64 s[26:27], -1
.LBB20_271:                             ;   in Loop: Header=BB20_6 Depth=1
	s_orn2_b64 s[2:3], s[14:15], exec
.LBB20_272:                             ;   in Loop: Header=BB20_6 Depth=1
	s_or_b64 exec, exec, s[12:13]
                                        ; implicit-def: $vgpr4
                                        ; implicit-def: $vgpr1
	s_and_saveexec_b64 s[86:87], s[2:3]
	s_cbranch_execz .LBB20_402
; %bb.273:                              ;   in Loop: Header=BB20_6 Depth=1
	s_xor_b64 s[8:9], s[6:7], -1
	s_mov_b64 s[6:7], 0
	v_mov_b32_e32 v4, 1
	v_mov_b32_e32 v1, 1
	s_and_saveexec_b64 s[2:3], s[8:9]
	s_cbranch_execz .LBB20_282
; %bb.274:                              ;   in Loop: Header=BB20_6 Depth=1
	v_cmp_ge_u32_e32 vcc, s19, v40
	s_and_saveexec_b64 s[6:7], vcc
	s_xor_b64 s[6:7], exec, s[6:7]
	s_cbranch_execz .LBB20_279
; %bb.275:                              ;   in Loop: Header=BB20_6 Depth=1
	ds_read_b32 v1, v23 offset:4096
	v_or_b32_e32 v29, s38, v29
	v_or_b32_e32 v38, s38, v38
	s_waitcnt lgkmcnt(0)
	v_cmp_ne_u32_e32 vcc, 0, v1
	s_cbranch_vccnz .LBB20_279
; %bb.276:                              ;   in Loop: Header=BB20_6 Depth=1
	s_mov_b64 s[8:9], exec
	v_readlane_b32 s12, v51, 14
	v_readlane_b32 s13, v51, 15
	s_and_b64 s[12:13], s[8:9], s[12:13]
	s_mov_b64 exec, s[12:13]
; %bb.277:                              ;   in Loop: Header=BB20_6 Depth=1
	v_mov_b32_e32 v1, s19
	ds_write_b32 v23, v1 offset:4100
; %bb.278:                              ;   in Loop: Header=BB20_6 Depth=1
	s_or_b64 exec, exec, s[8:9]
	s_waitcnt lgkmcnt(0)
	s_barrier
.LBB20_279:                             ;   in Loop: Header=BB20_6 Depth=1
	s_or_saveexec_b64 s[6:7], s[6:7]
	s_mov_b64 s[12:13], 0
	v_mov_b32_e32 v1, 5
	s_xor_b64 exec, exec, s[6:7]
; %bb.280:                              ;   in Loop: Header=BB20_6 Depth=1
	v_subrev_u32_e32 v40, s19, v40
	v_mov_b32_e32 v1, 0
	s_mov_b64 s[12:13], exec
; %bb.281:                              ;   in Loop: Header=BB20_6 Depth=1
	s_or_b64 exec, exec, s[6:7]
	s_and_b64 s[6:7], s[12:13], exec
	v_mov_b32_e32 v4, v40
.LBB20_282:                             ;   in Loop: Header=BB20_6 Depth=1
	s_or_b64 exec, exec, s[2:3]
	s_mov_b64 s[2:3], -1
                                        ; implicit-def: $sgpr88_sgpr89
                                        ; implicit-def: $sgpr90_sgpr91
	s_and_saveexec_b64 s[8:9], s[6:7]
	s_xor_b64 s[6:7], exec, s[8:9]
	s_cbranch_execz .LBB20_399
; %bb.283:                              ;   in Loop: Header=BB20_6 Depth=1
	s_cmp_eq_u32 s51, 1
	s_cselect_b64 s[2:3], -1, 0
	v_cmp_eq_u32_e32 vcc, 1, v4
	s_and_b64 s[14:15], s[2:3], vcc
	s_mov_b64 s[2:3], -1
                                        ; implicit-def: $sgpr90_sgpr91
                                        ; implicit-def: $sgpr88_sgpr89
	s_and_saveexec_b64 s[12:13], s[14:15]
	s_cbranch_execz .LBB20_309
; %bb.284:                              ;   in Loop: Header=BB20_6 Depth=1
	ds_read_b32 v2, v23 offset:4096
	s_waitcnt lgkmcnt(0)
	s_barrier
	v_readfirstlane_b32 s19, v2
	s_mov_b64 s[2:3], exec
	v_readlane_b32 s8, v51, 29
	v_readlane_b32 s9, v51, 30
	s_and_b64 s[8:9], s[2:3], s[8:9]
	s_mov_b64 exec, s[8:9]
; %bb.285:                              ;   in Loop: Header=BB20_6 Depth=1
	ds_write_b8 v0, v23 offset:3072
; %bb.286:                              ;   in Loop: Header=BB20_6 Depth=1
	s_or_b64 exec, exec, s[2:3]
	v_and_b32_e32 v2, s39, v29
	v_lshl_or_b32 v29, 2, s10, v2
	v_or_b32_e32 v38, s38, v38
	s_mov_b64 s[88:89], -1
	s_mov_b64 s[90:91], 0
	s_cmp_eq_u32 s19, 0
	s_mov_b64 s[16:17], 0
	s_mov_b64 s[2:3], -1
	s_waitcnt lgkmcnt(0)
	s_barrier
                                        ; implicit-def: $vgpr39
	s_cbranch_scc1 .LBB20_297
; %bb.287:                              ;   in Loop: Header=BB20_6 Depth=1
	v_readlane_b32 s2, v51, 31
	s_add_i32 s2, s19, s2
	v_readlane_b32 s3, v51, 53
	s_mul_hi_u32 s3, s2, s3
	s_mul_i32 s3, s3, s33
	s_sub_i32 s3, s2, s3
	s_sub_i32 s8, s3, s33
	s_cmp_ge_u32 s3, s33
	s_cselect_b32 s3, s8, s3
	s_sub_i32 s8, s3, s33
	s_cmp_ge_u32 s3, s33
	s_cselect_b32 s3, s8, s3
	s_sub_i32 s44, s2, s3
	v_cmp_gt_u32_e32 vcc, s44, v0
	s_mov_b64 s[2:3], 0
                                        ; implicit-def: $vgpr39
	s_and_saveexec_b64 s[24:25], vcc
	s_cbranch_execz .LBB20_296
; %bb.288:                              ;   in Loop: Header=BB20_6 Depth=1
	v_mov_b32_e32 v2, v0
                                        ; implicit-def: $sgpr28_sgpr29
	s_branch .LBB20_291
.LBB20_289:                             ;   in Loop: Header=BB20_291 Depth=2
	s_or_b64 exec, exec, s[42:43]
	s_waitcnt lgkmcnt(0)
	s_barrier
	ds_read_u16 v3, v23 offset:3072
	s_mov_b64 s[8:9], -1
	s_waitcnt lgkmcnt(0)
	s_barrier
	v_cmp_ne_u32_sdwa s[22:23], v3, v23 src0_sel:BYTE_0 src1_sel:DWORD
	s_and_b64 vcc, exec, s[22:23]
	s_mov_b64 s[22:23], -1
	s_cbranch_vccz .LBB20_294
.LBB20_290:                             ;   in Loop: Header=BB20_291 Depth=2
	s_and_b64 s[8:9], exec, s[8:9]
	s_or_b64 s[16:17], s[8:9], s[16:17]
	s_andn2_b64 s[8:9], s[28:29], exec
	s_and_b64 s[22:23], s[22:23], exec
	s_or_b64 s[28:29], s[8:9], s[22:23]
	s_andn2_b64 exec, exec, s[16:17]
	s_cbranch_execz .LBB20_295
.LBB20_291:                             ;   Parent Loop BB20_6 Depth=1
                                        ; =>  This Inner Loop Header: Depth=2
	v_cmp_gt_u32_e32 vcc, s19, v2
	s_and_saveexec_b64 s[42:43], vcc
	s_cbranch_execz .LBB20_289
; %bb.292:                              ;   in Loop: Header=BB20_291 Depth=2
	ds_read_u8 v3, v2
	s_waitcnt lgkmcnt(0)
	v_add_u32_sdwa v5, sext(v3), s18 dst_sel:DWORD dst_unused:UNUSED_PAD src0_sel:BYTE_0 src1_sel:DWORD
	v_and_b32_e32 v5, v5, v38
	v_cmp_eq_u32_e32 vcc, v5, v29
	s_and_b64 exec, exec, vcc
	s_cbranch_execz .LBB20_289
; %bb.293:                              ;   in Loop: Header=BB20_291 Depth=2
	v_lshlrev_b16_e32 v3, 8, v3
	v_or_b32_e32 v3, 1, v3
	ds_write_b16 v23, v3 offset:3072
	s_branch .LBB20_289
.LBB20_294:                             ;   in Loop: Header=BB20_291 Depth=2
	v_add_u32_e32 v2, s33, v2
	v_cmp_le_u32_e32 vcc, s44, v2
	s_mov_b64 s[22:23], 0
	s_orn2_b64 s[8:9], vcc, exec
	s_branch .LBB20_290
.LBB20_295:                             ;   in Loop: Header=BB20_6 Depth=1
	s_or_b64 exec, exec, s[16:17]
	v_lshrrev_b32_sdwa v39, v37, v3 dst_sel:DWORD dst_unused:UNUSED_PAD src0_sel:DWORD src1_sel:WORD_0
	s_and_b64 s[16:17], s[28:29], exec
.LBB20_296:                             ;   in Loop: Header=BB20_6 Depth=1
	s_or_b64 exec, exec, s[24:25]
.LBB20_297:                             ;   in Loop: Header=BB20_6 Depth=1
	s_and_b64 vcc, exec, s[2:3]
	s_cbranch_vccz .LBB20_308
; %bb.298:                              ;   in Loop: Header=BB20_6 Depth=1
                                        ; implicit-def: $vgpr39
	s_mov_b64 s[2:3], exec
	v_readlane_b32 s8, v51, 54
	v_readlane_b32 s9, v51, 55
	s_and_b64 s[8:9], s[2:3], s[8:9]
	s_mov_b64 exec, s[8:9]
	s_cbranch_execz .LBB20_307
; %bb.299:                              ;   in Loop: Header=BB20_6 Depth=1
	s_mov_b64 s[24:25], 0
	v_mov_b32_e32 v2, v22
	v_mov_b32_e32 v3, v0
                                        ; implicit-def: $sgpr28_sgpr29
	s_branch .LBB20_302
.LBB20_300:                             ;   in Loop: Header=BB20_302 Depth=2
	s_or_b64 exec, exec, s[42:43]
	s_waitcnt lgkmcnt(0)
	s_barrier
	ds_read_u16 v5, v23 offset:3072
	s_mov_b64 s[22:23], -1
	s_mov_b64 s[42:43], -1
	s_waitcnt lgkmcnt(0)
	s_barrier
	v_cmp_eq_u32_sdwa s[8:9], v5, v23 src0_sel:BYTE_0 src1_sel:DWORD
	s_and_b64 vcc, exec, s[8:9]
	s_cbranch_vccnz .LBB20_305
.LBB20_301:                             ;   in Loop: Header=BB20_302 Depth=2
	s_and_b64 s[8:9], exec, s[22:23]
	s_or_b64 s[24:25], s[8:9], s[24:25]
	s_andn2_b64 s[8:9], s[28:29], exec
	s_and_b64 s[22:23], s[42:43], exec
	s_or_b64 s[28:29], s[8:9], s[22:23]
	s_andn2_b64 exec, exec, s[24:25]
	s_cbranch_execz .LBB20_306
.LBB20_302:                             ;   Parent Loop BB20_6 Depth=1
                                        ; =>  This Inner Loop Header: Depth=2
	v_cmp_gt_u32_e32 vcc, s36, v3
	s_and_saveexec_b64 s[42:43], vcc
	s_cbranch_execz .LBB20_300
; %bb.303:                              ;   in Loop: Header=BB20_302 Depth=2
	global_load_ubyte v5, v2, s[40:41]
	s_waitcnt vmcnt(0)
	v_add_u32_sdwa v6, sext(v5), s18 dst_sel:DWORD dst_unused:UNUSED_PAD src0_sel:BYTE_0 src1_sel:DWORD
	v_and_b32_e32 v6, v6, v38
	v_cmp_eq_u32_e32 vcc, v6, v29
	s_and_b64 exec, exec, vcc
	s_cbranch_execz .LBB20_300
; %bb.304:                              ;   in Loop: Header=BB20_302 Depth=2
	v_lshlrev_b16_e32 v5, 8, v5
	v_or_b32_e32 v5, 1, v5
	ds_write_b16 v23, v5 offset:3072
	s_branch .LBB20_300
.LBB20_305:                             ;   in Loop: Header=BB20_302 Depth=2
	v_add_u32_e32 v3, s33, v3
	v_cmp_le_u32_e32 vcc, s4, v3
	v_add_u32_e32 v2, s53, v2
	s_mov_b64 s[42:43], 0
	s_orn2_b64 s[22:23], vcc, exec
	s_branch .LBB20_301
.LBB20_306:                             ;   in Loop: Header=BB20_6 Depth=1
	s_or_b64 exec, exec, s[24:25]
	s_andn2_b64 s[8:9], s[16:17], exec
	s_and_b64 s[16:17], s[28:29], exec
	v_lshrrev_b32_sdwa v39, v37, v5 dst_sel:DWORD dst_unused:UNUSED_PAD src0_sel:DWORD src1_sel:WORD_0
	s_or_b64 s[16:17], s[8:9], s[16:17]
.LBB20_307:                             ;   in Loop: Header=BB20_6 Depth=1
	s_or_b64 exec, exec, s[2:3]
	s_mov_b64 s[88:89], 0
	s_mov_b64 s[90:91], -1
.LBB20_308:                             ;   in Loop: Header=BB20_6 Depth=1
	s_orn2_b64 s[2:3], s[16:17], exec
.LBB20_309:                             ;   in Loop: Header=BB20_6 Depth=1
	s_or_b64 exec, exec, s[12:13]
	s_mov_b64 s[12:13], 0
	s_and_saveexec_b64 s[92:93], s[2:3]
	s_cbranch_execz .LBB20_398
; %bb.310:                              ;   in Loop: Header=BB20_6 Depth=1
	s_xor_b64 s[8:9], s[14:15], -1
	v_mov_b32_e32 v2, 1
	v_mov_b32_e32 v1, 1
	s_and_saveexec_b64 s[2:3], s[8:9]
	s_cbranch_execz .LBB20_319
; %bb.311:                              ;   in Loop: Header=BB20_6 Depth=1
	v_cmp_ge_u32_e32 vcc, s51, v4
	s_and_saveexec_b64 s[8:9], vcc
	s_xor_b64 s[12:13], exec, s[8:9]
	s_cbranch_execz .LBB20_316
; %bb.312:                              ;   in Loop: Header=BB20_6 Depth=1
	v_and_b32_e32 v1, s39, v29
	v_lshl_or_b32 v29, 2, s10, v1
	ds_read_b32 v1, v23 offset:4096
	v_or_b32_e32 v38, s38, v38
	s_waitcnt lgkmcnt(0)
	v_cmp_ne_u32_e32 vcc, 0, v1
	s_cbranch_vccnz .LBB20_316
; %bb.313:                              ;   in Loop: Header=BB20_6 Depth=1
	s_mov_b64 s[8:9], exec
	v_readlane_b32 s14, v51, 14
	v_readlane_b32 s15, v51, 15
	s_and_b64 s[14:15], s[8:9], s[14:15]
	s_mov_b64 exec, s[14:15]
; %bb.314:                              ;   in Loop: Header=BB20_6 Depth=1
	v_mov_b32_e32 v1, s51
	ds_write_b32 v23, v1 offset:4100
; %bb.315:                              ;   in Loop: Header=BB20_6 Depth=1
	s_or_b64 exec, exec, s[8:9]
	s_waitcnt lgkmcnt(0)
	s_barrier
.LBB20_316:                             ;   in Loop: Header=BB20_6 Depth=1
	s_or_saveexec_b64 s[12:13], s[12:13]
	s_mov_b64 s[14:15], 0
	v_mov_b32_e32 v1, 5
	s_xor_b64 exec, exec, s[12:13]
; %bb.317:                              ;   in Loop: Header=BB20_6 Depth=1
	v_subrev_u32_e32 v4, s51, v4
	v_mov_b32_e32 v1, 0
	s_mov_b64 s[14:15], exec
; %bb.318:                              ;   in Loop: Header=BB20_6 Depth=1
	s_or_b64 exec, exec, s[12:13]
	s_and_b64 s[12:13], s[14:15], exec
	v_mov_b32_e32 v2, v4
.LBB20_319:                             ;   in Loop: Header=BB20_6 Depth=1
	s_or_b64 exec, exec, s[2:3]
	s_mov_b64 s[2:3], -1
                                        ; implicit-def: $sgpr42_sgpr43
                                        ; implicit-def: $sgpr44_sgpr45
	s_and_saveexec_b64 s[94:95], s[12:13]
	s_cbranch_execz .LBB20_397
; %bb.320:                              ;   in Loop: Header=BB20_6 Depth=1
	s_cmp_eq_u32 s50, 1
	s_cselect_b64 s[2:3], -1, 0
	v_cmp_eq_u32_e32 vcc, 1, v2
	s_and_b64 s[14:15], s[2:3], vcc
	s_mov_b64 s[2:3], -1
                                        ; implicit-def: $sgpr44_sgpr45
                                        ; implicit-def: $sgpr42_sgpr43
	s_and_saveexec_b64 s[12:13], s[14:15]
	s_cbranch_execz .LBB20_346
; %bb.321:                              ;   in Loop: Header=BB20_6 Depth=1
	ds_read_b32 v3, v23 offset:4096
	s_waitcnt lgkmcnt(0)
	s_barrier
	v_readfirstlane_b32 s19, v3
	s_mov_b64 s[2:3], exec
	v_readlane_b32 s8, v51, 29
	v_readlane_b32 s9, v51, 30
	s_and_b64 s[8:9], s[2:3], s[8:9]
	s_mov_b64 exec, s[8:9]
; %bb.322:                              ;   in Loop: Header=BB20_6 Depth=1
	ds_write_b8 v0, v23 offset:3072
; %bb.323:                              ;   in Loop: Header=BB20_6 Depth=1
	s_or_b64 exec, exec, s[2:3]
	v_and_b32_e32 v3, s39, v29
	v_lshl_or_b32 v29, 1, s10, v3
	v_or_b32_e32 v38, s38, v38
	s_mov_b64 s[42:43], -1
	s_mov_b64 s[44:45], 0
	s_cmp_eq_u32 s19, 0
	s_mov_b64 s[16:17], 0
	s_mov_b64 s[2:3], -1
	s_waitcnt lgkmcnt(0)
	s_barrier
                                        ; implicit-def: $vgpr39
	s_cbranch_scc1 .LBB20_334
; %bb.324:                              ;   in Loop: Header=BB20_6 Depth=1
	v_readlane_b32 s2, v51, 31
	s_add_i32 s2, s19, s2
	v_readlane_b32 s3, v51, 53
	s_mul_hi_u32 s3, s2, s3
	s_mul_i32 s3, s3, s33
	s_sub_i32 s3, s2, s3
	s_sub_i32 s8, s3, s33
	s_cmp_ge_u32 s3, s33
	s_cselect_b32 s3, s8, s3
	s_sub_i32 s8, s3, s33
	s_cmp_ge_u32 s3, s33
	s_cselect_b32 s3, s8, s3
	s_sub_i32 s48, s2, s3
	v_cmp_gt_u32_e32 vcc, s48, v0
	s_mov_b64 s[2:3], 0
                                        ; implicit-def: $vgpr39
	s_and_saveexec_b64 s[24:25], vcc
	s_cbranch_execz .LBB20_333
; %bb.325:                              ;   in Loop: Header=BB20_6 Depth=1
	v_mov_b32_e32 v3, v0
                                        ; implicit-def: $sgpr28_sgpr29
	s_branch .LBB20_328
.LBB20_326:                             ;   in Loop: Header=BB20_328 Depth=2
	s_or_b64 exec, exec, s[46:47]
	s_waitcnt lgkmcnt(0)
	s_barrier
	ds_read_u16 v4, v23 offset:3072
	s_mov_b64 s[8:9], -1
	s_waitcnt lgkmcnt(0)
	s_barrier
	v_cmp_ne_u32_sdwa s[22:23], v4, v23 src0_sel:BYTE_0 src1_sel:DWORD
	s_and_b64 vcc, exec, s[22:23]
	s_mov_b64 s[22:23], -1
	s_cbranch_vccz .LBB20_331
.LBB20_327:                             ;   in Loop: Header=BB20_328 Depth=2
	s_and_b64 s[8:9], exec, s[8:9]
	s_or_b64 s[16:17], s[8:9], s[16:17]
	s_andn2_b64 s[8:9], s[28:29], exec
	s_and_b64 s[22:23], s[22:23], exec
	s_or_b64 s[28:29], s[8:9], s[22:23]
	s_andn2_b64 exec, exec, s[16:17]
	s_cbranch_execz .LBB20_332
.LBB20_328:                             ;   Parent Loop BB20_6 Depth=1
                                        ; =>  This Inner Loop Header: Depth=2
	v_cmp_gt_u32_e32 vcc, s19, v3
	s_and_saveexec_b64 s[46:47], vcc
	s_cbranch_execz .LBB20_326
; %bb.329:                              ;   in Loop: Header=BB20_328 Depth=2
	ds_read_u8 v4, v3
	s_waitcnt lgkmcnt(0)
	v_add_u32_sdwa v5, sext(v4), s18 dst_sel:DWORD dst_unused:UNUSED_PAD src0_sel:BYTE_0 src1_sel:DWORD
	v_and_b32_e32 v5, v5, v38
	v_cmp_eq_u32_e32 vcc, v5, v29
	s_and_b64 exec, exec, vcc
	s_cbranch_execz .LBB20_326
; %bb.330:                              ;   in Loop: Header=BB20_328 Depth=2
	v_lshlrev_b16_e32 v4, 8, v4
	v_or_b32_e32 v4, 1, v4
	ds_write_b16 v23, v4 offset:3072
	s_branch .LBB20_326
.LBB20_331:                             ;   in Loop: Header=BB20_328 Depth=2
	v_add_u32_e32 v3, s33, v3
	v_cmp_le_u32_e32 vcc, s48, v3
	s_mov_b64 s[22:23], 0
	s_orn2_b64 s[8:9], vcc, exec
	s_branch .LBB20_327
.LBB20_332:                             ;   in Loop: Header=BB20_6 Depth=1
	s_or_b64 exec, exec, s[16:17]
	v_lshrrev_b32_sdwa v39, v37, v4 dst_sel:DWORD dst_unused:UNUSED_PAD src0_sel:DWORD src1_sel:WORD_0
	s_and_b64 s[16:17], s[28:29], exec
.LBB20_333:                             ;   in Loop: Header=BB20_6 Depth=1
	s_or_b64 exec, exec, s[24:25]
.LBB20_334:                             ;   in Loop: Header=BB20_6 Depth=1
	s_and_b64 vcc, exec, s[2:3]
	s_cbranch_vccz .LBB20_345
; %bb.335:                              ;   in Loop: Header=BB20_6 Depth=1
                                        ; implicit-def: $vgpr39
	s_mov_b64 s[2:3], exec
	v_readlane_b32 s8, v51, 54
	v_readlane_b32 s9, v51, 55
	s_and_b64 s[8:9], s[2:3], s[8:9]
	s_mov_b64 exec, s[8:9]
	s_cbranch_execz .LBB20_344
; %bb.336:                              ;   in Loop: Header=BB20_6 Depth=1
	s_mov_b64 s[24:25], 0
	v_mov_b32_e32 v3, v22
	v_mov_b32_e32 v4, v0
                                        ; implicit-def: $sgpr28_sgpr29
	s_branch .LBB20_339
.LBB20_337:                             ;   in Loop: Header=BB20_339 Depth=2
	s_or_b64 exec, exec, s[42:43]
	s_waitcnt lgkmcnt(0)
	s_barrier
	ds_read_u16 v5, v23 offset:3072
	s_mov_b64 s[22:23], -1
	s_mov_b64 s[42:43], -1
	s_waitcnt lgkmcnt(0)
	s_barrier
	v_cmp_eq_u32_sdwa s[8:9], v5, v23 src0_sel:BYTE_0 src1_sel:DWORD
	s_and_b64 vcc, exec, s[8:9]
	s_cbranch_vccnz .LBB20_342
.LBB20_338:                             ;   in Loop: Header=BB20_339 Depth=2
	s_and_b64 s[8:9], exec, s[22:23]
	s_or_b64 s[24:25], s[8:9], s[24:25]
	s_andn2_b64 s[8:9], s[28:29], exec
	s_and_b64 s[22:23], s[42:43], exec
	s_or_b64 s[28:29], s[8:9], s[22:23]
	s_andn2_b64 exec, exec, s[24:25]
	s_cbranch_execz .LBB20_343
.LBB20_339:                             ;   Parent Loop BB20_6 Depth=1
                                        ; =>  This Inner Loop Header: Depth=2
	v_cmp_gt_u32_e32 vcc, s36, v4
	s_and_saveexec_b64 s[42:43], vcc
	s_cbranch_execz .LBB20_337
; %bb.340:                              ;   in Loop: Header=BB20_339 Depth=2
	global_load_ubyte v5, v3, s[40:41]
	s_waitcnt vmcnt(0)
	v_add_u32_sdwa v6, sext(v5), s18 dst_sel:DWORD dst_unused:UNUSED_PAD src0_sel:BYTE_0 src1_sel:DWORD
	v_and_b32_e32 v6, v6, v38
	v_cmp_eq_u32_e32 vcc, v6, v29
	s_and_b64 exec, exec, vcc
	s_cbranch_execz .LBB20_337
; %bb.341:                              ;   in Loop: Header=BB20_339 Depth=2
	v_lshlrev_b16_e32 v5, 8, v5
	v_or_b32_e32 v5, 1, v5
	ds_write_b16 v23, v5 offset:3072
	s_branch .LBB20_337
.LBB20_342:                             ;   in Loop: Header=BB20_339 Depth=2
	v_add_u32_e32 v4, s33, v4
	v_cmp_le_u32_e32 vcc, s4, v4
	v_add_u32_e32 v3, s53, v3
	s_mov_b64 s[42:43], 0
	s_orn2_b64 s[22:23], vcc, exec
	s_branch .LBB20_338
.LBB20_343:                             ;   in Loop: Header=BB20_6 Depth=1
	s_or_b64 exec, exec, s[24:25]
	s_andn2_b64 s[8:9], s[16:17], exec
	s_and_b64 s[16:17], s[28:29], exec
	v_lshrrev_b32_sdwa v39, v37, v5 dst_sel:DWORD dst_unused:UNUSED_PAD src0_sel:DWORD src1_sel:WORD_0
	s_or_b64 s[16:17], s[8:9], s[16:17]
.LBB20_344:                             ;   in Loop: Header=BB20_6 Depth=1
	s_or_b64 exec, exec, s[2:3]
	s_mov_b64 s[42:43], 0
	s_mov_b64 s[44:45], -1
.LBB20_345:                             ;   in Loop: Header=BB20_6 Depth=1
	s_orn2_b64 s[2:3], s[16:17], exec
.LBB20_346:                             ;   in Loop: Header=BB20_6 Depth=1
	s_or_b64 exec, exec, s[12:13]
	s_mov_b64 s[12:13], 0
	s_and_saveexec_b64 s[46:47], s[2:3]
	s_cbranch_execz .LBB20_396
; %bb.347:                              ;   in Loop: Header=BB20_6 Depth=1
	s_xor_b64 s[8:9], s[14:15], -1
	v_mov_b32_e32 v3, 1
	v_mov_b32_e32 v1, 1
	s_and_saveexec_b64 s[2:3], s[8:9]
	s_cbranch_execz .LBB20_356
; %bb.348:                              ;   in Loop: Header=BB20_6 Depth=1
	v_cmp_ge_u32_e32 vcc, s50, v2
	s_and_saveexec_b64 s[8:9], vcc
	s_xor_b64 s[12:13], exec, s[8:9]
	s_cbranch_execz .LBB20_353
; %bb.349:                              ;   in Loop: Header=BB20_6 Depth=1
	v_and_b32_e32 v1, s39, v29
	v_lshl_or_b32 v29, 1, s10, v1
	ds_read_b32 v1, v23 offset:4096
	v_or_b32_e32 v38, s38, v38
	s_waitcnt lgkmcnt(0)
	v_cmp_ne_u32_e32 vcc, 0, v1
	s_cbranch_vccnz .LBB20_353
; %bb.350:                              ;   in Loop: Header=BB20_6 Depth=1
	s_mov_b64 s[8:9], exec
	v_readlane_b32 s14, v51, 14
	v_readlane_b32 s15, v51, 15
	s_and_b64 s[14:15], s[8:9], s[14:15]
	s_mov_b64 exec, s[14:15]
; %bb.351:                              ;   in Loop: Header=BB20_6 Depth=1
	v_mov_b32_e32 v1, s50
	ds_write_b32 v23, v1 offset:4100
; %bb.352:                              ;   in Loop: Header=BB20_6 Depth=1
	s_or_b64 exec, exec, s[8:9]
	s_waitcnt lgkmcnt(0)
	s_barrier
.LBB20_353:                             ;   in Loop: Header=BB20_6 Depth=1
	s_or_saveexec_b64 s[12:13], s[12:13]
	s_mov_b64 s[14:15], 0
	v_mov_b32_e32 v1, 5
	s_xor_b64 exec, exec, s[12:13]
; %bb.354:                              ;   in Loop: Header=BB20_6 Depth=1
	v_subrev_u32_e32 v2, s50, v2
	v_mov_b32_e32 v1, 0
	s_mov_b64 s[14:15], exec
; %bb.355:                              ;   in Loop: Header=BB20_6 Depth=1
	s_or_b64 exec, exec, s[12:13]
	s_and_b64 s[12:13], s[14:15], exec
	v_mov_b32_e32 v3, v2
.LBB20_356:                             ;   in Loop: Header=BB20_6 Depth=1
	s_or_b64 exec, exec, s[2:3]
	s_mov_b64 s[2:3], -1
                                        ; implicit-def: $sgpr16_sgpr17
                                        ; implicit-def: $sgpr14_sgpr15
	s_and_saveexec_b64 s[48:49], s[12:13]
	s_cbranch_execz .LBB20_395
; %bb.357:                              ;   in Loop: Header=BB20_6 Depth=1
	s_cmp_eq_u32 s20, 1
	s_cselect_b64 s[2:3], -1, 0
	v_cmp_eq_u32_e32 vcc, 1, v3
	s_and_b64 s[12:13], s[2:3], vcc
	s_mov_b64 s[28:29], -1
                                        ; implicit-def: $sgpr16_sgpr17
                                        ; implicit-def: $sgpr14_sgpr15
	s_and_saveexec_b64 s[24:25], s[12:13]
	s_cbranch_execz .LBB20_383
; %bb.358:                              ;   in Loop: Header=BB20_6 Depth=1
	ds_read_b32 v2, v23 offset:4096
	s_waitcnt lgkmcnt(0)
	s_barrier
	v_readfirstlane_b32 s19, v2
	s_mov_b64 s[2:3], exec
	v_readlane_b32 s8, v51, 29
	v_readlane_b32 s9, v51, 30
	s_and_b64 s[8:9], s[2:3], s[8:9]
	s_mov_b64 exec, s[8:9]
; %bb.359:                              ;   in Loop: Header=BB20_6 Depth=1
	ds_write_b8 v0, v23 offset:3072
; %bb.360:                              ;   in Loop: Header=BB20_6 Depth=1
	s_or_b64 exec, exec, s[2:3]
	v_and_b32_e32 v29, s39, v29
	v_or_b32_e32 v38, s38, v38
	s_mov_b64 s[14:15], -1
	s_mov_b64 s[16:17], 0
	s_cmp_eq_u32 s19, 0
	s_mov_b64 s[28:29], 0
	s_mov_b64 s[2:3], -1
	s_waitcnt lgkmcnt(0)
	s_barrier
                                        ; implicit-def: $vgpr39
	s_cbranch_scc1 .LBB20_371
; %bb.361:                              ;   in Loop: Header=BB20_6 Depth=1
	v_readlane_b32 s2, v51, 31
	s_add_i32 s2, s19, s2
	v_readlane_b32 s3, v51, 53
	s_mul_hi_u32 s3, s2, s3
	s_mul_i32 s3, s3, s33
	s_sub_i32 s3, s2, s3
	s_sub_i32 s8, s3, s33
	s_cmp_ge_u32 s3, s33
	s_cselect_b32 s3, s8, s3
	s_sub_i32 s8, s3, s33
	s_cmp_ge_u32 s3, s33
	s_cselect_b32 s3, s8, s3
	s_sub_i32 s50, s2, s3
	v_cmp_gt_u32_e32 vcc, s50, v0
	s_mov_b64 s[2:3], 0
                                        ; implicit-def: $vgpr39
	s_and_saveexec_b64 s[56:57], vcc
	s_cbranch_execz .LBB20_370
; %bb.362:                              ;   in Loop: Header=BB20_6 Depth=1
	v_mov_b32_e32 v2, v0
                                        ; implicit-def: $sgpr58_sgpr59
	s_branch .LBB20_365
.LBB20_363:                             ;   in Loop: Header=BB20_365 Depth=2
	s_or_b64 exec, exec, s[60:61]
	s_waitcnt lgkmcnt(0)
	s_barrier
	ds_read_u16 v4, v23 offset:3072
	s_mov_b64 s[8:9], -1
	s_waitcnt lgkmcnt(0)
	s_barrier
	v_cmp_ne_u32_sdwa s[22:23], v4, v23 src0_sel:BYTE_0 src1_sel:DWORD
	s_and_b64 vcc, exec, s[22:23]
	s_mov_b64 s[22:23], -1
	s_cbranch_vccz .LBB20_368
.LBB20_364:                             ;   in Loop: Header=BB20_365 Depth=2
	s_and_b64 s[8:9], exec, s[8:9]
	s_or_b64 s[28:29], s[8:9], s[28:29]
	s_andn2_b64 s[8:9], s[58:59], exec
	s_and_b64 s[22:23], s[22:23], exec
	s_or_b64 s[58:59], s[8:9], s[22:23]
	s_andn2_b64 exec, exec, s[28:29]
	s_cbranch_execz .LBB20_369
.LBB20_365:                             ;   Parent Loop BB20_6 Depth=1
                                        ; =>  This Inner Loop Header: Depth=2
	v_cmp_gt_u32_e32 vcc, s19, v2
	s_and_saveexec_b64 s[60:61], vcc
	s_cbranch_execz .LBB20_363
; %bb.366:                              ;   in Loop: Header=BB20_365 Depth=2
	ds_read_u8 v4, v2
	s_waitcnt lgkmcnt(0)
	v_add_u32_sdwa v5, sext(v4), s18 dst_sel:DWORD dst_unused:UNUSED_PAD src0_sel:BYTE_0 src1_sel:DWORD
	v_and_b32_e32 v5, v5, v38
	v_cmp_eq_u32_e32 vcc, v5, v29
	s_and_b64 exec, exec, vcc
	s_cbranch_execz .LBB20_363
; %bb.367:                              ;   in Loop: Header=BB20_365 Depth=2
	v_lshlrev_b16_e32 v4, 8, v4
	v_or_b32_e32 v4, 1, v4
	ds_write_b16 v23, v4 offset:3072
	s_branch .LBB20_363
.LBB20_368:                             ;   in Loop: Header=BB20_365 Depth=2
	v_add_u32_e32 v2, s33, v2
	v_cmp_le_u32_e32 vcc, s50, v2
	s_mov_b64 s[22:23], 0
	s_orn2_b64 s[8:9], vcc, exec
	s_branch .LBB20_364
.LBB20_369:                             ;   in Loop: Header=BB20_6 Depth=1
	s_or_b64 exec, exec, s[28:29]
	v_lshrrev_b32_sdwa v39, v37, v4 dst_sel:DWORD dst_unused:UNUSED_PAD src0_sel:DWORD src1_sel:WORD_0
	s_and_b64 s[28:29], s[58:59], exec
.LBB20_370:                             ;   in Loop: Header=BB20_6 Depth=1
	s_or_b64 exec, exec, s[56:57]
.LBB20_371:                             ;   in Loop: Header=BB20_6 Depth=1
	s_and_b64 vcc, exec, s[2:3]
	s_cbranch_vccz .LBB20_382
; %bb.372:                              ;   in Loop: Header=BB20_6 Depth=1
                                        ; implicit-def: $vgpr39
	s_mov_b64 s[2:3], exec
	v_readlane_b32 s8, v51, 54
	v_readlane_b32 s9, v51, 55
	s_and_b64 s[8:9], s[2:3], s[8:9]
	s_mov_b64 exec, s[8:9]
	s_cbranch_execz .LBB20_381
; %bb.373:                              ;   in Loop: Header=BB20_6 Depth=1
	s_mov_b64 s[14:15], 0
	v_mov_b32_e32 v2, v22
	v_mov_b32_e32 v4, v0
                                        ; implicit-def: $sgpr16_sgpr17
	s_branch .LBB20_376
.LBB20_374:                             ;   in Loop: Header=BB20_376 Depth=2
	s_or_b64 exec, exec, s[56:57]
	s_waitcnt lgkmcnt(0)
	s_barrier
	ds_read_u16 v5, v23 offset:3072
	s_mov_b64 s[22:23], -1
	s_mov_b64 s[56:57], -1
	s_waitcnt lgkmcnt(0)
	s_barrier
	v_cmp_eq_u32_sdwa s[8:9], v5, v23 src0_sel:BYTE_0 src1_sel:DWORD
	s_and_b64 vcc, exec, s[8:9]
	s_cbranch_vccnz .LBB20_379
.LBB20_375:                             ;   in Loop: Header=BB20_376 Depth=2
	s_and_b64 s[8:9], exec, s[22:23]
	s_or_b64 s[14:15], s[8:9], s[14:15]
	s_andn2_b64 s[8:9], s[16:17], exec
	s_and_b64 s[16:17], s[56:57], exec
	s_or_b64 s[16:17], s[8:9], s[16:17]
	s_andn2_b64 exec, exec, s[14:15]
	s_cbranch_execz .LBB20_380
.LBB20_376:                             ;   Parent Loop BB20_6 Depth=1
                                        ; =>  This Inner Loop Header: Depth=2
	v_cmp_gt_u32_e32 vcc, s36, v4
	s_and_saveexec_b64 s[56:57], vcc
	s_cbranch_execz .LBB20_374
; %bb.377:                              ;   in Loop: Header=BB20_376 Depth=2
	global_load_ubyte v5, v2, s[40:41]
	s_waitcnt vmcnt(0)
	v_add_u32_sdwa v6, sext(v5), s18 dst_sel:DWORD dst_unused:UNUSED_PAD src0_sel:BYTE_0 src1_sel:DWORD
	v_and_b32_e32 v6, v6, v38
	v_cmp_eq_u32_e32 vcc, v6, v29
	s_and_b64 exec, exec, vcc
	s_cbranch_execz .LBB20_374
; %bb.378:                              ;   in Loop: Header=BB20_376 Depth=2
	v_lshlrev_b16_e32 v5, 8, v5
	v_or_b32_e32 v5, 1, v5
	ds_write_b16 v23, v5 offset:3072
	s_branch .LBB20_374
.LBB20_379:                             ;   in Loop: Header=BB20_376 Depth=2
	v_add_u32_e32 v4, s33, v4
	v_cmp_le_u32_e32 vcc, s4, v4
	v_add_u32_e32 v2, s53, v2
	s_mov_b64 s[56:57], 0
	s_orn2_b64 s[22:23], vcc, exec
	s_branch .LBB20_375
.LBB20_380:                             ;   in Loop: Header=BB20_6 Depth=1
	s_or_b64 exec, exec, s[14:15]
	s_andn2_b64 s[8:9], s[28:29], exec
	s_and_b64 s[14:15], s[16:17], exec
	v_lshrrev_b32_sdwa v39, v37, v5 dst_sel:DWORD dst_unused:UNUSED_PAD src0_sel:DWORD src1_sel:WORD_0
	s_or_b64 s[28:29], s[8:9], s[14:15]
.LBB20_381:                             ;   in Loop: Header=BB20_6 Depth=1
	s_or_b64 exec, exec, s[2:3]
	s_mov_b64 s[14:15], 0
	s_mov_b64 s[16:17], -1
.LBB20_382:                             ;   in Loop: Header=BB20_6 Depth=1
	s_orn2_b64 s[28:29], s[28:29], exec
.LBB20_383:                             ;   in Loop: Header=BB20_6 Depth=1
	s_or_b64 exec, exec, s[24:25]
	s_mov_b64 s[24:25], 0
	s_and_saveexec_b64 s[2:3], s[28:29]
	s_cbranch_execz .LBB20_394
; %bb.384:                              ;   in Loop: Header=BB20_6 Depth=1
	s_xor_b64 s[8:9], s[12:13], -1
	v_mov_b32_e32 v1, 1
	v_mov_b32_e32 v2, 1
	s_and_saveexec_b64 s[12:13], s[8:9]
	s_cbranch_execz .LBB20_393
; %bb.385:                              ;   in Loop: Header=BB20_6 Depth=1
	v_cmp_ge_u32_e32 vcc, s20, v3
	s_and_saveexec_b64 s[8:9], vcc
	s_xor_b64 s[24:25], exec, s[8:9]
	s_cbranch_execz .LBB20_390
; %bb.386:                              ;   in Loop: Header=BB20_6 Depth=1
	ds_read_b32 v1, v23 offset:4096
	v_and_b32_e32 v29, s39, v29
	v_or_b32_e32 v38, s38, v38
	s_waitcnt lgkmcnt(0)
	v_cmp_ne_u32_e32 vcc, 0, v1
	s_cbranch_vccnz .LBB20_390
; %bb.387:                              ;   in Loop: Header=BB20_6 Depth=1
	s_mov_b64 s[8:9], exec
	v_readlane_b32 s22, v51, 14
	v_readlane_b32 s23, v51, 15
	s_and_b64 s[22:23], s[8:9], s[22:23]
	s_mov_b64 exec, s[22:23]
; %bb.388:                              ;   in Loop: Header=BB20_6 Depth=1
	v_mov_b32_e32 v1, s20
	ds_write_b32 v23, v1 offset:4100
; %bb.389:                              ;   in Loop: Header=BB20_6 Depth=1
	s_or_b64 exec, exec, s[8:9]
	s_waitcnt lgkmcnt(0)
	s_barrier
.LBB20_390:                             ;   in Loop: Header=BB20_6 Depth=1
	s_andn2_saveexec_b64 s[22:23], s[24:25]
; %bb.391:                              ;   in Loop: Header=BB20_6 Depth=1
	v_subrev_u32_e32 v3, s20, v3
; %bb.392:                              ;   in Loop: Header=BB20_6 Depth=1
	s_or_b64 exec, exec, s[22:23]
	v_mov_b32_e32 v1, 5
	v_mov_b32_e32 v2, v3
.LBB20_393:                             ;   in Loop: Header=BB20_6 Depth=1
	s_or_b64 exec, exec, s[12:13]
	s_mov_b64 s[24:25], exec
	v_mov_b32_e32 v3, v2
.LBB20_394:                             ;   in Loop: Header=BB20_6 Depth=1
	s_or_b64 exec, exec, s[2:3]
	s_orn2_b64 s[2:3], s[24:25], exec
.LBB20_395:                             ;   in Loop: Header=BB20_6 Depth=1
	s_or_b64 exec, exec, s[48:49]
	s_andn2_b64 s[8:9], s[44:45], exec
	s_and_b64 s[12:13], s[16:17], exec
	s_or_b64 s[44:45], s[8:9], s[12:13]
	s_andn2_b64 s[8:9], s[42:43], exec
	s_and_b64 s[12:13], s[14:15], exec
	s_or_b64 s[42:43], s[8:9], s[12:13]
	s_and_b64 s[12:13], s[2:3], exec
	v_mov_b32_e32 v2, v3
.LBB20_396:                             ;   in Loop: Header=BB20_6 Depth=1
	s_or_b64 exec, exec, s[46:47]
	s_orn2_b64 s[2:3], s[12:13], exec
.LBB20_397:                             ;   in Loop: Header=BB20_6 Depth=1
	s_or_b64 exec, exec, s[94:95]
	s_andn2_b64 s[8:9], s[90:91], exec
	s_and_b64 s[12:13], s[44:45], exec
	s_or_b64 s[90:91], s[8:9], s[12:13]
	s_andn2_b64 s[8:9], s[88:89], exec
	s_and_b64 s[12:13], s[42:43], exec
	s_or_b64 s[88:89], s[8:9], s[12:13]
	s_and_b64 s[12:13], s[2:3], exec
	v_mov_b32_e32 v4, v2
.LBB20_398:                             ;   in Loop: Header=BB20_6 Depth=1
	s_or_b64 exec, exec, s[92:93]
	s_orn2_b64 s[2:3], s[12:13], exec
.LBB20_399:                             ;   in Loop: Header=BB20_6 Depth=1
	s_or_b64 exec, exec, s[6:7]
	s_mov_b64 s[6:7], s[84:85]
	s_mov_b64 s[12:13], s[34:35]
	s_and_saveexec_b64 s[14:15], s[2:3]
; %bb.400:                              ;   in Loop: Header=BB20_6 Depth=1
	v_cmp_ne_u32_e64 s[6:7], 5, v1
	v_cmp_eq_u32_e32 vcc, 5, v1
	s_andn2_b64 s[2:3], s[34:35], exec
	s_and_b64 s[6:7], s[6:7], exec
	s_or_b64 s[12:13], s[2:3], s[6:7]
	s_andn2_b64 s[2:3], s[84:85], exec
	s_and_b64 s[6:7], vcc, exec
	s_or_b64 s[6:7], s[2:3], s[6:7]
; %bb.401:                              ;   in Loop: Header=BB20_6 Depth=1
	s_or_b64 exec, exec, s[14:15]
	s_andn2_b64 s[2:3], s[26:27], exec
	s_and_b64 s[8:9], s[90:91], exec
	s_or_b64 s[26:27], s[2:3], s[8:9]
	s_andn2_b64 s[2:3], s[30:31], exec
	s_and_b64 s[8:9], s[88:89], exec
	s_or_b64 s[30:31], s[2:3], s[8:9]
	s_andn2_b64 s[2:3], s[34:35], exec
	s_and_b64 s[8:9], s[12:13], exec
	s_or_b64 s[34:35], s[2:3], s[8:9]
	s_andn2_b64 s[2:3], s[84:85], exec
	s_and_b64 s[6:7], s[6:7], exec
	s_or_b64 s[84:85], s[2:3], s[6:7]
.LBB20_402:                             ;   in Loop: Header=BB20_6 Depth=1
	s_or_b64 exec, exec, s[86:87]
	s_mov_b64 s[86:87], 0
	s_mov_b64 s[88:89], 0
	s_and_saveexec_b64 s[2:3], s[84:85]
.LBB20_403:                             ;   in Loop: Header=BB20_6 Depth=1
	v_mov_b32_e32 v1, 0
	s_or_b64 s[34:35], s[34:35], exec
.LBB20_404:                             ;   in Loop: Header=BB20_6 Depth=1
	s_or_b64 exec, exec, s[2:3]
	s_andn2_b64 s[2:3], s[80:81], exec
	s_and_b64 s[8:9], s[26:27], exec
	s_or_b64 s[80:81], s[2:3], s[8:9]
	s_andn2_b64 s[2:3], s[78:79], exec
	s_and_b64 s[8:9], s[30:31], exec
	s_or_b64 s[78:79], s[2:3], s[8:9]
	;; [unrolled: 3-line block ×3, first 2 shown]
	s_andn2_b64 s[2:3], s[74:75], exec
	s_and_b64 s[8:9], s[86:87], exec
	s_mov_b64 s[6:7], -1
	s_andn2_b64 s[82:83], s[82:83], exec
	s_or_b64 s[74:75], s[2:3], s[8:9]
	v_mov_b32_e32 v40, v4
	s_and_saveexec_b64 s[2:3], s[34:35]
	s_xor_b64 s[2:3], exec, s[2:3]
	s_cbranch_execz .LBB20_5
; %bb.405:                              ;   in Loop: Header=BB20_6 Depth=1
	v_cmp_eq_u32_e32 vcc, 0, v1
	s_mov_b64 s[12:13], -1
	s_and_saveexec_b64 s[14:15], vcc
	s_cbranch_execz .LBB20_4
; %bb.406:                              ;   in Loop: Header=BB20_6 Depth=1
	s_xor_b32 s54, s54, 1
	s_add_i32 s8, s10, -2
	s_cmp_eq_u32 s10, 0
	s_cselect_b64 s[6:7], -1, 0
	s_xor_b64 s[12:13], exec, -1
	s_orn2_b64 s[6:7], s[6:7], exec
	s_mov_b32 s10, s8
	s_branch .LBB20_4
.LBB20_407:
	s_or_b64 exec, exec, s[62:63]
	s_xor_b64 s[6:7], s[72:73], -1
	s_xor_b64 s[18:19], s[70:71], -1
	;; [unrolled: 1-line block ×5, first 2 shown]
	s_mov_b64 s[12:13], 0
	s_and_saveexec_b64 s[10:11], s[4:5]
	s_xor_b64 s[10:11], exec, s[10:11]
	s_cbranch_execnz .LBB20_412
; %bb.408:
	s_andn2_saveexec_b64 s[0:1], s[10:11]
	s_cbranch_execnz .LBB20_431
.LBB20_409:
	s_or_b64 exec, exec, s[0:1]
	s_and_saveexec_b64 s[0:1], s[12:13]
.LBB20_410:
	; divergent unreachable
.LBB20_411:
	s_endpgm
.LBB20_412:
	s_mov_b64 s[14:15], 0
	s_and_saveexec_b64 s[4:5], s[8:9]
	s_xor_b64 s[12:13], exec, s[4:5]
	s_cbranch_execz .LBB20_429
; %bb.413:
	s_mov_b64 s[16:17], 0
	s_and_saveexec_b64 s[4:5], s[18:19]
	s_xor_b64 s[14:15], exec, s[4:5]
	s_cbranch_execz .LBB20_427
; %bb.414:
	s_mov_b64 s[18:19], 0
	s_and_saveexec_b64 s[4:5], s[6:7]
	s_xor_b64 s[16:17], exec, s[4:5]
	s_cbranch_execz .LBB20_425
; %bb.415:
	s_and_saveexec_b64 s[4:5], s[2:3]
	s_xor_b64 s[2:3], exec, s[4:5]
; %bb.416:
	v_xor_b32_e32 v39, 0xffffff80, v29
; %bb.417:
	s_or_b64 exec, exec, s[2:3]
	s_mov_b64 s[2:3], exec
	v_readlane_b32 s4, v51, 14
	v_readlane_b32 s5, v51, 15
	;; [unrolled: 1-line block ×3, first 2 shown]
	s_and_b64 s[4:5], s[2:3], s[4:5]
	v_readlane_b32 s47, v51, 18
	v_readlane_b32 s6, v51, 16
	s_mov_b64 exec, s[4:5]
; %bb.418:
	v_mov_b32_e32 v1, 0
	ds_write_b32 v1, v1 offset:4108
; %bb.419:
	s_or_b64 exec, exec, s[2:3]
	v_mov_b32_e32 v3, 0
	s_waitcnt lgkmcnt(0)
	s_barrier
	s_mov_b64 s[2:3], exec
	v_readlane_b32 s4, v51, 25
	v_readlane_b32 s5, v51, 26
	s_and_b64 s[4:5], s[2:3], s[4:5]
	s_mov_b64 exec, s[4:5]
	s_cbranch_execz .LBB20_421
; %bb.420:
	global_load_ubyte v3, v[13:14], off
.LBB20_421:
	s_or_b64 exec, exec, s[2:3]
	v_readlane_b32 s5, v51, 10
	v_readlane_b32 s7, v51, 11
	s_mul_i32 s2, s7, s5
	s_add_i32 s34, s36, 63
	s_sub_i32 s2, s6, s2
	s_andn2_b32 s34, s34, 63
	s_add_i32 s3, s7, 1
	s_sub_i32 s4, s2, s5
	s_cmp_ge_u32 s2, s5
	s_cselect_b32 s3, s3, s7
	s_cselect_b32 s2, s4, s2
	s_add_i32 s4, s3, 1
	s_cmp_ge_u32 s2, s5
	s_cselect_b32 s2, s4, s3
	s_mul_i32 s3, s2, s5
	v_readlane_b32 s4, v51, 4
	s_sub_i32 s3, s6, s3
	v_readlane_b32 s5, v51, 5
	s_mul_i32 s3, s3, s5
	s_mul_i32 s2, s2, s4
	v_readlane_b32 s7, v51, 12
	v_readlane_b32 s8, v51, 13
	s_add_i32 s4, s2, s3
	s_mul_i32 s2, s8, s7
	s_sub_i32 s2, s6, s2
	s_add_i32 s3, s8, 1
	s_sub_i32 s5, s2, s7
	s_cmp_ge_u32 s2, s7
	s_cselect_b32 s3, s3, s8
	s_cselect_b32 s2, s5, s2
	s_add_i32 s5, s3, 1
	s_cmp_ge_u32 s2, s7
	s_cselect_b32 s2, s5, s3
	s_mul_i32 s3, s2, s7
	s_sub_i32 s3, s6, s3
	v_readlane_b32 s6, v51, 0
	v_readlane_b32 s7, v51, 1
	s_mul_i32 s3, s3, s7
	s_mul_i32 s2, s2, s6
	s_add_i32 s2, s2, s3
	v_readlane_b32 s6, v51, 8
	s_mov_b32 s3, 0
	v_readlane_b32 s7, v51, 9
	s_add_u32 s8, s6, s4
	s_addc_u32 s9, s7, 0
	s_lshl_b64 s[2:3], s[2:3], 3
	v_readlane_b32 s4, v51, 2
	v_readlane_b32 s5, v51, 3
	s_add_u32 s35, s4, s2
	s_addc_u32 s38, s5, s3
	v_readlane_b32 s2, v51, 6
	v_readlane_b32 s3, v51, 7
	s_load_dword s39, s[2:3], 0x1c8
	s_load_dword s42, s[2:3], 0x2a8
	v_cmp_gt_u32_e32 vcc, s34, v0
	s_mov_b64 s[2:3], -1
	s_mov_b64 s[4:5], 0
	s_and_saveexec_b64 s[20:21], vcc
	s_cbranch_execnz .LBB20_432
; %bb.422:
	s_or_b64 exec, exec, s[20:21]
	s_and_saveexec_b64 s[6:7], s[2:3]
	s_cbranch_execnz .LBB20_447
.LBB20_423:
	s_or_b64 exec, exec, s[6:7]
	s_and_saveexec_b64 s[0:1], s[4:5]
	s_xor_b64 s[0:1], exec, s[0:1]
	s_cbranch_execnz .LBB20_470
.LBB20_424:
	s_or_b64 exec, exec, s[0:1]
	s_and_b64 s[18:19], s[18:19], exec
.LBB20_425:
	s_andn2_saveexec_b64 s[0:1], s[16:17]
	s_cbranch_execnz .LBB20_472
.LBB20_426:
	s_or_b64 exec, exec, s[0:1]
	s_and_b64 s[16:17], s[18:19], exec
.LBB20_427:
	s_andn2_saveexec_b64 s[0:1], s[14:15]
	s_cbranch_execnz .LBB20_471
.LBB20_428:
	s_or_b64 exec, exec, s[0:1]
	s_and_b64 s[14:15], s[16:17], exec
.LBB20_429:
	s_andn2_saveexec_b64 s[0:1], s[12:13]
	s_cbranch_execnz .LBB20_466
.LBB20_430:
	s_or_b64 exec, exec, s[0:1]
	s_and_b64 s[12:13], s[14:15], exec
	s_andn2_saveexec_b64 s[0:1], s[10:11]
	s_cbranch_execz .LBB20_409
.LBB20_431:
	s_or_b64 s[12:13], s[12:13], exec
	s_trap 2
	s_or_b64 exec, exec, s[0:1]
	s_and_saveexec_b64 s[0:1], s[12:13]
	s_cbranch_execnz .LBB20_410
	s_branch .LBB20_411
.LBB20_432:
	v_add_u32_e32 v1, s33, v0
	v_mul_lo_u32 v5, s52, v1
	s_movk_i32 s43, 0x80
	v_add_u32_sdwa v4, sext(v39), s43 dst_sel:DWORD dst_unused:UNUSED_PAD src0_sel:BYTE_0 src1_sel:DWORD
	s_mov_b64 s[22:23], 0
	v_mov_b32_e32 v2, 0
	v_mov_b32_e32 v1, v0
                                        ; implicit-def: $sgpr24_sgpr25
                                        ; implicit-def: $vgpr8
	s_branch .LBB20_434
.LBB20_433:                             ;   in Loop: Header=BB20_434 Depth=1
	s_or_b64 exec, exec, s[26:27]
	s_xor_b64 s[4:5], s[6:7], -1
	s_and_b64 s[2:3], exec, s[2:3]
	s_or_b64 s[22:23], s[2:3], s[22:23]
	s_andn2_b64 s[2:3], s[24:25], exec
	s_and_b64 s[4:5], s[4:5], exec
	s_or_b64 s[24:25], s[2:3], s[4:5]
	v_mov_b32_e32 v3, v7
	v_mov_b32_e32 v1, v6
	s_andn2_b64 exec, exec, s[22:23]
	s_cbranch_execz .LBB20_446
.LBB20_434:                             ; =>This Inner Loop Header: Depth=1
	v_add_u32_e32 v6, s33, v1
	v_cmp_gt_u32_e64 s[4:5], s36, v6
	v_mov_b32_e32 v7, 0
	s_and_saveexec_b64 s[2:3], s[4:5]
	s_cbranch_execz .LBB20_436
; %bb.435:                              ;   in Loop: Header=BB20_434 Depth=1
	global_load_ubyte v7, v5, s[40:41]
.LBB20_436:                             ;   in Loop: Header=BB20_434 Depth=1
	s_or_b64 exec, exec, s[2:3]
	s_waitcnt vmcnt(0)
	v_add_u32_sdwa v9, sext(v3), s43 dst_sel:DWORD dst_unused:UNUSED_PAD src0_sel:BYTE_0 src1_sel:DWORD
	v_cmp_gt_u32_e64 s[6:7], v9, v4
	v_cndmask_b32_e64 v10, 0, 1, s[6:7]
	v_cmp_lt_u32_e64 s[6:7], v9, v4
	v_cndmask_b32_e64 v9, 0, 1, s[6:7]
	v_cndmask_b32_e64 v9, v9, v10, s[46:47]
	v_and_b32_e32 v9, 1, v9
	v_cmp_gt_u32_e64 s[4:5], s36, v1
	v_cmp_eq_u32_e64 s[6:7], 1, v9
	s_and_b64 s[26:27], s[4:5], s[6:7]
	v_cndmask_b32_e64 v9, 0, 1, s[26:27]
	v_cmp_ne_u32_e64 s[4:5], 0, v9
	s_cmp_lg_u64 s[4:5], 0
	s_cselect_b64 s[2:3], -1, 0
	s_and_b64 s[6:7], s[0:1], s[2:3]
	s_and_saveexec_b64 s[2:3], s[6:7]
	s_cbranch_execz .LBB20_440
; %bb.437:                              ;   in Loop: Header=BB20_434 Depth=1
	s_mov_b64 s[30:31], exec
	s_waitcnt lgkmcnt(0)
	v_mbcnt_lo_u32_b32 v8, s30, 0
	v_mbcnt_hi_u32_b32 v8, s31, v8
	s_bcnt1_i32_b64 s44, s[4:5]
	v_cmp_eq_u32_e64 s[6:7], 0, v8
                                        ; implicit-def: $vgpr9
	s_and_saveexec_b64 s[28:29], s[6:7]
; %bb.438:                              ;   in Loop: Header=BB20_434 Depth=1
	s_bcnt1_i32_b64 s6, s[30:31]
	s_mul_i32 s6, s44, s6
	v_mov_b32_e32 v9, s6
	ds_add_rtn_u32 v9, v2, v9 offset:4108
; %bb.439:                              ;   in Loop: Header=BB20_434 Depth=1
	s_or_b64 exec, exec, s[28:29]
	s_waitcnt lgkmcnt(0)
	v_readfirstlane_b32 s6, v9
	v_mov_b32_e32 v9, s6
	v_mad_u32_u24 v8, s44, v8, v9
.LBB20_440:                             ;   in Loop: Header=BB20_434 Depth=1
	s_or_b64 exec, exec, s[2:3]
	s_waitcnt lgkmcnt(0)
	ds_bpermute_b32 v8, v17, v8
	s_mov_b64 s[2:3], -1
	s_mov_b64 s[28:29], -1
	s_and_saveexec_b64 s[6:7], s[26:27]
	s_cbranch_execz .LBB20_444
; %bb.441:                              ;   in Loop: Header=BB20_434 Depth=1
	v_and_b32_e32 v10, s4, v19
	v_and_b32_e32 v9, s5, v18
	v_bcnt_u32_b32 v10, v10, 0
	v_bcnt_u32_b32 v9, v9, v10
	s_waitcnt lgkmcnt(0)
	v_add_u32_e32 v9, v8, v9
	v_cmp_gt_u32_e64 s[4:5], s37, v9
	s_mov_b64 s[26:27], 0
	s_and_saveexec_b64 s[28:29], s[4:5]
; %bb.442:                              ;   in Loop: Header=BB20_434 Depth=1
	v_mul_lo_u32 v11, v9, s39
	v_mul_lo_u32 v9, v9, s42
	v_mov_b32_e32 v10, v2
	s_mov_b64 s[26:27], exec
	global_store_byte v11, v3, s[8:9]
	v_lshlrev_b64 v[9:10], 3, v[9:10]
	v_mov_b32_e32 v3, s38
	v_add_co_u32_e64 v9, s[4:5], s35, v9
	v_addc_co_u32_e64 v10, s[4:5], v3, v10, s[4:5]
	global_store_dwordx2 v[9:10], v[1:2], off
; %bb.443:                              ;   in Loop: Header=BB20_434 Depth=1
	s_or_b64 exec, exec, s[28:29]
	s_orn2_b64 s[28:29], s[26:27], exec
.LBB20_444:                             ;   in Loop: Header=BB20_434 Depth=1
	s_or_b64 exec, exec, s[6:7]
	s_mov_b64 s[6:7], -1
	s_and_saveexec_b64 s[26:27], s[28:29]
	s_cbranch_execz .LBB20_433
; %bb.445:                              ;   in Loop: Header=BB20_434 Depth=1
	v_cmp_le_u32_e64 s[4:5], s34, v6
	v_add_u32_e32 v5, s53, v5
	s_xor_b64 s[6:7], exec, -1
	s_orn2_b64 s[2:3], s[4:5], exec
	s_branch .LBB20_433
.LBB20_446:
	s_or_b64 exec, exec, s[22:23]
	s_mov_b64 s[4:5], exec
	s_orn2_b64 s[2:3], s[24:25], exec
	s_or_b64 exec, exec, s[20:21]
	s_and_saveexec_b64 s[6:7], s[2:3]
	s_cbranch_execz .LBB20_423
.LBB20_447:
	v_mov_b32_e32 v6, 0
	s_waitcnt vmcnt(0) lgkmcnt(0)
	s_barrier
	s_mov_b64 s[2:3], exec
	v_readlane_b32 s18, v51, 25
	v_readlane_b32 s19, v51, 26
	s_and_b64 s[18:19], s[2:3], s[18:19]
	s_mov_b64 exec, s[18:19]
	s_cbranch_execz .LBB20_449
; %bb.448:
	global_load_ubyte v6, v[13:14], off
.LBB20_449:
	s_or_b64 exec, exec, s[2:3]
	s_mov_b64 s[2:3], 0
	s_and_saveexec_b64 s[18:19], vcc
	s_cbranch_execz .LBB20_469
; %bb.450:
	v_add_u32_e32 v1, s33, v0
	v_mul_lo_u32 v2, s52, v1
	s_mov_b64 s[20:21], 0
	v_mov_b32_e32 v1, 0
                                        ; implicit-def: $sgpr22_sgpr23
                                        ; implicit-def: $vgpr5
	s_branch .LBB20_453
.LBB20_451:                             ;   in Loop: Header=BB20_453 Depth=1
	s_or_b64 exec, exec, s[26:27]
	s_orn2_b64 s[28:29], s[28:29], exec
	s_orn2_b64 s[26:27], s[24:25], exec
.LBB20_452:                             ;   in Loop: Header=BB20_453 Depth=1
	s_or_b64 exec, exec, s[2:3]
	s_xor_b64 s[2:3], s[28:29], -1
	s_and_b64 s[24:25], exec, s[26:27]
	s_or_b64 s[20:21], s[24:25], s[20:21]
	s_andn2_b64 s[22:23], s[22:23], exec
	s_and_b64 s[2:3], s[2:3], exec
	s_or_b64 s[22:23], s[22:23], s[2:3]
	v_mov_b32_e32 v0, v3
	v_mov_b32_e32 v6, v4
	s_andn2_b64 exec, exec, s[20:21]
	s_cbranch_execz .LBB20_467
.LBB20_453:                             ; =>This Inner Loop Header: Depth=1
	v_add_u32_e32 v3, s33, v0
	v_cmp_gt_u32_e32 vcc, s36, v3
	v_mov_b32_e32 v4, 0
	s_and_saveexec_b64 s[2:3], vcc
	s_cbranch_execz .LBB20_455
; %bb.454:                              ;   in Loop: Header=BB20_453 Depth=1
	global_load_ubyte v4, v2, s[40:41]
.LBB20_455:                             ;   in Loop: Header=BB20_453 Depth=1
	s_or_b64 exec, exec, s[2:3]
	v_cmp_gt_u32_e32 vcc, s36, v0
	s_waitcnt vmcnt(0)
	v_cmp_eq_u16_sdwa s[2:3], v6, v39 src0_sel:BYTE_0 src1_sel:BYTE_0
	s_and_b64 s[24:25], vcc, s[2:3]
	v_cndmask_b32_e64 v6, 0, 1, s[24:25]
	v_cmp_ne_u32_e32 vcc, 0, v6
	s_cmp_lg_u64 vcc, 0
	s_cselect_b64 s[2:3], -1, 0
	s_and_b64 s[2:3], s[0:1], s[2:3]
	s_and_saveexec_b64 s[26:27], s[2:3]
	s_cbranch_execz .LBB20_459
; %bb.456:                              ;   in Loop: Header=BB20_453 Depth=1
	s_mov_b64 s[30:31], exec
	v_mbcnt_lo_u32_b32 v5, s30, 0
	v_mbcnt_hi_u32_b32 v5, s31, v5
	s_bcnt1_i32_b64 s43, vcc
	v_cmp_eq_u32_e64 s[2:3], 0, v5
                                        ; implicit-def: $vgpr6
	s_and_saveexec_b64 s[28:29], s[2:3]
; %bb.457:                              ;   in Loop: Header=BB20_453 Depth=1
	s_bcnt1_i32_b64 s2, s[30:31]
	s_mul_i32 s2, s43, s2
	v_mov_b32_e32 v6, s2
	ds_add_rtn_u32 v6, v1, v6 offset:4108
; %bb.458:                              ;   in Loop: Header=BB20_453 Depth=1
	s_or_b64 exec, exec, s[28:29]
	s_waitcnt lgkmcnt(0)
	v_readfirstlane_b32 s2, v6
	v_mov_b32_e32 v6, s2
	v_mad_u32_u24 v5, s43, v5, v6
.LBB20_459:                             ;   in Loop: Header=BB20_453 Depth=1
	s_or_b64 exec, exec, s[26:27]
	ds_bpermute_b32 v5, v17, v5
	s_cmp_eq_u64 vcc, 0
	s_cselect_b64 s[28:29], -1, 0
	s_mov_b64 s[26:27], -1
	s_waitcnt lgkmcnt(0)
	v_cmp_gt_u32_e64 s[2:3], s37, v5
	s_or_b64 s[30:31], s[28:29], s[2:3]
	s_mov_b64 s[28:29], -1
	s_and_saveexec_b64 s[2:3], s[30:31]
	s_cbranch_execz .LBB20_452
; %bb.460:                              ;   in Loop: Header=BB20_453 Depth=1
	v_and_b32_e32 v7, vcc_lo, v19
	v_and_b32_e32 v6, vcc_hi, v18
	v_bcnt_u32_b32 v7, v7, 0
	v_bcnt_u32_b32 v6, v6, v7
	v_sub_u32_e32 v7, s37, v5
	v_cmp_gt_u32_e32 vcc, v7, v6
	s_and_b64 s[44:45], s[24:25], vcc
	s_mov_b64 s[24:25], -1
	s_mov_b64 s[30:31], -1
	s_and_saveexec_b64 s[26:27], s[44:45]
	s_cbranch_execz .LBB20_464
; %bb.461:                              ;   in Loop: Header=BB20_453 Depth=1
	v_add_u32_e32 v6, v5, v6
	v_cmp_gt_u32_e32 vcc, s37, v6
	s_mov_b64 s[30:31], 0
	s_and_saveexec_b64 s[28:29], vcc
; %bb.462:                              ;   in Loop: Header=BB20_453 Depth=1
	v_mul_lo_u32 v8, v6, s39
	v_mul_lo_u32 v6, v6, s42
	v_mov_b32_e32 v7, v1
	s_mov_b64 s[30:31], exec
	global_store_byte v8, v39, s[8:9]
	v_lshlrev_b64 v[6:7], 3, v[6:7]
	v_mov_b32_e32 v8, s38
	v_add_co_u32_e32 v6, vcc, s35, v6
	v_addc_co_u32_e32 v7, vcc, v8, v7, vcc
	global_store_dwordx2 v[6:7], v[0:1], off
; %bb.463:                              ;   in Loop: Header=BB20_453 Depth=1
	s_or_b64 exec, exec, s[28:29]
	s_xor_b64 s[28:29], exec, -1
	s_orn2_b64 s[30:31], s[30:31], exec
.LBB20_464:                             ;   in Loop: Header=BB20_453 Depth=1
	s_or_b64 exec, exec, s[26:27]
	s_and_saveexec_b64 s[26:27], s[30:31]
	s_cbranch_execz .LBB20_451
; %bb.465:                              ;   in Loop: Header=BB20_453 Depth=1
	v_cmp_le_u32_e32 vcc, s34, v3
	v_add_u32_e32 v2, s53, v2
	s_or_b64 s[28:29], s[28:29], exec
	s_orn2_b64 s[24:25], vcc, exec
	s_branch .LBB20_451
.LBB20_466:
	s_or_b64 s[14:15], s[14:15], exec
	s_trap 2
	s_branch .LBB20_430
.LBB20_467:
	s_or_b64 exec, exec, s[20:21]
	s_mov_b64 s[0:1], 0
	s_and_saveexec_b64 s[2:3], s[22:23]
	s_xor_b64 s[2:3], exec, s[2:3]
	s_cbranch_execnz .LBB20_473
.LBB20_468:
	s_or_b64 exec, exec, s[2:3]
	s_and_b64 s[2:3], s[0:1], exec
.LBB20_469:
	s_or_b64 exec, exec, s[18:19]
	s_and_b64 s[18:19], s[2:3], exec
	s_andn2_b64 s[4:5], s[4:5], exec
	s_or_b64 exec, exec, s[6:7]
	s_and_saveexec_b64 s[0:1], s[4:5]
	s_xor_b64 s[0:1], exec, s[0:1]
	s_cbranch_execz .LBB20_424
.LBB20_470:
	s_trap 2
	s_or_b64 s[18:19], s[18:19], exec
	s_branch .LBB20_424
.LBB20_471:
	s_or_b64 s[16:17], s[16:17], exec
	s_trap 2
	s_branch .LBB20_428
.LBB20_472:
	s_trap 2
	s_or_b64 s[18:19], s[18:19], exec
	s_branch .LBB20_426
.LBB20_473:
	s_mov_b64 s[0:1], exec
	s_trap 2
	s_branch .LBB20_468
	.section	.rodata,"a",@progbits
	.p2align	6, 0x0
	.amdhsa_kernel _ZN2at6native6sbtopk10gatherTopKIajLi2ELb0EEEvNS_4cuda6detail10TensorInfoIKT_T0_EES8_S8_bS8_S8_NS5_IS6_S8_EES8_NS5_IlS8_EES8_PS6_
		.amdhsa_group_segment_fixed_size 4112
		.amdhsa_private_segment_fixed_size 0
		.amdhsa_kernarg_size 952
		.amdhsa_user_sgpr_count 6
		.amdhsa_user_sgpr_private_segment_buffer 1
		.amdhsa_user_sgpr_dispatch_ptr 0
		.amdhsa_user_sgpr_queue_ptr 0
		.amdhsa_user_sgpr_kernarg_segment_ptr 1
		.amdhsa_user_sgpr_dispatch_id 0
		.amdhsa_user_sgpr_flat_scratch_init 0
		.amdhsa_user_sgpr_private_segment_size 0
		.amdhsa_uses_dynamic_stack 0
		.amdhsa_system_sgpr_private_segment_wavefront_offset 0
		.amdhsa_system_sgpr_workgroup_id_x 1
		.amdhsa_system_sgpr_workgroup_id_y 1
		.amdhsa_system_sgpr_workgroup_id_z 1
		.amdhsa_system_sgpr_workgroup_info 0
		.amdhsa_system_vgpr_workitem_id 0
		.amdhsa_next_free_vgpr 52
		.amdhsa_next_free_sgpr 96
		.amdhsa_reserve_vcc 1
		.amdhsa_reserve_flat_scratch 0
		.amdhsa_float_round_mode_32 0
		.amdhsa_float_round_mode_16_64 0
		.amdhsa_float_denorm_mode_32 3
		.amdhsa_float_denorm_mode_16_64 3
		.amdhsa_dx10_clamp 1
		.amdhsa_ieee_mode 1
		.amdhsa_fp16_overflow 0
		.amdhsa_exception_fp_ieee_invalid_op 0
		.amdhsa_exception_fp_denorm_src 0
		.amdhsa_exception_fp_ieee_div_zero 0
		.amdhsa_exception_fp_ieee_overflow 0
		.amdhsa_exception_fp_ieee_underflow 0
		.amdhsa_exception_fp_ieee_inexact 0
		.amdhsa_exception_int_div_zero 0
	.end_amdhsa_kernel
	.section	.text._ZN2at6native6sbtopk10gatherTopKIajLi2ELb0EEEvNS_4cuda6detail10TensorInfoIKT_T0_EES8_S8_bS8_S8_NS5_IS6_S8_EES8_NS5_IlS8_EES8_PS6_,"axG",@progbits,_ZN2at6native6sbtopk10gatherTopKIajLi2ELb0EEEvNS_4cuda6detail10TensorInfoIKT_T0_EES8_S8_bS8_S8_NS5_IS6_S8_EES8_NS5_IlS8_EES8_PS6_,comdat
.Lfunc_end20:
	.size	_ZN2at6native6sbtopk10gatherTopKIajLi2ELb0EEEvNS_4cuda6detail10TensorInfoIKT_T0_EES8_S8_bS8_S8_NS5_IS6_S8_EES8_NS5_IlS8_EES8_PS6_, .Lfunc_end20-_ZN2at6native6sbtopk10gatherTopKIajLi2ELb0EEEvNS_4cuda6detail10TensorInfoIKT_T0_EES8_S8_bS8_S8_NS5_IS6_S8_EES8_NS5_IlS8_EES8_PS6_
                                        ; -- End function
	.set _ZN2at6native6sbtopk10gatherTopKIajLi2ELb0EEEvNS_4cuda6detail10TensorInfoIKT_T0_EES8_S8_bS8_S8_NS5_IS6_S8_EES8_NS5_IlS8_EES8_PS6_.num_vgpr, 52
	.set _ZN2at6native6sbtopk10gatherTopKIajLi2ELb0EEEvNS_4cuda6detail10TensorInfoIKT_T0_EES8_S8_bS8_S8_NS5_IS6_S8_EES8_NS5_IlS8_EES8_PS6_.num_agpr, 0
	.set _ZN2at6native6sbtopk10gatherTopKIajLi2ELb0EEEvNS_4cuda6detail10TensorInfoIKT_T0_EES8_S8_bS8_S8_NS5_IS6_S8_EES8_NS5_IlS8_EES8_PS6_.numbered_sgpr, 96
	.set _ZN2at6native6sbtopk10gatherTopKIajLi2ELb0EEEvNS_4cuda6detail10TensorInfoIKT_T0_EES8_S8_bS8_S8_NS5_IS6_S8_EES8_NS5_IlS8_EES8_PS6_.num_named_barrier, 0
	.set _ZN2at6native6sbtopk10gatherTopKIajLi2ELb0EEEvNS_4cuda6detail10TensorInfoIKT_T0_EES8_S8_bS8_S8_NS5_IS6_S8_EES8_NS5_IlS8_EES8_PS6_.private_seg_size, 0
	.set _ZN2at6native6sbtopk10gatherTopKIajLi2ELb0EEEvNS_4cuda6detail10TensorInfoIKT_T0_EES8_S8_bS8_S8_NS5_IS6_S8_EES8_NS5_IlS8_EES8_PS6_.uses_vcc, 1
	.set _ZN2at6native6sbtopk10gatherTopKIajLi2ELb0EEEvNS_4cuda6detail10TensorInfoIKT_T0_EES8_S8_bS8_S8_NS5_IS6_S8_EES8_NS5_IlS8_EES8_PS6_.uses_flat_scratch, 0
	.set _ZN2at6native6sbtopk10gatherTopKIajLi2ELb0EEEvNS_4cuda6detail10TensorInfoIKT_T0_EES8_S8_bS8_S8_NS5_IS6_S8_EES8_NS5_IlS8_EES8_PS6_.has_dyn_sized_stack, 0
	.set _ZN2at6native6sbtopk10gatherTopKIajLi2ELb0EEEvNS_4cuda6detail10TensorInfoIKT_T0_EES8_S8_bS8_S8_NS5_IS6_S8_EES8_NS5_IlS8_EES8_PS6_.has_recursion, 0
	.set _ZN2at6native6sbtopk10gatherTopKIajLi2ELb0EEEvNS_4cuda6detail10TensorInfoIKT_T0_EES8_S8_bS8_S8_NS5_IS6_S8_EES8_NS5_IlS8_EES8_PS6_.has_indirect_call, 0
	.section	.AMDGPU.csdata,"",@progbits
; Kernel info:
; codeLenInByte = 16008
; TotalNumSgprs: 100
; NumVgprs: 52
; ScratchSize: 0
; MemoryBound: 0
; FloatMode: 240
; IeeeMode: 1
; LDSByteSize: 4112 bytes/workgroup (compile time only)
; SGPRBlocks: 12
; VGPRBlocks: 12
; NumSGPRsForWavesPerEU: 100
; NumVGPRsForWavesPerEU: 52
; Occupancy: 4
; WaveLimiterHint : 1
; COMPUTE_PGM_RSRC2:SCRATCH_EN: 0
; COMPUTE_PGM_RSRC2:USER_SGPR: 6
; COMPUTE_PGM_RSRC2:TRAP_HANDLER: 0
; COMPUTE_PGM_RSRC2:TGID_X_EN: 1
; COMPUTE_PGM_RSRC2:TGID_Y_EN: 1
; COMPUTE_PGM_RSRC2:TGID_Z_EN: 1
; COMPUTE_PGM_RSRC2:TIDIG_COMP_CNT: 0
	.section	.text._ZN2at6native6mbtopk23computeBlockDigitCountsIajjLi3EEEvNS_4cuda6detail10TensorInfoIKT_T0_EEjPjjS8_iijT1_PSB_Ps,"axG",@progbits,_ZN2at6native6mbtopk23computeBlockDigitCountsIajjLi3EEEvNS_4cuda6detail10TensorInfoIKT_T0_EEjPjjS8_iijT1_PSB_Ps,comdat
	.protected	_ZN2at6native6mbtopk23computeBlockDigitCountsIajjLi3EEEvNS_4cuda6detail10TensorInfoIKT_T0_EEjPjjS8_iijT1_PSB_Ps ; -- Begin function _ZN2at6native6mbtopk23computeBlockDigitCountsIajjLi3EEEvNS_4cuda6detail10TensorInfoIKT_T0_EEjPjjS8_iijT1_PSB_Ps
	.globl	_ZN2at6native6mbtopk23computeBlockDigitCountsIajjLi3EEEvNS_4cuda6detail10TensorInfoIKT_T0_EEjPjjS8_iijT1_PSB_Ps
	.p2align	8
	.type	_ZN2at6native6mbtopk23computeBlockDigitCountsIajjLi3EEEvNS_4cuda6detail10TensorInfoIKT_T0_EEjPjjS8_iijT1_PSB_Ps,@function
_ZN2at6native6mbtopk23computeBlockDigitCountsIajjLi3EEEvNS_4cuda6detail10TensorInfoIKT_T0_EEjPjjS8_iijT1_PSB_Ps: ; @_ZN2at6native6mbtopk23computeBlockDigitCountsIajjLi3EEEvNS_4cuda6detail10TensorInfoIKT_T0_EEjPjjS8_iijT1_PSB_Ps
; %bb.0:
	s_load_dwordx2 s[10:11], s[4:5], 0xf8
	s_load_dwordx4 s[12:15], s[4:5], 0xe8
	s_load_dwordx2 s[0:1], s[4:5], 0x110
	s_mov_b32 s9, 0
	s_waitcnt lgkmcnt(0)
	v_cvt_f32_u32_e32 v1, s10
	s_sub_i32 s2, 0, s10
	s_mul_i32 s1, s1, s8
	s_add_i32 s1, s1, s7
	v_rcp_iflag_f32_e32 v1, v1
	s_mul_i32 s18, s1, s0
	s_add_i32 s18, s18, s6
	v_mul_f32_e32 v1, 0x4f7ffffe, v1
	v_cvt_u32_f32_e32 v1, v1
	v_readfirstlane_b32 s0, v1
	s_mul_i32 s2, s2, s0
	s_mul_hi_u32 s1, s0, s2
	s_add_i32 s0, s0, s1
	s_mul_hi_u32 s0, s18, s0
	s_mul_i32 s1, s0, s10
	s_sub_i32 s1, s18, s1
	s_add_i32 s2, s0, 1
	s_sub_i32 s3, s1, s10
	s_cmp_ge_u32 s1, s10
	s_cselect_b32 s0, s2, s0
	s_cselect_b32 s1, s3, s1
	s_add_i32 s2, s0, 1
	s_cmp_ge_u32 s1, s10
	s_cselect_b32 s8, s2, s0
	s_cmp_ge_u32 s8, s12
	s_cbranch_scc1 .LBB21_27
; %bb.1:
	s_load_dwordx2 s[6:7], s[4:5], 0xc
	s_load_dwordx4 s[0:3], s[4:5], 0x100
	s_lshl_b64 s[16:17], s[8:9], 2
	s_movk_i32 s9, 0x100
	v_cmp_gt_u32_e32 vcc, s9, v0
	s_waitcnt lgkmcnt(0)
	v_cvt_f32_u32_e32 v1, s7
	v_cvt_f32_u32_e32 v2, s6
	s_add_u32 s0, s0, s16
	s_addc_u32 s1, s1, s17
	v_rcp_iflag_f32_e32 v1, v1
	s_sub_i32 s12, 0, s7
	v_rcp_iflag_f32_e32 v2, v2
	v_mul_f32_e32 v1, 0x4f7ffffe, v1
	v_cvt_u32_f32_e32 v1, v1
	v_mul_f32_e32 v2, 0x4f7ffffe, v2
	v_cvt_u32_f32_e32 v2, v2
	v_readfirstlane_b32 s16, v1
	s_mul_i32 s12, s12, s16
	s_mul_hi_u32 s12, s16, s12
	s_add_i32 s16, s16, s12
	s_mul_hi_u32 s12, s8, s16
	s_mul_i32 s16, s12, s7
	s_sub_i32 s16, s8, s16
	s_add_i32 s17, s12, 1
	s_sub_i32 s19, s16, s7
	s_cmp_ge_u32 s16, s7
	s_cselect_b32 s12, s17, s12
	s_cselect_b32 s16, s19, s16
	s_add_i32 s17, s12, 1
	s_cmp_ge_u32 s16, s7
	v_readfirstlane_b32 s20, v2
	s_cselect_b32 s19, s17, s12
	v_lshlrev_b32_e32 v1, 2, v0
	s_and_saveexec_b64 s[16:17], vcc
; %bb.2:
	v_mov_b32_e32 v2, 0
	ds_write_b32 v1, v2
; %bb.3:
	s_or_b64 exec, exec, s[16:17]
	s_load_dword s9, s[4:5], 0xd8
	s_mul_i32 s12, s8, s10
	s_sub_i32 s12, s18, s12
	s_add_i32 s21, s12, 1
	s_mul_i32 s12, s15, s12
	s_lshl_b32 s12, s12, 8
	s_waitcnt lgkmcnt(0)
	s_sub_i32 s16, s9, s12
	s_add_u32 s16, s16, 0xff
	s_addc_u32 s17, 0, 0
	s_lshr_b64 s[16:17], s[16:17], 8
	s_cmp_lt_u32 s21, s10
	s_cselect_b32 s16, s15, s16
	s_cmp_lt_i32 s16, 1
	s_mov_b32 s15, 0
	s_barrier
	s_cbranch_scc1 .LBB21_25
; %bb.4:
	s_sub_i32 s10, 0, s6
	s_mul_i32 s10, s10, s20
	s_mul_hi_u32 s10, s20, s10
	s_add_i32 s10, s20, s10
	s_load_dwordx4 s[20:23], s[4:5], 0x6c
	s_load_dwordx2 s[24:25], s[4:5], 0x0
	s_mul_hi_u32 s4, s19, s10
	s_load_dword s10, s[0:1], 0x0
	s_mul_i32 s1, s4, s6
	s_mul_i32 s0, s19, s7
	s_sub_i32 s1, s19, s1
	s_sub_i32 s0, s8, s0
	s_add_i32 s5, s4, 1
	s_sub_i32 s7, s1, s6
	s_cmp_ge_u32 s1, s6
	s_cselect_b32 s4, s5, s4
	s_cselect_b32 s1, s7, s1
	s_add_i32 s5, s4, 1
	s_cmp_ge_u32 s1, s6
	s_cselect_b32 s1, s5, s4
	s_mul_i32 s4, s1, s6
	s_sub_i32 s4, s19, s4
	s_waitcnt lgkmcnt(0)
	s_mul_i32 s0, s0, s22
	s_mul_i32 s4, s4, s21
	s_add_i32 s0, s4, s0
	s_mul_i32 s1, s1, s20
	s_add_i32 s0, s0, s1
	s_add_u32 s4, s24, s0
	s_addc_u32 s5, s25, 0
	s_and_b32 s8, s14, 0xff
	s_cmp_lt_u32 s16, 4
	s_cbranch_scc1 .LBB21_19
; %bb.5:
	v_add_u32_e32 v6, s12, v0
	v_add_u32_e32 v2, 0x300, v6
	;; [unrolled: 1-line block ×4, first 2 shown]
	v_mul_lo_u32 v3, s13, v2
	v_mul_lo_u32 v4, s13, v4
	;; [unrolled: 1-line block ×4, first 2 shown]
	s_and_b32 s15, s16, 0x7ffffffc
	s_lshl_b32 s14, s13, 10
	s_mov_b32 s17, 0
	v_mov_b32_e32 v7, 1
	s_mov_b32 s19, 0
	s_branch .LBB21_7
.LBB21_6:                               ;   in Loop: Header=BB21_7 Depth=1
	s_or_b64 exec, exec, s[6:7]
	s_add_i32 s19, s19, 4
	s_add_i32 s17, s17, s14
	s_cmp_eq_u32 s15, s19
	v_add_u32_e32 v2, 0x400, v2
	s_cbranch_scc1 .LBB21_19
.LBB21_7:                               ; =>This Inner Loop Header: Depth=1
	v_add_u32_e32 v8, 0xfffffd00, v2
	v_cmp_gt_u32_e64 s[0:1], s9, v8
	s_and_saveexec_b64 s[6:7], s[0:1]
	s_cbranch_execz .LBB21_10
; %bb.8:                                ;   in Loop: Header=BB21_7 Depth=1
	v_add_u32_e32 v8, s17, v6
	global_load_sbyte v8, v8, s[4:5]
	s_waitcnt vmcnt(0)
	v_add_u32_e32 v8, 0x80, v8
	v_xor_b32_e32 v9, s10, v8
	v_and_b32_e32 v9, s11, v9
	v_cmp_eq_u32_e64 s[0:1], 0, v9
	s_and_b64 exec, exec, s[0:1]
; %bb.9:                                ;   in Loop: Header=BB21_7 Depth=1
	v_lshrrev_b32_e32 v8, s8, v8
	v_lshlrev_b32_e32 v8, 2, v8
	ds_add_u32 v8, v7
.LBB21_10:                              ;   in Loop: Header=BB21_7 Depth=1
	s_or_b64 exec, exec, s[6:7]
	v_add_u32_e32 v8, 0xfffffe00, v2
	v_cmp_gt_u32_e64 s[0:1], s9, v8
	s_and_saveexec_b64 s[6:7], s[0:1]
	s_cbranch_execz .LBB21_13
; %bb.11:                               ;   in Loop: Header=BB21_7 Depth=1
	v_add_u32_e32 v8, s17, v5
	global_load_sbyte v8, v8, s[4:5]
	s_waitcnt vmcnt(0)
	v_add_u32_e32 v8, 0x80, v8
	v_xor_b32_e32 v9, s10, v8
	v_and_b32_e32 v9, s11, v9
	v_cmp_eq_u32_e64 s[0:1], 0, v9
	s_and_b64 exec, exec, s[0:1]
; %bb.12:                               ;   in Loop: Header=BB21_7 Depth=1
	v_lshrrev_b32_e32 v8, s8, v8
	v_lshlrev_b32_e32 v8, 2, v8
	ds_add_u32 v8, v7
.LBB21_13:                              ;   in Loop: Header=BB21_7 Depth=1
	s_or_b64 exec, exec, s[6:7]
	v_add_u32_e32 v8, 0xffffff00, v2
	v_cmp_gt_u32_e64 s[0:1], s9, v8
	s_and_saveexec_b64 s[6:7], s[0:1]
	s_cbranch_execz .LBB21_16
; %bb.14:                               ;   in Loop: Header=BB21_7 Depth=1
	v_add_u32_e32 v8, s17, v4
	global_load_sbyte v8, v8, s[4:5]
	s_waitcnt vmcnt(0)
	v_add_u32_e32 v8, 0x80, v8
	v_xor_b32_e32 v9, s10, v8
	v_and_b32_e32 v9, s11, v9
	v_cmp_eq_u32_e64 s[0:1], 0, v9
	s_and_b64 exec, exec, s[0:1]
; %bb.15:                               ;   in Loop: Header=BB21_7 Depth=1
	v_lshrrev_b32_e32 v8, s8, v8
	v_lshlrev_b32_e32 v8, 2, v8
	ds_add_u32 v8, v7
.LBB21_16:                              ;   in Loop: Header=BB21_7 Depth=1
	s_or_b64 exec, exec, s[6:7]
	v_cmp_gt_u32_e64 s[0:1], s9, v2
	s_and_saveexec_b64 s[6:7], s[0:1]
	s_cbranch_execz .LBB21_6
; %bb.17:                               ;   in Loop: Header=BB21_7 Depth=1
	v_add_u32_e32 v8, s17, v3
	global_load_sbyte v8, v8, s[4:5]
	s_waitcnt vmcnt(0)
	v_add_u32_e32 v8, 0x80, v8
	v_xor_b32_e32 v9, s10, v8
	v_and_b32_e32 v9, s11, v9
	v_cmp_eq_u32_e64 s[0:1], 0, v9
	s_and_b64 exec, exec, s[0:1]
	s_cbranch_execz .LBB21_6
; %bb.18:                               ;   in Loop: Header=BB21_7 Depth=1
	v_lshrrev_b32_e32 v8, s8, v8
	v_lshlrev_b32_e32 v8, 2, v8
	ds_add_u32 v8, v7
	s_branch .LBB21_6
.LBB21_19:
	s_and_b32 s14, s16, 3
	s_cmp_eq_u32 s14, 0
	s_cbranch_scc1 .LBB21_25
; %bb.20:
	s_lshl_b32 s0, s15, 8
	s_add_i32 s0, s0, s12
	v_add_u32_e32 v2, s0, v0
	v_mul_lo_u32 v3, s13, v2
	s_lshl_b32 s12, s13, 8
	v_mov_b32_e32 v4, 1
	s_branch .LBB21_22
.LBB21_21:                              ;   in Loop: Header=BB21_22 Depth=1
	s_or_b64 exec, exec, s[6:7]
	s_add_i32 s14, s14, -1
	v_add_u32_e32 v3, s12, v3
	s_cmp_lg_u32 s14, 0
	v_add_u32_e32 v2, 0x100, v2
	s_cbranch_scc0 .LBB21_25
.LBB21_22:                              ; =>This Inner Loop Header: Depth=1
	v_cmp_gt_u32_e64 s[0:1], s9, v2
	s_and_saveexec_b64 s[6:7], s[0:1]
	s_cbranch_execz .LBB21_21
; %bb.23:                               ;   in Loop: Header=BB21_22 Depth=1
	global_load_sbyte v5, v3, s[4:5]
	s_waitcnt vmcnt(0)
	v_add_u32_e32 v5, 0x80, v5
	v_xor_b32_e32 v6, s10, v5
	v_and_b32_e32 v6, s11, v6
	v_cmp_eq_u32_e64 s[0:1], 0, v6
	s_and_b64 exec, exec, s[0:1]
	s_cbranch_execz .LBB21_21
; %bb.24:                               ;   in Loop: Header=BB21_22 Depth=1
	v_lshrrev_b32_e32 v5, s8, v5
	v_lshlrev_b32_e32 v5, 2, v5
	ds_add_u32 v5, v4
	s_branch .LBB21_21
.LBB21_25:
	s_waitcnt lgkmcnt(0)
	s_barrier
	s_and_saveexec_b64 s[0:1], vcc
	s_cbranch_execz .LBB21_27
; %bb.26:
	v_lshl_or_b32 v2, s18, 8, v0
	v_mov_b32_e32 v3, 0
	ds_read_b32 v5, v1
	v_lshlrev_b64 v[2:3], 1, v[2:3]
	v_mov_b32_e32 v4, s3
	v_add_co_u32_e32 v0, vcc, s2, v2
	v_addc_co_u32_e32 v1, vcc, v4, v3, vcc
	s_waitcnt lgkmcnt(0)
	global_store_short v[0:1], v5, off
.LBB21_27:
	s_endpgm
	.section	.rodata,"a",@progbits
	.p2align	6, 0x0
	.amdhsa_kernel _ZN2at6native6mbtopk23computeBlockDigitCountsIajjLi3EEEvNS_4cuda6detail10TensorInfoIKT_T0_EEjPjjS8_iijT1_PSB_Ps
		.amdhsa_group_segment_fixed_size 1024
		.amdhsa_private_segment_fixed_size 0
		.amdhsa_kernarg_size 528
		.amdhsa_user_sgpr_count 6
		.amdhsa_user_sgpr_private_segment_buffer 1
		.amdhsa_user_sgpr_dispatch_ptr 0
		.amdhsa_user_sgpr_queue_ptr 0
		.amdhsa_user_sgpr_kernarg_segment_ptr 1
		.amdhsa_user_sgpr_dispatch_id 0
		.amdhsa_user_sgpr_flat_scratch_init 0
		.amdhsa_user_sgpr_private_segment_size 0
		.amdhsa_uses_dynamic_stack 0
		.amdhsa_system_sgpr_private_segment_wavefront_offset 0
		.amdhsa_system_sgpr_workgroup_id_x 1
		.amdhsa_system_sgpr_workgroup_id_y 1
		.amdhsa_system_sgpr_workgroup_id_z 1
		.amdhsa_system_sgpr_workgroup_info 0
		.amdhsa_system_vgpr_workitem_id 0
		.amdhsa_next_free_vgpr 10
		.amdhsa_next_free_sgpr 26
		.amdhsa_reserve_vcc 1
		.amdhsa_reserve_flat_scratch 0
		.amdhsa_float_round_mode_32 0
		.amdhsa_float_round_mode_16_64 0
		.amdhsa_float_denorm_mode_32 3
		.amdhsa_float_denorm_mode_16_64 3
		.amdhsa_dx10_clamp 1
		.amdhsa_ieee_mode 1
		.amdhsa_fp16_overflow 0
		.amdhsa_exception_fp_ieee_invalid_op 0
		.amdhsa_exception_fp_denorm_src 0
		.amdhsa_exception_fp_ieee_div_zero 0
		.amdhsa_exception_fp_ieee_overflow 0
		.amdhsa_exception_fp_ieee_underflow 0
		.amdhsa_exception_fp_ieee_inexact 0
		.amdhsa_exception_int_div_zero 0
	.end_amdhsa_kernel
	.section	.text._ZN2at6native6mbtopk23computeBlockDigitCountsIajjLi3EEEvNS_4cuda6detail10TensorInfoIKT_T0_EEjPjjS8_iijT1_PSB_Ps,"axG",@progbits,_ZN2at6native6mbtopk23computeBlockDigitCountsIajjLi3EEEvNS_4cuda6detail10TensorInfoIKT_T0_EEjPjjS8_iijT1_PSB_Ps,comdat
.Lfunc_end21:
	.size	_ZN2at6native6mbtopk23computeBlockDigitCountsIajjLi3EEEvNS_4cuda6detail10TensorInfoIKT_T0_EEjPjjS8_iijT1_PSB_Ps, .Lfunc_end21-_ZN2at6native6mbtopk23computeBlockDigitCountsIajjLi3EEEvNS_4cuda6detail10TensorInfoIKT_T0_EEjPjjS8_iijT1_PSB_Ps
                                        ; -- End function
	.set _ZN2at6native6mbtopk23computeBlockDigitCountsIajjLi3EEEvNS_4cuda6detail10TensorInfoIKT_T0_EEjPjjS8_iijT1_PSB_Ps.num_vgpr, 10
	.set _ZN2at6native6mbtopk23computeBlockDigitCountsIajjLi3EEEvNS_4cuda6detail10TensorInfoIKT_T0_EEjPjjS8_iijT1_PSB_Ps.num_agpr, 0
	.set _ZN2at6native6mbtopk23computeBlockDigitCountsIajjLi3EEEvNS_4cuda6detail10TensorInfoIKT_T0_EEjPjjS8_iijT1_PSB_Ps.numbered_sgpr, 26
	.set _ZN2at6native6mbtopk23computeBlockDigitCountsIajjLi3EEEvNS_4cuda6detail10TensorInfoIKT_T0_EEjPjjS8_iijT1_PSB_Ps.num_named_barrier, 0
	.set _ZN2at6native6mbtopk23computeBlockDigitCountsIajjLi3EEEvNS_4cuda6detail10TensorInfoIKT_T0_EEjPjjS8_iijT1_PSB_Ps.private_seg_size, 0
	.set _ZN2at6native6mbtopk23computeBlockDigitCountsIajjLi3EEEvNS_4cuda6detail10TensorInfoIKT_T0_EEjPjjS8_iijT1_PSB_Ps.uses_vcc, 1
	.set _ZN2at6native6mbtopk23computeBlockDigitCountsIajjLi3EEEvNS_4cuda6detail10TensorInfoIKT_T0_EEjPjjS8_iijT1_PSB_Ps.uses_flat_scratch, 0
	.set _ZN2at6native6mbtopk23computeBlockDigitCountsIajjLi3EEEvNS_4cuda6detail10TensorInfoIKT_T0_EEjPjjS8_iijT1_PSB_Ps.has_dyn_sized_stack, 0
	.set _ZN2at6native6mbtopk23computeBlockDigitCountsIajjLi3EEEvNS_4cuda6detail10TensorInfoIKT_T0_EEjPjjS8_iijT1_PSB_Ps.has_recursion, 0
	.set _ZN2at6native6mbtopk23computeBlockDigitCountsIajjLi3EEEvNS_4cuda6detail10TensorInfoIKT_T0_EEjPjjS8_iijT1_PSB_Ps.has_indirect_call, 0
	.section	.AMDGPU.csdata,"",@progbits
; Kernel info:
; codeLenInByte = 1224
; TotalNumSgprs: 30
; NumVgprs: 10
; ScratchSize: 0
; MemoryBound: 0
; FloatMode: 240
; IeeeMode: 1
; LDSByteSize: 1024 bytes/workgroup (compile time only)
; SGPRBlocks: 3
; VGPRBlocks: 2
; NumSGPRsForWavesPerEU: 30
; NumVGPRsForWavesPerEU: 10
; Occupancy: 10
; WaveLimiterHint : 1
; COMPUTE_PGM_RSRC2:SCRATCH_EN: 0
; COMPUTE_PGM_RSRC2:USER_SGPR: 6
; COMPUTE_PGM_RSRC2:TRAP_HANDLER: 0
; COMPUTE_PGM_RSRC2:TGID_X_EN: 1
; COMPUTE_PGM_RSRC2:TGID_Y_EN: 1
; COMPUTE_PGM_RSRC2:TGID_Z_EN: 1
; COMPUTE_PGM_RSRC2:TIDIG_COMP_CNT: 0
	.section	.text._ZN2at6native6mbtopk10gatherTopKIajLi3EEEvNS_4cuda6detail10TensorInfoIKT_T0_EES8_S8_bjS8_NS5_IS6_S8_EES8_NS5_IlS8_EES8_jjPS6_PjSD_j,"axG",@progbits,_ZN2at6native6mbtopk10gatherTopKIajLi3EEEvNS_4cuda6detail10TensorInfoIKT_T0_EES8_S8_bjS8_NS5_IS6_S8_EES8_NS5_IlS8_EES8_jjPS6_PjSD_j,comdat
	.protected	_ZN2at6native6mbtopk10gatherTopKIajLi3EEEvNS_4cuda6detail10TensorInfoIKT_T0_EES8_S8_bjS8_NS5_IS6_S8_EES8_NS5_IlS8_EES8_jjPS6_PjSD_j ; -- Begin function _ZN2at6native6mbtopk10gatherTopKIajLi3EEEvNS_4cuda6detail10TensorInfoIKT_T0_EES8_S8_bjS8_NS5_IS6_S8_EES8_NS5_IlS8_EES8_jjPS6_PjSD_j
	.globl	_ZN2at6native6mbtopk10gatherTopKIajLi3EEEvNS_4cuda6detail10TensorInfoIKT_T0_EES8_S8_bjS8_NS5_IS6_S8_EES8_NS5_IlS8_EES8_jjPS6_PjSD_j
	.p2align	8
	.type	_ZN2at6native6mbtopk10gatherTopKIajLi3EEEvNS_4cuda6detail10TensorInfoIKT_T0_EES8_S8_bjS8_NS5_IS6_S8_EES8_NS5_IlS8_EES8_jjPS6_PjSD_j,@function
_ZN2at6native6mbtopk10gatherTopKIajLi3EEEvNS_4cuda6detail10TensorInfoIKT_T0_EES8_S8_bjS8_NS5_IS6_S8_EES8_NS5_IlS8_EES8_jjPS6_PjSD_j: ; @_ZN2at6native6mbtopk10gatherTopKIajLi3EEEvNS_4cuda6detail10TensorInfoIKT_T0_EES8_S8_bjS8_NS5_IS6_S8_EES8_NS5_IlS8_EES8_jjPS6_PjSD_j
; %bb.0:
	s_load_dwordx2 s[0:1], s[4:5], 0x2d8
	s_load_dword s2, s[4:5], 0x2d0
	s_waitcnt lgkmcnt(0)
	s_mul_i32 s1, s1, s8
	s_add_i32 s1, s1, s7
	s_mul_i32 s0, s1, s0
	s_add_i32 s0, s0, s6
	s_cmp_ge_u32 s0, s2
	s_cbranch_scc1 .LBB22_40
; %bb.1:
	s_load_dwordx8 s[8:15], s[4:5], 0x2a8
	s_load_dwordx4 s[16:19], s[4:5], 0x23c
	s_load_dwordx2 s[36:37], s[4:5], 0x1dc
	s_load_dwordx2 s[6:7], s[4:5], 0x1d0
	s_load_dwordx4 s[20:23], s[4:5], 0x15c
	s_load_dwordx2 s[40:41], s[4:5], 0xfc
	s_load_dwordx2 s[34:35], s[4:5], 0xf0
	;; [unrolled: 3-line block ×3, first 2 shown]
	s_mov_b32 s45, 0
	s_waitcnt lgkmcnt(0)
	v_cvt_f32_u32_e32 v1, s10
	s_sub_i32 s1, 0, s10
	v_cvt_f32_u32_e32 v2, s43
	v_rcp_iflag_f32_e32 v1, v1
	v_mul_f32_e32 v1, 0x4f7ffffe, v1
	v_cvt_u32_f32_e32 v1, v1
	v_readfirstlane_b32 s2, v1
	s_mul_i32 s1, s1, s2
	s_mul_hi_u32 s1, s2, s1
	s_add_i32 s2, s2, s1
	s_mul_hi_u32 s1, s0, s2
	v_rcp_iflag_f32_e32 v1, v2
	s_mul_i32 s2, s1, s10
	s_sub_i32 s2, s0, s2
	s_add_i32 s3, s1, 1
	s_sub_i32 s11, s2, s10
	s_cmp_ge_u32 s2, s10
	v_mul_f32_e32 v1, 0x4f7ffffe, v1
	s_cselect_b32 s1, s3, s1
	v_cvt_u32_f32_e32 v1, v1
	s_cselect_b32 s2, s11, s2
	s_add_i32 s3, s1, 1
	s_cmp_ge_u32 s2, s10
	s_cselect_b32 s11, s3, s1
	v_readfirstlane_b32 s1, v1
	v_mov_b32_e32 v1, s11
	global_load_ubyte v6, v1, s[12:13]
	v_cvt_f32_u32_e32 v1, s42
	s_mul_i32 s44, s11, s10
	s_sub_i32 s19, s0, s44
	s_sub_i32 s0, 0, s43
	s_mul_i32 s0, s0, s1
	s_mul_hi_u32 s0, s1, s0
	v_rcp_iflag_f32_e32 v1, v1
	s_add_i32 s1, s1, s0
	v_cvt_f32_u32_e32 v2, s41
	s_mul_hi_u32 s0, s11, s1
	s_mul_i32 s1, s0, s43
	s_sub_i32 s1, s11, s1
	v_mul_f32_e32 v1, 0x4f7ffffe, v1
	s_add_i32 s2, s0, 1
	s_sub_i32 s3, s1, s43
	v_cvt_u32_f32_e32 v1, v1
	v_rcp_iflag_f32_e32 v2, v2
	s_cmp_ge_u32 s1, s43
	s_cselect_b32 s0, s2, s0
	s_cselect_b32 s1, s3, s1
	s_add_i32 s2, s0, 1
	s_cmp_ge_u32 s1, s43
	v_readfirstlane_b32 s1, v1
	v_mul_f32_e32 v1, 0x4f7ffffe, v2
	s_cselect_b32 s23, s2, s0
	s_sub_i32 s0, 0, s42
	v_cvt_u32_f32_e32 v1, v1
	s_mul_i32 s0, s0, s1
	s_mul_hi_u32 s0, s1, s0
	s_add_i32 s1, s1, s0
	s_mul_hi_u32 s33, s23, s1
	v_readfirstlane_b32 s1, v1
	v_cvt_f32_u32_e32 v1, s40
	s_sub_i32 s0, 0, s41
	s_mul_i32 s0, s0, s1
	s_mul_hi_u32 s0, s1, s0
	v_rcp_iflag_f32_e32 v1, v1
	s_add_i32 s1, s1, s0
	v_cvt_f32_u32_e32 v2, s37
	s_mul_hi_u32 s0, s11, s1
	s_mul_i32 s1, s0, s41
	s_sub_i32 s1, s11, s1
	v_mul_f32_e32 v1, 0x4f7ffffe, v1
	s_add_i32 s2, s0, 1
	s_sub_i32 s3, s1, s41
	v_cvt_u32_f32_e32 v1, v1
	v_rcp_iflag_f32_e32 v2, v2
	s_cmp_ge_u32 s1, s41
	s_cselect_b32 s0, s2, s0
	s_cselect_b32 s1, s3, s1
	s_add_i32 s2, s0, 1
	s_cmp_ge_u32 s1, s41
	v_readfirstlane_b32 s1, v1
	v_mul_f32_e32 v1, 0x4f7ffffe, v2
	s_cselect_b32 s27, s2, s0
	s_sub_i32 s0, 0, s40
	v_cvt_u32_f32_e32 v1, v1
	s_mul_i32 s0, s0, s1
	s_mul_hi_u32 s0, s1, s0
	s_add_i32 s1, s1, s0
	s_mul_hi_u32 s53, s27, s1
	v_readfirstlane_b32 s1, v1
	v_cvt_f32_u32_e32 v1, s36
	s_sub_i32 s0, 0, s37
	s_mul_i32 s0, s0, s1
	s_mul_hi_u32 s0, s1, s0
	s_add_i32 s1, s1, s0
	v_rcp_iflag_f32_e32 v1, v1
	s_mul_hi_u32 s0, s11, s1
	s_mul_i32 s1, s0, s37
	s_sub_i32 s1, s11, s1
	s_add_i32 s2, s0, 1
	s_sub_i32 s3, s1, s37
	v_mul_f32_e32 v1, 0x4f7ffffe, v1
	s_cmp_ge_u32 s1, s37
	v_cvt_u32_f32_e32 v1, v1
	s_cselect_b32 s0, s2, s0
	s_cselect_b32 s1, s3, s1
	s_add_i32 s2, s0, 1
	s_cmp_ge_u32 s1, s37
	s_cselect_b32 s52, s2, s0
	s_sub_i32 s0, 0, s36
	v_readfirstlane_b32 s1, v1
	s_mul_i32 s0, s0, s1
	s_mul_hi_u32 s0, s1, s0
	s_add_i32 s1, s1, s0
	s_mul_hi_u32 s54, s52, s1
	v_cmp_ne_u32_e64 s[0:1], 0, v0
	v_cmp_eq_u32_e64 s[2:3], 0, v0
	s_and_saveexec_b64 s[12:13], s[2:3]
	s_cbranch_execz .LBB22_17
; %bb.2:
	s_load_dwordx2 s[46:47], s[4:5], 0x2c8
	s_lshl_b64 s[48:49], s[44:45], 2
	s_add_u32 s28, s14, s48
	s_addc_u32 s29, s15, s49
	s_mov_b32 s44, 0
	s_waitcnt lgkmcnt(0)
	s_add_u32 s30, s46, s48
	s_addc_u32 s31, s47, s49
	s_mov_b32 s55, 0
	s_cmp_lt_u32 s10, 4
	s_cbranch_scc1 .LBB22_14
; %bb.3:
	s_mov_b32 s56, 0
.LBB22_4:                               ; =>This Inner Loop Header: Depth=1
	s_add_u32 s50, s14, s48
	s_addc_u32 s51, s15, s49
	s_load_dwordx4 s[28:31], s[50:51], 0x0
	s_add_u32 s50, s46, s48
	s_addc_u32 s51, s47, s49
	s_cmp_ge_u32 s56, s19
	s_cbranch_scc0 .LBB22_11
; %bb.5:                                ;   in Loop: Header=BB22_4 Depth=1
	s_add_i32 s57, s56, 1
	s_cmp_ge_u32 s57, s19
	s_cbranch_scc0 .LBB22_12
.LBB22_6:                               ;   in Loop: Header=BB22_4 Depth=1
	s_add_i32 s57, s57, 1
	s_cmp_ge_u32 s57, s19
	s_cbranch_scc0 .LBB22_13
.LBB22_7:                               ;   in Loop: Header=BB22_4 Depth=1
	s_add_i32 s57, s57, 1
	s_cmp_ge_u32 s57, s19
	s_cbranch_scc1 .LBB22_9
.LBB22_8:                               ;   in Loop: Header=BB22_4 Depth=1
	s_load_dword s50, s[50:51], 0xc
	s_waitcnt lgkmcnt(0)
	s_add_i32 s45, s45, s31
	s_add_i32 s44, s50, s44
.LBB22_9:                               ;   in Loop: Header=BB22_4 Depth=1
	s_waitcnt lgkmcnt(0)
	s_add_i32 s28, s28, s55
	s_add_i32 s28, s28, s29
	;; [unrolled: 1-line block ×4, first 2 shown]
	s_add_u32 s14, s14, 16
	s_addc_u32 s15, s15, 0
	s_add_u32 s46, s46, 16
	s_addc_u32 s47, s47, 0
	s_add_i32 s51, s57, 4
	s_add_u32 s30, s46, s48
	s_addc_u32 s31, s47, s49
	s_add_u32 s28, s14, s48
	s_addc_u32 s29, s15, s49
	s_add_i32 s50, s57, 1
	s_cmp_ge_u32 s51, s10
	s_cbranch_scc1 .LBB22_15
; %bb.10:                               ;   in Loop: Header=BB22_4 Depth=1
	s_mov_b32 s56, s50
	s_branch .LBB22_4
.LBB22_11:                              ;   in Loop: Header=BB22_4 Depth=1
	s_load_dword s57, s[50:51], 0x0
	s_waitcnt lgkmcnt(0)
	s_add_i32 s45, s28, s45
	s_add_i32 s44, s57, s44
	;; [unrolled: 1-line block ×3, first 2 shown]
	s_cmp_ge_u32 s57, s19
	s_cbranch_scc1 .LBB22_6
.LBB22_12:                              ;   in Loop: Header=BB22_4 Depth=1
	s_load_dword s58, s[50:51], 0x4
	s_waitcnt lgkmcnt(0)
	s_add_i32 s45, s45, s29
	s_add_i32 s44, s58, s44
	;; [unrolled: 1-line block ×3, first 2 shown]
	s_cmp_ge_u32 s57, s19
	s_cbranch_scc1 .LBB22_7
.LBB22_13:                              ;   in Loop: Header=BB22_4 Depth=1
	s_load_dword s58, s[50:51], 0x8
	s_waitcnt lgkmcnt(0)
	s_add_i32 s45, s45, s30
	s_add_i32 s44, s58, s44
	;; [unrolled: 1-line block ×3, first 2 shown]
	s_cmp_ge_u32 s57, s19
	s_cbranch_scc0 .LBB22_8
	s_branch .LBB22_9
.LBB22_14:
	s_mov_b32 s14, 0
	s_cmp_ge_u32 s14, s10
	s_cbranch_scc0 .LBB22_38
	s_branch .LBB22_16
.LBB22_15:
	s_add_i32 s14, s56, 4
	s_cmp_ge_u32 s14, s10
	s_cbranch_scc0 .LBB22_38
.LBB22_16:
	v_mov_b32_e32 v1, s44
	v_mov_b32_e32 v2, s55
	;; [unrolled: 1-line block ×4, first 2 shown]
	ds_write_b96 v4, v[1:3] offset:1056
.LBB22_17:
	s_or_b64 exec, exec, s[12:13]
	s_load_dwordx4 s[12:15], s[4:5], 0xd8
	s_waitcnt lgkmcnt(0)
	s_mul_i32 s15, s9, s19
	s_lshl_b32 s15, s15, 8
	s_add_i32 s30, s19, 1
	s_mov_b32 s19, 0
	s_sub_i32 s28, s12, s15
	s_add_u32 s28, s28, 0xff
	s_addc_u32 s29, 0, 0
	s_lshr_b64 s[28:29], s[28:29], 8
	s_cmp_lt_u32 s30, s10
	s_cselect_b32 s9, s9, s28
	s_cmp_eq_u32 s9, 0
	s_waitcnt vmcnt(0)
	s_barrier
	s_cbranch_scc1 .LBB22_40
; %bb.18:
	s_mul_i32 s10, s23, s43
	s_sub_i32 s10, s11, s10
	s_mul_i32 s10, s10, s26
	s_mul_i32 s26, s33, s42
	s_sub_i32 s26, s23, s26
	s_add_i32 s28, s33, 1
	s_sub_i32 s29, s26, s42
	s_cmp_ge_u32 s26, s42
	s_cselect_b32 s28, s28, s33
	s_cselect_b32 s26, s29, s26
	s_add_i32 s29, s28, 1
	s_cmp_ge_u32 s26, s42
	s_cselect_b32 s26, s29, s28
	s_mul_i32 s28, s26, s42
	s_sub_i32 s23, s23, s28
	s_mul_i32 s23, s23, s25
	s_add_i32 s10, s23, s10
	s_mul_i32 s23, s27, s41
	s_sub_i32 s23, s11, s23
	s_mul_i32 s23, s23, s22
	s_mul_i32 s22, s53, s40
	;; [unrolled: 1-line block ×3, first 2 shown]
	s_sub_i32 s22, s27, s22
	s_add_i32 s10, s10, s26
	s_add_i32 s24, s53, 1
	s_sub_i32 s25, s22, s40
	s_cmp_ge_u32 s22, s40
	s_cselect_b32 s24, s24, s53
	s_cselect_b32 s22, s25, s22
	s_add_i32 s25, s24, 1
	s_cmp_ge_u32 s22, s40
	s_cselect_b32 s22, s25, s24
	s_mul_i32 s24, s22, s40
	s_mul_i32 s22, s22, s20
	;; [unrolled: 1-line block ×3, first 2 shown]
	s_sub_i32 s24, s27, s24
	s_sub_i32 s11, s11, s20
	s_mul_i32 s21, s24, s21
	s_mul_i32 s11, s11, s18
	;; [unrolled: 1-line block ×3, first 2 shown]
	s_add_i32 s21, s21, s23
	s_sub_i32 s18, s52, s18
	s_add_i32 s21, s21, s22
	s_add_i32 s20, s54, 1
	s_sub_i32 s22, s18, s36
	s_cmp_ge_u32 s18, s36
	s_cselect_b32 s20, s20, s54
	s_cselect_b32 s18, s22, s18
	s_add_i32 s22, s20, 1
	s_cmp_ge_u32 s18, s36
	s_cselect_b32 s18, s22, s20
	s_mul_i32 s20, s18, s36
	s_sub_i32 s20, s52, s20
	s_mul_i32 s17, s20, s17
	s_add_i32 s11, s17, s11
	s_mul_i32 s18, s18, s16
	s_add_i32 s18, s11, s18
	s_add_u32 s10, s38, s10
	s_addc_u32 s11, s39, 0
	s_add_u32 s16, s34, s21
	v_mov_b32_e32 v5, 0
	s_addc_u32 s17, s35, 0
	s_lshl_b64 s[18:19], s[18:19], 3
	ds_read_b96 v[1:3], v5 offset:1056
	s_add_u32 s18, s6, s18
	s_addc_u32 s19, s7, s19
	v_lshrrev_b32_e32 v4, 1, v0
	s_bitcmp1_b32 s14, 0
	s_load_dword s14, s[4:5], 0xe8
	s_load_dword s21, s[4:5], 0x1c8
	v_and_b32_e32 v8, 0x7c, v4
	v_add_u32_e32 v4, -1, v0
	v_lshrrev_b32_e32 v10, 3, v4
	s_waitcnt lgkmcnt(0)
	v_add_u32_e32 v1, v1, v2
	v_lshrrev_b32_e32 v2, 3, v0
	v_and_b32_e32 v10, 0x1ffffffc, v10
	v_and_b32_e32 v2, 28, v2
	v_lshl_add_u32 v10, v4, 2, v10
	v_add_u32_e32 v4, s15, v0
	v_lshl_add_u32 v2, v0, 2, v2
	v_cmp_gt_u32_e64 s[4:5], 64, v0
	v_lshlrev_b32_e32 v9, 4, v0
	v_mul_lo_u32 v0, s14, v4
	s_movk_i32 s20, 0x80
	v_mbcnt_lo_u32_b32 v11, -1, 0
	v_add_u32_sdwa v7, sext(v6), s20 dst_sel:DWORD dst_unused:UNUSED_PAD src0_sel:BYTE_0 src1_sel:DWORD
	s_cselect_b64 s[6:7], -1, 0
	s_lshl_b32 s22, s14, 8
	v_mbcnt_hi_u32_b32 v11, -1, v11
                                        ; implicit-def: $vgpr12
	s_branch .LBB22_21
.LBB22_19:                              ;   in Loop: Header=BB22_21 Depth=1
	s_or_b64 exec, exec, s[14:15]
	v_add_u32_e32 v1, v15, v1
.LBB22_20:                              ;   in Loop: Header=BB22_21 Depth=1
	s_add_i32 s9, s9, -1
	v_add_u32_e32 v3, v14, v3
	v_add_u32_e32 v0, s22, v0
	s_cmp_lg_u32 s9, 0
	v_add_u32_e32 v4, 0x100, v4
	s_cbranch_scc0 .LBB22_40
.LBB22_21:                              ; =>This Inner Loop Header: Depth=1
	v_cmp_gt_u32_e32 vcc, s12, v4
	v_mov_b32_e32 v15, 0
	v_mov_b32_e32 v13, 0
	s_and_saveexec_b64 s[14:15], vcc
	s_cbranch_execz .LBB22_23
; %bb.22:                               ;   in Loop: Header=BB22_21 Depth=1
	global_load_ubyte v12, v0, s[10:11]
	s_waitcnt vmcnt(0)
	v_add_u32_sdwa v13, sext(v12), s20 dst_sel:DWORD dst_unused:UNUSED_PAD src0_sel:BYTE_0 src1_sel:DWORD
	v_cmp_gt_u32_e32 vcc, v13, v7
	v_cndmask_b32_e64 v14, 0, 1, vcc
	v_cmp_lt_u32_e32 vcc, v13, v7
	v_cndmask_b32_e64 v13, 0, 1, vcc
	v_cndmask_b32_e64 v13, v13, v14, s[6:7]
	v_cmp_eq_u16_sdwa s[24:25], v12, v6 src0_sel:DWORD src1_sel:BYTE_0
	v_and_b32_e32 v15, 1, v13
	v_cndmask_b32_e64 v13, 0, 1, s[24:25]
.LBB22_23:                              ;   in Loop: Header=BB22_21 Depth=1
	s_or_b64 exec, exec, s[14:15]
	ds_write_b32 v2, v15
	s_waitcnt vmcnt(0) lgkmcnt(0)
	s_barrier
	s_and_saveexec_b64 s[14:15], s[4:5]
	s_cbranch_execz .LBB22_25
; %bb.24:                               ;   in Loop: Header=BB22_21 Depth=1
	v_add_u32_e32 v14, v8, v9
	ds_read2_b32 v[16:17], v14 offset1:1
	ds_read2_b32 v[18:19], v14 offset0:2 offset1:3
	v_and_b32_e32 v20, 15, v11
	v_cmp_ne_u32_e32 vcc, 0, v20
	s_waitcnt lgkmcnt(1)
	v_add_u32_e32 v17, v17, v16
	s_waitcnt lgkmcnt(0)
	v_add3_u32 v17, v17, v18, v19
	v_bfe_i32 v19, v11, 4, 1
	; wave barrier
	s_nop 0
	v_mov_b32_dpp v18, v17 row_shr:1 row_mask:0xf bank_mask:0xf
	v_cndmask_b32_e32 v18, 0, v18, vcc
	v_add_u32_e32 v17, v18, v17
	v_cmp_lt_u32_e32 vcc, 1, v20
	s_nop 0
	v_mov_b32_dpp v18, v17 row_shr:2 row_mask:0xf bank_mask:0xf
	v_cndmask_b32_e32 v18, 0, v18, vcc
	v_add_u32_e32 v17, v17, v18
	v_cmp_lt_u32_e32 vcc, 3, v20
	;; [unrolled: 5-line block ×4, first 2 shown]
	s_nop 0
	v_mov_b32_dpp v18, v17 row_bcast:15 row_mask:0xf bank_mask:0xf
	v_and_b32_e32 v18, v19, v18
	v_add_u32_e32 v17, v17, v18
	v_and_b32_e32 v19, 64, v11
	s_nop 0
	v_mov_b32_dpp v18, v17 row_bcast:31 row_mask:0xf bank_mask:0xf
	v_cndmask_b32_e32 v18, 0, v18, vcc
	v_add_u32_e32 v17, v17, v18
	v_add_u32_e32 v18, -1, v11
	v_cmp_lt_i32_e32 vcc, v18, v19
	v_cndmask_b32_e32 v18, v18, v11, vcc
	v_lshlrev_b32_e32 v18, 2, v18
	ds_bpermute_b32 v17, v18, v17
	s_waitcnt lgkmcnt(0)
	v_add_u32_e32 v16, v17, v16
	v_cndmask_b32_e64 v18, v16, v15, s[2:3]
	ds_write_b32 v14, v18
	; wave barrier
	ds_read2_b32 v[16:17], v14 offset0:1 offset1:2
	ds_read_b32 v19, v14 offset:12
	s_waitcnt lgkmcnt(1)
	v_add_u32_e32 v16, v16, v18
	v_add_u32_e32 v17, v17, v16
	ds_write2_b32 v14, v16, v17 offset0:1 offset1:2
	s_waitcnt lgkmcnt(1)
	v_add_u32_e32 v16, v19, v17
	ds_write_b32 v14, v16 offset:12
.LBB22_25:                              ;   in Loop: Header=BB22_21 Depth=1
	s_or_b64 exec, exec, s[14:15]
	v_mov_b32_e32 v16, 0
	s_waitcnt lgkmcnt(0)
	s_barrier
	s_and_saveexec_b64 s[14:15], s[0:1]
; %bb.26:                               ;   in Loop: Header=BB22_21 Depth=1
	ds_read_b32 v16, v10
; %bb.27:                               ;   in Loop: Header=BB22_21 Depth=1
	s_or_b64 exec, exec, s[14:15]
	ds_read_b32 v14, v5 offset:1048
	v_cmp_ne_u32_e32 vcc, 0, v15
	s_waitcnt lgkmcnt(0)
	s_barrier
	s_and_saveexec_b64 s[14:15], vcc
	s_cbranch_execz .LBB22_29
; %bb.28:                               ;   in Loop: Header=BB22_21 Depth=1
	v_add_u32_e32 v15, v16, v3
	v_mul_lo_u32 v17, v15, s21
	v_mul_lo_u32 v15, v15, s8
	v_mov_b32_e32 v16, v5
	global_store_byte v17, v12, s[16:17]
	v_lshlrev_b64 v[15:16], 3, v[15:16]
	v_mov_b32_e32 v17, s19
	v_add_co_u32_e32 v15, vcc, s18, v15
	v_addc_co_u32_e32 v16, vcc, v17, v16, vcc
	global_store_dwordx2 v[15:16], v[4:5], off
.LBB22_29:                              ;   in Loop: Header=BB22_21 Depth=1
	s_or_b64 exec, exec, s[14:15]
	v_cmp_le_u32_e32 vcc, s13, v1
	s_cbranch_vccnz .LBB22_20
; %bb.30:                               ;   in Loop: Header=BB22_21 Depth=1
	ds_write_b32 v2, v13
	s_waitcnt vmcnt(0) lgkmcnt(0)
	s_barrier
	s_and_saveexec_b64 s[14:15], s[4:5]
	s_cbranch_execz .LBB22_32
; %bb.31:                               ;   in Loop: Header=BB22_21 Depth=1
	v_add_u32_e32 v19, v8, v9
	ds_read2_b32 v[15:16], v19 offset1:1
	ds_read2_b32 v[17:18], v19 offset0:2 offset1:3
	v_and_b32_e32 v20, 15, v11
	v_cmp_ne_u32_e32 vcc, 0, v20
	s_waitcnt lgkmcnt(1)
	v_add_u32_e32 v16, v16, v15
	s_waitcnt lgkmcnt(0)
	v_add3_u32 v16, v16, v17, v18
	v_bfe_i32 v18, v11, 4, 1
	; wave barrier
	s_nop 0
	v_mov_b32_dpp v17, v16 row_shr:1 row_mask:0xf bank_mask:0xf
	v_cndmask_b32_e32 v17, 0, v17, vcc
	v_add_u32_e32 v16, v17, v16
	v_cmp_lt_u32_e32 vcc, 1, v20
	s_nop 0
	v_mov_b32_dpp v17, v16 row_shr:2 row_mask:0xf bank_mask:0xf
	v_cndmask_b32_e32 v17, 0, v17, vcc
	v_add_u32_e32 v16, v16, v17
	v_cmp_lt_u32_e32 vcc, 3, v20
	;; [unrolled: 5-line block ×4, first 2 shown]
	s_nop 0
	v_mov_b32_dpp v17, v16 row_bcast:15 row_mask:0xf bank_mask:0xf
	v_and_b32_e32 v17, v18, v17
	v_add_u32_e32 v16, v16, v17
	v_and_b32_e32 v18, 64, v11
	s_nop 0
	v_mov_b32_dpp v17, v16 row_bcast:31 row_mask:0xf bank_mask:0xf
	v_cndmask_b32_e32 v17, 0, v17, vcc
	v_add_u32_e32 v16, v16, v17
	v_add_u32_e32 v17, -1, v11
	v_cmp_lt_i32_e32 vcc, v17, v18
	v_cndmask_b32_e32 v17, v17, v11, vcc
	v_lshlrev_b32_e32 v17, 2, v17
	ds_bpermute_b32 v16, v17, v16
	s_waitcnt lgkmcnt(0)
	v_add_u32_e32 v15, v16, v15
	v_cndmask_b32_e64 v17, v15, v13, s[2:3]
	ds_write_b32 v19, v17
	; wave barrier
	ds_read2_b32 v[15:16], v19 offset0:1 offset1:2
	ds_read_b32 v18, v19 offset:12
	s_waitcnt lgkmcnt(1)
	v_add_u32_e32 v15, v15, v17
	v_add_u32_e32 v16, v16, v15
	ds_write2_b32 v19, v15, v16 offset0:1 offset1:2
	s_waitcnt lgkmcnt(1)
	v_add_u32_e32 v15, v18, v16
	ds_write_b32 v19, v15 offset:12
.LBB22_32:                              ;   in Loop: Header=BB22_21 Depth=1
	s_or_b64 exec, exec, s[14:15]
	v_mov_b32_e32 v16, 0
	s_waitcnt lgkmcnt(0)
	s_barrier
	s_and_saveexec_b64 s[14:15], s[0:1]
; %bb.33:                               ;   in Loop: Header=BB22_21 Depth=1
	ds_read_b32 v16, v10
; %bb.34:                               ;   in Loop: Header=BB22_21 Depth=1
	s_or_b64 exec, exec, s[14:15]
	ds_read_b32 v15, v5 offset:1048
	v_cmp_ne_u32_e32 vcc, 0, v13
	s_waitcnt lgkmcnt(0)
	s_barrier
	s_and_saveexec_b64 s[14:15], vcc
	s_cbranch_execz .LBB22_19
; %bb.35:                               ;   in Loop: Header=BB22_21 Depth=1
	v_add_u32_e32 v13, v16, v1
	v_cmp_gt_u32_e32 vcc, s13, v13
	s_and_b64 exec, exec, vcc
	s_cbranch_execz .LBB22_19
; %bb.36:                               ;   in Loop: Header=BB22_21 Depth=1
	v_mul_lo_u32 v16, v13, s8
	v_mov_b32_e32 v17, v5
	v_mul_lo_u32 v18, v13, s21
	v_mov_b32_e32 v13, s19
	v_lshlrev_b64 v[16:17], 3, v[16:17]
	global_store_byte v18, v12, s[16:17]
	v_add_co_u32_e32 v16, vcc, s18, v16
	v_addc_co_u32_e32 v17, vcc, v13, v17, vcc
	global_store_dwordx2 v[16:17], v[4:5], off
	s_branch .LBB22_19
.LBB22_37:                              ;   in Loop: Header=BB22_38 Depth=1
	s_add_u32 s28, s28, 4
	s_addc_u32 s29, s29, 0
	s_waitcnt lgkmcnt(0)
	s_add_i32 s55, s15, s55
	s_add_u32 s30, s30, 4
	s_addc_u32 s31, s31, 0
	s_add_i32 s14, s14, 1
	s_cmp_lt_u32 s14, s10
	s_cbranch_scc0 .LBB22_16
.LBB22_38:                              ; =>This Inner Loop Header: Depth=1
	s_load_dword s15, s[28:29], 0x0
	s_cmp_ge_u32 s14, s19
	s_cbranch_scc1 .LBB22_37
; %bb.39:                               ;   in Loop: Header=BB22_38 Depth=1
	s_load_dword s46, s[30:31], 0x0
	s_waitcnt lgkmcnt(0)
	s_add_i32 s45, s15, s45
	s_add_i32 s44, s46, s44
	s_branch .LBB22_37
.LBB22_40:
	s_endpgm
	.section	.rodata,"a",@progbits
	.p2align	6, 0x0
	.amdhsa_kernel _ZN2at6native6mbtopk10gatherTopKIajLi3EEEvNS_4cuda6detail10TensorInfoIKT_T0_EES8_S8_bjS8_NS5_IS6_S8_EES8_NS5_IlS8_EES8_jjPS6_PjSD_j
		.amdhsa_group_segment_fixed_size 1068
		.amdhsa_private_segment_fixed_size 0
		.amdhsa_kernarg_size 984
		.amdhsa_user_sgpr_count 6
		.amdhsa_user_sgpr_private_segment_buffer 1
		.amdhsa_user_sgpr_dispatch_ptr 0
		.amdhsa_user_sgpr_queue_ptr 0
		.amdhsa_user_sgpr_kernarg_segment_ptr 1
		.amdhsa_user_sgpr_dispatch_id 0
		.amdhsa_user_sgpr_flat_scratch_init 0
		.amdhsa_user_sgpr_private_segment_size 0
		.amdhsa_uses_dynamic_stack 0
		.amdhsa_system_sgpr_private_segment_wavefront_offset 0
		.amdhsa_system_sgpr_workgroup_id_x 1
		.amdhsa_system_sgpr_workgroup_id_y 1
		.amdhsa_system_sgpr_workgroup_id_z 1
		.amdhsa_system_sgpr_workgroup_info 0
		.amdhsa_system_vgpr_workitem_id 0
		.amdhsa_next_free_vgpr 21
		.amdhsa_next_free_sgpr 59
		.amdhsa_reserve_vcc 1
		.amdhsa_reserve_flat_scratch 0
		.amdhsa_float_round_mode_32 0
		.amdhsa_float_round_mode_16_64 0
		.amdhsa_float_denorm_mode_32 3
		.amdhsa_float_denorm_mode_16_64 3
		.amdhsa_dx10_clamp 1
		.amdhsa_ieee_mode 1
		.amdhsa_fp16_overflow 0
		.amdhsa_exception_fp_ieee_invalid_op 0
		.amdhsa_exception_fp_denorm_src 0
		.amdhsa_exception_fp_ieee_div_zero 0
		.amdhsa_exception_fp_ieee_overflow 0
		.amdhsa_exception_fp_ieee_underflow 0
		.amdhsa_exception_fp_ieee_inexact 0
		.amdhsa_exception_int_div_zero 0
	.end_amdhsa_kernel
	.section	.text._ZN2at6native6mbtopk10gatherTopKIajLi3EEEvNS_4cuda6detail10TensorInfoIKT_T0_EES8_S8_bjS8_NS5_IS6_S8_EES8_NS5_IlS8_EES8_jjPS6_PjSD_j,"axG",@progbits,_ZN2at6native6mbtopk10gatherTopKIajLi3EEEvNS_4cuda6detail10TensorInfoIKT_T0_EES8_S8_bjS8_NS5_IS6_S8_EES8_NS5_IlS8_EES8_jjPS6_PjSD_j,comdat
.Lfunc_end22:
	.size	_ZN2at6native6mbtopk10gatherTopKIajLi3EEEvNS_4cuda6detail10TensorInfoIKT_T0_EES8_S8_bjS8_NS5_IS6_S8_EES8_NS5_IlS8_EES8_jjPS6_PjSD_j, .Lfunc_end22-_ZN2at6native6mbtopk10gatherTopKIajLi3EEEvNS_4cuda6detail10TensorInfoIKT_T0_EES8_S8_bjS8_NS5_IS6_S8_EES8_NS5_IlS8_EES8_jjPS6_PjSD_j
                                        ; -- End function
	.set _ZN2at6native6mbtopk10gatherTopKIajLi3EEEvNS_4cuda6detail10TensorInfoIKT_T0_EES8_S8_bjS8_NS5_IS6_S8_EES8_NS5_IlS8_EES8_jjPS6_PjSD_j.num_vgpr, 21
	.set _ZN2at6native6mbtopk10gatherTopKIajLi3EEEvNS_4cuda6detail10TensorInfoIKT_T0_EES8_S8_bjS8_NS5_IS6_S8_EES8_NS5_IlS8_EES8_jjPS6_PjSD_j.num_agpr, 0
	.set _ZN2at6native6mbtopk10gatherTopKIajLi3EEEvNS_4cuda6detail10TensorInfoIKT_T0_EES8_S8_bjS8_NS5_IS6_S8_EES8_NS5_IlS8_EES8_jjPS6_PjSD_j.numbered_sgpr, 59
	.set _ZN2at6native6mbtopk10gatherTopKIajLi3EEEvNS_4cuda6detail10TensorInfoIKT_T0_EES8_S8_bjS8_NS5_IS6_S8_EES8_NS5_IlS8_EES8_jjPS6_PjSD_j.num_named_barrier, 0
	.set _ZN2at6native6mbtopk10gatherTopKIajLi3EEEvNS_4cuda6detail10TensorInfoIKT_T0_EES8_S8_bjS8_NS5_IS6_S8_EES8_NS5_IlS8_EES8_jjPS6_PjSD_j.private_seg_size, 0
	.set _ZN2at6native6mbtopk10gatherTopKIajLi3EEEvNS_4cuda6detail10TensorInfoIKT_T0_EES8_S8_bjS8_NS5_IS6_S8_EES8_NS5_IlS8_EES8_jjPS6_PjSD_j.uses_vcc, 1
	.set _ZN2at6native6mbtopk10gatherTopKIajLi3EEEvNS_4cuda6detail10TensorInfoIKT_T0_EES8_S8_bjS8_NS5_IS6_S8_EES8_NS5_IlS8_EES8_jjPS6_PjSD_j.uses_flat_scratch, 0
	.set _ZN2at6native6mbtopk10gatherTopKIajLi3EEEvNS_4cuda6detail10TensorInfoIKT_T0_EES8_S8_bjS8_NS5_IS6_S8_EES8_NS5_IlS8_EES8_jjPS6_PjSD_j.has_dyn_sized_stack, 0
	.set _ZN2at6native6mbtopk10gatherTopKIajLi3EEEvNS_4cuda6detail10TensorInfoIKT_T0_EES8_S8_bjS8_NS5_IS6_S8_EES8_NS5_IlS8_EES8_jjPS6_PjSD_j.has_recursion, 0
	.set _ZN2at6native6mbtopk10gatherTopKIajLi3EEEvNS_4cuda6detail10TensorInfoIKT_T0_EES8_S8_bjS8_NS5_IS6_S8_EES8_NS5_IlS8_EES8_jjPS6_PjSD_j.has_indirect_call, 0
	.section	.AMDGPU.csdata,"",@progbits
; Kernel info:
; codeLenInByte = 2620
; TotalNumSgprs: 63
; NumVgprs: 21
; ScratchSize: 0
; MemoryBound: 0
; FloatMode: 240
; IeeeMode: 1
; LDSByteSize: 1068 bytes/workgroup (compile time only)
; SGPRBlocks: 7
; VGPRBlocks: 5
; NumSGPRsForWavesPerEU: 63
; NumVGPRsForWavesPerEU: 21
; Occupancy: 10
; WaveLimiterHint : 1
; COMPUTE_PGM_RSRC2:SCRATCH_EN: 0
; COMPUTE_PGM_RSRC2:USER_SGPR: 6
; COMPUTE_PGM_RSRC2:TRAP_HANDLER: 0
; COMPUTE_PGM_RSRC2:TGID_X_EN: 1
; COMPUTE_PGM_RSRC2:TGID_Y_EN: 1
; COMPUTE_PGM_RSRC2:TGID_Z_EN: 1
; COMPUTE_PGM_RSRC2:TIDIG_COMP_CNT: 0
	.section	.text._ZN2at6native6sbtopk10gatherTopKIajLi3ELb0EEEvNS_4cuda6detail10TensorInfoIKT_T0_EES8_S8_bS8_S8_NS5_IS6_S8_EES8_NS5_IlS8_EES8_PS6_,"axG",@progbits,_ZN2at6native6sbtopk10gatherTopKIajLi3ELb0EEEvNS_4cuda6detail10TensorInfoIKT_T0_EES8_S8_bS8_S8_NS5_IS6_S8_EES8_NS5_IlS8_EES8_PS6_,comdat
	.protected	_ZN2at6native6sbtopk10gatherTopKIajLi3ELb0EEEvNS_4cuda6detail10TensorInfoIKT_T0_EES8_S8_bS8_S8_NS5_IS6_S8_EES8_NS5_IlS8_EES8_PS6_ ; -- Begin function _ZN2at6native6sbtopk10gatherTopKIajLi3ELb0EEEvNS_4cuda6detail10TensorInfoIKT_T0_EES8_S8_bS8_S8_NS5_IS6_S8_EES8_NS5_IlS8_EES8_PS6_
	.globl	_ZN2at6native6sbtopk10gatherTopKIajLi3ELb0EEEvNS_4cuda6detail10TensorInfoIKT_T0_EES8_S8_bS8_S8_NS5_IS6_S8_EES8_NS5_IlS8_EES8_PS6_
	.p2align	8
	.type	_ZN2at6native6sbtopk10gatherTopKIajLi3ELb0EEEvNS_4cuda6detail10TensorInfoIKT_T0_EES8_S8_bS8_S8_NS5_IS6_S8_EES8_NS5_IlS8_EES8_PS6_,@function
_ZN2at6native6sbtopk10gatherTopKIajLi3ELb0EEEvNS_4cuda6detail10TensorInfoIKT_T0_EES8_S8_bS8_S8_NS5_IS6_S8_EES8_NS5_IlS8_EES8_PS6_: ; @_ZN2at6native6sbtopk10gatherTopKIajLi3ELb0EEEvNS_4cuda6detail10TensorInfoIKT_T0_EES8_S8_bS8_S8_NS5_IS6_S8_EES8_NS5_IlS8_EES8_PS6_
; %bb.0:
	s_load_dwordx2 s[14:15], s[4:5], 0x2b8
	s_load_dwordx4 s[36:39], s[4:5], 0xd8
	s_add_u32 s12, s4, 0x2b8
	s_addc_u32 s13, s5, 0
	s_waitcnt lgkmcnt(0)
	s_mul_i32 s0, s15, s8
	s_add_i32 s0, s0, s7
	s_mul_i32 s0, s0, s14
	s_add_i32 s15, s0, s6
	s_cmp_ge_u32 s15, s39
	s_cbranch_scc1 .LBB23_411
; %bb.1:
	s_load_dwordx4 s[0:3], s[4:5], 0x23c
                                        ; implicit-def: $vgpr52 : SGPR spill to VGPR lane
	s_load_dwordx2 s[16:17], s[4:5], 0xc
	s_load_dwordx2 s[10:11], s[4:5], 0x0
	s_load_dword s22, s[4:5], 0xe8
	s_waitcnt lgkmcnt(0)
	v_writelane_b32 v52, s0, 0
	v_writelane_b32 v52, s1, 1
	;; [unrolled: 1-line block ×4, first 2 shown]
	s_load_dwordx2 s[18:19], s[4:5], 0x1dc
	s_load_dwordx2 s[0:1], s[4:5], 0x1d0
	v_cvt_f32_u32_e32 v1, s17
	v_cvt_f32_u32_e32 v2, s16
	s_waitcnt lgkmcnt(0)
	v_writelane_b32 v52, s0, 4
	v_writelane_b32 v52, s1, 5
	s_load_dwordx4 s[0:3], s[4:5], 0x15c
	v_rcp_iflag_f32_e32 v1, v1
	v_mul_f32_e32 v1, 0x4f7ffffe, v1
	s_waitcnt lgkmcnt(0)
	v_writelane_b32 v52, s0, 6
	v_writelane_b32 v52, s1, 7
	;; [unrolled: 1-line block ×4, first 2 shown]
	s_load_dwordx2 s[20:21], s[4:5], 0xfc
	s_load_dwordx2 s[0:1], s[4:5], 0xf0
	v_cvt_u32_f32_e32 v1, v1
	s_waitcnt lgkmcnt(0)
	v_writelane_b32 v52, s0, 10
	v_writelane_b32 v52, s1, 11
	;; [unrolled: 1-line block ×3, first 2 shown]
	s_load_dwordx4 s[0:3], s[4:5], 0x6c
	v_writelane_b32 v52, s5, 13
	s_waitcnt lgkmcnt(0)
	s_mov_b32 s3, 0
	v_writelane_b32 v52, s3, 14
	s_sub_i32 s3, 0, s17
	v_readfirstlane_b32 s4, v1
	s_mul_i32 s3, s3, s4
	s_mul_hi_u32 s3, s4, s3
	s_add_i32 s4, s4, s3
	v_rcp_iflag_f32_e32 v1, v2
	s_mul_hi_u32 s3, s15, s4
	v_cvt_f32_u32_e32 v2, s21
	s_mul_i32 s4, s3, s17
	s_sub_i32 s4, s15, s4
	s_add_i32 s5, s3, 1
	s_sub_i32 s7, s4, s17
	v_mul_f32_e32 v1, 0x4f7ffffe, v1
	s_cmp_ge_u32 s4, s17
	v_cvt_u32_f32_e32 v1, v1
	v_rcp_iflag_f32_e32 v2, v2
	s_cselect_b32 s3, s5, s3
	s_cselect_b32 s4, s7, s4
	s_add_i32 s5, s3, 1
	s_cmp_ge_u32 s4, s17
	s_cselect_b32 s3, s5, s3
	v_readfirstlane_b32 s5, v1
	v_mul_f32_e32 v1, 0x4f7ffffe, v2
	v_cvt_u32_f32_e32 v1, v1
	s_sub_i32 s4, 0, s16
	s_mul_i32 s4, s4, s5
	s_mul_hi_u32 s4, s5, s4
	v_readfirstlane_b32 s7, v1
	v_cvt_f32_u32_e32 v1, s20
	s_add_i32 s5, s5, s4
	s_mul_hi_u32 s4, s3, s5
	s_sub_i32 s5, 0, s21
	s_mul_i32 s5, s5, s7
	s_mul_hi_u32 s5, s7, s5
	v_rcp_iflag_f32_e32 v1, v1
	s_add_i32 s7, s7, s5
	v_cvt_f32_u32_e32 v2, s19
	s_mul_hi_u32 s5, s15, s7
	s_mul_i32 s7, s5, s21
	s_sub_i32 s7, s15, s7
	v_mul_f32_e32 v1, 0x4f7ffffe, v1
	s_add_i32 s8, s5, 1
	s_sub_i32 s9, s7, s21
	v_cvt_u32_f32_e32 v1, v1
	v_rcp_iflag_f32_e32 v2, v2
	s_cmp_ge_u32 s7, s21
	s_cselect_b32 s5, s8, s5
	s_cselect_b32 s7, s9, s7
	s_add_i32 s8, s5, 1
	s_cmp_ge_u32 s7, s21
	v_readfirstlane_b32 s7, v1
	v_mul_f32_e32 v1, 0x4f7ffffe, v2
	s_cselect_b32 s8, s8, s5
	v_writelane_b32 v52, s20, 15
	s_sub_i32 s5, 0, s20
	v_cvt_u32_f32_e32 v1, v1
	s_mul_i32 s5, s5, s7
	s_mul_hi_u32 s5, s7, s5
	v_writelane_b32 v52, s21, 16
	s_add_i32 s7, s7, s5
	v_writelane_b32 v52, s8, 17
	s_mul_hi_u32 s5, s8, s7
	v_readfirstlane_b32 s7, v1
	v_cvt_f32_u32_e32 v1, s18
	v_writelane_b32 v52, s5, 18
	s_sub_i32 s5, 0, s19
	s_mul_i32 s5, s5, s7
	s_mul_hi_u32 s5, s7, s5
	s_add_i32 s7, s7, s5
	v_rcp_iflag_f32_e32 v1, v1
	s_mul_hi_u32 s5, s15, s7
	s_mul_i32 s7, s5, s19
	s_sub_i32 s7, s15, s7
	s_add_i32 s8, s5, 1
	s_sub_i32 s9, s7, s19
	v_mul_f32_e32 v1, 0x4f7ffffe, v1
	s_cmp_ge_u32 s7, s19
	v_cvt_u32_f32_e32 v1, v1
	s_cselect_b32 s5, s8, s5
	s_cselect_b32 s7, s9, s7
	s_add_i32 s8, s5, 1
	s_cmp_ge_u32 s7, s19
	s_cselect_b32 s8, s8, s5
	v_writelane_b32 v52, s18, 19
	s_sub_i32 s5, 0, s18
	v_readfirstlane_b32 s7, v1
	s_mul_i32 s5, s5, s7
	s_mul_hi_u32 s5, s7, s5
	v_writelane_b32 v52, s19, 20
	s_add_i32 s7, s7, s5
	v_writelane_b32 v52, s8, 21
	s_mul_hi_u32 s5, s8, s7
	v_writelane_b32 v52, s5, 22
	v_cmp_eq_u32_e64 s[18:19], 0, v0
	s_mov_b64 s[8:9], exec
	v_writelane_b32 v52, s18, 23
	v_writelane_b32 v52, s19, 24
	s_and_b64 s[18:19], s[8:9], s[18:19]
	s_mov_b64 exec, s[18:19]
; %bb.2:
	v_mov_b32_e32 v1, 0
	v_mov_b32_e32 v2, s36
	;; [unrolled: 1-line block ×3, first 2 shown]
	ds_write_b96 v1, v[1:3] offset:4096
; %bb.3:
	s_or_b64 exec, exec, s[8:9]
	s_mul_i32 s5, s3, s17
	s_sub_i32 s5, s15, s5
	s_mul_i32 s5, s5, s2
	s_mul_i32 s2, s4, s16
	s_sub_i32 s2, s3, s2
	s_add_i32 s7, s4, 1
	s_sub_i32 s8, s2, s16
	s_cmp_ge_u32 s2, s16
	s_cselect_b32 s4, s7, s4
	s_cselect_b32 s2, s8, s2
	s_add_i32 s7, s4, 1
	s_cmp_ge_u32 s2, s16
	s_cselect_b32 s2, s7, s4
	s_mul_i32 s4, s2, s16
	s_sub_i32 s3, s3, s4
	s_mul_i32 s1, s3, s1
	s_add_i32 s1, s1, s5
	s_mul_i32 s2, s2, s0
	s_add_i32 s1, s1, s2
	s_add_u32 s48, s10, s1
	s_addc_u32 s49, s11, 0
	s_waitcnt lgkmcnt(0)
	s_barrier
	s_load_dword s0, s[12:13], 0xc
	s_bitcmp1_b32 s38, 0
	v_writelane_b32 v52, s15, 25
	s_cselect_b64 s[2:3], -1, 0
	v_writelane_b32 v52, s2, 26
	v_writelane_b32 v52, s3, 27
	s_xor_b64 s[2:3], s[2:3], -1
	v_mbcnt_lo_u32_b32 v1, -1, 0
	v_writelane_b32 v52, s2, 28
	v_mbcnt_hi_u32_b32 v21, -1, v1
	v_writelane_b32 v52, s3, 29
	s_waitcnt lgkmcnt(0)
	s_and_b32 s33, s0, 0xffff
	v_cmp_gt_u32_e32 vcc, 64, v0
	v_cmp_gt_i32_e64 s[2:3], 4, v21
	s_lshl_b32 s63, s33, 2
	s_bfe_u32 s4, s0, 0xa0006
	s_and_b64 s[2:3], vcc, s[2:3]
	v_writelane_b32 v52, s2, 30
	s_cmpk_gt_u32 s36, 0xc00
	v_writelane_b32 v52, s3, 31
	s_cselect_b64 s[2:3], -1, 0
	v_writelane_b32 v52, s2, 32
	v_writelane_b32 v52, s3, 33
	v_cmp_gt_u32_e64 s[2:3], s36, v0
	v_writelane_b32 v52, s2, 34
	s_cmp_gt_u32 s33, 63
	v_writelane_b32 v52, s3, 35
	s_cselect_b64 s[2:3], -1, 0
	v_mul_lo_u32 v22, s22, v0
	v_writelane_b32 v52, s2, 36
	v_writelane_b32 v52, s3, 37
	v_cmp_gt_u32_e64 s[2:3], 2, v0
	v_writelane_b32 v52, s2, 38
	v_writelane_b32 v52, s3, 39
	s_add_i32 s2, s33, -1
	v_mov_b32_e32 v1, s49
	v_add_co_u32_e32 v13, vcc, s48, v22
	v_writelane_b32 v52, s2, 40
	s_add_i32 s2, s2, s36
	v_addc_co_u32_e32 v14, vcc, 0, v1, vcc
	v_lshrrev_b32_e32 v1, 2, v0
	s_cmp_lt_u32 s6, s14
	v_and_b32_e32 v1, 0xf0, v1
	s_cselect_b32 s3, 12, 18
	v_or_b32_e32 v24, 0xc00, v1
	s_add_u32 s6, s12, s3
	v_add_u32_e32 v1, 2, v0
	s_addc_u32 s7, s13, 0
	v_max_u32_e32 v1, s36, v1
	v_lshlrev_b64 v[3:4], v21, -1
	v_writelane_b32 v52, s6, 41
	v_xad_u32 v1, v0, -1, v1
	v_writelane_b32 v52, s7, 42
	v_cmp_lt_u32_e64 s[6:7], 31, v1
	v_not_b32_e32 v19, v3
	v_add_u32_e32 v3, -4, v1
	v_writelane_b32 v52, s6, 43
	v_not_b32_e32 v18, v4
	v_lshrrev_b32_e32 v4, 2, v3
	v_writelane_b32 v52, s7, 44
	v_cmp_lt_u32_e64 s[6:7], 11, v3
	v_cvt_f32_u32_e32 v3, s63
	v_add_u32_e32 v4, 1, v4
	v_writelane_b32 v52, s22, 45
	v_and_b32_e32 v5, 3, v4
	v_rcp_iflag_f32_e32 v3, v3
	v_writelane_b32 v52, s6, 46
	s_add_i32 s3, s4, -1
	v_writelane_b32 v52, s7, 47
	v_cmp_ne_u32_e64 s[6:7], 0, v5
	s_bfe_u32 s5, s33, 0x30006
	s_and_b32 s3, s3, 0xffff
	v_writelane_b32 v52, s6, 48
	s_cmp_gt_u32 s3, 6
	v_writelane_b32 v52, s7, 49
	s_cselect_b64 s[6:7], -1, 0
	v_mul_f32_e32 v3, 0x4f7ffffe, v3
	v_writelane_b32 v52, s6, 50
	s_and_b32 s21, s4, 0x3f8
	v_cvt_u32_f32_e32 v3, v3
	v_writelane_b32 v52, s7, 51
	s_cmp_lg_u32 s5, 0
	v_writelane_b32 v52, s5, 52
	s_cselect_b64 s[4:5], -1, 0
	v_writelane_b32 v52, s4, 53
	v_writelane_b32 v52, s5, 54
	s_sub_i32 s3, 0, s63
	v_readfirstlane_b32 s4, v3
	s_mul_i32 s3, s3, s4
	s_mul_hi_u32 s3, s4, s3
	s_add_i32 s3, s4, s3
	v_writelane_b32 v52, s3, 55
	s_mul_hi_u32 s3, s36, s3
	s_mul_i32 s3, s3, s63
	v_cvt_f32_u32_e32 v3, s33
	s_sub_i32 s3, s36, s3
	s_sub_i32 s4, s3, s63
	s_cmp_ge_u32 s3, s63
	s_cselect_b32 s3, s4, s3
	v_rcp_iflag_f32_e32 v3, v3
	s_sub_i32 s4, s3, s63
	s_cmp_ge_u32 s3, s63
	s_cselect_b32 s3, s4, s3
	v_lshlrev_b32_e32 v20, 2, v0
	s_sub_i32 s11, s36, s3
	v_mul_f32_e32 v3, 0x4f7ffffe, v3
	v_cmp_gt_u32_e64 s[4:5], s11, v20
	v_cvt_u32_f32_e32 v3, v3
	v_writelane_b32 v52, s4, 56
	v_add_u32_e32 v28, s11, v0
	v_writelane_b32 v52, s5, 57
	v_cmp_gt_u32_e64 s[4:5], s36, v28
	v_writelane_b32 v52, s4, 58
	v_writelane_b32 v52, s5, 59
	s_sub_i32 s4, 0, s33
	v_readfirstlane_b32 s5, v3
	s_mul_i32 s4, s4, s5
	s_mul_hi_u32 s4, s5, s4
	s_add_i32 s4, s5, s4
	v_writelane_b32 v52, s4, 60
	s_mul_hi_u32 s4, s2, s4
	s_mul_i32 s4, s4, s33
	s_sub_i32 s4, s2, s4
	s_sub_i32 s5, s4, s33
	s_cmp_ge_u32 s4, s33
	v_mul_lo_u32 v3, s22, v20
	s_cselect_b32 s4, s5, s4
	s_sub_i32 s5, s4, s33
	s_cmp_ge_u32 s4, s33
	s_cselect_b32 s4, s5, s4
	v_add_u32_e32 v31, s22, v3
	v_or_b32_e32 v3, 2, v20
	s_sub_i32 s4, s2, s4
	v_mul_lo_u32 v32, s22, v3
	v_or_b32_e32 v3, 3, v20
	s_add_i32 s2, s33, s36
	v_and_b32_e32 v27, 0x7ffffffc, v4
	v_mul_lo_u32 v4, v28, s22
	v_mul_lo_u32 v33, s22, v3
	v_add_u32_e32 v3, s2, v0
	v_subrev_u32_e32 v3, s3, v3
	v_cmp_gt_u32_e64 s[6:7], s4, v0
	v_mul_lo_u32 v35, s22, v3
	v_and_b32_e32 v25, -4, v1
	v_writelane_b32 v52, s6, 61
	v_lshlrev_b32_e32 v2, 2, v21
	v_mov_b32_e32 v6, s49
	v_add_co_u32_e32 v15, vcc, s48, v4
	v_writelane_b32 v52, s7, 62
	s_mul_i32 s61, s22, s33
	v_cmp_ne_u32_e64 s[2:3], v1, v25
                                        ; implicit-def: $vgpr51 : SGPR spill to VGPR lane
	v_cmp_eq_u32_e64 s[0:1], 0, v21
	v_mov_b32_e32 v23, 0
	v_and_b32_e32 v17, 0x100, v2
	v_add_u32_e32 v26, v0, v25
	s_mov_b32 s20, s22
	s_mov_b32 s62, s22
	;; [unrolled: 1-line block ×3, first 2 shown]
	v_addc_co_u32_e32 v16, vcc, 0, v6, vcc
	v_lshlrev_b32_e32 v29, 2, v5
	s_lshl_b32 s5, s61, 2
	v_lshlrev_b32_e32 v34, 2, v22
	v_writelane_b32 v52, s22, 63
	v_or_b32_e32 v36, 0xc00, v2
	s_mov_b64 s[70:71], 0
	v_mov_b32_e32 v40, s37
	s_movk_i32 s18, 0x80
	s_mov_b32 s22, 0xc0c0004
	s_mov_b32 s23, 0xc0c0007
	v_mov_b32_e32 v37, 8
	v_mov_b32_e32 v39, 0
	;; [unrolled: 1-line block ×4, first 2 shown]
	v_writelane_b32 v51, s2, 0
                                        ; implicit-def: $sgpr72_sgpr73
                                        ; implicit-def: $sgpr74_sgpr75
                                        ; implicit-def: $sgpr78_sgpr79
                                        ; implicit-def: $sgpr80_sgpr81
                                        ; implicit-def: $sgpr76_sgpr77
                                        ; implicit-def: $sgpr82_sgpr83
                                        ; implicit-def: $sgpr84_sgpr85
                                        ; implicit-def: $sgpr86_sgpr87
	v_writelane_b32 v51, s3, 1
                                        ; implicit-def: $sgpr88_sgpr89
                                        ; implicit-def: $sgpr90_sgpr91
	s_branch .LBB23_6
.LBB23_4:                               ;   in Loop: Header=BB23_6 Depth=1
	s_or_b64 exec, exec, s[14:15]
	s_andn2_b64 s[8:9], s[90:91], exec
	s_and_b64 s[12:13], s[12:13], exec
	s_or_b64 s[90:91], s[8:9], s[12:13]
	s_andn2_b64 s[88:89], s[88:89], exec
	s_andn2_b64 s[86:87], s[86:87], exec
	;; [unrolled: 1-line block ×4, first 2 shown]
	s_orn2_b64 s[6:7], s[6:7], exec
	v_mov_b32_e32 v40, v4
.LBB23_5:                               ;   in Loop: Header=BB23_6 Depth=1
	s_or_b64 exec, exec, s[2:3]
	s_and_b64 s[2:3], exec, s[6:7]
	s_or_b64 s[70:71], s[2:3], s[70:71]
	s_andn2_b64 s[2:3], s[76:77], exec
	s_and_b64 s[6:7], s[90:91], exec
	s_or_b64 s[76:77], s[2:3], s[6:7]
	s_andn2_b64 s[2:3], s[80:81], exec
	s_and_b64 s[6:7], s[88:89], exec
	;; [unrolled: 3-line block ×5, first 2 shown]
	s_or_b64 s[72:73], s[2:3], s[6:7]
	s_andn2_b64 exec, exec, s[70:71]
	s_cbranch_execz .LBB23_407
.LBB23_6:                               ; =>This Loop Header: Depth=1
                                        ;     Child Loop BB23_11 Depth 2
                                        ;     Child Loop BB23_32 Depth 2
                                        ;     Child Loop BB23_36 Depth 2
                                        ;     Child Loop BB23_42 Depth 2
                                        ;     Child Loop BB23_54 Depth 2
                                        ;     Child Loop BB23_59 Depth 2
                                        ;     Child Loop BB23_66 Depth 2
                                        ;     Child Loop BB23_70 Depth 2
                                        ;     Child Loop BB23_79 Depth 2
                                        ;     Child Loop BB23_84 Depth 2
                                        ;     Child Loop BB23_95 Depth 2
                                        ;     Child Loop BB23_106 Depth 2
                                        ;     Child Loop BB23_132 Depth 2
                                        ;     Child Loop BB23_143 Depth 2
                                        ;     Child Loop BB23_169 Depth 2
                                        ;     Child Loop BB23_180 Depth 2
                                        ;     Child Loop BB23_206 Depth 2
                                        ;     Child Loop BB23_217 Depth 2
                                        ;     Child Loop BB23_253 Depth 2
                                        ;     Child Loop BB23_265 Depth 2
                                        ;     Child Loop BB23_291 Depth 2
                                        ;     Child Loop BB23_302 Depth 2
                                        ;     Child Loop BB23_328 Depth 2
                                        ;     Child Loop BB23_339 Depth 2
                                        ;     Child Loop BB23_365 Depth 2
                                        ;     Child Loop BB23_376 Depth 2
	ds_read_b64 v[1:2], v23 offset:4096
	s_waitcnt lgkmcnt(0)
	v_readfirstlane_b32 s16, v1
	s_cmp_lg_u32 s16, 0
	s_cbranch_scc1 .LBB23_51
; %bb.7:                                ;   in Loop: Header=BB23_6 Depth=1
	v_readlane_b32 s2, v52, 32
	v_readlane_b32 s3, v52, 33
	s_and_b64 vcc, exec, s[2:3]
	s_cbranch_vccz .LBB23_19
; %bb.8:                                ;   in Loop: Header=BB23_6 Depth=1
	s_movk_i32 s6, 0xc01
	v_cmp_gt_u32_e32 vcc, s6, v2
	s_mov_b64 s[2:3], 0
	s_mov_b64 s[6:7], 0
	s_cbranch_vccz .LBB23_20
; %bb.9:                                ;   in Loop: Header=BB23_6 Depth=1
	v_readlane_b32 s6, v52, 41
	v_readlane_b32 s7, v52, 42
	s_nop 4
	global_load_ushort v1, v23, s[6:7]
	global_load_ubyte v4, v[13:14], off
	v_readlane_b32 s6, v52, 63
	s_mov_b64 s[12:13], 0
	v_mov_b32_e32 v5, v0
	s_waitcnt vmcnt(1)
	v_add_u32_e32 v2, v0, v1
	v_mul_lo_u32 v2, s6, v2
	v_mul_lo_u32 v3, s6, v1
	s_branch .LBB23_11
.LBB23_10:                              ;   in Loop: Header=BB23_11 Depth=2
	s_or_b64 exec, exec, s[6:7]
	v_add_u32_e32 v2, v2, v3
	v_mov_b32_e32 v4, v6
	s_andn2_b64 exec, exec, s[12:13]
	s_cbranch_execz .LBB23_26
.LBB23_11:                              ;   Parent Loop BB23_6 Depth=1
                                        ; =>  This Inner Loop Header: Depth=2
	v_add_u32_e32 v5, v5, v1
	v_cmp_gt_u32_e64 s[6:7], s36, v5
	v_cmp_le_u32_e32 vcc, s36, v5
	s_waitcnt lgkmcnt(0)
	v_mov_b32_e32 v7, 0
	v_mov_b32_e32 v6, 0
	s_and_saveexec_b64 s[8:9], s[6:7]
	s_cbranch_execz .LBB23_13
; %bb.12:                               ;   in Loop: Header=BB23_11 Depth=2
	global_load_ubyte v6, v2, s[48:49]
.LBB23_13:                              ;   in Loop: Header=BB23_11 Depth=2
	s_or_b64 exec, exec, s[8:9]
	s_waitcnt vmcnt(0)
	v_add_u32_sdwa v8, sext(v4), s18 dst_sel:DWORD dst_unused:UNUSED_PAD src0_sel:BYTE_0 src1_sel:DWORD
	v_and_b32_e32 v8, v8, v38
	v_cmp_eq_u32_e64 s[26:27], v8, v30
	s_cmp_lg_u64 s[26:27], 0
	s_cselect_b64 s[6:7], -1, 0
	s_and_b64 s[6:7], s[0:1], s[6:7]
	s_and_saveexec_b64 s[14:15], s[6:7]
	s_cbranch_execz .LBB23_17
; %bb.14:                               ;   in Loop: Header=BB23_11 Depth=2
	s_mov_b64 s[16:17], exec
	v_mbcnt_lo_u32_b32 v7, s16, 0
	v_mbcnt_hi_u32_b32 v7, s17, v7
	s_bcnt1_i32_b64 s19, s[26:27]
	v_cmp_eq_u32_e64 s[6:7], 0, v7
                                        ; implicit-def: $vgpr8
	s_and_saveexec_b64 s[8:9], s[6:7]
; %bb.15:                               ;   in Loop: Header=BB23_11 Depth=2
	s_bcnt1_i32_b64 s6, s[16:17]
	s_mul_i32 s6, s19, s6
	v_mov_b32_e32 v8, s6
	ds_add_rtn_u32 v8, v23, v8 offset:4104
; %bb.16:                               ;   in Loop: Header=BB23_11 Depth=2
	s_or_b64 exec, exec, s[8:9]
	s_waitcnt lgkmcnt(0)
	v_readfirstlane_b32 s6, v8
	v_mov_b32_e32 v8, s6
	v_mad_u32_u24 v7, s19, v7, v8
.LBB23_17:                              ;   in Loop: Header=BB23_11 Depth=2
	s_or_b64 exec, exec, s[14:15]
	ds_bpermute_b32 v7, v17, v7
	s_and_b64 s[6:7], exec, vcc
	s_or_b64 s[12:13], s[6:7], s[12:13]
	s_and_saveexec_b64 s[6:7], s[26:27]
	s_cbranch_execz .LBB23_10
; %bb.18:                               ;   in Loop: Header=BB23_11 Depth=2
	v_and_b32_e32 v9, s26, v19
	v_and_b32_e32 v8, s27, v18
	v_bcnt_u32_b32 v9, v9, 0
	v_bcnt_u32_b32 v8, v8, v9
	s_waitcnt lgkmcnt(0)
	v_add_u32_e32 v7, v7, v8
	ds_write_b8 v7, v4
	s_branch .LBB23_10
.LBB23_19:                              ;   in Loop: Header=BB23_6 Depth=1
	s_mov_b64 s[2:3], -1
	s_mov_b64 s[6:7], 0
.LBB23_20:                              ;   in Loop: Header=BB23_6 Depth=1
	s_and_b64 vcc, exec, s[2:3]
	s_cbranch_vccz .LBB23_49
.LBB23_21:                              ;   in Loop: Header=BB23_6 Depth=1
	s_mov_b64 s[26:27], exec
	v_readlane_b32 s2, v52, 34
	v_readlane_b32 s3, v52, 35
	s_and_b64 s[2:3], s[26:27], s[2:3]
	s_mov_b64 exec, s[2:3]
	s_cbranch_execz .LBB23_46
; %bb.22:                               ;   in Loop: Header=BB23_6 Depth=1
	v_readlane_b32 s2, v52, 41
	v_readlane_b32 s3, v52, 42
	s_nop 4
	global_load_ushort v1, v23, s[2:3]
	global_load_ubyte v42, v[13:14], off
	v_mov_b32_e32 v2, v0
	s_waitcnt vmcnt(1)
	v_readfirstlane_b32 s8, v1
	v_add_u32_e32 v1, v0, v1
	v_cmp_gt_u32_e32 vcc, s36, v1
	s_and_saveexec_b64 s[30:31], vcc
	s_cbranch_execz .LBB23_45
; %bb.23:                               ;   in Loop: Header=BB23_6 Depth=1
	v_readlane_b32 s2, v52, 63
	s_mov_b64 s[6:7], 0
	s_mul_i32 s9, s2, s8
                                        ; implicit-def: $vgpr2
                                        ; implicit-def: $vgpr5
                                        ; implicit-def: $vgpr4
                                        ; implicit-def: $vgpr3
	s_mov_b64 s[2:3], exec
	v_readlane_b32 s12, v52, 43
	v_readlane_b32 s13, v52, 44
	s_and_b64 s[12:13], s[2:3], s[12:13]
	s_xor_b64 s[34:35], s[12:13], s[2:3]
	s_mov_b64 exec, s[12:13]
	s_cbranch_execnz .LBB23_29
; %bb.24:                               ;   in Loop: Header=BB23_6 Depth=1
	s_andn2_saveexec_b64 s[2:3], s[34:35]
	s_cbranch_execnz .LBB23_40
.LBB23_25:                              ;   in Loop: Header=BB23_6 Depth=1
	s_or_b64 exec, exec, s[2:3]
	s_and_saveexec_b64 s[2:3], s[6:7]
	s_cbranch_execnz .LBB23_41
	s_branch .LBB23_44
.LBB23_26:                              ;   in Loop: Header=BB23_6 Depth=1
	s_or_b64 exec, exec, s[12:13]
	s_waitcnt lgkmcnt(0)
	s_barrier
	s_mov_b64 s[6:7], exec
	v_readlane_b32 s8, v52, 23
	v_readlane_b32 s9, v52, 24
	s_and_b64 s[8:9], s[6:7], s[8:9]
	s_mov_b64 exec, s[8:9]
	s_cbranch_execz .LBB23_28
; %bb.27:                               ;   in Loop: Header=BB23_6 Depth=1
	ds_read_b32 v1, v23 offset:4104
	s_waitcnt lgkmcnt(0)
	ds_write_b32 v23, v1 offset:4096
.LBB23_28:                              ;   in Loop: Header=BB23_6 Depth=1
	s_or_b64 exec, exec, s[6:7]
	s_waitcnt lgkmcnt(0)
	s_barrier
	s_mov_b64 s[6:7], -1
	s_and_b64 vcc, exec, s[2:3]
	s_cbranch_vccnz .LBB23_21
	s_branch .LBB23_49
.LBB23_29:                              ;   in Loop: Header=BB23_6 Depth=1
	v_cvt_f32_u32_e32 v2, s8
	s_sub_i32 s3, 0, s8
	v_add_u32_e32 v3, s8, v1
	v_max_u32_e32 v3, s36, v3
	v_rcp_iflag_f32_e32 v2, v2
	s_lshl_b32 s2, s8, 1
	v_sub_u32_e32 v3, v3, v0
	v_cmp_ne_u32_e32 vcc, s2, v3
	v_mul_f32_e32 v2, 0x4f7ffffe, v2
	v_cvt_u32_f32_e32 v2, v2
	v_cndmask_b32_e64 v6, 0, 1, vcc
	v_or_b32_e32 v6, s2, v6
	v_sub_u32_e32 v3, v3, v6
	v_mul_lo_u32 v4, s3, v2
	s_not_b32 s6, s9
	s_ashr_i32 s14, s6, 31
	v_readlane_b32 s3, v52, 63
	v_mul_hi_u32 v4, v2, v4
	s_abs_i32 s12, s9
	v_mul_lo_u32 v5, s3, v1
	s_cmp_eq_u32 s8, 1
	v_add_u32_e32 v2, v2, v4
	v_mul_hi_u32 v4, v3, v2
	v_xor_b32_e32 v5, s14, v5
	s_mov_b64 s[2:3], -1
                                        ; implicit-def: $vgpr2
	v_mul_lo_u32 v6, v4, s8
	v_add_u32_e32 v7, 1, v4
	v_sub_u32_e32 v3, v3, v6
	v_subrev_u32_e32 v6, s8, v3
	v_cmp_le_u32_e64 s[6:7], s8, v3
	v_cndmask_b32_e64 v4, v4, v7, s[6:7]
	v_cndmask_b32_e64 v3, v3, v6, s[6:7]
	v_add_u32_e32 v6, 1, v4
	v_cmp_le_u32_e64 s[6:7], s8, v3
	v_cndmask_b32_e64 v3, v4, v6, s[6:7]
	v_addc_co_u32_e32 v3, vcc, 0, v3, vcc
	v_mul_hi_u32 v4, s12, v3
	v_mul_lo_u32 v3, s12, v3
	s_cselect_b64 s[12:13], -1, 0
	v_cmp_eq_u32_e32 vcc, 0, v4
	v_cmp_le_u32_e64 s[6:7], v3, v5
	s_and_b64 s[12:13], vcc, s[12:13]
	s_and_b64 s[12:13], s[12:13], s[6:7]
	v_mov_b32_e32 v4, v0
	s_and_saveexec_b64 s[6:7], s[12:13]
	s_cbranch_execz .LBB23_39
; %bb.30:                               ;   in Loop: Header=BB23_6 Depth=1
	v_add_u32_e32 v4, 3, v1
	v_add_u32_e32 v3, 2, v1
	;; [unrolled: 1-line block ×3, first 2 shown]
	v_mov_b32_e32 v8, v4
	s_waitcnt vmcnt(0)
	v_lshlrev_b32_e32 v43, 24, v42
	v_mov_b32_e32 v9, 0
	v_mov_b32_e32 v7, v3
	;; [unrolled: 1-line block ×4, first 2 shown]
                                        ; implicit-def: $vgpr42
	s_mov_b64 s[14:15], exec
	v_readlane_b32 s2, v52, 46
	v_readlane_b32 s3, v52, 47
	s_and_b64 s[2:3], s[14:15], s[2:3]
	s_mov_b64 exec, s[2:3]
	s_cbranch_execz .LBB23_34
; %bb.31:                               ;   in Loop: Header=BB23_6 Depth=1
	v_mov_b32_e32 v8, v4
	s_mov_b32 s2, 0
	s_mov_b64 s[40:41], 0
	v_mov_b32_e32 v41, v27
	v_mov_b32_e32 v7, v3
	;; [unrolled: 1-line block ×4, first 2 shown]
	v_readlane_b32 s3, v52, 45
	v_readlane_b32 s12, v52, 63
.LBB23_32:                              ;   Parent Loop BB23_6 Depth=1
                                        ; =>  This Inner Loop Header: Depth=2
	v_mul_lo_u32 v2, v5, s12
	v_mul_lo_u32 v9, v6, s3
	;; [unrolled: 1-line block ×3, first 2 shown]
	v_mov_b32_e32 v12, s49
	v_add_co_u32_e32 v2, vcc, s48, v2
	v_addc_co_u32_e32 v3, vcc, 0, v12, vcc
	v_mul_lo_u32 v4, v8, s62
	v_add_co_u32_e32 v9, vcc, s48, v9
	v_addc_co_u32_e32 v10, vcc, 0, v12, vcc
	v_add_co_u32_e32 v44, vcc, s48, v11
	v_addc_co_u32_e32 v45, vcc, 0, v12, vcc
	v_add_co_u32_e32 v46, vcc, s48, v4
	global_load_ubyte v4, v[44:45], off
	s_nop 0
	global_load_ubyte v9, v[9:10], off
	v_add_u32_e32 v10, 4, v7
	global_load_ubyte v2, v[2:3], off
	v_add_u32_e32 v3, 4, v6
	v_mul_lo_u32 v42, v10, s20
	v_mul_lo_u32 v10, v3, s3
	v_addc_co_u32_e32 v47, vcc, 0, v12, vcc
	v_add_u32_e32 v11, 4, v8
	v_mul_lo_u32 v44, v11, s62
	v_add_u32_e32 v41, -4, v41
	s_waitcnt vmcnt(1)
	v_perm_b32 v4, v9, v4, s22
	s_waitcnt vmcnt(0)
	v_perm_b32 v2, v43, v2, s23
	v_lshl_or_b32 v9, v4, 16, v2
	v_add_u32_e32 v2, 4, v5
	v_mul_lo_u32 v2, v2, s12
	v_add_u32_e32 v4, s2, v0
	s_add_i32 s2, s2, 16
	v_add_co_u32_e32 v2, vcc, s48, v2
	v_addc_co_u32_e32 v3, vcc, 0, v12, vcc
	v_add_co_u32_e32 v10, vcc, s48, v10
	v_addc_co_u32_e32 v11, vcc, 0, v12, vcc
	;; [unrolled: 2-line block ×3, first 2 shown]
	global_load_ubyte v46, v[46:47], off
	s_nop 0
	global_load_ubyte v2, v[2:3], off
	s_nop 0
	;; [unrolled: 2-line block ×3, first 2 shown]
	global_load_ubyte v10, v[10:11], off
	v_add_co_u32_e32 v44, vcc, s48, v44
	v_addc_co_u32_e32 v45, vcc, 0, v12, vcc
	v_add_u32_e32 v11, 8, v7
	v_add_u32_e32 v42, 8, v8
	v_mul_lo_u32 v50, v42, s62
	v_mul_lo_u32 v11, v11, s20
	s_waitcnt vmcnt(2)
	v_perm_b32 v2, v46, v2, s22
	s_waitcnt vmcnt(0)
	v_perm_b32 v3, v10, v3, s22
	v_lshl_or_b32 v10, v3, 16, v2
	v_add_u32_e32 v2, 8, v5
	v_mul_lo_u32 v2, v2, s12
	v_add_u32_e32 v3, 8, v6
	v_mul_lo_u32 v3, v3, s3
	v_add_co_u32_e32 v42, vcc, s48, v2
	v_addc_co_u32_e32 v43, vcc, 0, v12, vcc
	v_add_co_u32_e32 v46, vcc, s48, v3
	v_addc_co_u32_e32 v47, vcc, 0, v12, vcc
	v_add_co_u32_e32 v48, vcc, s48, v11
	global_load_ubyte v11, v[42:43], off
	s_nop 0
	global_load_ubyte v42, v[44:45], off
	v_addc_co_u32_e32 v49, vcc, 0, v12, vcc
	v_add_u32_e32 v45, 12, v8
	v_add_co_u32_e32 v2, vcc, s48, v50
	v_addc_co_u32_e32 v3, vcc, 0, v12, vcc
	v_add_u32_e32 v44, 12, v7
	v_add_u32_e32 v8, 16, v8
	v_add_u32_e32 v7, 16, v7
	s_waitcnt vmcnt(0)
	v_perm_b32 v11, v42, v11, s22
	global_load_ubyte v42, v[48:49], off
	global_load_ubyte v43, v[46:47], off
	v_mul_lo_u32 v49, v45, s62
	v_mul_lo_u32 v47, v44, s20
	s_waitcnt vmcnt(0)
	v_perm_b32 v42, v43, v42, s22
	v_lshl_or_b32 v11, v42, 16, v11
	v_add_u32_e32 v42, 12, v5
	v_mul_lo_u32 v42, v42, s12
	v_add_u32_e32 v43, 12, v6
	v_mul_lo_u32 v45, v43, s3
	v_add_u32_e32 v6, 16, v6
	v_add_co_u32_e32 v43, vcc, s48, v42
	v_addc_co_u32_e32 v44, vcc, 0, v12, vcc
	v_add_co_u32_e32 v45, vcc, s48, v45
	v_addc_co_u32_e32 v46, vcc, 0, v12, vcc
	;; [unrolled: 2-line block ×4, first 2 shown]
	global_load_ubyte v42, v[49:50], off
	global_load_ubyte v12, v[45:46], off
	s_nop 0
	global_load_ubyte v44, v[43:44], off
	v_cmp_eq_u32_e32 vcc, 0, v41
	global_load_ubyte v45, v[47:48], off
	v_add_u32_e32 v5, 16, v5
	global_load_ubyte v2, v[2:3], off
	s_or_b64 s[40:41], vcc, s[40:41]
	s_waitcnt vmcnt(2)
	v_perm_b32 v43, v44, v12, s22
	s_waitcnt vmcnt(1)
	v_perm_b32 v3, v12, v45, s22
	v_perm_b32 v46, v45, v42, s22
	s_waitcnt vmcnt(0)
	v_perm_b32 v2, v2, v44, s22
	v_lshl_or_b32 v12, v3, 16, v2
	v_lshl_or_b32 v43, v46, 16, v43
	ds_write_b128 v4, v[9:12]
	v_mov_b32_e32 v9, s2
	s_andn2_b64 exec, exec, s[40:41]
	s_cbranch_execnz .LBB23_32
; %bb.33:                               ;   in Loop: Header=BB23_6 Depth=1
	s_or_b64 exec, exec, s[40:41]
.LBB23_34:                              ;   in Loop: Header=BB23_6 Depth=1
	s_or_b64 exec, exec, s[14:15]
	s_mov_b64 s[2:3], exec
	v_readlane_b32 s12, v52, 48
	v_readlane_b32 s13, v52, 49
	s_and_b64 s[12:13], s[2:3], s[12:13]
	s_mov_b64 exec, s[12:13]
	s_cbranch_execz .LBB23_38
; %bb.35:                               ;   in Loop: Header=BB23_6 Depth=1
	v_add_u32_e32 v2, v0, v9
	s_mov_b64 s[12:13], 0
	v_mov_b32_e32 v3, v29
	v_readlane_b32 s14, v52, 45
	v_readlane_b32 s15, v52, 63
.LBB23_36:                              ;   Parent Loop BB23_6 Depth=1
                                        ; =>  This Inner Loop Header: Depth=2
	v_mul_lo_u32 v9, v5, s15
	v_mul_lo_u32 v11, v6, s14
	v_mul_lo_u32 v41, v7, s20
	v_mov_b32_e32 v45, s49
	v_add_co_u32_e32 v9, vcc, s48, v9
	v_addc_co_u32_e32 v10, vcc, 0, v45, vcc
	v_mul_lo_u32 v4, v8, s62
	v_add_co_u32_e32 v11, vcc, s48, v11
	v_addc_co_u32_e32 v12, vcc, 0, v45, vcc
	v_add_co_u32_e32 v41, vcc, s48, v41
	v_addc_co_u32_e32 v42, vcc, 0, v45, vcc
	;; [unrolled: 2-line block ×3, first 2 shown]
	global_load_ubyte v4, v[11:12], off
	s_nop 0
	global_load_ubyte v11, v[41:42], off
	s_nop 0
	;; [unrolled: 2-line block ×3, first 2 shown]
	global_load_ubyte v9, v[9:10], off
	v_add_u32_e32 v3, -4, v3
	v_cmp_eq_u32_e32 vcc, 0, v3
	v_add_u32_e32 v8, 4, v8
	v_add_u32_e32 v7, 4, v7
	;; [unrolled: 1-line block ×4, first 2 shown]
	s_or_b64 s[12:13], vcc, s[12:13]
	s_waitcnt vmcnt(1)
	v_perm_b32 v12, v11, v42, s22
	s_waitcnt vmcnt(0)
	v_perm_b32 v10, v9, v4, s22
	v_perm_b32 v4, v4, v11, s22
	;; [unrolled: 1-line block ×3, first 2 shown]
	v_lshl_or_b32 v4, v4, 16, v9
	v_lshl_or_b32 v43, v12, 16, v10
	ds_write_b32 v2, v4
	v_add_u32_e32 v2, 4, v2
	s_andn2_b64 exec, exec, s[12:13]
	s_cbranch_execnz .LBB23_36
; %bb.37:                               ;   in Loop: Header=BB23_6 Depth=1
	s_or_b64 exec, exec, s[12:13]
.LBB23_38:                              ;   in Loop: Header=BB23_6 Depth=1
	s_or_b64 exec, exec, s[2:3]
	v_readlane_b32 s2, v51, 0
	v_add_u32_e32 v1, v1, v25
	v_readlane_b32 s3, v51, 1
	v_add_u32_e32 v2, -1, v1
	s_orn2_b64 s[2:3], s[2:3], exec
	v_mov_b32_e32 v4, v26
.LBB23_39:                              ;   in Loop: Header=BB23_6 Depth=1
	s_or_b64 exec, exec, s[6:7]
	v_mov_b32_e32 v3, s9
	s_and_b64 s[6:7], s[2:3], exec
	s_waitcnt vmcnt(0)
	v_mov_b32_e32 v5, v42
	s_andn2_saveexec_b64 s[2:3], s[34:35]
	s_cbranch_execz .LBB23_25
.LBB23_40:                              ;   in Loop: Header=BB23_6 Depth=1
	v_mov_b32_e32 v3, s9
	s_or_b64 s[6:7], s[6:7], exec
	s_waitcnt vmcnt(0)
	v_mov_b32_e32 v5, v42
	v_mov_b32_e32 v4, v0
	s_or_b64 exec, exec, s[2:3]
	s_and_saveexec_b64 s[2:3], s[6:7]
	s_cbranch_execz .LBB23_44
.LBB23_41:                              ;   in Loop: Header=BB23_6 Depth=1
	v_readlane_b32 s6, v52, 63
	v_mul_lo_u32 v2, s6, v1
	s_sub_i32 s9, 0, s8
	s_mov_b64 s[6:7], 0
.LBB23_42:                              ;   Parent Loop BB23_6 Depth=1
                                        ; =>  This Inner Loop Header: Depth=2
	global_load_ubyte v42, v2, s[48:49]
	v_mov_b32_e32 v6, v1
	v_add_u32_e32 v1, s8, v6
	v_cmp_le_u32_e32 vcc, s36, v1
	ds_write_b8 v4, v5
	v_add_u32_e32 v2, v2, v3
	s_or_b64 s[6:7], vcc, s[6:7]
	v_mov_b32_e32 v4, v6
	s_waitcnt vmcnt(0)
	v_mov_b32_e32 v5, v42
	s_andn2_b64 exec, exec, s[6:7]
	s_cbranch_execnz .LBB23_42
; %bb.43:                               ;   in Loop: Header=BB23_6 Depth=1
	s_or_b64 exec, exec, s[6:7]
	v_add_u32_e32 v2, s9, v1
.LBB23_44:                              ;   in Loop: Header=BB23_6 Depth=1
	s_or_b64 exec, exec, s[2:3]
.LBB23_45:                              ;   in Loop: Header=BB23_6 Depth=1
	s_or_b64 exec, exec, s[30:31]
	s_waitcnt vmcnt(0)
	ds_write_b8 v2, v42
.LBB23_46:                              ;   in Loop: Header=BB23_6 Depth=1
	s_or_b64 exec, exec, s[26:27]
	s_waitcnt lgkmcnt(0)
	s_barrier
	s_mov_b64 s[2:3], exec
	v_readlane_b32 s6, v52, 23
	v_readlane_b32 s7, v52, 24
	s_and_b64 s[6:7], s[2:3], s[6:7]
	s_mov_b64 exec, s[6:7]
; %bb.47:                               ;   in Loop: Header=BB23_6 Depth=1
	v_mov_b32_e32 v1, s36
	ds_write_b32 v23, v1 offset:4096
; %bb.48:                               ;   in Loop: Header=BB23_6 Depth=1
	s_or_b64 exec, exec, s[2:3]
	s_mov_b64 s[6:7], -1
	s_waitcnt lgkmcnt(0)
	s_barrier
.LBB23_49:                              ;   in Loop: Header=BB23_6 Depth=1
	s_mov_b32 s16, 0
	s_and_b64 vcc, exec, s[6:7]
	s_cbranch_vccz .LBB23_51
; %bb.50:                               ;   in Loop: Header=BB23_6 Depth=1
	ds_read_b32 v1, v23 offset:4096
	s_waitcnt lgkmcnt(0)
	v_readfirstlane_b32 s16, v1
.LBB23_51:                              ;   in Loop: Header=BB23_6 Depth=1
	s_cmp_lt_i32 s16, 1
	s_mov_b64 s[2:3], -1
                                        ; implicit-def: $vgpr4
	s_cbranch_scc0 .LBB23_63
; %bb.52:                               ;   in Loop: Header=BB23_6 Depth=1
	v_mov_b32_e32 v1, 0
	v_mov_b32_e32 v2, 0
	;; [unrolled: 1-line block ×4, first 2 shown]
	s_mov_b64 s[40:41], exec
	v_readlane_b32 s2, v52, 56
	v_readlane_b32 s3, v52, 57
	s_and_b64 s[2:3], s[40:41], s[2:3]
	s_mov_b64 exec, s[2:3]
	s_cbranch_execz .LBB23_56
; %bb.53:                               ;   in Loop: Header=BB23_6 Depth=1
	s_mov_b32 s2, 0
	s_mov_b64 s[42:43], 0
	s_mov_b32 s3, 0
	s_mov_b32 s8, 0
	;; [unrolled: 1-line block ×4, first 2 shown]
	v_mov_b32_e32 v5, v20
.LBB23_54:                              ;   Parent Loop BB23_6 Depth=1
                                        ; =>  This Inner Loop Header: Depth=2
	v_add_u32_e32 v1, s2, v34
	global_load_sbyte v1, v1, s[48:49]
	v_add_u32_e32 v2, s2, v31
	global_load_sbyte v2, v2, s[48:49]
	;; [unrolled: 2-line block ×4, first 2 shown]
	v_add_u32_e32 v5, s63, v5
	s_add_i32 s2, s2, s5
	s_waitcnt vmcnt(3)
	v_add_u32_e32 v1, 0x80, v1
	v_and_b32_e32 v6, v1, v38
	s_waitcnt vmcnt(2)
	v_add_u32_e32 v2, 0x80, v2
	v_bfe_u32 v1, v1, s10, 2
	s_waitcnt vmcnt(1)
	v_add_u32_e32 v3, 0x80, v3
	v_cmp_eq_u32_e32 vcc, v6, v30
	v_and_b32_e32 v6, v2, v38
	v_bfe_u32 v2, v2, s10, 2
	v_cmp_eq_u32_e64 s[34:35], 0, v1
	s_waitcnt vmcnt(0)
	v_add_u32_e32 v4, 0x80, v4
	v_cmp_eq_u32_e64 s[6:7], v6, v30
	v_and_b32_e32 v6, v3, v38
	v_bfe_u32 v3, v3, s10, 2
	s_and_b64 s[14:15], vcc, s[34:35]
	v_cmp_eq_u32_e64 s[34:35], 0, v2
	v_cmp_eq_u32_e64 s[26:27], v6, v30
	v_and_b32_e32 v6, v4, v38
	v_bfe_u32 v4, v4, s10, 2
	s_and_b64 s[22:23], s[6:7], s[34:35]
	v_cmp_eq_u32_e64 s[34:35], 0, v3
	v_cmp_eq_u32_e64 s[30:31], v6, v30
	s_and_b64 s[24:25], s[26:27], s[34:35]
	v_cmp_eq_u32_e64 s[34:35], 0, v4
	v_cndmask_b32_e64 v6, 0, 1, s[14:15]
	s_and_b64 s[28:29], s[30:31], s[34:35]
	v_cmp_ne_u32_e64 s[34:35], 0, v6
	v_cndmask_b32_e64 v6, 0, 1, s[22:23]
	s_bcnt1_i32_b64 s13, s[34:35]
	v_cmp_ne_u32_e64 s[34:35], 0, v6
	v_cndmask_b32_e64 v6, 0, 1, s[24:25]
	s_bcnt1_i32_b64 s14, s[34:35]
	;; [unrolled: 3-line block ×3, first 2 shown]
	v_cmp_ne_u32_e64 s[34:35], 0, v6
	s_add_i32 s12, s12, s13
	s_bcnt1_i32_b64 s17, s[34:35]
	s_add_i32 s12, s12, s14
	v_cmp_eq_u32_e64 s[34:35], 1, v1
	s_add_i32 s12, s12, s15
	s_and_b64 s[14:15], vcc, s[34:35]
	v_cmp_eq_u32_e64 s[34:35], 1, v2
	s_and_b64 s[22:23], s[6:7], s[34:35]
	v_cmp_eq_u32_e64 s[34:35], 1, v3
	s_and_b64 s[24:25], s[26:27], s[34:35]
	v_cmp_eq_u32_e64 s[34:35], 1, v4
	v_cndmask_b32_e64 v6, 0, 1, s[14:15]
	s_and_b64 s[28:29], s[30:31], s[34:35]
	v_cmp_ne_u32_e64 s[34:35], 0, v6
	v_cndmask_b32_e64 v6, 0, 1, s[22:23]
	s_bcnt1_i32_b64 s13, s[34:35]
	v_cmp_ne_u32_e64 s[34:35], 0, v6
	v_cndmask_b32_e64 v6, 0, 1, s[24:25]
	s_bcnt1_i32_b64 s14, s[34:35]
	;; [unrolled: 3-line block ×3, first 2 shown]
	v_cmp_ne_u32_e64 s[34:35], 0, v6
	s_add_i32 s9, s9, s13
	s_add_i32 s12, s12, s17
	s_bcnt1_i32_b64 s17, s[34:35]
	s_add_i32 s9, s9, s14
	v_cmp_eq_u32_e64 s[34:35], 2, v1
	s_add_i32 s9, s9, s15
	s_and_b64 s[14:15], vcc, s[34:35]
	v_cmp_eq_u32_e64 s[34:35], 2, v2
	s_and_b64 s[22:23], s[6:7], s[34:35]
	v_cmp_eq_u32_e64 s[34:35], 2, v3
	s_and_b64 s[24:25], s[26:27], s[34:35]
	v_cmp_eq_u32_e64 s[34:35], 2, v4
	v_cndmask_b32_e64 v6, 0, 1, s[14:15]
	s_and_b64 s[28:29], s[30:31], s[34:35]
	v_cmp_ne_u32_e64 s[34:35], 0, v6
	v_cndmask_b32_e64 v6, 0, 1, s[22:23]
	s_bcnt1_i32_b64 s13, s[34:35]
	v_cmp_ne_u32_e64 s[34:35], 0, v6
	v_cndmask_b32_e64 v6, 0, 1, s[24:25]
	s_bcnt1_i32_b64 s14, s[34:35]
	;; [unrolled: 3-line block ×3, first 2 shown]
	v_cmp_ne_u32_e64 s[34:35], 0, v6
	s_add_i32 s8, s8, s13
	s_add_i32 s9, s9, s17
	s_bcnt1_i32_b64 s17, s[34:35]
	s_add_i32 s8, s8, s14
	v_cmp_eq_u32_e64 s[34:35], 3, v1
	s_add_i32 s8, s8, s15
	s_and_b64 s[14:15], vcc, s[34:35]
	v_cmp_eq_u32_e32 vcc, 3, v2
	s_and_b64 s[6:7], s[6:7], vcc
	v_cmp_eq_u32_e32 vcc, 3, v3
	s_and_b64 s[22:23], s[26:27], vcc
	v_cmp_eq_u32_e32 vcc, 3, v4
	v_cndmask_b32_e64 v1, 0, 1, s[14:15]
	s_and_b64 s[24:25], s[30:31], vcc
	v_cmp_ne_u32_e32 vcc, 0, v1
	v_cndmask_b32_e64 v1, 0, 1, s[6:7]
	s_bcnt1_i32_b64 s13, vcc
	v_cmp_ne_u32_e32 vcc, 0, v1
	v_cndmask_b32_e64 v1, 0, 1, s[22:23]
	s_bcnt1_i32_b64 s6, vcc
	v_cmp_ne_u32_e32 vcc, 0, v1
	v_cndmask_b32_e64 v1, 0, 1, s[24:25]
	s_add_i32 s3, s3, s13
	s_bcnt1_i32_b64 s7, vcc
	v_cmp_ne_u32_e32 vcc, 0, v1
	s_add_i32 s3, s3, s6
	s_bcnt1_i32_b64 s14, vcc
	s_add_i32 s3, s3, s7
	s_add_i32 s8, s8, s17
	;; [unrolled: 1-line block ×3, first 2 shown]
	v_cmp_le_u32_e32 vcc, s11, v5
	s_or_b64 s[42:43], vcc, s[42:43]
	v_mov_b32_e32 v1, s12
	v_mov_b32_e32 v2, s9
	;; [unrolled: 1-line block ×4, first 2 shown]
	s_andn2_b64 exec, exec, s[42:43]
	s_cbranch_execnz .LBB23_54
; %bb.55:                               ;   in Loop: Header=BB23_6 Depth=1
	s_or_b64 exec, exec, s[42:43]
.LBB23_56:                              ;   in Loop: Header=BB23_6 Depth=1
	s_or_b64 exec, exec, s[40:41]
	s_mov_b64 s[2:3], exec
	v_readlane_b32 s6, v52, 58
	v_readlane_b32 s7, v52, 59
	s_and_b64 s[6:7], s[2:3], s[6:7]
	s_mov_b64 exec, s[6:7]
	s_cbranch_execz .LBB23_62
; %bb.57:                               ;   in Loop: Header=BB23_6 Depth=1
	global_load_ubyte v8, v[15:16], off
	s_mov_b64 s[12:13], 0
	v_mov_b32_e32 v5, v35
	v_mov_b32_e32 v6, v28
	s_branch .LBB23_59
.LBB23_58:                              ;   in Loop: Header=BB23_59 Depth=2
	s_or_b64 exec, exec, s[8:9]
	s_waitcnt vmcnt(0)
	v_add_u32_sdwa v8, sext(v8), s18 dst_sel:DWORD dst_unused:UNUSED_PAD src0_sel:BYTE_0 src1_sel:DWORD
	s_and_b64 s[6:7], exec, vcc
	v_and_b32_e32 v9, v8, v38
	v_bfe_u32 v8, v8, s10, 2
	s_or_b64 s[12:13], s[6:7], s[12:13]
	v_cmp_eq_u32_e32 vcc, v9, v30
	v_cmp_eq_u32_e64 s[6:7], 0, v8
	s_and_b64 s[6:7], vcc, s[6:7]
	v_cndmask_b32_e64 v9, 0, 1, s[6:7]
	v_cmp_ne_u32_e64 s[6:7], 0, v9
	s_bcnt1_i32_b64 s6, s[6:7]
	v_add_u32_e32 v1, s6, v1
	v_cmp_eq_u32_e64 s[6:7], 1, v8
	s_and_b64 s[6:7], vcc, s[6:7]
	v_cndmask_b32_e64 v9, 0, 1, s[6:7]
	v_cmp_ne_u32_e64 s[6:7], 0, v9
	s_bcnt1_i32_b64 s6, s[6:7]
	v_add_u32_e32 v2, s6, v2
	;; [unrolled: 6-line block ×3, first 2 shown]
	v_cmp_eq_u32_e64 s[6:7], 3, v8
	s_and_b64 s[6:7], vcc, s[6:7]
	v_cndmask_b32_e64 v8, 0, 1, s[6:7]
	v_cmp_ne_u32_e32 vcc, 0, v8
	s_bcnt1_i32_b64 s6, vcc
	v_add_u32_e32 v4, s6, v4
	v_add_u32_e32 v5, s61, v5
	v_mov_b32_e32 v8, v7
	s_andn2_b64 exec, exec, s[12:13]
	s_cbranch_execz .LBB23_61
.LBB23_59:                              ;   Parent Loop BB23_6 Depth=1
                                        ; =>  This Inner Loop Header: Depth=2
	v_add_u32_e32 v6, s33, v6
	v_cmp_gt_u32_e64 s[6:7], s36, v6
	v_cmp_le_u32_e32 vcc, s36, v6
	v_mov_b32_e32 v7, 0
	s_and_saveexec_b64 s[8:9], s[6:7]
	s_cbranch_execz .LBB23_58
; %bb.60:                               ;   in Loop: Header=BB23_59 Depth=2
	global_load_ubyte v7, v5, s[48:49]
	s_branch .LBB23_58
.LBB23_61:                              ;   in Loop: Header=BB23_6 Depth=1
	s_or_b64 exec, exec, s[12:13]
.LBB23_62:                              ;   in Loop: Header=BB23_6 Depth=1
	s_or_b64 exec, exec, s[2:3]
	s_mov_b64 s[2:3], 0
.LBB23_63:                              ;   in Loop: Header=BB23_6 Depth=1
	s_and_b64 vcc, exec, s[2:3]
	s_cbranch_vccz .LBB23_73
; %bb.64:                               ;   in Loop: Header=BB23_6 Depth=1
	v_readlane_b32 s2, v52, 55
	s_mul_hi_u32 s2, s16, s2
	s_mul_i32 s2, s2, s63
	s_sub_i32 s2, s16, s2
	s_sub_i32 s3, s2, s63
	s_cmp_ge_u32 s2, s63
	s_cselect_b32 s2, s3, s2
	s_sub_i32 s3, s2, s63
	s_cmp_ge_u32 s2, s63
	s_cselect_b32 s2, s3, s2
	s_sub_i32 s2, s16, s2
	v_cmp_gt_u32_e32 vcc, s2, v20
	v_mov_b32_e32 v1, 0
	v_mov_b32_e32 v2, 0
	;; [unrolled: 1-line block ×4, first 2 shown]
	s_and_saveexec_b64 s[40:41], vcc
	s_cbranch_execz .LBB23_68
; %bb.65:                               ;   in Loop: Header=BB23_6 Depth=1
	s_mov_b32 s3, 0
	s_mov_b64 s[42:43], 0
	s_mov_b32 s8, 0
	s_mov_b32 s9, 0
	;; [unrolled: 1-line block ×3, first 2 shown]
	v_mov_b32_e32 v5, v20
.LBB23_66:                              ;   Parent Loop BB23_6 Depth=1
                                        ; =>  This Inner Loop Header: Depth=2
	ds_read_b32 v1, v5
	v_add_u32_e32 v5, s63, v5
	s_waitcnt lgkmcnt(0)
	v_add_u32_sdwa v2, sext(v1), s18 dst_sel:DWORD dst_unused:UNUSED_PAD src0_sel:BYTE_0 src1_sel:DWORD
	v_add_u32_sdwa v3, sext(v1), s18 dst_sel:DWORD dst_unused:UNUSED_PAD src0_sel:BYTE_1 src1_sel:DWORD
	v_and_b32_e32 v6, v2, v38
	v_bfe_u32 v2, v2, s10, 2
	v_add_u32_sdwa v4, sext(v1), s18 dst_sel:DWORD dst_unused:UNUSED_PAD src0_sel:BYTE_2 src1_sel:DWORD
	v_cmp_eq_u32_e32 vcc, v6, v30
	v_and_b32_e32 v6, v3, v38
	v_bfe_u32 v3, v3, s10, 2
	v_cmp_eq_u32_e64 s[34:35], 0, v2
	v_add_u32_sdwa v1, sext(v1), s18 dst_sel:DWORD dst_unused:UNUSED_PAD src0_sel:BYTE_3 src1_sel:DWORD
	v_cmp_eq_u32_e64 s[6:7], v6, v30
	v_and_b32_e32 v6, v4, v38
	v_bfe_u32 v4, v4, s10, 2
	s_and_b64 s[14:15], vcc, s[34:35]
	v_cmp_eq_u32_e64 s[34:35], 0, v3
	v_cmp_eq_u32_e64 s[26:27], v6, v30
	v_and_b32_e32 v6, v1, v38
	v_bfe_u32 v1, v1, s10, 2
	s_and_b64 s[22:23], s[6:7], s[34:35]
	v_cmp_eq_u32_e64 s[34:35], 0, v4
	v_cmp_eq_u32_e64 s[30:31], v6, v30
	s_and_b64 s[24:25], s[26:27], s[34:35]
	v_cmp_eq_u32_e64 s[34:35], 0, v1
	v_cndmask_b32_e64 v6, 0, 1, s[14:15]
	s_and_b64 s[28:29], s[30:31], s[34:35]
	v_cmp_ne_u32_e64 s[34:35], 0, v6
	v_cndmask_b32_e64 v6, 0, 1, s[22:23]
	s_bcnt1_i32_b64 s13, s[34:35]
	v_cmp_ne_u32_e64 s[34:35], 0, v6
	v_cndmask_b32_e64 v6, 0, 1, s[24:25]
	s_bcnt1_i32_b64 s14, s[34:35]
	;; [unrolled: 3-line block ×3, first 2 shown]
	v_cmp_ne_u32_e64 s[34:35], 0, v6
	s_add_i32 s12, s12, s13
	s_bcnt1_i32_b64 s17, s[34:35]
	s_add_i32 s12, s12, s14
	v_cmp_eq_u32_e64 s[34:35], 1, v2
	s_add_i32 s12, s12, s15
	s_and_b64 s[14:15], vcc, s[34:35]
	v_cmp_eq_u32_e64 s[34:35], 1, v3
	s_and_b64 s[22:23], s[6:7], s[34:35]
	v_cmp_eq_u32_e64 s[34:35], 1, v4
	s_and_b64 s[24:25], s[26:27], s[34:35]
	v_cmp_eq_u32_e64 s[34:35], 1, v1
	v_cndmask_b32_e64 v6, 0, 1, s[14:15]
	s_and_b64 s[28:29], s[30:31], s[34:35]
	v_cmp_ne_u32_e64 s[34:35], 0, v6
	v_cndmask_b32_e64 v6, 0, 1, s[22:23]
	s_bcnt1_i32_b64 s13, s[34:35]
	v_cmp_ne_u32_e64 s[34:35], 0, v6
	v_cndmask_b32_e64 v6, 0, 1, s[24:25]
	s_bcnt1_i32_b64 s14, s[34:35]
	;; [unrolled: 3-line block ×3, first 2 shown]
	v_cmp_ne_u32_e64 s[34:35], 0, v6
	s_add_i32 s9, s9, s13
	s_add_i32 s12, s12, s17
	s_bcnt1_i32_b64 s17, s[34:35]
	s_add_i32 s9, s9, s14
	v_cmp_eq_u32_e64 s[34:35], 2, v2
	s_add_i32 s9, s9, s15
	s_and_b64 s[14:15], vcc, s[34:35]
	v_cmp_eq_u32_e64 s[34:35], 2, v3
	s_and_b64 s[22:23], s[6:7], s[34:35]
	v_cmp_eq_u32_e64 s[34:35], 2, v4
	s_and_b64 s[24:25], s[26:27], s[34:35]
	v_cmp_eq_u32_e64 s[34:35], 2, v1
	v_cndmask_b32_e64 v6, 0, 1, s[14:15]
	s_and_b64 s[28:29], s[30:31], s[34:35]
	v_cmp_ne_u32_e64 s[34:35], 0, v6
	v_cndmask_b32_e64 v6, 0, 1, s[22:23]
	s_bcnt1_i32_b64 s13, s[34:35]
	v_cmp_ne_u32_e64 s[34:35], 0, v6
	v_cndmask_b32_e64 v6, 0, 1, s[24:25]
	s_bcnt1_i32_b64 s14, s[34:35]
	;; [unrolled: 3-line block ×3, first 2 shown]
	v_cmp_ne_u32_e64 s[34:35], 0, v6
	s_add_i32 s8, s8, s13
	s_add_i32 s9, s9, s17
	s_bcnt1_i32_b64 s17, s[34:35]
	s_add_i32 s8, s8, s14
	v_cmp_eq_u32_e64 s[34:35], 3, v2
	s_add_i32 s8, s8, s15
	s_and_b64 s[14:15], vcc, s[34:35]
	v_cmp_eq_u32_e32 vcc, 3, v3
	s_and_b64 s[6:7], s[6:7], vcc
	v_cmp_eq_u32_e32 vcc, 3, v4
	s_and_b64 s[22:23], s[26:27], vcc
	v_cmp_eq_u32_e32 vcc, 3, v1
	v_cndmask_b32_e64 v1, 0, 1, s[14:15]
	s_and_b64 s[24:25], s[30:31], vcc
	v_cmp_ne_u32_e32 vcc, 0, v1
	v_cndmask_b32_e64 v1, 0, 1, s[6:7]
	s_bcnt1_i32_b64 s13, vcc
	v_cmp_ne_u32_e32 vcc, 0, v1
	v_cndmask_b32_e64 v1, 0, 1, s[22:23]
	s_bcnt1_i32_b64 s6, vcc
	v_cmp_ne_u32_e32 vcc, 0, v1
	v_cndmask_b32_e64 v1, 0, 1, s[24:25]
	s_add_i32 s3, s3, s13
	s_bcnt1_i32_b64 s7, vcc
	v_cmp_ne_u32_e32 vcc, 0, v1
	s_add_i32 s3, s3, s6
	s_bcnt1_i32_b64 s14, vcc
	s_add_i32 s3, s3, s7
	s_add_i32 s8, s8, s17
	;; [unrolled: 1-line block ×3, first 2 shown]
	v_cmp_le_u32_e32 vcc, s2, v5
	s_or_b64 s[42:43], vcc, s[42:43]
	v_mov_b32_e32 v1, s12
	v_mov_b32_e32 v2, s9
	;; [unrolled: 1-line block ×4, first 2 shown]
	s_andn2_b64 exec, exec, s[42:43]
	s_cbranch_execnz .LBB23_66
; %bb.67:                               ;   in Loop: Header=BB23_6 Depth=1
	s_or_b64 exec, exec, s[42:43]
.LBB23_68:                              ;   in Loop: Header=BB23_6 Depth=1
	s_or_b64 exec, exec, s[40:41]
	v_add_u32_e32 v5, s2, v0
	v_cmp_gt_u32_e32 vcc, s16, v5
	s_and_saveexec_b64 s[12:13], vcc
	s_cbranch_execz .LBB23_72
; %bb.69:                               ;   in Loop: Header=BB23_6 Depth=1
	s_mov_b64 s[14:15], 0
.LBB23_70:                              ;   Parent Loop BB23_6 Depth=1
                                        ; =>  This Inner Loop Header: Depth=2
	ds_read_i8 v6, v5
	v_add_u32_e32 v5, s33, v5
	s_waitcnt lgkmcnt(0)
	v_add_u32_e32 v6, 0x80, v6
	v_and_b32_e32 v7, v6, v38
	v_bfe_u32 v6, v6, s10, 2
	v_cmp_eq_u32_e32 vcc, v7, v30
	v_cmp_eq_u32_e64 s[6:7], 0, v6
	s_and_b64 s[2:3], vcc, s[6:7]
	v_cndmask_b32_e64 v7, 0, 1, s[2:3]
	v_cmp_ne_u32_e64 s[6:7], 0, v7
	s_bcnt1_i32_b64 s2, s[6:7]
	v_cmp_eq_u32_e64 s[6:7], 1, v6
	v_add_u32_e32 v1, s2, v1
	s_and_b64 s[2:3], vcc, s[6:7]
	v_cndmask_b32_e64 v7, 0, 1, s[2:3]
	v_cmp_ne_u32_e64 s[6:7], 0, v7
	s_bcnt1_i32_b64 s2, s[6:7]
	v_cmp_eq_u32_e64 s[6:7], 2, v6
	v_add_u32_e32 v2, s2, v2
	;; [unrolled: 6-line block ×3, first 2 shown]
	s_and_b64 s[2:3], vcc, s[6:7]
	v_cndmask_b32_e64 v6, 0, 1, s[2:3]
	v_cmp_ne_u32_e32 vcc, 0, v6
	s_bcnt1_i32_b64 s2, vcc
	v_cmp_le_u32_e32 vcc, s16, v5
	v_add_u32_e32 v4, s2, v4
	s_or_b64 s[14:15], vcc, s[14:15]
	s_andn2_b64 exec, exec, s[14:15]
	s_cbranch_execnz .LBB23_70
; %bb.71:                               ;   in Loop: Header=BB23_6 Depth=1
	s_or_b64 exec, exec, s[14:15]
.LBB23_72:                              ;   in Loop: Header=BB23_6 Depth=1
	s_or_b64 exec, exec, s[12:13]
.LBB23_73:                              ;   in Loop: Header=BB23_6 Depth=1
	v_readlane_b32 s2, v52, 14
	s_lshl_b32 s8, s2, 6
	s_and_saveexec_b64 s[2:3], s[0:1]
; %bb.74:                               ;   in Loop: Header=BB23_6 Depth=1
	v_lshl_add_u32 v5, s8, 2, v24
	ds_write_b128 v5, v[1:4]
; %bb.75:                               ;   in Loop: Header=BB23_6 Depth=1
	s_or_b64 exec, exec, s[2:3]
	s_waitcnt lgkmcnt(0)
	s_barrier
	s_mov_b64 s[6:7], exec
	v_readlane_b32 s2, v52, 30
	v_readlane_b32 s3, v52, 31
	s_and_b64 s[2:3], s[6:7], s[2:3]
	s_mov_b64 exec, s[2:3]
	s_cbranch_execz .LBB23_86
; %bb.76:                               ;   in Loop: Header=BB23_6 Depth=1
	v_readlane_b32 s2, v52, 36
	v_readlane_b32 s3, v52, 37
	v_mov_b32_e32 v1, 0
	s_andn2_b64 vcc, exec, s[2:3]
	s_cbranch_vccnz .LBB23_85
; %bb.77:                               ;   in Loop: Header=BB23_6 Depth=1
	v_readlane_b32 s2, v52, 50
	v_readlane_b32 s3, v52, 51
	s_andn2_b64 vcc, exec, s[2:3]
	s_cbranch_vccnz .LBB23_81
; %bb.78:                               ;   in Loop: Header=BB23_6 Depth=1
	v_readlane_b32 s2, v52, 14
	v_lshl_add_u32 v2, s2, 8, v36
	s_mov_b32 s2, 0
	v_mov_b32_e32 v1, 0
.LBB23_79:                              ;   Parent Loop BB23_6 Depth=1
                                        ; =>  This Inner Loop Header: Depth=2
	ds_read2_b32 v[3:4], v2 offset1:4
	ds_read2_b32 v[5:6], v2 offset0:8 offset1:12
	s_add_i32 s2, s2, 8
	s_cmp_eq_u32 s21, s2
	s_waitcnt lgkmcnt(1)
	v_add3_u32 v1, v3, v1, v4
	ds_read2_b32 v[3:4], v2 offset0:16 offset1:20
	s_waitcnt lgkmcnt(1)
	v_add3_u32 v1, v5, v1, v6
	s_waitcnt lgkmcnt(0)
	v_add3_u32 v1, v3, v1, v4
	ds_read2_b32 v[3:4], v2 offset0:24 offset1:28
	v_add_u32_e32 v2, 0x80, v2
	s_waitcnt lgkmcnt(0)
	v_add3_u32 v1, v3, v1, v4
	s_cbranch_scc0 .LBB23_79
; %bb.80:                               ;   in Loop: Header=BB23_6 Depth=1
	s_mov_b32 s2, s21
	s_branch .LBB23_82
.LBB23_81:                              ;   in Loop: Header=BB23_6 Depth=1
	v_mov_b32_e32 v1, 0
	s_mov_b32 s2, 0
.LBB23_82:                              ;   in Loop: Header=BB23_6 Depth=1
	v_readlane_b32 s12, v52, 53
	v_readlane_b32 s13, v52, 54
	s_andn2_b64 vcc, exec, s[12:13]
	s_cbranch_vccnz .LBB23_85
; %bb.83:                               ;   in Loop: Header=BB23_6 Depth=1
	v_readlane_b32 s3, v52, 14
	s_lshl_b32 s3, s3, 8
	s_lshl_b32 s2, s2, 4
	s_add_i32 s3, s3, s2
	v_add_u32_e32 v2, s3, v36
	v_readlane_b32 s2, v52, 52
.LBB23_84:                              ;   Parent Loop BB23_6 Depth=1
                                        ; =>  This Inner Loop Header: Depth=2
	ds_read_b32 v3, v2
	s_add_i32 s2, s2, -1
	v_add_u32_e32 v2, 16, v2
	s_cmp_lg_u32 s2, 0
	s_waitcnt lgkmcnt(0)
	v_add_u32_e32 v1, v3, v1
	s_cbranch_scc1 .LBB23_84
.LBB23_85:                              ;   in Loop: Header=BB23_6 Depth=1
	v_add_lshl_u32 v2, s8, v21, 2
	ds_write_b32 v2, v1 offset:3072
.LBB23_86:                              ;   in Loop: Header=BB23_6 Depth=1
	s_or_b64 exec, exec, s[6:7]
	s_lshl_b32 s2, s8, 2
	v_mov_b32_e32 v1, s2
	s_waitcnt lgkmcnt(0)
	s_barrier
	ds_read_b128 v[1:4], v1 offset:3072
	v_readlane_b32 s2, v52, 28
	s_lshl_b32 s38, 3, s10
	v_readlane_b32 s3, v52, 29
	s_not_b32 s39, s38
	s_waitcnt lgkmcnt(0)
	v_readfirstlane_b32 s60, v1
	v_readfirstlane_b32 s58, v2
	;; [unrolled: 1-line block ×4, first 2 shown]
	v_cmp_eq_u32_e64 s[26:27], 1, v40
	s_mov_b64 s[52:53], -1
	s_mov_b64 s[30:31], 0
	s_andn2_b64 vcc, exec, s[2:3]
	s_mov_b64 s[92:93], 0
	s_mov_b64 s[34:35], 0
                                        ; implicit-def: $sgpr94_sgpr95
                                        ; implicit-def: $sgpr50_sgpr51
                                        ; implicit-def: $vgpr4
                                        ; implicit-def: $vgpr1
                                        ; implicit-def: $vgpr3
                                        ; implicit-def: $vgpr2
                                        ; implicit-def: $vgpr5
	s_cbranch_vccnz .LBB23_244
; %bb.87:                               ;   in Loop: Header=BB23_6 Depth=1
	s_cmp_eq_u32 s60, 1
	s_cselect_b64 s[2:3], -1, 0
	s_and_b64 s[6:7], s[2:3], s[26:27]
	s_mov_b64 s[2:3], -1
	v_mov_b32_e32 v3, v30
	v_mov_b32_e32 v2, v38
	;; [unrolled: 1-line block ×3, first 2 shown]
                                        ; implicit-def: $sgpr50_sgpr51
                                        ; implicit-def: $sgpr94_sgpr95
	s_and_saveexec_b64 s[12:13], s[6:7]
	s_cbranch_execz .LBB23_113
; %bb.88:                               ;   in Loop: Header=BB23_6 Depth=1
	ds_read_b32 v1, v23 offset:4096
	s_waitcnt lgkmcnt(0)
	s_barrier
	v_readfirstlane_b32 s8, v1
	s_mov_b64 s[2:3], exec
	v_readlane_b32 s14, v52, 38
	v_readlane_b32 s15, v52, 39
	s_and_b64 s[14:15], s[2:3], s[14:15]
	s_mov_b64 exec, s[14:15]
; %bb.89:                               ;   in Loop: Header=BB23_6 Depth=1
	ds_write_b8 v0, v23 offset:3072
; %bb.90:                               ;   in Loop: Header=BB23_6 Depth=1
	s_or_b64 exec, exec, s[2:3]
	v_and_b32_e32 v3, s39, v30
	v_or_b32_e32 v2, s38, v38
	s_mov_b64 s[94:95], -1
	s_mov_b64 s[50:51], 0
	s_cmp_eq_u32 s8, 0
	s_mov_b64 s[2:3], 0
	s_mov_b64 s[14:15], -1
	s_waitcnt lgkmcnt(0)
	s_barrier
                                        ; implicit-def: $vgpr5
	s_cbranch_scc1 .LBB23_101
; %bb.91:                               ;   in Loop: Header=BB23_6 Depth=1
	v_readlane_b32 s2, v52, 40
	s_add_i32 s2, s8, s2
	v_readlane_b32 s3, v52, 60
	s_mul_hi_u32 s3, s2, s3
	s_mul_i32 s3, s3, s33
	s_sub_i32 s3, s2, s3
	s_sub_i32 s9, s3, s33
	s_cmp_ge_u32 s3, s33
	s_cselect_b32 s3, s9, s3
	s_sub_i32 s9, s3, s33
	s_cmp_ge_u32 s3, s33
	s_cselect_b32 s3, s9, s3
	s_sub_i32 s9, s2, s3
	v_cmp_gt_u32_e32 vcc, s9, v0
	s_mov_b64 s[14:15], 0
	s_mov_b64 s[2:3], 0
                                        ; implicit-def: $vgpr5
	s_and_saveexec_b64 s[16:17], vcc
	s_cbranch_execz .LBB23_100
; %bb.92:                               ;   in Loop: Header=BB23_6 Depth=1
	v_mov_b32_e32 v1, v0
                                        ; implicit-def: $sgpr24_sgpr25
	s_branch .LBB23_95
.LBB23_93:                              ;   in Loop: Header=BB23_95 Depth=2
	s_or_b64 exec, exec, s[22:23]
	s_waitcnt lgkmcnt(0)
	s_barrier
	ds_read_u16 v4, v23 offset:3072
	s_mov_b64 s[22:23], -1
	s_waitcnt lgkmcnt(0)
	s_barrier
	v_cmp_ne_u32_sdwa s[28:29], v4, v23 src0_sel:BYTE_0 src1_sel:DWORD
	s_and_b64 vcc, exec, s[28:29]
	s_mov_b64 s[28:29], -1
	s_cbranch_vccz .LBB23_98
.LBB23_94:                              ;   in Loop: Header=BB23_95 Depth=2
	s_and_b64 s[22:23], exec, s[22:23]
	s_or_b64 s[2:3], s[22:23], s[2:3]
	s_andn2_b64 s[22:23], s[24:25], exec
	s_and_b64 s[24:25], s[28:29], exec
	s_or_b64 s[24:25], s[22:23], s[24:25]
	s_andn2_b64 exec, exec, s[2:3]
	s_cbranch_execz .LBB23_99
.LBB23_95:                              ;   Parent Loop BB23_6 Depth=1
                                        ; =>  This Inner Loop Header: Depth=2
	v_cmp_gt_u32_e32 vcc, s8, v1
	s_and_saveexec_b64 s[22:23], vcc
	s_cbranch_execz .LBB23_93
; %bb.96:                               ;   in Loop: Header=BB23_95 Depth=2
	ds_read_u8 v4, v1
	s_waitcnt lgkmcnt(0)
	v_add_u32_sdwa v5, sext(v4), s18 dst_sel:DWORD dst_unused:UNUSED_PAD src0_sel:BYTE_0 src1_sel:DWORD
	v_and_b32_e32 v5, v5, v2
	v_cmp_eq_u32_e32 vcc, v5, v3
	s_and_b64 exec, exec, vcc
	s_cbranch_execz .LBB23_93
; %bb.97:                               ;   in Loop: Header=BB23_95 Depth=2
	v_lshlrev_b16_e32 v4, 8, v4
	v_or_b32_e32 v4, 1, v4
	ds_write_b16 v23, v4 offset:3072
	s_branch .LBB23_93
.LBB23_98:                              ;   in Loop: Header=BB23_95 Depth=2
	v_add_u32_e32 v1, s33, v1
	v_cmp_le_u32_e32 vcc, s9, v1
	s_mov_b64 s[28:29], 0
	s_orn2_b64 s[22:23], vcc, exec
	s_branch .LBB23_94
.LBB23_99:                              ;   in Loop: Header=BB23_6 Depth=1
	s_or_b64 exec, exec, s[2:3]
	v_lshrrev_b32_sdwa v5, v37, v4 dst_sel:DWORD dst_unused:UNUSED_PAD src0_sel:DWORD src1_sel:WORD_0
	s_and_b64 s[2:3], s[24:25], exec
.LBB23_100:                             ;   in Loop: Header=BB23_6 Depth=1
	s_or_b64 exec, exec, s[16:17]
.LBB23_101:                             ;   in Loop: Header=BB23_6 Depth=1
	s_and_b64 vcc, exec, s[14:15]
	s_cbranch_vccz .LBB23_112
; %bb.102:                              ;   in Loop: Header=BB23_6 Depth=1
                                        ; implicit-def: $vgpr5
	s_mov_b64 s[14:15], exec
	v_readlane_b32 s8, v52, 61
	v_readlane_b32 s9, v52, 62
	s_and_b64 s[8:9], s[14:15], s[8:9]
	s_mov_b64 exec, s[8:9]
	s_cbranch_execz .LBB23_111
; %bb.103:                              ;   in Loop: Header=BB23_6 Depth=1
	s_mov_b64 s[16:17], 0
	v_mov_b32_e32 v1, v22
	v_mov_b32_e32 v4, v0
                                        ; implicit-def: $sgpr24_sgpr25
	s_branch .LBB23_106
.LBB23_104:                             ;   in Loop: Header=BB23_106 Depth=2
	s_or_b64 exec, exec, s[22:23]
	s_waitcnt lgkmcnt(0)
	s_barrier
	ds_read_u16 v5, v23 offset:3072
	s_mov_b64 s[22:23], -1
	s_mov_b64 s[28:29], -1
	s_waitcnt lgkmcnt(0)
	s_barrier
	v_cmp_ne_u32_sdwa s[8:9], v5, v23 src0_sel:BYTE_0 src1_sel:DWORD
	s_and_b64 vcc, exec, s[8:9]
	s_cbranch_vccz .LBB23_109
.LBB23_105:                             ;   in Loop: Header=BB23_106 Depth=2
	s_and_b64 s[8:9], exec, s[22:23]
	s_or_b64 s[16:17], s[8:9], s[16:17]
	s_andn2_b64 s[8:9], s[24:25], exec
	s_and_b64 s[22:23], s[28:29], exec
	s_or_b64 s[24:25], s[8:9], s[22:23]
	s_andn2_b64 exec, exec, s[16:17]
	s_cbranch_execz .LBB23_110
.LBB23_106:                             ;   Parent Loop BB23_6 Depth=1
                                        ; =>  This Inner Loop Header: Depth=2
	v_cmp_gt_u32_e32 vcc, s36, v4
	s_and_saveexec_b64 s[22:23], vcc
	s_cbranch_execz .LBB23_104
; %bb.107:                              ;   in Loop: Header=BB23_106 Depth=2
	global_load_ubyte v5, v1, s[48:49]
	s_waitcnt vmcnt(0)
	v_add_u32_sdwa v6, sext(v5), s18 dst_sel:DWORD dst_unused:UNUSED_PAD src0_sel:BYTE_0 src1_sel:DWORD
	v_and_b32_e32 v6, v6, v2
	v_cmp_eq_u32_e32 vcc, v6, v3
	s_and_b64 exec, exec, vcc
	s_cbranch_execz .LBB23_104
; %bb.108:                              ;   in Loop: Header=BB23_106 Depth=2
	v_lshlrev_b16_e32 v5, 8, v5
	v_or_b32_e32 v5, 1, v5
	ds_write_b16 v23, v5 offset:3072
	s_branch .LBB23_104
.LBB23_109:                             ;   in Loop: Header=BB23_106 Depth=2
	v_add_u32_e32 v4, s33, v4
	v_cmp_le_u32_e32 vcc, s4, v4
	v_add_u32_e32 v1, s61, v1
	s_mov_b64 s[28:29], 0
	s_orn2_b64 s[22:23], vcc, exec
	s_branch .LBB23_105
.LBB23_110:                             ;   in Loop: Header=BB23_6 Depth=1
	s_or_b64 exec, exec, s[16:17]
	s_andn2_b64 s[2:3], s[2:3], exec
	s_and_b64 s[8:9], s[24:25], exec
	v_lshrrev_b32_sdwa v5, v37, v5 dst_sel:DWORD dst_unused:UNUSED_PAD src0_sel:DWORD src1_sel:WORD_0
	s_or_b64 s[2:3], s[2:3], s[8:9]
.LBB23_111:                             ;   in Loop: Header=BB23_6 Depth=1
	s_or_b64 exec, exec, s[14:15]
	s_mov_b64 s[94:95], 0
	s_mov_b64 s[50:51], -1
.LBB23_112:                             ;   in Loop: Header=BB23_6 Depth=1
	s_orn2_b64 s[2:3], s[2:3], exec
.LBB23_113:                             ;   in Loop: Header=BB23_6 Depth=1
	s_or_b64 exec, exec, s[12:13]
	s_mov_b64 s[52:53], 0
	s_mov_b64 s[92:93], 0
	s_mov_b64 s[34:35], 0
                                        ; implicit-def: $vgpr4
                                        ; implicit-def: $vgpr1
	s_and_saveexec_b64 s[40:41], s[2:3]
	s_cbranch_execz .LBB23_243
; %bb.114:                              ;   in Loop: Header=BB23_6 Depth=1
	s_xor_b64 s[8:9], s[6:7], -1
	s_mov_b64 s[6:7], 0
	v_mov_b32_e32 v4, 1
	v_mov_b32_e32 v1, 1
	s_and_saveexec_b64 s[2:3], s[8:9]
	s_cbranch_execz .LBB23_123
; %bb.115:                              ;   in Loop: Header=BB23_6 Depth=1
	v_cmp_ge_u32_e32 vcc, s60, v40
	s_and_saveexec_b64 s[6:7], vcc
	s_xor_b64 s[6:7], exec, s[6:7]
	s_cbranch_execz .LBB23_120
; %bb.116:                              ;   in Loop: Header=BB23_6 Depth=1
	ds_read_b32 v1, v23 offset:4096
	v_and_b32_e32 v3, s39, v3
	v_or_b32_e32 v2, s38, v2
	s_waitcnt lgkmcnt(0)
	v_cmp_ne_u32_e32 vcc, 0, v1
	s_cbranch_vccnz .LBB23_120
; %bb.117:                              ;   in Loop: Header=BB23_6 Depth=1
	s_mov_b64 s[8:9], exec
	v_readlane_b32 s12, v52, 23
	v_readlane_b32 s13, v52, 24
	s_and_b64 s[12:13], s[8:9], s[12:13]
	s_mov_b64 exec, s[12:13]
; %bb.118:                              ;   in Loop: Header=BB23_6 Depth=1
	v_mov_b32_e32 v1, s60
	ds_write_b32 v23, v1 offset:4100
; %bb.119:                              ;   in Loop: Header=BB23_6 Depth=1
	s_or_b64 exec, exec, s[8:9]
	s_waitcnt lgkmcnt(0)
	s_barrier
.LBB23_120:                             ;   in Loop: Header=BB23_6 Depth=1
	s_or_saveexec_b64 s[6:7], s[6:7]
	s_mov_b64 s[12:13], 0
	v_mov_b32_e32 v1, 8
	v_mov_b32_e32 v4, v40
	s_xor_b64 exec, exec, s[6:7]
; %bb.121:                              ;   in Loop: Header=BB23_6 Depth=1
	s_mov_b64 s[12:13], exec
	v_subrev_u32_e32 v4, s60, v40
	v_mov_b32_e32 v1, 0
; %bb.122:                              ;   in Loop: Header=BB23_6 Depth=1
	s_or_b64 exec, exec, s[6:7]
	s_and_b64 s[6:7], s[12:13], exec
.LBB23_123:                             ;   in Loop: Header=BB23_6 Depth=1
	s_or_b64 exec, exec, s[2:3]
	s_mov_b64 s[2:3], -1
                                        ; implicit-def: $sgpr34_sgpr35
                                        ; implicit-def: $sgpr42_sgpr43
	s_and_saveexec_b64 s[8:9], s[6:7]
	s_xor_b64 s[6:7], exec, s[8:9]
	s_cbranch_execz .LBB23_240
; %bb.124:                              ;   in Loop: Header=BB23_6 Depth=1
	s_cmp_eq_u32 s58, 1
	s_cselect_b64 s[2:3], -1, 0
	v_cmp_eq_u32_e32 vcc, 1, v4
	s_and_b64 s[12:13], s[2:3], vcc
	s_mov_b64 s[2:3], -1
                                        ; implicit-def: $sgpr42_sgpr43
                                        ; implicit-def: $sgpr34_sgpr35
	s_and_saveexec_b64 s[14:15], s[12:13]
	s_cbranch_execz .LBB23_150
; %bb.125:                              ;   in Loop: Header=BB23_6 Depth=1
	ds_read_b32 v5, v23 offset:4096
	s_waitcnt lgkmcnt(0)
	s_barrier
	v_readfirstlane_b32 s8, v5
	s_mov_b64 s[2:3], exec
	v_readlane_b32 s16, v52, 38
	v_readlane_b32 s17, v52, 39
	s_and_b64 s[16:17], s[2:3], s[16:17]
	s_mov_b64 exec, s[16:17]
; %bb.126:                              ;   in Loop: Header=BB23_6 Depth=1
	ds_write_b8 v0, v23 offset:3072
; %bb.127:                              ;   in Loop: Header=BB23_6 Depth=1
	s_or_b64 exec, exec, s[2:3]
	v_and_b32_e32 v3, s39, v3
	v_lshl_or_b32 v3, 1, s10, v3
	v_or_b32_e32 v2, s38, v2
	s_mov_b64 s[34:35], -1
	s_mov_b64 s[42:43], 0
	s_cmp_eq_u32 s8, 0
	s_mov_b64 s[16:17], 0
	s_mov_b64 s[2:3], -1
	s_waitcnt lgkmcnt(0)
	s_barrier
                                        ; implicit-def: $vgpr5
	s_cbranch_scc1 .LBB23_138
; %bb.128:                              ;   in Loop: Header=BB23_6 Depth=1
	v_readlane_b32 s2, v52, 40
	s_add_i32 s2, s8, s2
	v_readlane_b32 s3, v52, 60
	s_mul_hi_u32 s3, s2, s3
	s_mul_i32 s3, s3, s33
	s_sub_i32 s3, s2, s3
	s_sub_i32 s9, s3, s33
	s_cmp_ge_u32 s3, s33
	s_cselect_b32 s3, s9, s3
	s_sub_i32 s9, s3, s33
	s_cmp_ge_u32 s3, s33
	s_cselect_b32 s3, s9, s3
	s_sub_i32 s9, s2, s3
	v_cmp_gt_u32_e32 vcc, s9, v0
	s_mov_b64 s[2:3], 0
                                        ; implicit-def: $vgpr5
	s_and_saveexec_b64 s[24:25], vcc
	s_cbranch_execz .LBB23_137
; %bb.129:                              ;   in Loop: Header=BB23_6 Depth=1
	v_mov_b32_e32 v5, v0
                                        ; implicit-def: $sgpr28_sgpr29
	s_branch .LBB23_132
.LBB23_130:                             ;   in Loop: Header=BB23_132 Depth=2
	s_or_b64 exec, exec, s[44:45]
	s_waitcnt lgkmcnt(0)
	s_barrier
	ds_read_u16 v6, v23 offset:3072
	s_mov_b64 s[22:23], -1
	s_waitcnt lgkmcnt(0)
	s_barrier
	v_cmp_ne_u32_sdwa s[44:45], v6, v23 src0_sel:BYTE_0 src1_sel:DWORD
	s_and_b64 vcc, exec, s[44:45]
	s_mov_b64 s[44:45], -1
	s_cbranch_vccz .LBB23_135
.LBB23_131:                             ;   in Loop: Header=BB23_132 Depth=2
	s_and_b64 s[22:23], exec, s[22:23]
	s_or_b64 s[16:17], s[22:23], s[16:17]
	s_andn2_b64 s[22:23], s[28:29], exec
	s_and_b64 s[28:29], s[44:45], exec
	s_or_b64 s[28:29], s[22:23], s[28:29]
	s_andn2_b64 exec, exec, s[16:17]
	s_cbranch_execz .LBB23_136
.LBB23_132:                             ;   Parent Loop BB23_6 Depth=1
                                        ; =>  This Inner Loop Header: Depth=2
	v_cmp_gt_u32_e32 vcc, s8, v5
	s_and_saveexec_b64 s[44:45], vcc
	s_cbranch_execz .LBB23_130
; %bb.133:                              ;   in Loop: Header=BB23_132 Depth=2
	ds_read_u8 v6, v5
	s_waitcnt lgkmcnt(0)
	v_add_u32_sdwa v7, sext(v6), s18 dst_sel:DWORD dst_unused:UNUSED_PAD src0_sel:BYTE_0 src1_sel:DWORD
	v_and_b32_e32 v7, v7, v2
	v_cmp_eq_u32_e32 vcc, v7, v3
	s_and_b64 exec, exec, vcc
	s_cbranch_execz .LBB23_130
; %bb.134:                              ;   in Loop: Header=BB23_132 Depth=2
	v_lshlrev_b16_e32 v6, 8, v6
	v_or_b32_e32 v6, 1, v6
	ds_write_b16 v23, v6 offset:3072
	s_branch .LBB23_130
.LBB23_135:                             ;   in Loop: Header=BB23_132 Depth=2
	v_add_u32_e32 v5, s33, v5
	v_cmp_le_u32_e32 vcc, s9, v5
	s_mov_b64 s[44:45], 0
	s_orn2_b64 s[22:23], vcc, exec
	s_branch .LBB23_131
.LBB23_136:                             ;   in Loop: Header=BB23_6 Depth=1
	s_or_b64 exec, exec, s[16:17]
	v_lshrrev_b32_sdwa v5, v37, v6 dst_sel:DWORD dst_unused:UNUSED_PAD src0_sel:DWORD src1_sel:WORD_0
	s_and_b64 s[16:17], s[28:29], exec
.LBB23_137:                             ;   in Loop: Header=BB23_6 Depth=1
	s_or_b64 exec, exec, s[24:25]
.LBB23_138:                             ;   in Loop: Header=BB23_6 Depth=1
	s_and_b64 vcc, exec, s[2:3]
	s_cbranch_vccz .LBB23_149
; %bb.139:                              ;   in Loop: Header=BB23_6 Depth=1
                                        ; implicit-def: $vgpr5
	s_mov_b64 s[2:3], exec
	v_readlane_b32 s8, v52, 61
	v_readlane_b32 s9, v52, 62
	s_and_b64 s[8:9], s[2:3], s[8:9]
	s_mov_b64 exec, s[8:9]
	s_cbranch_execz .LBB23_148
; %bb.140:                              ;   in Loop: Header=BB23_6 Depth=1
	s_mov_b64 s[24:25], 0
	v_mov_b32_e32 v5, v22
	v_mov_b32_e32 v6, v0
                                        ; implicit-def: $sgpr28_sgpr29
	s_branch .LBB23_143
.LBB23_141:                             ;   in Loop: Header=BB23_143 Depth=2
	s_or_b64 exec, exec, s[34:35]
	s_waitcnt lgkmcnt(0)
	s_barrier
	ds_read_u16 v7, v23 offset:3072
	s_mov_b64 s[22:23], -1
	s_mov_b64 s[34:35], -1
	s_waitcnt lgkmcnt(0)
	s_barrier
	v_cmp_eq_u32_sdwa s[8:9], v7, v23 src0_sel:BYTE_0 src1_sel:DWORD
	s_and_b64 vcc, exec, s[8:9]
	s_cbranch_vccnz .LBB23_146
.LBB23_142:                             ;   in Loop: Header=BB23_143 Depth=2
	s_and_b64 s[8:9], exec, s[22:23]
	s_or_b64 s[24:25], s[8:9], s[24:25]
	s_andn2_b64 s[8:9], s[28:29], exec
	s_and_b64 s[22:23], s[34:35], exec
	s_or_b64 s[28:29], s[8:9], s[22:23]
	s_andn2_b64 exec, exec, s[24:25]
	s_cbranch_execz .LBB23_147
.LBB23_143:                             ;   Parent Loop BB23_6 Depth=1
                                        ; =>  This Inner Loop Header: Depth=2
	v_cmp_gt_u32_e32 vcc, s36, v6
	s_and_saveexec_b64 s[34:35], vcc
	s_cbranch_execz .LBB23_141
; %bb.144:                              ;   in Loop: Header=BB23_143 Depth=2
	global_load_ubyte v7, v5, s[48:49]
	s_waitcnt vmcnt(0)
	v_add_u32_sdwa v8, sext(v7), s18 dst_sel:DWORD dst_unused:UNUSED_PAD src0_sel:BYTE_0 src1_sel:DWORD
	v_and_b32_e32 v8, v8, v2
	v_cmp_eq_u32_e32 vcc, v8, v3
	s_and_b64 exec, exec, vcc
	s_cbranch_execz .LBB23_141
; %bb.145:                              ;   in Loop: Header=BB23_143 Depth=2
	v_lshlrev_b16_e32 v7, 8, v7
	v_or_b32_e32 v7, 1, v7
	ds_write_b16 v23, v7 offset:3072
	s_branch .LBB23_141
.LBB23_146:                             ;   in Loop: Header=BB23_143 Depth=2
	v_add_u32_e32 v6, s33, v6
	v_cmp_le_u32_e32 vcc, s4, v6
	v_add_u32_e32 v5, s61, v5
	s_mov_b64 s[34:35], 0
	s_orn2_b64 s[22:23], vcc, exec
	s_branch .LBB23_142
.LBB23_147:                             ;   in Loop: Header=BB23_6 Depth=1
	s_or_b64 exec, exec, s[24:25]
	s_andn2_b64 s[8:9], s[16:17], exec
	s_and_b64 s[16:17], s[28:29], exec
	v_lshrrev_b32_sdwa v5, v37, v7 dst_sel:DWORD dst_unused:UNUSED_PAD src0_sel:DWORD src1_sel:WORD_0
	s_or_b64 s[16:17], s[8:9], s[16:17]
.LBB23_148:                             ;   in Loop: Header=BB23_6 Depth=1
	s_or_b64 exec, exec, s[2:3]
	s_mov_b64 s[34:35], 0
	s_mov_b64 s[42:43], -1
.LBB23_149:                             ;   in Loop: Header=BB23_6 Depth=1
	s_orn2_b64 s[2:3], s[16:17], exec
.LBB23_150:                             ;   in Loop: Header=BB23_6 Depth=1
	s_or_b64 exec, exec, s[14:15]
	s_mov_b64 s[14:15], 0
	s_and_saveexec_b64 s[92:93], s[2:3]
	s_cbranch_execz .LBB23_239
; %bb.151:                              ;   in Loop: Header=BB23_6 Depth=1
	s_xor_b64 s[8:9], s[12:13], -1
	s_mov_b64 s[12:13], 0
	v_mov_b32_e32 v6, 1
	v_mov_b32_e32 v1, 1
	s_and_saveexec_b64 s[2:3], s[8:9]
	s_cbranch_execz .LBB23_160
; %bb.152:                              ;   in Loop: Header=BB23_6 Depth=1
	v_cmp_ge_u32_e32 vcc, s58, v4
	s_and_saveexec_b64 s[8:9], vcc
	s_xor_b64 s[12:13], exec, s[8:9]
	s_cbranch_execz .LBB23_157
; %bb.153:                              ;   in Loop: Header=BB23_6 Depth=1
	v_and_b32_e32 v1, s39, v3
	v_lshl_or_b32 v3, 1, s10, v1
	ds_read_b32 v1, v23 offset:4096
	v_or_b32_e32 v2, s38, v2
	s_waitcnt lgkmcnt(0)
	v_cmp_ne_u32_e32 vcc, 0, v1
	s_cbranch_vccnz .LBB23_157
; %bb.154:                              ;   in Loop: Header=BB23_6 Depth=1
	s_mov_b64 s[8:9], exec
	v_readlane_b32 s14, v52, 23
	v_readlane_b32 s15, v52, 24
	s_and_b64 s[14:15], s[8:9], s[14:15]
	s_mov_b64 exec, s[14:15]
; %bb.155:                              ;   in Loop: Header=BB23_6 Depth=1
	v_mov_b32_e32 v1, s58
	ds_write_b32 v23, v1 offset:4100
; %bb.156:                              ;   in Loop: Header=BB23_6 Depth=1
	s_or_b64 exec, exec, s[8:9]
	s_waitcnt lgkmcnt(0)
	s_barrier
.LBB23_157:                             ;   in Loop: Header=BB23_6 Depth=1
	s_or_saveexec_b64 s[12:13], s[12:13]
	s_mov_b64 s[14:15], 0
	v_mov_b32_e32 v1, 8
	s_xor_b64 exec, exec, s[12:13]
; %bb.158:                              ;   in Loop: Header=BB23_6 Depth=1
	s_mov_b64 s[14:15], exec
	v_subrev_u32_e32 v4, s58, v4
	v_mov_b32_e32 v1, 0
; %bb.159:                              ;   in Loop: Header=BB23_6 Depth=1
	s_or_b64 exec, exec, s[12:13]
	s_and_b64 s[12:13], s[14:15], exec
	v_mov_b32_e32 v6, v4
.LBB23_160:                             ;   in Loop: Header=BB23_6 Depth=1
	s_or_b64 exec, exec, s[2:3]
	s_mov_b64 s[2:3], -1
                                        ; implicit-def: $sgpr46_sgpr47
                                        ; implicit-def: $sgpr14_sgpr15
	s_and_saveexec_b64 s[44:45], s[12:13]
	s_cbranch_execz .LBB23_238
; %bb.161:                              ;   in Loop: Header=BB23_6 Depth=1
	s_cmp_eq_u32 s59, 1
	s_cselect_b64 s[2:3], -1, 0
	v_cmp_eq_u32_e32 vcc, 1, v6
	s_and_b64 s[12:13], s[2:3], vcc
	s_mov_b64 s[2:3], -1
                                        ; implicit-def: $sgpr14_sgpr15
                                        ; implicit-def: $sgpr46_sgpr47
	s_and_saveexec_b64 s[16:17], s[12:13]
	s_cbranch_execz .LBB23_187
; %bb.162:                              ;   in Loop: Header=BB23_6 Depth=1
	ds_read_b32 v4, v23 offset:4096
	s_waitcnt lgkmcnt(0)
	s_barrier
	v_readfirstlane_b32 s8, v4
	s_mov_b64 s[2:3], exec
	v_readlane_b32 s14, v52, 38
	v_readlane_b32 s15, v52, 39
	s_and_b64 s[14:15], s[2:3], s[14:15]
	s_mov_b64 exec, s[14:15]
; %bb.163:                              ;   in Loop: Header=BB23_6 Depth=1
	ds_write_b8 v0, v23 offset:3072
; %bb.164:                              ;   in Loop: Header=BB23_6 Depth=1
	s_or_b64 exec, exec, s[2:3]
	v_and_b32_e32 v3, s39, v3
	v_lshl_or_b32 v3, 2, s10, v3
	v_or_b32_e32 v2, s38, v2
	s_mov_b64 s[46:47], -1
	s_mov_b64 s[14:15], 0
	s_cmp_eq_u32 s8, 0
	s_mov_b64 s[24:25], 0
	s_mov_b64 s[2:3], -1
	s_waitcnt lgkmcnt(0)
	s_barrier
                                        ; implicit-def: $vgpr5
	s_cbranch_scc1 .LBB23_175
; %bb.165:                              ;   in Loop: Header=BB23_6 Depth=1
	v_readlane_b32 s2, v52, 40
	s_add_i32 s2, s8, s2
	v_readlane_b32 s3, v52, 60
	s_mul_hi_u32 s3, s2, s3
	s_mul_i32 s3, s3, s33
	s_sub_i32 s3, s2, s3
	s_sub_i32 s9, s3, s33
	s_cmp_ge_u32 s3, s33
	s_cselect_b32 s3, s9, s3
	s_sub_i32 s9, s3, s33
	s_cmp_ge_u32 s3, s33
	s_cselect_b32 s3, s9, s3
	s_sub_i32 s9, s2, s3
	v_cmp_gt_u32_e32 vcc, s9, v0
	s_mov_b64 s[2:3], 0
                                        ; implicit-def: $vgpr5
	s_and_saveexec_b64 s[28:29], vcc
	s_cbranch_execz .LBB23_174
; %bb.166:                              ;   in Loop: Header=BB23_6 Depth=1
	v_mov_b32_e32 v4, v0
                                        ; implicit-def: $sgpr54_sgpr55
	s_branch .LBB23_169
.LBB23_167:                             ;   in Loop: Header=BB23_169 Depth=2
	s_or_b64 exec, exec, s[56:57]
	s_waitcnt lgkmcnt(0)
	s_barrier
	ds_read_u16 v5, v23 offset:3072
	s_mov_b64 s[22:23], -1
	s_waitcnt lgkmcnt(0)
	s_barrier
	v_cmp_ne_u32_sdwa s[56:57], v5, v23 src0_sel:BYTE_0 src1_sel:DWORD
	s_and_b64 vcc, exec, s[56:57]
	s_mov_b64 s[56:57], -1
	s_cbranch_vccz .LBB23_172
.LBB23_168:                             ;   in Loop: Header=BB23_169 Depth=2
	s_and_b64 s[22:23], exec, s[22:23]
	s_or_b64 s[24:25], s[22:23], s[24:25]
	s_andn2_b64 s[22:23], s[54:55], exec
	s_and_b64 s[54:55], s[56:57], exec
	s_or_b64 s[54:55], s[22:23], s[54:55]
	s_andn2_b64 exec, exec, s[24:25]
	s_cbranch_execz .LBB23_173
.LBB23_169:                             ;   Parent Loop BB23_6 Depth=1
                                        ; =>  This Inner Loop Header: Depth=2
	v_cmp_gt_u32_e32 vcc, s8, v4
	s_and_saveexec_b64 s[56:57], vcc
	s_cbranch_execz .LBB23_167
; %bb.170:                              ;   in Loop: Header=BB23_169 Depth=2
	ds_read_u8 v5, v4
	s_waitcnt lgkmcnt(0)
	v_add_u32_sdwa v7, sext(v5), s18 dst_sel:DWORD dst_unused:UNUSED_PAD src0_sel:BYTE_0 src1_sel:DWORD
	v_and_b32_e32 v7, v7, v2
	v_cmp_eq_u32_e32 vcc, v7, v3
	s_and_b64 exec, exec, vcc
	s_cbranch_execz .LBB23_167
; %bb.171:                              ;   in Loop: Header=BB23_169 Depth=2
	v_lshlrev_b16_e32 v5, 8, v5
	v_or_b32_e32 v5, 1, v5
	ds_write_b16 v23, v5 offset:3072
	s_branch .LBB23_167
.LBB23_172:                             ;   in Loop: Header=BB23_169 Depth=2
	v_add_u32_e32 v4, s33, v4
	v_cmp_le_u32_e32 vcc, s9, v4
	s_mov_b64 s[56:57], 0
	s_orn2_b64 s[22:23], vcc, exec
	s_branch .LBB23_168
.LBB23_173:                             ;   in Loop: Header=BB23_6 Depth=1
	s_or_b64 exec, exec, s[24:25]
	v_lshrrev_b32_sdwa v5, v37, v5 dst_sel:DWORD dst_unused:UNUSED_PAD src0_sel:DWORD src1_sel:WORD_0
	s_and_b64 s[24:25], s[54:55], exec
.LBB23_174:                             ;   in Loop: Header=BB23_6 Depth=1
	s_or_b64 exec, exec, s[28:29]
.LBB23_175:                             ;   in Loop: Header=BB23_6 Depth=1
	s_and_b64 vcc, exec, s[2:3]
	s_cbranch_vccz .LBB23_186
; %bb.176:                              ;   in Loop: Header=BB23_6 Depth=1
                                        ; implicit-def: $vgpr5
	s_mov_b64 s[2:3], exec
	v_readlane_b32 s8, v52, 61
	v_readlane_b32 s9, v52, 62
	s_and_b64 s[8:9], s[2:3], s[8:9]
	s_mov_b64 exec, s[8:9]
	s_cbranch_execz .LBB23_185
; %bb.177:                              ;   in Loop: Header=BB23_6 Depth=1
	s_mov_b64 s[14:15], 0
	v_mov_b32_e32 v4, v22
	v_mov_b32_e32 v5, v0
                                        ; implicit-def: $sgpr28_sgpr29
	s_branch .LBB23_180
.LBB23_178:                             ;   in Loop: Header=BB23_180 Depth=2
	s_or_b64 exec, exec, s[46:47]
	s_waitcnt lgkmcnt(0)
	s_barrier
	ds_read_u16 v7, v23 offset:3072
	s_mov_b64 s[22:23], -1
	s_mov_b64 s[46:47], -1
	s_waitcnt lgkmcnt(0)
	s_barrier
	v_cmp_eq_u32_sdwa s[8:9], v7, v23 src0_sel:BYTE_0 src1_sel:DWORD
	s_and_b64 vcc, exec, s[8:9]
	s_cbranch_vccnz .LBB23_183
.LBB23_179:                             ;   in Loop: Header=BB23_180 Depth=2
	s_and_b64 s[8:9], exec, s[22:23]
	s_or_b64 s[14:15], s[8:9], s[14:15]
	s_andn2_b64 s[8:9], s[28:29], exec
	s_and_b64 s[22:23], s[46:47], exec
	s_or_b64 s[28:29], s[8:9], s[22:23]
	s_andn2_b64 exec, exec, s[14:15]
	s_cbranch_execz .LBB23_184
.LBB23_180:                             ;   Parent Loop BB23_6 Depth=1
                                        ; =>  This Inner Loop Header: Depth=2
	v_cmp_gt_u32_e32 vcc, s36, v5
	s_and_saveexec_b64 s[46:47], vcc
	s_cbranch_execz .LBB23_178
; %bb.181:                              ;   in Loop: Header=BB23_180 Depth=2
	global_load_ubyte v7, v4, s[48:49]
	s_waitcnt vmcnt(0)
	v_add_u32_sdwa v8, sext(v7), s18 dst_sel:DWORD dst_unused:UNUSED_PAD src0_sel:BYTE_0 src1_sel:DWORD
	v_and_b32_e32 v8, v8, v2
	v_cmp_eq_u32_e32 vcc, v8, v3
	s_and_b64 exec, exec, vcc
	s_cbranch_execz .LBB23_178
; %bb.182:                              ;   in Loop: Header=BB23_180 Depth=2
	v_lshlrev_b16_e32 v7, 8, v7
	v_or_b32_e32 v7, 1, v7
	ds_write_b16 v23, v7 offset:3072
	s_branch .LBB23_178
.LBB23_183:                             ;   in Loop: Header=BB23_180 Depth=2
	v_add_u32_e32 v5, s33, v5
	v_cmp_le_u32_e32 vcc, s4, v5
	v_add_u32_e32 v4, s61, v4
	s_mov_b64 s[46:47], 0
	s_orn2_b64 s[22:23], vcc, exec
	s_branch .LBB23_179
.LBB23_184:                             ;   in Loop: Header=BB23_6 Depth=1
	s_or_b64 exec, exec, s[14:15]
	s_andn2_b64 s[8:9], s[24:25], exec
	s_and_b64 s[14:15], s[28:29], exec
	v_lshrrev_b32_sdwa v5, v37, v7 dst_sel:DWORD dst_unused:UNUSED_PAD src0_sel:DWORD src1_sel:WORD_0
	s_or_b64 s[24:25], s[8:9], s[14:15]
.LBB23_185:                             ;   in Loop: Header=BB23_6 Depth=1
	s_or_b64 exec, exec, s[2:3]
	s_mov_b64 s[46:47], 0
	s_mov_b64 s[14:15], -1
.LBB23_186:                             ;   in Loop: Header=BB23_6 Depth=1
	s_orn2_b64 s[2:3], s[24:25], exec
.LBB23_187:                             ;   in Loop: Header=BB23_6 Depth=1
	s_or_b64 exec, exec, s[16:17]
	s_mov_b64 s[24:25], 0
	s_and_saveexec_b64 s[16:17], s[2:3]
	s_cbranch_execz .LBB23_237
; %bb.188:                              ;   in Loop: Header=BB23_6 Depth=1
	s_xor_b64 s[8:9], s[12:13], -1
	s_mov_b64 s[54:55], 0
	v_mov_b32_e32 v4, 1
	v_mov_b32_e32 v1, 1
	s_and_saveexec_b64 s[2:3], s[8:9]
	s_cbranch_execz .LBB23_197
; %bb.189:                              ;   in Loop: Header=BB23_6 Depth=1
	v_cmp_ge_u32_e32 vcc, s59, v6
	s_and_saveexec_b64 s[8:9], vcc
	s_xor_b64 s[12:13], exec, s[8:9]
	s_cbranch_execz .LBB23_194
; %bb.190:                              ;   in Loop: Header=BB23_6 Depth=1
	v_and_b32_e32 v1, s39, v3
	v_lshl_or_b32 v3, 2, s10, v1
	ds_read_b32 v1, v23 offset:4096
	v_or_b32_e32 v2, s38, v2
	s_waitcnt lgkmcnt(0)
	v_cmp_ne_u32_e32 vcc, 0, v1
	s_cbranch_vccnz .LBB23_194
; %bb.191:                              ;   in Loop: Header=BB23_6 Depth=1
	s_mov_b64 s[8:9], exec
	v_readlane_b32 s22, v52, 23
	v_readlane_b32 s23, v52, 24
	s_and_b64 s[22:23], s[8:9], s[22:23]
	s_mov_b64 exec, s[22:23]
; %bb.192:                              ;   in Loop: Header=BB23_6 Depth=1
	v_mov_b32_e32 v1, s59
	ds_write_b32 v23, v1 offset:4100
; %bb.193:                              ;   in Loop: Header=BB23_6 Depth=1
	s_or_b64 exec, exec, s[8:9]
	s_waitcnt lgkmcnt(0)
	s_barrier
.LBB23_194:                             ;   in Loop: Header=BB23_6 Depth=1
	s_or_saveexec_b64 s[12:13], s[12:13]
	v_mov_b32_e32 v1, 8
	s_xor_b64 exec, exec, s[12:13]
; %bb.195:                              ;   in Loop: Header=BB23_6 Depth=1
	s_mov_b64 s[24:25], exec
	v_subrev_u32_e32 v6, s59, v6
	v_mov_b32_e32 v1, 0
; %bb.196:                              ;   in Loop: Header=BB23_6 Depth=1
	s_or_b64 exec, exec, s[12:13]
	s_and_b64 s[54:55], s[24:25], exec
	v_mov_b32_e32 v4, v6
.LBB23_197:                             ;   in Loop: Header=BB23_6 Depth=1
	s_or_b64 exec, exec, s[2:3]
	s_mov_b64 s[2:3], -1
                                        ; implicit-def: $sgpr28_sgpr29
                                        ; implicit-def: $sgpr12_sgpr13
	s_and_saveexec_b64 s[24:25], s[54:55]
	s_cbranch_execz .LBB23_236
; %bb.198:                              ;   in Loop: Header=BB23_6 Depth=1
	s_cmp_eq_u32 s19, 1
	s_cselect_b64 s[2:3], -1, 0
	v_cmp_eq_u32_e32 vcc, 1, v4
	s_and_b64 s[22:23], s[2:3], vcc
	s_mov_b64 s[64:65], -1
                                        ; implicit-def: $sgpr28_sgpr29
                                        ; implicit-def: $sgpr12_sgpr13
	s_and_saveexec_b64 s[56:57], s[22:23]
	s_cbranch_execz .LBB23_224
; %bb.199:                              ;   in Loop: Header=BB23_6 Depth=1
	ds_read_b32 v5, v23 offset:4096
	s_waitcnt lgkmcnt(0)
	s_barrier
	v_readfirstlane_b32 s54, v5
	s_mov_b64 s[2:3], exec
	v_readlane_b32 s8, v52, 38
	v_readlane_b32 s9, v52, 39
	s_and_b64 s[8:9], s[2:3], s[8:9]
	s_mov_b64 exec, s[8:9]
; %bb.200:                              ;   in Loop: Header=BB23_6 Depth=1
	ds_write_b8 v0, v23 offset:3072
; %bb.201:                              ;   in Loop: Header=BB23_6 Depth=1
	s_or_b64 exec, exec, s[2:3]
	v_or_b32_e32 v3, s38, v3
	v_or_b32_e32 v2, s38, v2
	s_mov_b64 s[12:13], -1
	s_mov_b64 s[28:29], 0
	s_cmp_eq_u32 s54, 0
	s_mov_b64 s[2:3], 0
	s_waitcnt lgkmcnt(0)
	s_barrier
                                        ; implicit-def: $vgpr5
	s_cbranch_scc1 .LBB23_212
; %bb.202:                              ;   in Loop: Header=BB23_6 Depth=1
	v_readlane_b32 s2, v52, 40
	s_add_i32 s2, s54, s2
	v_readlane_b32 s3, v52, 60
	s_mul_hi_u32 s3, s2, s3
	s_mul_i32 s3, s3, s33
	s_sub_i32 s3, s2, s3
	s_sub_i32 s8, s3, s33
	s_cmp_ge_u32 s3, s33
	s_cselect_b32 s3, s8, s3
	s_sub_i32 s8, s3, s33
	s_cmp_ge_u32 s3, s33
	s_cselect_b32 s3, s8, s3
	s_sub_i32 s55, s2, s3
	v_cmp_gt_u32_e32 vcc, s55, v0
	s_mov_b64 s[64:65], 0
	s_mov_b64 s[2:3], 0
                                        ; implicit-def: $vgpr5
	s_and_saveexec_b64 s[66:67], vcc
	s_cbranch_execz .LBB23_211
; %bb.203:                              ;   in Loop: Header=BB23_6 Depth=1
	v_writelane_b32 v51, s22, 2
	v_mov_b32_e32 v5, v0
	v_writelane_b32 v51, s23, 3
                                        ; implicit-def: $sgpr68_sgpr69
	s_branch .LBB23_206
.LBB23_204:                             ;   in Loop: Header=BB23_206 Depth=2
	s_or_b64 exec, exec, s[22:23]
	s_waitcnt lgkmcnt(0)
	s_barrier
	ds_read_u16 v6, v23 offset:3072
	s_mov_b64 s[22:23], -1
	s_waitcnt lgkmcnt(0)
	s_barrier
	v_cmp_ne_u32_sdwa s[8:9], v6, v23 src0_sel:BYTE_0 src1_sel:DWORD
	s_and_b64 vcc, exec, s[8:9]
	s_mov_b64 s[8:9], -1
	s_cbranch_vccz .LBB23_209
.LBB23_205:                             ;   in Loop: Header=BB23_206 Depth=2
	s_and_b64 s[22:23], exec, s[22:23]
	s_or_b64 s[2:3], s[22:23], s[2:3]
	s_andn2_b64 s[22:23], s[68:69], exec
	s_and_b64 s[8:9], s[8:9], exec
	s_or_b64 s[68:69], s[22:23], s[8:9]
	s_andn2_b64 exec, exec, s[2:3]
	s_cbranch_execz .LBB23_210
.LBB23_206:                             ;   Parent Loop BB23_6 Depth=1
                                        ; =>  This Inner Loop Header: Depth=2
	v_cmp_gt_u32_e32 vcc, s54, v5
	s_and_saveexec_b64 s[22:23], vcc
	s_cbranch_execz .LBB23_204
; %bb.207:                              ;   in Loop: Header=BB23_206 Depth=2
	ds_read_u8 v6, v5
	s_waitcnt lgkmcnt(0)
	v_add_u32_sdwa v7, sext(v6), s18 dst_sel:DWORD dst_unused:UNUSED_PAD src0_sel:BYTE_0 src1_sel:DWORD
	v_and_b32_e32 v7, v7, v2
	v_cmp_eq_u32_e32 vcc, v7, v3
	s_and_b64 exec, exec, vcc
	s_cbranch_execz .LBB23_204
; %bb.208:                              ;   in Loop: Header=BB23_206 Depth=2
	v_lshlrev_b16_e32 v6, 8, v6
	v_or_b32_e32 v6, 1, v6
	ds_write_b16 v23, v6 offset:3072
	s_branch .LBB23_204
.LBB23_209:                             ;   in Loop: Header=BB23_206 Depth=2
	v_add_u32_e32 v5, s33, v5
	v_cmp_le_u32_e32 vcc, s55, v5
	s_mov_b64 s[8:9], 0
	s_orn2_b64 s[22:23], vcc, exec
	s_branch .LBB23_205
.LBB23_210:                             ;   in Loop: Header=BB23_6 Depth=1
	s_or_b64 exec, exec, s[2:3]
	v_readlane_b32 s22, v51, 2
	v_lshrrev_b32_sdwa v5, v37, v6 dst_sel:DWORD dst_unused:UNUSED_PAD src0_sel:DWORD src1_sel:WORD_0
	s_and_b64 s[2:3], s[68:69], exec
	v_readlane_b32 s23, v51, 3
.LBB23_211:                             ;   in Loop: Header=BB23_6 Depth=1
	s_or_b64 exec, exec, s[66:67]
.LBB23_212:                             ;   in Loop: Header=BB23_6 Depth=1
	s_and_b64 vcc, exec, s[64:65]
	s_cbranch_vccz .LBB23_223
; %bb.213:                              ;   in Loop: Header=BB23_6 Depth=1
                                        ; implicit-def: $vgpr5
	s_mov_b64 s[12:13], exec
	v_readlane_b32 s8, v52, 61
	v_readlane_b32 s9, v52, 62
	s_and_b64 s[8:9], s[12:13], s[8:9]
	s_mov_b64 exec, s[8:9]
	s_cbranch_execz .LBB23_222
; %bb.214:                              ;   in Loop: Header=BB23_6 Depth=1
	s_mov_b64 s[54:55], s[22:23]
	s_mov_b64 s[28:29], 0
	v_mov_b32_e32 v5, v22
	v_mov_b32_e32 v6, v0
                                        ; implicit-def: $sgpr64_sgpr65
	s_branch .LBB23_217
.LBB23_215:                             ;   in Loop: Header=BB23_217 Depth=2
	s_or_b64 exec, exec, s[22:23]
	s_waitcnt lgkmcnt(0)
	s_barrier
	ds_read_u16 v7, v23 offset:3072
	s_mov_b64 s[22:23], -1
	s_mov_b64 s[66:67], -1
	s_waitcnt lgkmcnt(0)
	s_barrier
	v_cmp_eq_u32_sdwa s[8:9], v7, v23 src0_sel:BYTE_0 src1_sel:DWORD
	s_and_b64 vcc, exec, s[8:9]
	s_cbranch_vccnz .LBB23_220
.LBB23_216:                             ;   in Loop: Header=BB23_217 Depth=2
	s_and_b64 s[8:9], exec, s[22:23]
	s_or_b64 s[28:29], s[8:9], s[28:29]
	s_andn2_b64 s[8:9], s[64:65], exec
	s_and_b64 s[22:23], s[66:67], exec
	s_or_b64 s[64:65], s[8:9], s[22:23]
	s_andn2_b64 exec, exec, s[28:29]
	s_cbranch_execz .LBB23_221
.LBB23_217:                             ;   Parent Loop BB23_6 Depth=1
                                        ; =>  This Inner Loop Header: Depth=2
	v_cmp_gt_u32_e32 vcc, s36, v6
	s_and_saveexec_b64 s[22:23], vcc
	s_cbranch_execz .LBB23_215
; %bb.218:                              ;   in Loop: Header=BB23_217 Depth=2
	global_load_ubyte v7, v5, s[48:49]
	s_waitcnt vmcnt(0)
	v_add_u32_sdwa v8, sext(v7), s18 dst_sel:DWORD dst_unused:UNUSED_PAD src0_sel:BYTE_0 src1_sel:DWORD
	v_and_b32_e32 v8, v8, v2
	v_cmp_eq_u32_e32 vcc, v8, v3
	s_and_b64 exec, exec, vcc
	s_cbranch_execz .LBB23_215
; %bb.219:                              ;   in Loop: Header=BB23_217 Depth=2
	v_lshlrev_b16_e32 v7, 8, v7
	v_or_b32_e32 v7, 1, v7
	ds_write_b16 v23, v7 offset:3072
	s_branch .LBB23_215
.LBB23_220:                             ;   in Loop: Header=BB23_217 Depth=2
	v_add_u32_e32 v6, s33, v6
	v_cmp_le_u32_e32 vcc, s4, v6
	v_add_u32_e32 v5, s61, v5
	s_mov_b64 s[66:67], 0
	s_orn2_b64 s[22:23], vcc, exec
	s_branch .LBB23_216
.LBB23_221:                             ;   in Loop: Header=BB23_6 Depth=1
	s_or_b64 exec, exec, s[28:29]
	s_andn2_b64 s[2:3], s[2:3], exec
	s_and_b64 s[8:9], s[64:65], exec
	v_lshrrev_b32_sdwa v5, v37, v7 dst_sel:DWORD dst_unused:UNUSED_PAD src0_sel:DWORD src1_sel:WORD_0
	s_or_b64 s[2:3], s[2:3], s[8:9]
	s_mov_b64 s[22:23], s[54:55]
.LBB23_222:                             ;   in Loop: Header=BB23_6 Depth=1
	s_or_b64 exec, exec, s[12:13]
	s_mov_b64 s[12:13], 0
	s_mov_b64 s[28:29], -1
.LBB23_223:                             ;   in Loop: Header=BB23_6 Depth=1
	s_orn2_b64 s[64:65], s[2:3], exec
.LBB23_224:                             ;   in Loop: Header=BB23_6 Depth=1
	s_or_b64 exec, exec, s[56:57]
	s_mov_b64 s[56:57], 0
	s_and_saveexec_b64 s[2:3], s[64:65]
	s_cbranch_execz .LBB23_235
; %bb.225:                              ;   in Loop: Header=BB23_6 Depth=1
	s_xor_b64 s[8:9], s[22:23], -1
	v_mov_b32_e32 v1, 1
	v_mov_b32_e32 v6, 1
	s_and_saveexec_b64 s[54:55], s[8:9]
	s_cbranch_execz .LBB23_234
; %bb.226:                              ;   in Loop: Header=BB23_6 Depth=1
	v_cmp_ge_u32_e32 vcc, s19, v4
	s_and_saveexec_b64 s[8:9], vcc
	s_xor_b64 s[56:57], exec, s[8:9]
	s_cbranch_execz .LBB23_231
; %bb.227:                              ;   in Loop: Header=BB23_6 Depth=1
	ds_read_b32 v1, v23 offset:4096
	v_or_b32_e32 v3, s38, v3
	v_or_b32_e32 v2, s38, v2
	s_waitcnt lgkmcnt(0)
	v_cmp_ne_u32_e32 vcc, 0, v1
	s_cbranch_vccnz .LBB23_231
; %bb.228:                              ;   in Loop: Header=BB23_6 Depth=1
	s_mov_b64 s[8:9], exec
	v_readlane_b32 s22, v52, 23
	v_readlane_b32 s23, v52, 24
	s_and_b64 s[22:23], s[8:9], s[22:23]
	s_mov_b64 exec, s[22:23]
; %bb.229:                              ;   in Loop: Header=BB23_6 Depth=1
	v_mov_b32_e32 v1, s19
	ds_write_b32 v23, v1 offset:4100
; %bb.230:                              ;   in Loop: Header=BB23_6 Depth=1
	s_or_b64 exec, exec, s[8:9]
	s_waitcnt lgkmcnt(0)
	s_barrier
.LBB23_231:                             ;   in Loop: Header=BB23_6 Depth=1
	s_andn2_saveexec_b64 s[22:23], s[56:57]
; %bb.232:                              ;   in Loop: Header=BB23_6 Depth=1
	v_subrev_u32_e32 v4, s19, v4
; %bb.233:                              ;   in Loop: Header=BB23_6 Depth=1
	s_or_b64 exec, exec, s[22:23]
	v_mov_b32_e32 v1, 8
	v_mov_b32_e32 v6, v4
.LBB23_234:                             ;   in Loop: Header=BB23_6 Depth=1
	s_or_b64 exec, exec, s[54:55]
	s_mov_b64 s[56:57], exec
	v_mov_b32_e32 v4, v6
.LBB23_235:                             ;   in Loop: Header=BB23_6 Depth=1
	s_or_b64 exec, exec, s[2:3]
	s_orn2_b64 s[2:3], s[56:57], exec
.LBB23_236:                             ;   in Loop: Header=BB23_6 Depth=1
	s_or_b64 exec, exec, s[24:25]
	s_andn2_b64 s[8:9], s[14:15], exec
	s_and_b64 s[14:15], s[28:29], exec
	s_or_b64 s[14:15], s[8:9], s[14:15]
	s_andn2_b64 s[8:9], s[46:47], exec
	s_and_b64 s[12:13], s[12:13], exec
	s_or_b64 s[46:47], s[8:9], s[12:13]
	s_and_b64 s[24:25], s[2:3], exec
	v_mov_b32_e32 v6, v4
.LBB23_237:                             ;   in Loop: Header=BB23_6 Depth=1
	s_or_b64 exec, exec, s[16:17]
	s_orn2_b64 s[2:3], s[24:25], exec
.LBB23_238:                             ;   in Loop: Header=BB23_6 Depth=1
	s_or_b64 exec, exec, s[44:45]
	s_andn2_b64 s[8:9], s[42:43], exec
	s_and_b64 s[12:13], s[14:15], exec
	s_or_b64 s[42:43], s[8:9], s[12:13]
	s_andn2_b64 s[8:9], s[34:35], exec
	s_and_b64 s[12:13], s[46:47], exec
	s_or_b64 s[34:35], s[8:9], s[12:13]
	s_and_b64 s[14:15], s[2:3], exec
	v_mov_b32_e32 v4, v6
.LBB23_239:                             ;   in Loop: Header=BB23_6 Depth=1
	s_or_b64 exec, exec, s[92:93]
	s_orn2_b64 s[2:3], s[14:15], exec
.LBB23_240:                             ;   in Loop: Header=BB23_6 Depth=1
	s_or_b64 exec, exec, s[6:7]
	s_mov_b64 s[6:7], 0
	s_mov_b64 s[12:13], 0
	s_and_saveexec_b64 s[8:9], s[2:3]
	s_xor_b64 s[2:3], exec, s[8:9]
; %bb.241:                              ;   in Loop: Header=BB23_6 Depth=1
	v_cmp_eq_u32_e32 vcc, 8, v1
	v_cmp_ne_u32_e64 s[6:7], 8, v1
	s_and_b64 s[12:13], s[6:7], exec
	s_and_b64 s[6:7], vcc, exec
; %bb.242:                              ;   in Loop: Header=BB23_6 Depth=1
	s_or_b64 exec, exec, s[2:3]
	s_andn2_b64 s[2:3], s[50:51], exec
	s_and_b64 s[8:9], s[42:43], exec
	s_or_b64 s[50:51], s[2:3], s[8:9]
	s_andn2_b64 s[2:3], s[94:95], exec
	s_and_b64 s[8:9], s[34:35], exec
	s_or_b64 s[94:95], s[2:3], s[8:9]
	s_and_b64 s[34:35], s[12:13], exec
	s_and_b64 s[92:93], s[6:7], exec
.LBB23_243:                             ;   in Loop: Header=BB23_6 Depth=1
	s_or_b64 exec, exec, s[40:41]
.LBB23_244:                             ;   in Loop: Header=BB23_6 Depth=1
	s_and_b64 vcc, exec, s[52:53]
	s_cbranch_vccz .LBB23_257
; %bb.245:                              ;   in Loop: Header=BB23_6 Depth=1
	s_cmp_eq_u32 s19, 1
	s_cselect_b64 s[2:3], -1, 0
	s_and_b64 s[6:7], s[2:3], s[26:27]
	s_mov_b64 s[2:3], -1
                                        ; implicit-def: $sgpr26_sgpr27
                                        ; implicit-def: $sgpr30_sgpr31
	s_and_saveexec_b64 s[12:13], s[6:7]
	s_cbranch_execz .LBB23_272
; %bb.246:                              ;   in Loop: Header=BB23_6 Depth=1
	ds_read_b32 v1, v23 offset:4096
	s_waitcnt lgkmcnt(0)
	s_barrier
	v_readfirstlane_b32 s40, v1
	s_mov_b64 s[2:3], exec
	v_readlane_b32 s8, v52, 38
	v_readlane_b32 s9, v52, 39
	s_and_b64 s[8:9], s[2:3], s[8:9]
	s_mov_b64 exec, s[8:9]
; %bb.247:                              ;   in Loop: Header=BB23_6 Depth=1
	ds_write_b8 v0, v23 offset:3072
; %bb.248:                              ;   in Loop: Header=BB23_6 Depth=1
	s_or_b64 exec, exec, s[2:3]
	v_or_b32_e32 v30, s38, v30
	v_or_b32_e32 v38, s38, v38
	s_mov_b64 s[30:31], -1
	s_mov_b64 s[26:27], 0
	s_cmp_eq_u32 s40, 0
	s_mov_b64 s[14:15], 0
	s_mov_b64 s[2:3], -1
	s_waitcnt lgkmcnt(0)
	s_barrier
                                        ; implicit-def: $vgpr39
	s_cbranch_scc1 .LBB23_260
; %bb.249:                              ;   in Loop: Header=BB23_6 Depth=1
	v_readlane_b32 s2, v52, 40
	s_add_i32 s2, s40, s2
	v_readlane_b32 s3, v52, 60
	s_mul_hi_u32 s3, s2, s3
	s_mul_i32 s3, s3, s33
	s_sub_i32 s3, s2, s3
	s_sub_i32 s8, s3, s33
	s_cmp_ge_u32 s3, s33
	s_cselect_b32 s3, s8, s3
	s_sub_i32 s8, s3, s33
	s_cmp_ge_u32 s3, s33
	s_cselect_b32 s3, s8, s3
	s_sub_i32 s41, s2, s3
	v_cmp_gt_u32_e32 vcc, s41, v0
	s_mov_b64 s[2:3], 0
                                        ; implicit-def: $vgpr39
	s_and_saveexec_b64 s[16:17], vcc
	s_cbranch_execz .LBB23_259
; %bb.250:                              ;   in Loop: Header=BB23_6 Depth=1
	v_mov_b32_e32 v1, v0
                                        ; implicit-def: $sgpr24_sgpr25
	s_branch .LBB23_253
.LBB23_251:                             ;   in Loop: Header=BB23_253 Depth=2
	s_or_b64 exec, exec, s[28:29]
	s_waitcnt lgkmcnt(0)
	s_barrier
	ds_read_u16 v2, v23 offset:3072
	s_mov_b64 s[8:9], -1
	s_waitcnt lgkmcnt(0)
	s_barrier
	v_cmp_ne_u32_sdwa s[22:23], v2, v23 src0_sel:BYTE_0 src1_sel:DWORD
	s_and_b64 vcc, exec, s[22:23]
	s_mov_b64 s[22:23], -1
	s_cbranch_vccz .LBB23_256
.LBB23_252:                             ;   in Loop: Header=BB23_253 Depth=2
	s_and_b64 s[8:9], exec, s[8:9]
	s_or_b64 s[14:15], s[8:9], s[14:15]
	s_andn2_b64 s[8:9], s[24:25], exec
	s_and_b64 s[22:23], s[22:23], exec
	s_or_b64 s[24:25], s[8:9], s[22:23]
	s_andn2_b64 exec, exec, s[14:15]
	s_cbranch_execz .LBB23_258
.LBB23_253:                             ;   Parent Loop BB23_6 Depth=1
                                        ; =>  This Inner Loop Header: Depth=2
	v_cmp_gt_u32_e32 vcc, s40, v1
	s_and_saveexec_b64 s[28:29], vcc
	s_cbranch_execz .LBB23_251
; %bb.254:                              ;   in Loop: Header=BB23_253 Depth=2
	ds_read_u8 v2, v1
	s_waitcnt lgkmcnt(0)
	v_add_u32_sdwa v3, sext(v2), s18 dst_sel:DWORD dst_unused:UNUSED_PAD src0_sel:BYTE_0 src1_sel:DWORD
	v_and_b32_e32 v3, v3, v38
	v_cmp_eq_u32_e32 vcc, v3, v30
	s_and_b64 exec, exec, vcc
	s_cbranch_execz .LBB23_251
; %bb.255:                              ;   in Loop: Header=BB23_253 Depth=2
	v_lshlrev_b16_e32 v2, 8, v2
	v_or_b32_e32 v2, 1, v2
	ds_write_b16 v23, v2 offset:3072
	s_branch .LBB23_251
.LBB23_256:                             ;   in Loop: Header=BB23_253 Depth=2
	v_add_u32_e32 v1, s33, v1
	v_cmp_le_u32_e32 vcc, s41, v1
	s_mov_b64 s[22:23], 0
	s_orn2_b64 s[8:9], vcc, exec
	s_branch .LBB23_252
.LBB23_257:                             ;   in Loop: Header=BB23_6 Depth=1
	s_mov_b64 s[26:27], 0
	v_mov_b32_e32 v30, v3
	v_mov_b32_e32 v38, v2
	;; [unrolled: 1-line block ×3, first 2 shown]
	s_and_saveexec_b64 s[2:3], s[92:93]
	s_cbranch_execnz .LBB23_403
	s_branch .LBB23_404
.LBB23_258:                             ;   in Loop: Header=BB23_6 Depth=1
	s_or_b64 exec, exec, s[14:15]
	v_lshrrev_b32_sdwa v39, v37, v2 dst_sel:DWORD dst_unused:UNUSED_PAD src0_sel:DWORD src1_sel:WORD_0
	s_and_b64 s[14:15], s[24:25], exec
.LBB23_259:                             ;   in Loop: Header=BB23_6 Depth=1
	s_or_b64 exec, exec, s[16:17]
.LBB23_260:                             ;   in Loop: Header=BB23_6 Depth=1
	s_and_b64 vcc, exec, s[2:3]
	s_cbranch_vccz .LBB23_271
; %bb.261:                              ;   in Loop: Header=BB23_6 Depth=1
                                        ; implicit-def: $vgpr39
	s_mov_b64 s[2:3], exec
	v_readlane_b32 s8, v52, 61
	v_readlane_b32 s9, v52, 62
	s_and_b64 s[8:9], s[2:3], s[8:9]
	s_mov_b64 exec, s[8:9]
	s_cbranch_execz .LBB23_270
; %bb.262:                              ;   in Loop: Header=BB23_6 Depth=1
	s_mov_b64 s[16:17], 0
	v_mov_b32_e32 v1, v22
	v_mov_b32_e32 v2, v0
                                        ; implicit-def: $sgpr24_sgpr25
	s_branch .LBB23_265
.LBB23_263:                             ;   in Loop: Header=BB23_265 Depth=2
	s_or_b64 exec, exec, s[26:27]
	s_waitcnt lgkmcnt(0)
	s_barrier
	ds_read_u16 v3, v23 offset:3072
	s_mov_b64 s[22:23], -1
	s_mov_b64 s[26:27], -1
	s_waitcnt lgkmcnt(0)
	s_barrier
	v_cmp_ne_u32_sdwa s[8:9], v3, v23 src0_sel:BYTE_0 src1_sel:DWORD
	s_and_b64 vcc, exec, s[8:9]
	s_cbranch_vccz .LBB23_268
.LBB23_264:                             ;   in Loop: Header=BB23_265 Depth=2
	s_and_b64 s[8:9], exec, s[22:23]
	s_or_b64 s[16:17], s[8:9], s[16:17]
	s_andn2_b64 s[8:9], s[24:25], exec
	s_and_b64 s[22:23], s[26:27], exec
	s_or_b64 s[24:25], s[8:9], s[22:23]
	s_andn2_b64 exec, exec, s[16:17]
	s_cbranch_execz .LBB23_269
.LBB23_265:                             ;   Parent Loop BB23_6 Depth=1
                                        ; =>  This Inner Loop Header: Depth=2
	v_cmp_gt_u32_e32 vcc, s36, v2
	s_and_saveexec_b64 s[26:27], vcc
	s_cbranch_execz .LBB23_263
; %bb.266:                              ;   in Loop: Header=BB23_265 Depth=2
	global_load_ubyte v3, v1, s[48:49]
	s_waitcnt vmcnt(0)
	v_add_u32_sdwa v4, sext(v3), s18 dst_sel:DWORD dst_unused:UNUSED_PAD src0_sel:BYTE_0 src1_sel:DWORD
	v_and_b32_e32 v4, v4, v38
	v_cmp_eq_u32_e32 vcc, v4, v30
	s_and_b64 exec, exec, vcc
	s_cbranch_execz .LBB23_263
; %bb.267:                              ;   in Loop: Header=BB23_265 Depth=2
	v_lshlrev_b16_e32 v3, 8, v3
	v_or_b32_e32 v3, 1, v3
	ds_write_b16 v23, v3 offset:3072
	s_branch .LBB23_263
.LBB23_268:                             ;   in Loop: Header=BB23_265 Depth=2
	v_add_u32_e32 v2, s33, v2
	v_cmp_le_u32_e32 vcc, s4, v2
	v_add_u32_e32 v1, s61, v1
	s_mov_b64 s[26:27], 0
	s_orn2_b64 s[22:23], vcc, exec
	s_branch .LBB23_264
.LBB23_269:                             ;   in Loop: Header=BB23_6 Depth=1
	s_or_b64 exec, exec, s[16:17]
	s_andn2_b64 s[8:9], s[14:15], exec
	s_and_b64 s[14:15], s[24:25], exec
	v_lshrrev_b32_sdwa v39, v37, v3 dst_sel:DWORD dst_unused:UNUSED_PAD src0_sel:DWORD src1_sel:WORD_0
	s_or_b64 s[14:15], s[8:9], s[14:15]
.LBB23_270:                             ;   in Loop: Header=BB23_6 Depth=1
	s_or_b64 exec, exec, s[2:3]
	s_mov_b64 s[30:31], 0
	s_mov_b64 s[26:27], -1
.LBB23_271:                             ;   in Loop: Header=BB23_6 Depth=1
	s_orn2_b64 s[2:3], s[14:15], exec
.LBB23_272:                             ;   in Loop: Header=BB23_6 Depth=1
	s_or_b64 exec, exec, s[12:13]
                                        ; implicit-def: $vgpr4
                                        ; implicit-def: $vgpr1
	s_and_saveexec_b64 s[50:51], s[2:3]
	s_cbranch_execz .LBB23_402
; %bb.273:                              ;   in Loop: Header=BB23_6 Depth=1
	s_xor_b64 s[8:9], s[6:7], -1
	s_mov_b64 s[6:7], 0
	v_mov_b32_e32 v4, 1
	v_mov_b32_e32 v1, 1
	s_and_saveexec_b64 s[2:3], s[8:9]
	s_cbranch_execz .LBB23_282
; %bb.274:                              ;   in Loop: Header=BB23_6 Depth=1
	v_cmp_ge_u32_e32 vcc, s19, v40
	s_and_saveexec_b64 s[6:7], vcc
	s_xor_b64 s[6:7], exec, s[6:7]
	s_cbranch_execz .LBB23_279
; %bb.275:                              ;   in Loop: Header=BB23_6 Depth=1
	ds_read_b32 v1, v23 offset:4096
	v_or_b32_e32 v30, s38, v30
	v_or_b32_e32 v38, s38, v38
	s_waitcnt lgkmcnt(0)
	v_cmp_ne_u32_e32 vcc, 0, v1
	s_cbranch_vccnz .LBB23_279
; %bb.276:                              ;   in Loop: Header=BB23_6 Depth=1
	s_mov_b64 s[8:9], exec
	v_readlane_b32 s12, v52, 23
	v_readlane_b32 s13, v52, 24
	s_and_b64 s[12:13], s[8:9], s[12:13]
	s_mov_b64 exec, s[12:13]
; %bb.277:                              ;   in Loop: Header=BB23_6 Depth=1
	v_mov_b32_e32 v1, s19
	ds_write_b32 v23, v1 offset:4100
; %bb.278:                              ;   in Loop: Header=BB23_6 Depth=1
	s_or_b64 exec, exec, s[8:9]
	s_waitcnt lgkmcnt(0)
	s_barrier
.LBB23_279:                             ;   in Loop: Header=BB23_6 Depth=1
	s_or_saveexec_b64 s[6:7], s[6:7]
	s_mov_b64 s[12:13], 0
	v_mov_b32_e32 v1, 5
	s_xor_b64 exec, exec, s[6:7]
; %bb.280:                              ;   in Loop: Header=BB23_6 Depth=1
	v_subrev_u32_e32 v40, s19, v40
	v_mov_b32_e32 v1, 0
	s_mov_b64 s[12:13], exec
; %bb.281:                              ;   in Loop: Header=BB23_6 Depth=1
	s_or_b64 exec, exec, s[6:7]
	s_and_b64 s[6:7], s[12:13], exec
	v_mov_b32_e32 v4, v40
.LBB23_282:                             ;   in Loop: Header=BB23_6 Depth=1
	s_or_b64 exec, exec, s[2:3]
	s_mov_b64 s[2:3], -1
                                        ; implicit-def: $sgpr40_sgpr41
                                        ; implicit-def: $sgpr42_sgpr43
	s_and_saveexec_b64 s[8:9], s[6:7]
	s_xor_b64 s[6:7], exec, s[8:9]
	s_cbranch_execz .LBB23_399
; %bb.283:                              ;   in Loop: Header=BB23_6 Depth=1
	s_cmp_eq_u32 s59, 1
	s_cselect_b64 s[2:3], -1, 0
	v_cmp_eq_u32_e32 vcc, 1, v4
	s_and_b64 s[12:13], s[2:3], vcc
	s_mov_b64 s[2:3], -1
                                        ; implicit-def: $sgpr42_sgpr43
                                        ; implicit-def: $sgpr40_sgpr41
	s_and_saveexec_b64 s[14:15], s[12:13]
	s_cbranch_execz .LBB23_309
; %bb.284:                              ;   in Loop: Header=BB23_6 Depth=1
	ds_read_b32 v2, v23 offset:4096
	s_waitcnt lgkmcnt(0)
	s_barrier
	v_readfirstlane_b32 s19, v2
	s_mov_b64 s[2:3], exec
	v_readlane_b32 s8, v52, 38
	v_readlane_b32 s9, v52, 39
	s_and_b64 s[8:9], s[2:3], s[8:9]
	s_mov_b64 exec, s[8:9]
; %bb.285:                              ;   in Loop: Header=BB23_6 Depth=1
	ds_write_b8 v0, v23 offset:3072
; %bb.286:                              ;   in Loop: Header=BB23_6 Depth=1
	s_or_b64 exec, exec, s[2:3]
	v_and_b32_e32 v2, s39, v30
	v_lshl_or_b32 v30, 2, s10, v2
	v_or_b32_e32 v38, s38, v38
	s_mov_b64 s[40:41], -1
	s_mov_b64 s[42:43], 0
	s_cmp_eq_u32 s19, 0
	s_mov_b64 s[16:17], 0
	s_mov_b64 s[2:3], -1
	s_waitcnt lgkmcnt(0)
	s_barrier
                                        ; implicit-def: $vgpr39
	s_cbranch_scc1 .LBB23_297
; %bb.287:                              ;   in Loop: Header=BB23_6 Depth=1
	v_readlane_b32 s2, v52, 40
	s_add_i32 s2, s19, s2
	v_readlane_b32 s3, v52, 60
	s_mul_hi_u32 s3, s2, s3
	s_mul_i32 s3, s3, s33
	s_sub_i32 s3, s2, s3
	s_sub_i32 s8, s3, s33
	s_cmp_ge_u32 s3, s33
	s_cselect_b32 s3, s8, s3
	s_sub_i32 s8, s3, s33
	s_cmp_ge_u32 s3, s33
	s_cselect_b32 s3, s8, s3
	s_sub_i32 s46, s2, s3
	v_cmp_gt_u32_e32 vcc, s46, v0
	s_mov_b64 s[2:3], 0
                                        ; implicit-def: $vgpr39
	s_and_saveexec_b64 s[24:25], vcc
	s_cbranch_execz .LBB23_296
; %bb.288:                              ;   in Loop: Header=BB23_6 Depth=1
	v_mov_b32_e32 v2, v0
                                        ; implicit-def: $sgpr28_sgpr29
	s_branch .LBB23_291
.LBB23_289:                             ;   in Loop: Header=BB23_291 Depth=2
	s_or_b64 exec, exec, s[44:45]
	s_waitcnt lgkmcnt(0)
	s_barrier
	ds_read_u16 v3, v23 offset:3072
	s_mov_b64 s[8:9], -1
	s_waitcnt lgkmcnt(0)
	s_barrier
	v_cmp_ne_u32_sdwa s[22:23], v3, v23 src0_sel:BYTE_0 src1_sel:DWORD
	s_and_b64 vcc, exec, s[22:23]
	s_mov_b64 s[22:23], -1
	s_cbranch_vccz .LBB23_294
.LBB23_290:                             ;   in Loop: Header=BB23_291 Depth=2
	s_and_b64 s[8:9], exec, s[8:9]
	s_or_b64 s[16:17], s[8:9], s[16:17]
	s_andn2_b64 s[8:9], s[28:29], exec
	s_and_b64 s[22:23], s[22:23], exec
	s_or_b64 s[28:29], s[8:9], s[22:23]
	s_andn2_b64 exec, exec, s[16:17]
	s_cbranch_execz .LBB23_295
.LBB23_291:                             ;   Parent Loop BB23_6 Depth=1
                                        ; =>  This Inner Loop Header: Depth=2
	v_cmp_gt_u32_e32 vcc, s19, v2
	s_and_saveexec_b64 s[44:45], vcc
	s_cbranch_execz .LBB23_289
; %bb.292:                              ;   in Loop: Header=BB23_291 Depth=2
	ds_read_u8 v3, v2
	s_waitcnt lgkmcnt(0)
	v_add_u32_sdwa v5, sext(v3), s18 dst_sel:DWORD dst_unused:UNUSED_PAD src0_sel:BYTE_0 src1_sel:DWORD
	v_and_b32_e32 v5, v5, v38
	v_cmp_eq_u32_e32 vcc, v5, v30
	s_and_b64 exec, exec, vcc
	s_cbranch_execz .LBB23_289
; %bb.293:                              ;   in Loop: Header=BB23_291 Depth=2
	v_lshlrev_b16_e32 v3, 8, v3
	v_or_b32_e32 v3, 1, v3
	ds_write_b16 v23, v3 offset:3072
	s_branch .LBB23_289
.LBB23_294:                             ;   in Loop: Header=BB23_291 Depth=2
	v_add_u32_e32 v2, s33, v2
	v_cmp_le_u32_e32 vcc, s46, v2
	s_mov_b64 s[22:23], 0
	s_orn2_b64 s[8:9], vcc, exec
	s_branch .LBB23_290
.LBB23_295:                             ;   in Loop: Header=BB23_6 Depth=1
	s_or_b64 exec, exec, s[16:17]
	v_lshrrev_b32_sdwa v39, v37, v3 dst_sel:DWORD dst_unused:UNUSED_PAD src0_sel:DWORD src1_sel:WORD_0
	s_and_b64 s[16:17], s[28:29], exec
.LBB23_296:                             ;   in Loop: Header=BB23_6 Depth=1
	s_or_b64 exec, exec, s[24:25]
.LBB23_297:                             ;   in Loop: Header=BB23_6 Depth=1
	s_and_b64 vcc, exec, s[2:3]
	s_cbranch_vccz .LBB23_308
; %bb.298:                              ;   in Loop: Header=BB23_6 Depth=1
                                        ; implicit-def: $vgpr39
	s_mov_b64 s[2:3], exec
	v_readlane_b32 s8, v52, 61
	v_readlane_b32 s9, v52, 62
	s_and_b64 s[8:9], s[2:3], s[8:9]
	s_mov_b64 exec, s[8:9]
	s_cbranch_execz .LBB23_307
; %bb.299:                              ;   in Loop: Header=BB23_6 Depth=1
	s_mov_b64 s[24:25], 0
	v_mov_b32_e32 v2, v22
	v_mov_b32_e32 v3, v0
                                        ; implicit-def: $sgpr28_sgpr29
	s_branch .LBB23_302
.LBB23_300:                             ;   in Loop: Header=BB23_302 Depth=2
	s_or_b64 exec, exec, s[40:41]
	s_waitcnt lgkmcnt(0)
	s_barrier
	ds_read_u16 v5, v23 offset:3072
	s_mov_b64 s[22:23], -1
	s_mov_b64 s[40:41], -1
	s_waitcnt lgkmcnt(0)
	s_barrier
	v_cmp_eq_u32_sdwa s[8:9], v5, v23 src0_sel:BYTE_0 src1_sel:DWORD
	s_and_b64 vcc, exec, s[8:9]
	s_cbranch_vccnz .LBB23_305
.LBB23_301:                             ;   in Loop: Header=BB23_302 Depth=2
	s_and_b64 s[8:9], exec, s[22:23]
	s_or_b64 s[24:25], s[8:9], s[24:25]
	s_andn2_b64 s[8:9], s[28:29], exec
	s_and_b64 s[22:23], s[40:41], exec
	s_or_b64 s[28:29], s[8:9], s[22:23]
	s_andn2_b64 exec, exec, s[24:25]
	s_cbranch_execz .LBB23_306
.LBB23_302:                             ;   Parent Loop BB23_6 Depth=1
                                        ; =>  This Inner Loop Header: Depth=2
	v_cmp_gt_u32_e32 vcc, s36, v3
	s_and_saveexec_b64 s[40:41], vcc
	s_cbranch_execz .LBB23_300
; %bb.303:                              ;   in Loop: Header=BB23_302 Depth=2
	global_load_ubyte v5, v2, s[48:49]
	s_waitcnt vmcnt(0)
	v_add_u32_sdwa v6, sext(v5), s18 dst_sel:DWORD dst_unused:UNUSED_PAD src0_sel:BYTE_0 src1_sel:DWORD
	v_and_b32_e32 v6, v6, v38
	v_cmp_eq_u32_e32 vcc, v6, v30
	s_and_b64 exec, exec, vcc
	s_cbranch_execz .LBB23_300
; %bb.304:                              ;   in Loop: Header=BB23_302 Depth=2
	v_lshlrev_b16_e32 v5, 8, v5
	v_or_b32_e32 v5, 1, v5
	ds_write_b16 v23, v5 offset:3072
	s_branch .LBB23_300
.LBB23_305:                             ;   in Loop: Header=BB23_302 Depth=2
	v_add_u32_e32 v3, s33, v3
	v_cmp_le_u32_e32 vcc, s4, v3
	v_add_u32_e32 v2, s61, v2
	s_mov_b64 s[40:41], 0
	s_orn2_b64 s[22:23], vcc, exec
	s_branch .LBB23_301
.LBB23_306:                             ;   in Loop: Header=BB23_6 Depth=1
	s_or_b64 exec, exec, s[24:25]
	s_andn2_b64 s[8:9], s[16:17], exec
	s_and_b64 s[16:17], s[28:29], exec
	v_lshrrev_b32_sdwa v39, v37, v5 dst_sel:DWORD dst_unused:UNUSED_PAD src0_sel:DWORD src1_sel:WORD_0
	s_or_b64 s[16:17], s[8:9], s[16:17]
.LBB23_307:                             ;   in Loop: Header=BB23_6 Depth=1
	s_or_b64 exec, exec, s[2:3]
	s_mov_b64 s[40:41], 0
	s_mov_b64 s[42:43], -1
.LBB23_308:                             ;   in Loop: Header=BB23_6 Depth=1
	s_orn2_b64 s[2:3], s[16:17], exec
.LBB23_309:                             ;   in Loop: Header=BB23_6 Depth=1
	s_or_b64 exec, exec, s[14:15]
	s_mov_b64 s[14:15], 0
	s_and_saveexec_b64 s[52:53], s[2:3]
	s_cbranch_execz .LBB23_398
; %bb.310:                              ;   in Loop: Header=BB23_6 Depth=1
	s_xor_b64 s[8:9], s[12:13], -1
	s_mov_b64 s[12:13], 0
	v_mov_b32_e32 v2, 1
	v_mov_b32_e32 v1, 1
	s_and_saveexec_b64 s[2:3], s[8:9]
	s_cbranch_execz .LBB23_319
; %bb.311:                              ;   in Loop: Header=BB23_6 Depth=1
	v_cmp_ge_u32_e32 vcc, s59, v4
	s_and_saveexec_b64 s[8:9], vcc
	s_xor_b64 s[12:13], exec, s[8:9]
	s_cbranch_execz .LBB23_316
; %bb.312:                              ;   in Loop: Header=BB23_6 Depth=1
	v_and_b32_e32 v1, s39, v30
	v_lshl_or_b32 v30, 2, s10, v1
	ds_read_b32 v1, v23 offset:4096
	v_or_b32_e32 v38, s38, v38
	s_waitcnt lgkmcnt(0)
	v_cmp_ne_u32_e32 vcc, 0, v1
	s_cbranch_vccnz .LBB23_316
; %bb.313:                              ;   in Loop: Header=BB23_6 Depth=1
	s_mov_b64 s[8:9], exec
	v_readlane_b32 s14, v52, 23
	v_readlane_b32 s15, v52, 24
	s_and_b64 s[14:15], s[8:9], s[14:15]
	s_mov_b64 exec, s[14:15]
; %bb.314:                              ;   in Loop: Header=BB23_6 Depth=1
	v_mov_b32_e32 v1, s59
	ds_write_b32 v23, v1 offset:4100
; %bb.315:                              ;   in Loop: Header=BB23_6 Depth=1
	s_or_b64 exec, exec, s[8:9]
	s_waitcnt lgkmcnt(0)
	s_barrier
.LBB23_316:                             ;   in Loop: Header=BB23_6 Depth=1
	s_or_saveexec_b64 s[12:13], s[12:13]
	s_mov_b64 s[14:15], 0
	v_mov_b32_e32 v1, 5
	s_xor_b64 exec, exec, s[12:13]
; %bb.317:                              ;   in Loop: Header=BB23_6 Depth=1
	v_subrev_u32_e32 v4, s59, v4
	v_mov_b32_e32 v1, 0
	s_mov_b64 s[14:15], exec
; %bb.318:                              ;   in Loop: Header=BB23_6 Depth=1
	s_or_b64 exec, exec, s[12:13]
	s_and_b64 s[12:13], s[14:15], exec
	v_mov_b32_e32 v2, v4
.LBB23_319:                             ;   in Loop: Header=BB23_6 Depth=1
	s_or_b64 exec, exec, s[2:3]
	s_mov_b64 s[2:3], -1
                                        ; implicit-def: $sgpr44_sgpr45
                                        ; implicit-def: $sgpr46_sgpr47
	s_and_saveexec_b64 s[94:95], s[12:13]
	s_cbranch_execz .LBB23_397
; %bb.320:                              ;   in Loop: Header=BB23_6 Depth=1
	s_cmp_eq_u32 s58, 1
	s_cselect_b64 s[2:3], -1, 0
	v_cmp_eq_u32_e32 vcc, 1, v2
	s_and_b64 s[12:13], s[2:3], vcc
	s_mov_b64 s[2:3], -1
                                        ; implicit-def: $sgpr46_sgpr47
                                        ; implicit-def: $sgpr44_sgpr45
	s_and_saveexec_b64 s[14:15], s[12:13]
	s_cbranch_execz .LBB23_346
; %bb.321:                              ;   in Loop: Header=BB23_6 Depth=1
	ds_read_b32 v3, v23 offset:4096
	s_waitcnt lgkmcnt(0)
	s_barrier
	v_readfirstlane_b32 s19, v3
	s_mov_b64 s[2:3], exec
	v_readlane_b32 s8, v52, 38
	v_readlane_b32 s9, v52, 39
	s_and_b64 s[8:9], s[2:3], s[8:9]
	s_mov_b64 exec, s[8:9]
; %bb.322:                              ;   in Loop: Header=BB23_6 Depth=1
	ds_write_b8 v0, v23 offset:3072
; %bb.323:                              ;   in Loop: Header=BB23_6 Depth=1
	s_or_b64 exec, exec, s[2:3]
	v_and_b32_e32 v3, s39, v30
	v_lshl_or_b32 v30, 1, s10, v3
	v_or_b32_e32 v38, s38, v38
	s_mov_b64 s[44:45], -1
	s_mov_b64 s[46:47], 0
	s_cmp_eq_u32 s19, 0
	s_mov_b64 s[16:17], 0
	s_mov_b64 s[2:3], -1
	s_waitcnt lgkmcnt(0)
	s_barrier
                                        ; implicit-def: $vgpr39
	s_cbranch_scc1 .LBB23_334
; %bb.324:                              ;   in Loop: Header=BB23_6 Depth=1
	v_readlane_b32 s2, v52, 40
	s_add_i32 s2, s19, s2
	v_readlane_b32 s3, v52, 60
	s_mul_hi_u32 s3, s2, s3
	s_mul_i32 s3, s3, s33
	s_sub_i32 s3, s2, s3
	s_sub_i32 s8, s3, s33
	s_cmp_ge_u32 s3, s33
	s_cselect_b32 s3, s8, s3
	s_sub_i32 s8, s3, s33
	s_cmp_ge_u32 s3, s33
	s_cselect_b32 s3, s8, s3
	s_sub_i32 s56, s2, s3
	v_cmp_gt_u32_e32 vcc, s56, v0
	s_mov_b64 s[2:3], 0
                                        ; implicit-def: $vgpr39
	s_and_saveexec_b64 s[24:25], vcc
	s_cbranch_execz .LBB23_333
; %bb.325:                              ;   in Loop: Header=BB23_6 Depth=1
	v_mov_b32_e32 v3, v0
                                        ; implicit-def: $sgpr28_sgpr29
	s_branch .LBB23_328
.LBB23_326:                             ;   in Loop: Header=BB23_328 Depth=2
	s_or_b64 exec, exec, s[54:55]
	s_waitcnt lgkmcnt(0)
	s_barrier
	ds_read_u16 v4, v23 offset:3072
	s_mov_b64 s[8:9], -1
	s_waitcnt lgkmcnt(0)
	s_barrier
	v_cmp_ne_u32_sdwa s[22:23], v4, v23 src0_sel:BYTE_0 src1_sel:DWORD
	s_and_b64 vcc, exec, s[22:23]
	s_mov_b64 s[22:23], -1
	s_cbranch_vccz .LBB23_331
.LBB23_327:                             ;   in Loop: Header=BB23_328 Depth=2
	s_and_b64 s[8:9], exec, s[8:9]
	s_or_b64 s[16:17], s[8:9], s[16:17]
	s_andn2_b64 s[8:9], s[28:29], exec
	s_and_b64 s[22:23], s[22:23], exec
	s_or_b64 s[28:29], s[8:9], s[22:23]
	s_andn2_b64 exec, exec, s[16:17]
	s_cbranch_execz .LBB23_332
.LBB23_328:                             ;   Parent Loop BB23_6 Depth=1
                                        ; =>  This Inner Loop Header: Depth=2
	v_cmp_gt_u32_e32 vcc, s19, v3
	s_and_saveexec_b64 s[54:55], vcc
	s_cbranch_execz .LBB23_326
; %bb.329:                              ;   in Loop: Header=BB23_328 Depth=2
	ds_read_u8 v4, v3
	s_waitcnt lgkmcnt(0)
	v_add_u32_sdwa v5, sext(v4), s18 dst_sel:DWORD dst_unused:UNUSED_PAD src0_sel:BYTE_0 src1_sel:DWORD
	v_and_b32_e32 v5, v5, v38
	v_cmp_eq_u32_e32 vcc, v5, v30
	s_and_b64 exec, exec, vcc
	s_cbranch_execz .LBB23_326
; %bb.330:                              ;   in Loop: Header=BB23_328 Depth=2
	v_lshlrev_b16_e32 v4, 8, v4
	v_or_b32_e32 v4, 1, v4
	ds_write_b16 v23, v4 offset:3072
	s_branch .LBB23_326
.LBB23_331:                             ;   in Loop: Header=BB23_328 Depth=2
	v_add_u32_e32 v3, s33, v3
	v_cmp_le_u32_e32 vcc, s56, v3
	s_mov_b64 s[22:23], 0
	s_orn2_b64 s[8:9], vcc, exec
	s_branch .LBB23_327
.LBB23_332:                             ;   in Loop: Header=BB23_6 Depth=1
	s_or_b64 exec, exec, s[16:17]
	v_lshrrev_b32_sdwa v39, v37, v4 dst_sel:DWORD dst_unused:UNUSED_PAD src0_sel:DWORD src1_sel:WORD_0
	s_and_b64 s[16:17], s[28:29], exec
.LBB23_333:                             ;   in Loop: Header=BB23_6 Depth=1
	s_or_b64 exec, exec, s[24:25]
.LBB23_334:                             ;   in Loop: Header=BB23_6 Depth=1
	s_and_b64 vcc, exec, s[2:3]
	s_cbranch_vccz .LBB23_345
; %bb.335:                              ;   in Loop: Header=BB23_6 Depth=1
                                        ; implicit-def: $vgpr39
	s_mov_b64 s[2:3], exec
	v_readlane_b32 s8, v52, 61
	v_readlane_b32 s9, v52, 62
	s_and_b64 s[8:9], s[2:3], s[8:9]
	s_mov_b64 exec, s[8:9]
	s_cbranch_execz .LBB23_344
; %bb.336:                              ;   in Loop: Header=BB23_6 Depth=1
	s_mov_b64 s[24:25], 0
	v_mov_b32_e32 v3, v22
	v_mov_b32_e32 v4, v0
                                        ; implicit-def: $sgpr28_sgpr29
	s_branch .LBB23_339
.LBB23_337:                             ;   in Loop: Header=BB23_339 Depth=2
	s_or_b64 exec, exec, s[44:45]
	s_waitcnt lgkmcnt(0)
	s_barrier
	ds_read_u16 v5, v23 offset:3072
	s_mov_b64 s[22:23], -1
	s_mov_b64 s[44:45], -1
	s_waitcnt lgkmcnt(0)
	s_barrier
	v_cmp_eq_u32_sdwa s[8:9], v5, v23 src0_sel:BYTE_0 src1_sel:DWORD
	s_and_b64 vcc, exec, s[8:9]
	s_cbranch_vccnz .LBB23_342
.LBB23_338:                             ;   in Loop: Header=BB23_339 Depth=2
	s_and_b64 s[8:9], exec, s[22:23]
	s_or_b64 s[24:25], s[8:9], s[24:25]
	s_andn2_b64 s[8:9], s[28:29], exec
	s_and_b64 s[22:23], s[44:45], exec
	s_or_b64 s[28:29], s[8:9], s[22:23]
	s_andn2_b64 exec, exec, s[24:25]
	s_cbranch_execz .LBB23_343
.LBB23_339:                             ;   Parent Loop BB23_6 Depth=1
                                        ; =>  This Inner Loop Header: Depth=2
	v_cmp_gt_u32_e32 vcc, s36, v4
	s_and_saveexec_b64 s[44:45], vcc
	s_cbranch_execz .LBB23_337
; %bb.340:                              ;   in Loop: Header=BB23_339 Depth=2
	global_load_ubyte v5, v3, s[48:49]
	s_waitcnt vmcnt(0)
	v_add_u32_sdwa v6, sext(v5), s18 dst_sel:DWORD dst_unused:UNUSED_PAD src0_sel:BYTE_0 src1_sel:DWORD
	v_and_b32_e32 v6, v6, v38
	v_cmp_eq_u32_e32 vcc, v6, v30
	s_and_b64 exec, exec, vcc
	s_cbranch_execz .LBB23_337
; %bb.341:                              ;   in Loop: Header=BB23_339 Depth=2
	v_lshlrev_b16_e32 v5, 8, v5
	v_or_b32_e32 v5, 1, v5
	ds_write_b16 v23, v5 offset:3072
	s_branch .LBB23_337
.LBB23_342:                             ;   in Loop: Header=BB23_339 Depth=2
	v_add_u32_e32 v4, s33, v4
	v_cmp_le_u32_e32 vcc, s4, v4
	v_add_u32_e32 v3, s61, v3
	s_mov_b64 s[44:45], 0
	s_orn2_b64 s[22:23], vcc, exec
	s_branch .LBB23_338
.LBB23_343:                             ;   in Loop: Header=BB23_6 Depth=1
	s_or_b64 exec, exec, s[24:25]
	s_andn2_b64 s[8:9], s[16:17], exec
	s_and_b64 s[16:17], s[28:29], exec
	v_lshrrev_b32_sdwa v39, v37, v5 dst_sel:DWORD dst_unused:UNUSED_PAD src0_sel:DWORD src1_sel:WORD_0
	s_or_b64 s[16:17], s[8:9], s[16:17]
.LBB23_344:                             ;   in Loop: Header=BB23_6 Depth=1
	s_or_b64 exec, exec, s[2:3]
	s_mov_b64 s[44:45], 0
	s_mov_b64 s[46:47], -1
.LBB23_345:                             ;   in Loop: Header=BB23_6 Depth=1
	s_orn2_b64 s[2:3], s[16:17], exec
.LBB23_346:                             ;   in Loop: Header=BB23_6 Depth=1
	s_or_b64 exec, exec, s[14:15]
	s_mov_b64 s[16:17], 0
	s_and_saveexec_b64 s[14:15], s[2:3]
	s_cbranch_execz .LBB23_396
; %bb.347:                              ;   in Loop: Header=BB23_6 Depth=1
	s_xor_b64 s[8:9], s[12:13], -1
	s_mov_b64 s[28:29], 0
	v_mov_b32_e32 v3, 1
	v_mov_b32_e32 v1, 1
	s_and_saveexec_b64 s[2:3], s[8:9]
	s_cbranch_execz .LBB23_356
; %bb.348:                              ;   in Loop: Header=BB23_6 Depth=1
	v_cmp_ge_u32_e32 vcc, s58, v2
	s_and_saveexec_b64 s[8:9], vcc
	s_xor_b64 s[12:13], exec, s[8:9]
	s_cbranch_execz .LBB23_353
; %bb.349:                              ;   in Loop: Header=BB23_6 Depth=1
	v_and_b32_e32 v1, s39, v30
	v_lshl_or_b32 v30, 1, s10, v1
	ds_read_b32 v1, v23 offset:4096
	v_or_b32_e32 v38, s38, v38
	s_waitcnt lgkmcnt(0)
	v_cmp_ne_u32_e32 vcc, 0, v1
	s_cbranch_vccnz .LBB23_353
; %bb.350:                              ;   in Loop: Header=BB23_6 Depth=1
	s_mov_b64 s[8:9], exec
	v_readlane_b32 s16, v52, 23
	v_readlane_b32 s17, v52, 24
	s_and_b64 s[16:17], s[8:9], s[16:17]
	s_mov_b64 exec, s[16:17]
; %bb.351:                              ;   in Loop: Header=BB23_6 Depth=1
	v_mov_b32_e32 v1, s58
	ds_write_b32 v23, v1 offset:4100
; %bb.352:                              ;   in Loop: Header=BB23_6 Depth=1
	s_or_b64 exec, exec, s[8:9]
	s_waitcnt lgkmcnt(0)
	s_barrier
.LBB23_353:                             ;   in Loop: Header=BB23_6 Depth=1
	s_or_saveexec_b64 s[12:13], s[12:13]
	s_mov_b64 s[16:17], 0
	v_mov_b32_e32 v1, 5
	s_xor_b64 exec, exec, s[12:13]
; %bb.354:                              ;   in Loop: Header=BB23_6 Depth=1
	v_subrev_u32_e32 v2, s58, v2
	v_mov_b32_e32 v1, 0
	s_mov_b64 s[16:17], exec
; %bb.355:                              ;   in Loop: Header=BB23_6 Depth=1
	s_or_b64 exec, exec, s[12:13]
	s_and_b64 s[28:29], s[16:17], exec
	v_mov_b32_e32 v3, v2
.LBB23_356:                             ;   in Loop: Header=BB23_6 Depth=1
	s_or_b64 exec, exec, s[2:3]
	s_mov_b64 s[2:3], -1
                                        ; implicit-def: $sgpr12_sgpr13
                                        ; implicit-def: $sgpr24_sgpr25
	s_and_saveexec_b64 s[16:17], s[28:29]
	s_cbranch_execz .LBB23_395
; %bb.357:                              ;   in Loop: Header=BB23_6 Depth=1
	s_cmp_eq_u32 s60, 1
	s_cselect_b64 s[2:3], -1, 0
	v_cmp_eq_u32_e32 vcc, 1, v3
	s_and_b64 s[28:29], s[2:3], vcc
	s_mov_b64 s[56:57], -1
                                        ; implicit-def: $sgpr12_sgpr13
                                        ; implicit-def: $sgpr24_sgpr25
	s_and_saveexec_b64 s[54:55], s[28:29]
	s_cbranch_execz .LBB23_383
; %bb.358:                              ;   in Loop: Header=BB23_6 Depth=1
	ds_read_b32 v2, v23 offset:4096
	s_waitcnt lgkmcnt(0)
	s_barrier
	v_readfirstlane_b32 s19, v2
	s_mov_b64 s[2:3], exec
	v_readlane_b32 s8, v52, 38
	v_readlane_b32 s9, v52, 39
	s_and_b64 s[8:9], s[2:3], s[8:9]
	s_mov_b64 exec, s[8:9]
; %bb.359:                              ;   in Loop: Header=BB23_6 Depth=1
	ds_write_b8 v0, v23 offset:3072
; %bb.360:                              ;   in Loop: Header=BB23_6 Depth=1
	s_or_b64 exec, exec, s[2:3]
	v_and_b32_e32 v30, s39, v30
	v_or_b32_e32 v38, s38, v38
	s_mov_b64 s[24:25], -1
	s_mov_b64 s[12:13], 0
	s_cmp_eq_u32 s19, 0
	s_mov_b64 s[56:57], 0
	s_mov_b64 s[2:3], -1
	s_waitcnt lgkmcnt(0)
	s_barrier
                                        ; implicit-def: $vgpr39
	s_cbranch_scc1 .LBB23_371
; %bb.361:                              ;   in Loop: Header=BB23_6 Depth=1
	v_readlane_b32 s2, v52, 40
	s_add_i32 s2, s19, s2
	v_readlane_b32 s3, v52, 60
	s_mul_hi_u32 s3, s2, s3
	s_mul_i32 s3, s3, s33
	s_sub_i32 s3, s2, s3
	s_sub_i32 s8, s3, s33
	s_cmp_ge_u32 s3, s33
	s_cselect_b32 s3, s8, s3
	s_sub_i32 s8, s3, s33
	s_cmp_ge_u32 s3, s33
	s_cselect_b32 s3, s8, s3
	s_sub_i32 s58, s2, s3
	v_cmp_gt_u32_e32 vcc, s58, v0
	s_mov_b64 s[2:3], 0
                                        ; implicit-def: $vgpr39
	s_and_saveexec_b64 s[64:65], vcc
	s_cbranch_execz .LBB23_370
; %bb.362:                              ;   in Loop: Header=BB23_6 Depth=1
	v_mov_b32_e32 v2, v0
                                        ; implicit-def: $sgpr66_sgpr67
	s_branch .LBB23_365
.LBB23_363:                             ;   in Loop: Header=BB23_365 Depth=2
	s_or_b64 exec, exec, s[68:69]
	s_waitcnt lgkmcnt(0)
	s_barrier
	ds_read_u16 v4, v23 offset:3072
	s_mov_b64 s[8:9], -1
	s_waitcnt lgkmcnt(0)
	s_barrier
	v_cmp_ne_u32_sdwa s[22:23], v4, v23 src0_sel:BYTE_0 src1_sel:DWORD
	s_and_b64 vcc, exec, s[22:23]
	s_mov_b64 s[22:23], -1
	s_cbranch_vccz .LBB23_368
.LBB23_364:                             ;   in Loop: Header=BB23_365 Depth=2
	s_and_b64 s[8:9], exec, s[8:9]
	s_or_b64 s[56:57], s[8:9], s[56:57]
	s_andn2_b64 s[8:9], s[66:67], exec
	s_and_b64 s[22:23], s[22:23], exec
	s_or_b64 s[66:67], s[8:9], s[22:23]
	s_andn2_b64 exec, exec, s[56:57]
	s_cbranch_execz .LBB23_369
.LBB23_365:                             ;   Parent Loop BB23_6 Depth=1
                                        ; =>  This Inner Loop Header: Depth=2
	v_cmp_gt_u32_e32 vcc, s19, v2
	s_and_saveexec_b64 s[68:69], vcc
	s_cbranch_execz .LBB23_363
; %bb.366:                              ;   in Loop: Header=BB23_365 Depth=2
	ds_read_u8 v4, v2
	s_waitcnt lgkmcnt(0)
	v_add_u32_sdwa v5, sext(v4), s18 dst_sel:DWORD dst_unused:UNUSED_PAD src0_sel:BYTE_0 src1_sel:DWORD
	v_and_b32_e32 v5, v5, v38
	v_cmp_eq_u32_e32 vcc, v5, v30
	s_and_b64 exec, exec, vcc
	s_cbranch_execz .LBB23_363
; %bb.367:                              ;   in Loop: Header=BB23_365 Depth=2
	v_lshlrev_b16_e32 v4, 8, v4
	v_or_b32_e32 v4, 1, v4
	ds_write_b16 v23, v4 offset:3072
	s_branch .LBB23_363
.LBB23_368:                             ;   in Loop: Header=BB23_365 Depth=2
	v_add_u32_e32 v2, s33, v2
	v_cmp_le_u32_e32 vcc, s58, v2
	s_mov_b64 s[22:23], 0
	s_orn2_b64 s[8:9], vcc, exec
	s_branch .LBB23_364
.LBB23_369:                             ;   in Loop: Header=BB23_6 Depth=1
	s_or_b64 exec, exec, s[56:57]
	v_lshrrev_b32_sdwa v39, v37, v4 dst_sel:DWORD dst_unused:UNUSED_PAD src0_sel:DWORD src1_sel:WORD_0
	s_and_b64 s[56:57], s[66:67], exec
.LBB23_370:                             ;   in Loop: Header=BB23_6 Depth=1
	s_or_b64 exec, exec, s[64:65]
.LBB23_371:                             ;   in Loop: Header=BB23_6 Depth=1
	s_and_b64 vcc, exec, s[2:3]
	s_cbranch_vccz .LBB23_382
; %bb.372:                              ;   in Loop: Header=BB23_6 Depth=1
                                        ; implicit-def: $vgpr39
	s_mov_b64 s[2:3], exec
	v_readlane_b32 s8, v52, 61
	v_readlane_b32 s9, v52, 62
	s_and_b64 s[8:9], s[2:3], s[8:9]
	s_mov_b64 exec, s[8:9]
	s_cbranch_execz .LBB23_381
; %bb.373:                              ;   in Loop: Header=BB23_6 Depth=1
	s_mov_b64 s[12:13], 0
	v_mov_b32_e32 v2, v22
	v_mov_b32_e32 v4, v0
                                        ; implicit-def: $sgpr24_sgpr25
	s_branch .LBB23_376
.LBB23_374:                             ;   in Loop: Header=BB23_376 Depth=2
	s_or_b64 exec, exec, s[64:65]
	s_waitcnt lgkmcnt(0)
	s_barrier
	ds_read_u16 v5, v23 offset:3072
	s_mov_b64 s[22:23], -1
	s_mov_b64 s[64:65], -1
	s_waitcnt lgkmcnt(0)
	s_barrier
	v_cmp_eq_u32_sdwa s[8:9], v5, v23 src0_sel:BYTE_0 src1_sel:DWORD
	s_and_b64 vcc, exec, s[8:9]
	s_cbranch_vccnz .LBB23_379
.LBB23_375:                             ;   in Loop: Header=BB23_376 Depth=2
	s_and_b64 s[8:9], exec, s[22:23]
	s_or_b64 s[12:13], s[8:9], s[12:13]
	s_andn2_b64 s[8:9], s[24:25], exec
	s_and_b64 s[22:23], s[64:65], exec
	s_or_b64 s[24:25], s[8:9], s[22:23]
	s_andn2_b64 exec, exec, s[12:13]
	s_cbranch_execz .LBB23_380
.LBB23_376:                             ;   Parent Loop BB23_6 Depth=1
                                        ; =>  This Inner Loop Header: Depth=2
	v_cmp_gt_u32_e32 vcc, s36, v4
	s_and_saveexec_b64 s[64:65], vcc
	s_cbranch_execz .LBB23_374
; %bb.377:                              ;   in Loop: Header=BB23_376 Depth=2
	global_load_ubyte v5, v2, s[48:49]
	s_waitcnt vmcnt(0)
	v_add_u32_sdwa v6, sext(v5), s18 dst_sel:DWORD dst_unused:UNUSED_PAD src0_sel:BYTE_0 src1_sel:DWORD
	v_and_b32_e32 v6, v6, v38
	v_cmp_eq_u32_e32 vcc, v6, v30
	s_and_b64 exec, exec, vcc
	s_cbranch_execz .LBB23_374
; %bb.378:                              ;   in Loop: Header=BB23_376 Depth=2
	v_lshlrev_b16_e32 v5, 8, v5
	v_or_b32_e32 v5, 1, v5
	ds_write_b16 v23, v5 offset:3072
	s_branch .LBB23_374
.LBB23_379:                             ;   in Loop: Header=BB23_376 Depth=2
	v_add_u32_e32 v4, s33, v4
	v_cmp_le_u32_e32 vcc, s4, v4
	v_add_u32_e32 v2, s61, v2
	s_mov_b64 s[64:65], 0
	s_orn2_b64 s[22:23], vcc, exec
	s_branch .LBB23_375
.LBB23_380:                             ;   in Loop: Header=BB23_6 Depth=1
	s_or_b64 exec, exec, s[12:13]
	s_andn2_b64 s[8:9], s[56:57], exec
	s_and_b64 s[12:13], s[24:25], exec
	v_lshrrev_b32_sdwa v39, v37, v5 dst_sel:DWORD dst_unused:UNUSED_PAD src0_sel:DWORD src1_sel:WORD_0
	s_or_b64 s[56:57], s[8:9], s[12:13]
.LBB23_381:                             ;   in Loop: Header=BB23_6 Depth=1
	s_or_b64 exec, exec, s[2:3]
	s_mov_b64 s[24:25], 0
	s_mov_b64 s[12:13], -1
.LBB23_382:                             ;   in Loop: Header=BB23_6 Depth=1
	s_orn2_b64 s[56:57], s[56:57], exec
.LBB23_383:                             ;   in Loop: Header=BB23_6 Depth=1
	s_or_b64 exec, exec, s[54:55]
	s_mov_b64 s[54:55], 0
	s_and_saveexec_b64 s[2:3], s[56:57]
	s_cbranch_execz .LBB23_394
; %bb.384:                              ;   in Loop: Header=BB23_6 Depth=1
	s_xor_b64 s[8:9], s[28:29], -1
	v_mov_b32_e32 v1, 1
	v_mov_b32_e32 v2, 1
	s_and_saveexec_b64 s[28:29], s[8:9]
	s_cbranch_execz .LBB23_393
; %bb.385:                              ;   in Loop: Header=BB23_6 Depth=1
	v_cmp_ge_u32_e32 vcc, s60, v3
	s_and_saveexec_b64 s[8:9], vcc
	s_xor_b64 s[54:55], exec, s[8:9]
	s_cbranch_execz .LBB23_390
; %bb.386:                              ;   in Loop: Header=BB23_6 Depth=1
	ds_read_b32 v1, v23 offset:4096
	v_and_b32_e32 v30, s39, v30
	v_or_b32_e32 v38, s38, v38
	s_waitcnt lgkmcnt(0)
	v_cmp_ne_u32_e32 vcc, 0, v1
	s_cbranch_vccnz .LBB23_390
; %bb.387:                              ;   in Loop: Header=BB23_6 Depth=1
	s_mov_b64 s[8:9], exec
	v_readlane_b32 s22, v52, 23
	v_readlane_b32 s23, v52, 24
	s_and_b64 s[22:23], s[8:9], s[22:23]
	s_mov_b64 exec, s[22:23]
; %bb.388:                              ;   in Loop: Header=BB23_6 Depth=1
	v_mov_b32_e32 v1, s60
	ds_write_b32 v23, v1 offset:4100
; %bb.389:                              ;   in Loop: Header=BB23_6 Depth=1
	s_or_b64 exec, exec, s[8:9]
	s_waitcnt lgkmcnt(0)
	s_barrier
.LBB23_390:                             ;   in Loop: Header=BB23_6 Depth=1
	s_andn2_saveexec_b64 s[22:23], s[54:55]
; %bb.391:                              ;   in Loop: Header=BB23_6 Depth=1
	v_subrev_u32_e32 v3, s60, v3
; %bb.392:                              ;   in Loop: Header=BB23_6 Depth=1
	s_or_b64 exec, exec, s[22:23]
	v_mov_b32_e32 v1, 5
	v_mov_b32_e32 v2, v3
.LBB23_393:                             ;   in Loop: Header=BB23_6 Depth=1
	s_or_b64 exec, exec, s[28:29]
	s_mov_b64 s[54:55], exec
	v_mov_b32_e32 v3, v2
.LBB23_394:                             ;   in Loop: Header=BB23_6 Depth=1
	s_or_b64 exec, exec, s[2:3]
	s_orn2_b64 s[2:3], s[54:55], exec
.LBB23_395:                             ;   in Loop: Header=BB23_6 Depth=1
	s_or_b64 exec, exec, s[16:17]
	s_andn2_b64 s[8:9], s[46:47], exec
	s_and_b64 s[12:13], s[12:13], exec
	s_or_b64 s[46:47], s[8:9], s[12:13]
	s_andn2_b64 s[8:9], s[44:45], exec
	s_and_b64 s[12:13], s[24:25], exec
	s_or_b64 s[44:45], s[8:9], s[12:13]
	s_and_b64 s[16:17], s[2:3], exec
	v_mov_b32_e32 v2, v3
.LBB23_396:                             ;   in Loop: Header=BB23_6 Depth=1
	s_or_b64 exec, exec, s[14:15]
	s_orn2_b64 s[2:3], s[16:17], exec
.LBB23_397:                             ;   in Loop: Header=BB23_6 Depth=1
	s_or_b64 exec, exec, s[94:95]
	s_andn2_b64 s[8:9], s[42:43], exec
	s_and_b64 s[12:13], s[46:47], exec
	s_or_b64 s[42:43], s[8:9], s[12:13]
	s_andn2_b64 s[8:9], s[40:41], exec
	s_and_b64 s[12:13], s[44:45], exec
	s_or_b64 s[40:41], s[8:9], s[12:13]
	s_and_b64 s[14:15], s[2:3], exec
	v_mov_b32_e32 v4, v2
.LBB23_398:                             ;   in Loop: Header=BB23_6 Depth=1
	s_or_b64 exec, exec, s[52:53]
	s_orn2_b64 s[2:3], s[14:15], exec
.LBB23_399:                             ;   in Loop: Header=BB23_6 Depth=1
	s_or_b64 exec, exec, s[6:7]
	s_mov_b64 s[6:7], s[92:93]
	s_mov_b64 s[12:13], s[34:35]
	s_and_saveexec_b64 s[14:15], s[2:3]
; %bb.400:                              ;   in Loop: Header=BB23_6 Depth=1
	v_cmp_ne_u32_e64 s[6:7], 5, v1
	v_cmp_eq_u32_e32 vcc, 5, v1
	s_andn2_b64 s[2:3], s[34:35], exec
	s_and_b64 s[6:7], s[6:7], exec
	s_or_b64 s[12:13], s[2:3], s[6:7]
	s_andn2_b64 s[2:3], s[92:93], exec
	s_and_b64 s[6:7], vcc, exec
	s_or_b64 s[6:7], s[2:3], s[6:7]
; %bb.401:                              ;   in Loop: Header=BB23_6 Depth=1
	s_or_b64 exec, exec, s[14:15]
	s_andn2_b64 s[2:3], s[26:27], exec
	s_and_b64 s[8:9], s[42:43], exec
	s_or_b64 s[26:27], s[2:3], s[8:9]
	s_andn2_b64 s[2:3], s[30:31], exec
	s_and_b64 s[8:9], s[40:41], exec
	s_or_b64 s[30:31], s[2:3], s[8:9]
	;; [unrolled: 3-line block ×4, first 2 shown]
.LBB23_402:                             ;   in Loop: Header=BB23_6 Depth=1
	s_or_b64 exec, exec, s[50:51]
	s_mov_b64 s[94:95], 0
	s_mov_b64 s[50:51], 0
	s_and_saveexec_b64 s[2:3], s[92:93]
.LBB23_403:                             ;   in Loop: Header=BB23_6 Depth=1
	v_mov_b32_e32 v1, 0
	s_or_b64 s[34:35], s[34:35], exec
.LBB23_404:                             ;   in Loop: Header=BB23_6 Depth=1
	s_or_b64 exec, exec, s[2:3]
	s_andn2_b64 s[2:3], s[88:89], exec
	s_and_b64 s[8:9], s[26:27], exec
	s_or_b64 s[88:89], s[2:3], s[8:9]
	s_andn2_b64 s[2:3], s[86:87], exec
	s_and_b64 s[8:9], s[30:31], exec
	s_or_b64 s[86:87], s[2:3], s[8:9]
	;; [unrolled: 3-line block ×3, first 2 shown]
	s_andn2_b64 s[2:3], s[82:83], exec
	s_and_b64 s[8:9], s[94:95], exec
	s_mov_b64 s[6:7], -1
	s_andn2_b64 s[90:91], s[90:91], exec
	s_or_b64 s[82:83], s[2:3], s[8:9]
	v_mov_b32_e32 v40, v4
	s_and_saveexec_b64 s[2:3], s[34:35]
	s_xor_b64 s[2:3], exec, s[2:3]
	s_mov_b32 s22, 0xc0c0004
	s_mov_b32 s23, 0xc0c0007
	s_cbranch_execz .LBB23_5
; %bb.405:                              ;   in Loop: Header=BB23_6 Depth=1
	v_cmp_eq_u32_e32 vcc, 0, v1
	s_mov_b64 s[12:13], -1
	s_and_saveexec_b64 s[14:15], vcc
	s_cbranch_execz .LBB23_4
; %bb.406:                              ;   in Loop: Header=BB23_6 Depth=1
	v_readlane_b32 s6, v52, 14
	s_xor_b32 s6, s6, 1
	s_add_i32 s8, s10, -2
	s_cmp_eq_u32 s10, 0
	v_writelane_b32 v52, s6, 14
	s_cselect_b64 s[6:7], -1, 0
	s_xor_b64 s[12:13], exec, -1
	s_orn2_b64 s[6:7], s[6:7], exec
	s_mov_b32 s10, s8
	s_branch .LBB23_4
.LBB23_407:
	s_or_b64 exec, exec, s[70:71]
	s_xor_b64 s[6:7], s[80:81], -1
	s_xor_b64 s[18:19], s[78:79], -1
	;; [unrolled: 1-line block ×5, first 2 shown]
	s_mov_b64 s[12:13], 0
	s_and_saveexec_b64 s[10:11], s[4:5]
	s_xor_b64 s[10:11], exec, s[10:11]
	s_cbranch_execnz .LBB23_412
; %bb.408:
	s_andn2_saveexec_b64 s[0:1], s[10:11]
	s_cbranch_execnz .LBB23_431
.LBB23_409:
	s_or_b64 exec, exec, s[0:1]
	s_and_saveexec_b64 s[0:1], s[12:13]
.LBB23_410:
	; divergent unreachable
.LBB23_411:
	s_endpgm
.LBB23_412:
	s_mov_b64 s[14:15], 0
	s_and_saveexec_b64 s[4:5], s[8:9]
	s_xor_b64 s[12:13], exec, s[4:5]
	s_cbranch_execz .LBB23_429
; %bb.413:
	s_mov_b64 s[16:17], 0
	s_and_saveexec_b64 s[4:5], s[18:19]
	s_xor_b64 s[14:15], exec, s[4:5]
	s_cbranch_execz .LBB23_427
; %bb.414:
	;; [unrolled: 5-line block ×3, first 2 shown]
	s_and_saveexec_b64 s[4:5], s[2:3]
	s_xor_b64 s[2:3], exec, s[4:5]
; %bb.416:
	v_xor_b32_e32 v39, 0xffffff80, v30
; %bb.417:
	s_or_b64 exec, exec, s[2:3]
	s_mov_b64 s[2:3], exec
	v_readlane_b32 s4, v52, 23
	v_readlane_b32 s5, v52, 24
	;; [unrolled: 1-line block ×3, first 2 shown]
	s_and_b64 s[4:5], s[2:3], s[4:5]
	v_readlane_b32 s45, v52, 27
	v_readlane_b32 s6, v52, 25
	;; [unrolled: 1-line block ×3, first 2 shown]
	s_mov_b64 exec, s[4:5]
; %bb.418:
	v_mov_b32_e32 v1, 0
	ds_write_b32 v1, v1 offset:4108
; %bb.419:
	s_or_b64 exec, exec, s[2:3]
	v_mov_b32_e32 v3, 0
	s_waitcnt lgkmcnt(0)
	s_barrier
	s_mov_b64 s[2:3], exec
	v_readlane_b32 s4, v52, 34
	v_readlane_b32 s5, v52, 35
	s_and_b64 s[4:5], s[2:3], s[4:5]
	s_mov_b64 exec, s[4:5]
	s_cbranch_execz .LBB23_421
; %bb.420:
	global_load_ubyte v3, v[13:14], off
.LBB23_421:
	s_or_b64 exec, exec, s[2:3]
	v_readlane_b32 s8, v52, 15
	v_readlane_b32 s9, v52, 16
	;; [unrolled: 1-line block ×3, first 2 shown]
	s_mul_i32 s2, s7, s9
	v_readlane_b32 s9, v52, 18
	s_mul_i32 s3, s9, s8
	s_add_i32 s34, s36, 63
	s_sub_i32 s3, s7, s3
	s_andn2_b32 s34, s34, 63
	s_sub_i32 s2, s6, s2
	s_add_i32 s4, s9, 1
	s_sub_i32 s5, s3, s8
	s_cmp_ge_u32 s3, s8
	s_cselect_b32 s4, s4, s9
	s_cselect_b32 s3, s5, s3
	s_add_i32 s5, s4, 1
	s_cmp_ge_u32 s3, s8
	s_cselect_b32 s3, s5, s4
	v_readlane_b32 s20, v52, 6
	s_mul_i32 s4, s3, s8
	v_readlane_b32 s21, v52, 7
	v_readlane_b32 s22, v52, 8
	s_sub_i32 s4, s7, s4
	s_mul_i32 s2, s2, s22
	s_mul_i32 s4, s4, s21
	v_readlane_b32 s8, v52, 19
	s_add_i32 s2, s4, s2
	s_mul_i32 s3, s3, s20
	v_readlane_b32 s9, v52, 20
	v_readlane_b32 s7, v52, 21
	s_add_i32 s4, s2, s3
	s_mul_i32 s2, s7, s9
	v_readlane_b32 s9, v52, 22
	s_mul_i32 s3, s9, s8
	s_sub_i32 s3, s7, s3
	s_sub_i32 s2, s6, s2
	s_add_i32 s5, s9, 1
	s_sub_i32 s6, s3, s8
	s_cmp_ge_u32 s3, s8
	s_cselect_b32 s5, s5, s9
	s_cselect_b32 s3, s6, s3
	s_add_i32 s6, s5, 1
	s_cmp_ge_u32 s3, s8
	v_readlane_b32 s23, v52, 9
	s_cselect_b32 s3, s6, s5
	v_readlane_b32 s20, v52, 0
	s_mul_i32 s5, s3, s8
	v_readlane_b32 s21, v52, 1
	v_readlane_b32 s22, v52, 2
	s_sub_i32 s5, s7, s5
	s_mul_i32 s2, s2, s22
	s_mul_i32 s5, s5, s21
	s_add_i32 s2, s5, s2
	s_mul_i32 s3, s3, s20
	s_add_i32 s2, s2, s3
	v_readlane_b32 s6, v52, 10
	s_mov_b32 s3, 0
	v_readlane_b32 s7, v52, 11
	s_add_u32 s8, s6, s4
	s_addc_u32 s9, s7, 0
	s_lshl_b64 s[2:3], s[2:3], 3
	v_readlane_b32 s4, v52, 4
	v_readlane_b32 s5, v52, 5
	s_add_u32 s35, s4, s2
	s_addc_u32 s38, s5, s3
	v_readlane_b32 s2, v52, 12
	v_readlane_b32 s3, v52, 13
	s_load_dword s39, s[2:3], 0x1c8
	s_load_dword s40, s[2:3], 0x2a8
	v_cmp_gt_u32_e32 vcc, s34, v0
	s_mov_b64 s[2:3], -1
	s_mov_b64 s[4:5], 0
	v_readlane_b32 s23, v52, 3
	s_and_saveexec_b64 s[20:21], vcc
	s_cbranch_execnz .LBB23_432
; %bb.422:
	s_or_b64 exec, exec, s[20:21]
	s_and_saveexec_b64 s[6:7], s[2:3]
	s_cbranch_execnz .LBB23_447
.LBB23_423:
	s_or_b64 exec, exec, s[6:7]
	s_and_saveexec_b64 s[0:1], s[4:5]
	s_xor_b64 s[0:1], exec, s[0:1]
	s_cbranch_execnz .LBB23_470
.LBB23_424:
	s_or_b64 exec, exec, s[0:1]
	s_and_b64 s[18:19], s[18:19], exec
.LBB23_425:
	s_andn2_saveexec_b64 s[0:1], s[16:17]
	s_cbranch_execnz .LBB23_472
.LBB23_426:
	s_or_b64 exec, exec, s[0:1]
	s_and_b64 s[16:17], s[18:19], exec
.LBB23_427:
	s_andn2_saveexec_b64 s[0:1], s[14:15]
	s_cbranch_execnz .LBB23_471
.LBB23_428:
	s_or_b64 exec, exec, s[0:1]
	s_and_b64 s[14:15], s[16:17], exec
.LBB23_429:
	s_andn2_saveexec_b64 s[0:1], s[12:13]
	s_cbranch_execnz .LBB23_466
.LBB23_430:
	s_or_b64 exec, exec, s[0:1]
	s_and_b64 s[12:13], s[14:15], exec
	s_andn2_saveexec_b64 s[0:1], s[10:11]
	s_cbranch_execz .LBB23_409
.LBB23_431:
	s_or_b64 s[12:13], s[12:13], exec
	s_trap 2
	s_or_b64 exec, exec, s[0:1]
	s_and_saveexec_b64 s[0:1], s[12:13]
	s_cbranch_execnz .LBB23_410
	s_branch .LBB23_411
.LBB23_432:
	v_add_u32_e32 v1, s33, v0
	v_mul_lo_u32 v5, s43, v1
	s_movk_i32 s41, 0x80
	v_add_u32_sdwa v4, sext(v39), s41 dst_sel:DWORD dst_unused:UNUSED_PAD src0_sel:BYTE_0 src1_sel:DWORD
	s_mov_b64 s[22:23], 0
	v_mov_b32_e32 v2, 0
	v_mov_b32_e32 v1, v0
                                        ; implicit-def: $sgpr24_sgpr25
                                        ; implicit-def: $vgpr8
	s_branch .LBB23_434
.LBB23_433:                             ;   in Loop: Header=BB23_434 Depth=1
	s_or_b64 exec, exec, s[26:27]
	s_xor_b64 s[4:5], s[6:7], -1
	s_and_b64 s[2:3], exec, s[2:3]
	s_or_b64 s[22:23], s[2:3], s[22:23]
	s_andn2_b64 s[2:3], s[24:25], exec
	s_and_b64 s[4:5], s[4:5], exec
	s_or_b64 s[24:25], s[2:3], s[4:5]
	v_mov_b32_e32 v3, v7
	v_mov_b32_e32 v1, v6
	s_andn2_b64 exec, exec, s[22:23]
	s_cbranch_execz .LBB23_446
.LBB23_434:                             ; =>This Inner Loop Header: Depth=1
	v_add_u32_e32 v6, s33, v1
	v_cmp_gt_u32_e64 s[4:5], s36, v6
	v_mov_b32_e32 v7, 0
	s_and_saveexec_b64 s[2:3], s[4:5]
	s_cbranch_execz .LBB23_436
; %bb.435:                              ;   in Loop: Header=BB23_434 Depth=1
	global_load_ubyte v7, v5, s[48:49]
.LBB23_436:                             ;   in Loop: Header=BB23_434 Depth=1
	s_or_b64 exec, exec, s[2:3]
	s_waitcnt vmcnt(0)
	v_add_u32_sdwa v9, sext(v3), s41 dst_sel:DWORD dst_unused:UNUSED_PAD src0_sel:BYTE_0 src1_sel:DWORD
	v_cmp_gt_u32_e64 s[6:7], v9, v4
	v_cndmask_b32_e64 v10, 0, 1, s[6:7]
	v_cmp_lt_u32_e64 s[6:7], v9, v4
	v_cndmask_b32_e64 v9, 0, 1, s[6:7]
	v_cndmask_b32_e64 v9, v9, v10, s[44:45]
	v_and_b32_e32 v9, 1, v9
	v_cmp_gt_u32_e64 s[4:5], s36, v1
	v_cmp_eq_u32_e64 s[6:7], 1, v9
	s_and_b64 s[26:27], s[4:5], s[6:7]
	v_cndmask_b32_e64 v9, 0, 1, s[26:27]
	v_cmp_ne_u32_e64 s[4:5], 0, v9
	s_cmp_lg_u64 s[4:5], 0
	s_cselect_b64 s[2:3], -1, 0
	s_and_b64 s[6:7], s[0:1], s[2:3]
	s_and_saveexec_b64 s[2:3], s[6:7]
	s_cbranch_execz .LBB23_440
; %bb.437:                              ;   in Loop: Header=BB23_434 Depth=1
	s_mov_b64 s[30:31], exec
	s_waitcnt lgkmcnt(0)
	v_mbcnt_lo_u32_b32 v8, s30, 0
	v_mbcnt_hi_u32_b32 v8, s31, v8
	s_bcnt1_i32_b64 s42, s[4:5]
	v_cmp_eq_u32_e64 s[6:7], 0, v8
                                        ; implicit-def: $vgpr9
	s_and_saveexec_b64 s[28:29], s[6:7]
; %bb.438:                              ;   in Loop: Header=BB23_434 Depth=1
	s_bcnt1_i32_b64 s6, s[30:31]
	s_mul_i32 s6, s42, s6
	v_mov_b32_e32 v9, s6
	ds_add_rtn_u32 v9, v2, v9 offset:4108
; %bb.439:                              ;   in Loop: Header=BB23_434 Depth=1
	s_or_b64 exec, exec, s[28:29]
	s_waitcnt lgkmcnt(0)
	v_readfirstlane_b32 s6, v9
	v_mov_b32_e32 v9, s6
	v_mad_u32_u24 v8, s42, v8, v9
.LBB23_440:                             ;   in Loop: Header=BB23_434 Depth=1
	s_or_b64 exec, exec, s[2:3]
	s_waitcnt lgkmcnt(0)
	ds_bpermute_b32 v8, v17, v8
	s_mov_b64 s[2:3], -1
	s_mov_b64 s[28:29], -1
	s_and_saveexec_b64 s[6:7], s[26:27]
	s_cbranch_execz .LBB23_444
; %bb.441:                              ;   in Loop: Header=BB23_434 Depth=1
	v_and_b32_e32 v10, s4, v19
	v_and_b32_e32 v9, s5, v18
	v_bcnt_u32_b32 v10, v10, 0
	v_bcnt_u32_b32 v9, v9, v10
	s_waitcnt lgkmcnt(0)
	v_add_u32_e32 v9, v8, v9
	v_cmp_gt_u32_e64 s[4:5], s37, v9
	s_mov_b64 s[26:27], 0
	s_and_saveexec_b64 s[28:29], s[4:5]
; %bb.442:                              ;   in Loop: Header=BB23_434 Depth=1
	v_mul_lo_u32 v11, v9, s39
	v_mul_lo_u32 v9, v9, s40
	v_mov_b32_e32 v10, v2
	s_mov_b64 s[26:27], exec
	global_store_byte v11, v3, s[8:9]
	v_lshlrev_b64 v[9:10], 3, v[9:10]
	v_mov_b32_e32 v3, s38
	v_add_co_u32_e64 v9, s[4:5], s35, v9
	v_addc_co_u32_e64 v10, s[4:5], v3, v10, s[4:5]
	global_store_dwordx2 v[9:10], v[1:2], off
; %bb.443:                              ;   in Loop: Header=BB23_434 Depth=1
	s_or_b64 exec, exec, s[28:29]
	s_orn2_b64 s[28:29], s[26:27], exec
.LBB23_444:                             ;   in Loop: Header=BB23_434 Depth=1
	s_or_b64 exec, exec, s[6:7]
	s_mov_b64 s[6:7], -1
	s_and_saveexec_b64 s[26:27], s[28:29]
	s_cbranch_execz .LBB23_433
; %bb.445:                              ;   in Loop: Header=BB23_434 Depth=1
	v_cmp_le_u32_e64 s[4:5], s34, v6
	v_add_u32_e32 v5, s61, v5
	s_xor_b64 s[6:7], exec, -1
	s_orn2_b64 s[2:3], s[4:5], exec
	s_branch .LBB23_433
.LBB23_446:
	s_or_b64 exec, exec, s[22:23]
	s_mov_b64 s[4:5], exec
	s_orn2_b64 s[2:3], s[24:25], exec
	s_or_b64 exec, exec, s[20:21]
	s_and_saveexec_b64 s[6:7], s[2:3]
	s_cbranch_execz .LBB23_423
.LBB23_447:
	v_mov_b32_e32 v6, 0
	s_waitcnt vmcnt(0) lgkmcnt(0)
	s_barrier
	s_mov_b64 s[2:3], exec
	v_readlane_b32 s18, v52, 34
	v_readlane_b32 s19, v52, 35
	s_and_b64 s[18:19], s[2:3], s[18:19]
	s_mov_b64 exec, s[18:19]
	s_cbranch_execz .LBB23_449
; %bb.448:
	global_load_ubyte v6, v[13:14], off
.LBB23_449:
	s_or_b64 exec, exec, s[2:3]
	s_mov_b64 s[2:3], 0
	s_and_saveexec_b64 s[18:19], vcc
	s_cbranch_execz .LBB23_469
; %bb.450:
	v_add_u32_e32 v1, s33, v0
	v_mul_lo_u32 v2, s43, v1
	s_mov_b64 s[20:21], 0
	v_mov_b32_e32 v1, 0
                                        ; implicit-def: $sgpr22_sgpr23
                                        ; implicit-def: $vgpr5
	s_branch .LBB23_453
.LBB23_451:                             ;   in Loop: Header=BB23_453 Depth=1
	s_or_b64 exec, exec, s[26:27]
	s_orn2_b64 s[28:29], s[28:29], exec
	s_orn2_b64 s[26:27], s[24:25], exec
.LBB23_452:                             ;   in Loop: Header=BB23_453 Depth=1
	s_or_b64 exec, exec, s[2:3]
	s_xor_b64 s[2:3], s[28:29], -1
	s_and_b64 s[24:25], exec, s[26:27]
	s_or_b64 s[20:21], s[24:25], s[20:21]
	s_andn2_b64 s[22:23], s[22:23], exec
	s_and_b64 s[2:3], s[2:3], exec
	s_or_b64 s[22:23], s[22:23], s[2:3]
	v_mov_b32_e32 v0, v3
	v_mov_b32_e32 v6, v4
	s_andn2_b64 exec, exec, s[20:21]
	s_cbranch_execz .LBB23_467
.LBB23_453:                             ; =>This Inner Loop Header: Depth=1
	v_add_u32_e32 v3, s33, v0
	v_cmp_gt_u32_e32 vcc, s36, v3
	v_mov_b32_e32 v4, 0
	s_and_saveexec_b64 s[2:3], vcc
	s_cbranch_execz .LBB23_455
; %bb.454:                              ;   in Loop: Header=BB23_453 Depth=1
	global_load_ubyte v4, v2, s[48:49]
.LBB23_455:                             ;   in Loop: Header=BB23_453 Depth=1
	s_or_b64 exec, exec, s[2:3]
	v_cmp_gt_u32_e32 vcc, s36, v0
	s_waitcnt vmcnt(0)
	v_cmp_eq_u16_sdwa s[2:3], v6, v39 src0_sel:BYTE_0 src1_sel:BYTE_0
	s_and_b64 s[24:25], vcc, s[2:3]
	v_cndmask_b32_e64 v6, 0, 1, s[24:25]
	v_cmp_ne_u32_e32 vcc, 0, v6
	s_cmp_lg_u64 vcc, 0
	s_cselect_b64 s[2:3], -1, 0
	s_and_b64 s[2:3], s[0:1], s[2:3]
	s_and_saveexec_b64 s[26:27], s[2:3]
	s_cbranch_execz .LBB23_459
; %bb.456:                              ;   in Loop: Header=BB23_453 Depth=1
	s_mov_b64 s[30:31], exec
	v_mbcnt_lo_u32_b32 v5, s30, 0
	v_mbcnt_hi_u32_b32 v5, s31, v5
	s_bcnt1_i32_b64 s41, vcc
	v_cmp_eq_u32_e64 s[2:3], 0, v5
                                        ; implicit-def: $vgpr6
	s_and_saveexec_b64 s[28:29], s[2:3]
; %bb.457:                              ;   in Loop: Header=BB23_453 Depth=1
	s_bcnt1_i32_b64 s2, s[30:31]
	s_mul_i32 s2, s41, s2
	v_mov_b32_e32 v6, s2
	ds_add_rtn_u32 v6, v1, v6 offset:4108
; %bb.458:                              ;   in Loop: Header=BB23_453 Depth=1
	s_or_b64 exec, exec, s[28:29]
	s_waitcnt lgkmcnt(0)
	v_readfirstlane_b32 s2, v6
	v_mov_b32_e32 v6, s2
	v_mad_u32_u24 v5, s41, v5, v6
.LBB23_459:                             ;   in Loop: Header=BB23_453 Depth=1
	s_or_b64 exec, exec, s[26:27]
	ds_bpermute_b32 v5, v17, v5
	s_cmp_eq_u64 vcc, 0
	s_cselect_b64 s[28:29], -1, 0
	s_mov_b64 s[26:27], -1
	s_waitcnt lgkmcnt(0)
	v_cmp_gt_u32_e64 s[2:3], s37, v5
	s_or_b64 s[30:31], s[28:29], s[2:3]
	s_mov_b64 s[28:29], -1
	s_and_saveexec_b64 s[2:3], s[30:31]
	s_cbranch_execz .LBB23_452
; %bb.460:                              ;   in Loop: Header=BB23_453 Depth=1
	v_and_b32_e32 v7, vcc_lo, v19
	v_and_b32_e32 v6, vcc_hi, v18
	v_bcnt_u32_b32 v7, v7, 0
	v_bcnt_u32_b32 v6, v6, v7
	v_sub_u32_e32 v7, s37, v5
	v_cmp_gt_u32_e32 vcc, v7, v6
	s_and_b64 s[42:43], s[24:25], vcc
	s_mov_b64 s[24:25], -1
	s_mov_b64 s[30:31], -1
	s_and_saveexec_b64 s[26:27], s[42:43]
	s_cbranch_execz .LBB23_464
; %bb.461:                              ;   in Loop: Header=BB23_453 Depth=1
	v_add_u32_e32 v6, v5, v6
	v_cmp_gt_u32_e32 vcc, s37, v6
	s_mov_b64 s[30:31], 0
	s_and_saveexec_b64 s[28:29], vcc
; %bb.462:                              ;   in Loop: Header=BB23_453 Depth=1
	v_mul_lo_u32 v8, v6, s39
	v_mul_lo_u32 v6, v6, s40
	v_mov_b32_e32 v7, v1
	s_mov_b64 s[30:31], exec
	global_store_byte v8, v39, s[8:9]
	v_lshlrev_b64 v[6:7], 3, v[6:7]
	v_mov_b32_e32 v8, s38
	v_add_co_u32_e32 v6, vcc, s35, v6
	v_addc_co_u32_e32 v7, vcc, v8, v7, vcc
	global_store_dwordx2 v[6:7], v[0:1], off
; %bb.463:                              ;   in Loop: Header=BB23_453 Depth=1
	s_or_b64 exec, exec, s[28:29]
	s_xor_b64 s[28:29], exec, -1
	s_orn2_b64 s[30:31], s[30:31], exec
.LBB23_464:                             ;   in Loop: Header=BB23_453 Depth=1
	s_or_b64 exec, exec, s[26:27]
	s_and_saveexec_b64 s[26:27], s[30:31]
	s_cbranch_execz .LBB23_451
; %bb.465:                              ;   in Loop: Header=BB23_453 Depth=1
	v_cmp_le_u32_e32 vcc, s34, v3
	v_add_u32_e32 v2, s61, v2
	s_or_b64 s[28:29], s[28:29], exec
	s_orn2_b64 s[24:25], vcc, exec
	s_branch .LBB23_451
.LBB23_466:
	s_or_b64 s[14:15], s[14:15], exec
	s_trap 2
	s_branch .LBB23_430
.LBB23_467:
	s_or_b64 exec, exec, s[20:21]
	s_mov_b64 s[0:1], 0
	s_and_saveexec_b64 s[2:3], s[22:23]
	s_xor_b64 s[2:3], exec, s[2:3]
	s_cbranch_execnz .LBB23_473
.LBB23_468:
	s_or_b64 exec, exec, s[2:3]
	s_and_b64 s[2:3], s[0:1], exec
.LBB23_469:
	s_or_b64 exec, exec, s[18:19]
	s_and_b64 s[18:19], s[2:3], exec
	s_andn2_b64 s[4:5], s[4:5], exec
	s_or_b64 exec, exec, s[6:7]
	s_and_saveexec_b64 s[0:1], s[4:5]
	s_xor_b64 s[0:1], exec, s[0:1]
	s_cbranch_execz .LBB23_424
.LBB23_470:
	s_trap 2
	s_or_b64 s[18:19], s[18:19], exec
	s_branch .LBB23_424
.LBB23_471:
	s_or_b64 s[16:17], s[16:17], exec
	s_trap 2
	s_branch .LBB23_428
.LBB23_472:
	s_trap 2
	s_or_b64 s[18:19], s[18:19], exec
	s_branch .LBB23_426
.LBB23_473:
	s_mov_b64 s[0:1], exec
	s_trap 2
	s_branch .LBB23_468
	.section	.rodata,"a",@progbits
	.p2align	6, 0x0
	.amdhsa_kernel _ZN2at6native6sbtopk10gatherTopKIajLi3ELb0EEEvNS_4cuda6detail10TensorInfoIKT_T0_EES8_S8_bS8_S8_NS5_IS6_S8_EES8_NS5_IlS8_EES8_PS6_
		.amdhsa_group_segment_fixed_size 4112
		.amdhsa_private_segment_fixed_size 0
		.amdhsa_kernarg_size 952
		.amdhsa_user_sgpr_count 6
		.amdhsa_user_sgpr_private_segment_buffer 1
		.amdhsa_user_sgpr_dispatch_ptr 0
		.amdhsa_user_sgpr_queue_ptr 0
		.amdhsa_user_sgpr_kernarg_segment_ptr 1
		.amdhsa_user_sgpr_dispatch_id 0
		.amdhsa_user_sgpr_flat_scratch_init 0
		.amdhsa_user_sgpr_private_segment_size 0
		.amdhsa_uses_dynamic_stack 0
		.amdhsa_system_sgpr_private_segment_wavefront_offset 0
		.amdhsa_system_sgpr_workgroup_id_x 1
		.amdhsa_system_sgpr_workgroup_id_y 1
		.amdhsa_system_sgpr_workgroup_id_z 1
		.amdhsa_system_sgpr_workgroup_info 0
		.amdhsa_system_vgpr_workitem_id 0
		.amdhsa_next_free_vgpr 53
		.amdhsa_next_free_sgpr 96
		.amdhsa_reserve_vcc 1
		.amdhsa_reserve_flat_scratch 0
		.amdhsa_float_round_mode_32 0
		.amdhsa_float_round_mode_16_64 0
		.amdhsa_float_denorm_mode_32 3
		.amdhsa_float_denorm_mode_16_64 3
		.amdhsa_dx10_clamp 1
		.amdhsa_ieee_mode 1
		.amdhsa_fp16_overflow 0
		.amdhsa_exception_fp_ieee_invalid_op 0
		.amdhsa_exception_fp_denorm_src 0
		.amdhsa_exception_fp_ieee_div_zero 0
		.amdhsa_exception_fp_ieee_overflow 0
		.amdhsa_exception_fp_ieee_underflow 0
		.amdhsa_exception_fp_ieee_inexact 0
		.amdhsa_exception_int_div_zero 0
	.end_amdhsa_kernel
	.section	.text._ZN2at6native6sbtopk10gatherTopKIajLi3ELb0EEEvNS_4cuda6detail10TensorInfoIKT_T0_EES8_S8_bS8_S8_NS5_IS6_S8_EES8_NS5_IlS8_EES8_PS6_,"axG",@progbits,_ZN2at6native6sbtopk10gatherTopKIajLi3ELb0EEEvNS_4cuda6detail10TensorInfoIKT_T0_EES8_S8_bS8_S8_NS5_IS6_S8_EES8_NS5_IlS8_EES8_PS6_,comdat
.Lfunc_end23:
	.size	_ZN2at6native6sbtopk10gatherTopKIajLi3ELb0EEEvNS_4cuda6detail10TensorInfoIKT_T0_EES8_S8_bS8_S8_NS5_IS6_S8_EES8_NS5_IlS8_EES8_PS6_, .Lfunc_end23-_ZN2at6native6sbtopk10gatherTopKIajLi3ELb0EEEvNS_4cuda6detail10TensorInfoIKT_T0_EES8_S8_bS8_S8_NS5_IS6_S8_EES8_NS5_IlS8_EES8_PS6_
                                        ; -- End function
	.set _ZN2at6native6sbtopk10gatherTopKIajLi3ELb0EEEvNS_4cuda6detail10TensorInfoIKT_T0_EES8_S8_bS8_S8_NS5_IS6_S8_EES8_NS5_IlS8_EES8_PS6_.num_vgpr, 53
	.set _ZN2at6native6sbtopk10gatherTopKIajLi3ELb0EEEvNS_4cuda6detail10TensorInfoIKT_T0_EES8_S8_bS8_S8_NS5_IS6_S8_EES8_NS5_IlS8_EES8_PS6_.num_agpr, 0
	.set _ZN2at6native6sbtopk10gatherTopKIajLi3ELb0EEEvNS_4cuda6detail10TensorInfoIKT_T0_EES8_S8_bS8_S8_NS5_IS6_S8_EES8_NS5_IlS8_EES8_PS6_.numbered_sgpr, 96
	.set _ZN2at6native6sbtopk10gatherTopKIajLi3ELb0EEEvNS_4cuda6detail10TensorInfoIKT_T0_EES8_S8_bS8_S8_NS5_IS6_S8_EES8_NS5_IlS8_EES8_PS6_.num_named_barrier, 0
	.set _ZN2at6native6sbtopk10gatherTopKIajLi3ELb0EEEvNS_4cuda6detail10TensorInfoIKT_T0_EES8_S8_bS8_S8_NS5_IS6_S8_EES8_NS5_IlS8_EES8_PS6_.private_seg_size, 0
	.set _ZN2at6native6sbtopk10gatherTopKIajLi3ELb0EEEvNS_4cuda6detail10TensorInfoIKT_T0_EES8_S8_bS8_S8_NS5_IS6_S8_EES8_NS5_IlS8_EES8_PS6_.uses_vcc, 1
	.set _ZN2at6native6sbtopk10gatherTopKIajLi3ELb0EEEvNS_4cuda6detail10TensorInfoIKT_T0_EES8_S8_bS8_S8_NS5_IS6_S8_EES8_NS5_IlS8_EES8_PS6_.uses_flat_scratch, 0
	.set _ZN2at6native6sbtopk10gatherTopKIajLi3ELb0EEEvNS_4cuda6detail10TensorInfoIKT_T0_EES8_S8_bS8_S8_NS5_IS6_S8_EES8_NS5_IlS8_EES8_PS6_.has_dyn_sized_stack, 0
	.set _ZN2at6native6sbtopk10gatherTopKIajLi3ELb0EEEvNS_4cuda6detail10TensorInfoIKT_T0_EES8_S8_bS8_S8_NS5_IS6_S8_EES8_NS5_IlS8_EES8_PS6_.has_recursion, 0
	.set _ZN2at6native6sbtopk10gatherTopKIajLi3ELb0EEEvNS_4cuda6detail10TensorInfoIKT_T0_EES8_S8_bS8_S8_NS5_IS6_S8_EES8_NS5_IlS8_EES8_PS6_.has_indirect_call, 0
	.section	.AMDGPU.csdata,"",@progbits
; Kernel info:
; codeLenInByte = 16508
; TotalNumSgprs: 100
; NumVgprs: 53
; ScratchSize: 0
; MemoryBound: 0
; FloatMode: 240
; IeeeMode: 1
; LDSByteSize: 4112 bytes/workgroup (compile time only)
; SGPRBlocks: 12
; VGPRBlocks: 13
; NumSGPRsForWavesPerEU: 100
; NumVGPRsForWavesPerEU: 53
; Occupancy: 4
; WaveLimiterHint : 1
; COMPUTE_PGM_RSRC2:SCRATCH_EN: 0
; COMPUTE_PGM_RSRC2:USER_SGPR: 6
; COMPUTE_PGM_RSRC2:TRAP_HANDLER: 0
; COMPUTE_PGM_RSRC2:TGID_X_EN: 1
; COMPUTE_PGM_RSRC2:TGID_Y_EN: 1
; COMPUTE_PGM_RSRC2:TGID_Z_EN: 1
; COMPUTE_PGM_RSRC2:TIDIG_COMP_CNT: 0
	.section	.text._ZN2at6native6mbtopk23computeBlockDigitCountsIajjLin1EEEvNS_4cuda6detail10TensorInfoIKT_T0_EEjPjjS8_iijT1_PSB_Ps,"axG",@progbits,_ZN2at6native6mbtopk23computeBlockDigitCountsIajjLin1EEEvNS_4cuda6detail10TensorInfoIKT_T0_EEjPjjS8_iijT1_PSB_Ps,comdat
	.protected	_ZN2at6native6mbtopk23computeBlockDigitCountsIajjLin1EEEvNS_4cuda6detail10TensorInfoIKT_T0_EEjPjjS8_iijT1_PSB_Ps ; -- Begin function _ZN2at6native6mbtopk23computeBlockDigitCountsIajjLin1EEEvNS_4cuda6detail10TensorInfoIKT_T0_EEjPjjS8_iijT1_PSB_Ps
	.globl	_ZN2at6native6mbtopk23computeBlockDigitCountsIajjLin1EEEvNS_4cuda6detail10TensorInfoIKT_T0_EEjPjjS8_iijT1_PSB_Ps
	.p2align	8
	.type	_ZN2at6native6mbtopk23computeBlockDigitCountsIajjLin1EEEvNS_4cuda6detail10TensorInfoIKT_T0_EEjPjjS8_iijT1_PSB_Ps,@function
_ZN2at6native6mbtopk23computeBlockDigitCountsIajjLin1EEEvNS_4cuda6detail10TensorInfoIKT_T0_EEjPjjS8_iijT1_PSB_Ps: ; @_ZN2at6native6mbtopk23computeBlockDigitCountsIajjLin1EEEvNS_4cuda6detail10TensorInfoIKT_T0_EEjPjjS8_iijT1_PSB_Ps
; %bb.0:
	s_load_dwordx2 s[10:11], s[4:5], 0xf8
	s_load_dwordx4 s[12:15], s[4:5], 0xe8
	s_load_dwordx2 s[0:1], s[4:5], 0x110
	s_waitcnt lgkmcnt(0)
	v_cvt_f32_u32_e32 v1, s10
	s_sub_i32 s2, 0, s10
	s_mul_i32 s1, s1, s8
	s_add_i32 s1, s1, s7
	v_rcp_iflag_f32_e32 v1, v1
	s_mul_i32 s16, s1, s0
	s_add_i32 s16, s16, s6
	s_mov_b32 s7, 0
	v_mul_f32_e32 v1, 0x4f7ffffe, v1
	v_cvt_u32_f32_e32 v1, v1
	v_readfirstlane_b32 s0, v1
	s_mul_i32 s2, s2, s0
	s_mul_hi_u32 s1, s0, s2
	s_add_i32 s0, s0, s1
	s_mul_hi_u32 s0, s16, s0
	s_mul_i32 s1, s0, s10
	s_sub_i32 s1, s16, s1
	s_add_i32 s2, s0, 1
	s_sub_i32 s3, s1, s10
	s_cmp_ge_u32 s1, s10
	s_cselect_b32 s0, s2, s0
	s_cselect_b32 s1, s3, s1
	s_add_i32 s2, s0, 1
	s_cmp_ge_u32 s1, s10
	s_cselect_b32 s6, s2, s0
	s_cmp_ge_u32 s6, s12
	s_cbranch_scc1 .LBB24_30
; %bb.1:
	s_load_dwordx4 s[0:3], s[4:5], 0x100
	s_load_dword s8, s[4:5], 0xd0
	s_lshl_b64 s[18:19], s[6:7], 2
	s_waitcnt lgkmcnt(0)
	s_add_u32 s0, s0, s18
	s_addc_u32 s1, s1, s19
	s_cmp_lt_i32 s8, 2
	s_mov_b32 s18, s6
	s_cbranch_scc1 .LBB24_4
; %bb.2:
	s_add_i32 s18, s8, -1
	s_mov_b32 s19, 0
	s_add_i32 s12, s8, 1
	s_lshl_b64 s[8:9], s[18:19], 2
	s_add_u32 s7, s4, s8
	s_addc_u32 s9, s5, s9
	s_add_u32 s8, s7, 8
	s_addc_u32 s9, s9, 0
	s_mov_b32 s18, s6
	s_mov_b32 s7, s19
.LBB24_3:                               ; =>This Inner Loop Header: Depth=1
	s_load_dword s17, s[8:9], 0x0
	s_load_dword s20, s[8:9], 0x64
	s_mov_b32 s19, s18
	s_waitcnt lgkmcnt(0)
	v_cvt_f32_u32_e32 v1, s17
	s_sub_i32 s18, 0, s17
	v_rcp_iflag_f32_e32 v1, v1
	v_mul_f32_e32 v1, 0x4f7ffffe, v1
	v_cvt_u32_f32_e32 v1, v1
	v_readfirstlane_b32 s21, v1
	s_mul_i32 s18, s18, s21
	s_mul_hi_u32 s18, s21, s18
	s_add_i32 s21, s21, s18
	s_mul_hi_u32 s18, s19, s21
	s_mul_i32 s21, s18, s17
	s_sub_i32 s21, s19, s21
	s_add_i32 s22, s18, 1
	s_sub_i32 s23, s21, s17
	s_cmp_ge_u32 s21, s17
	s_cselect_b32 s18, s22, s18
	s_cselect_b32 s21, s23, s21
	s_add_i32 s22, s18, 1
	s_cmp_ge_u32 s21, s17
	s_cselect_b32 s18, s22, s18
	s_mul_i32 s17, s18, s17
	s_sub_i32 s17, s19, s17
	s_mul_i32 s17, s20, s17
	s_add_i32 s12, s12, -1
	s_add_i32 s7, s17, s7
	s_add_u32 s8, s8, -4
	s_addc_u32 s9, s9, -1
	s_cmp_gt_u32 s12, 2
	s_cbranch_scc1 .LBB24_3
.LBB24_4:
	s_load_dword s8, s[0:1], 0x0
	s_movk_i32 s0, 0x100
	v_cmp_gt_u32_e32 vcc, s0, v0
	v_lshlrev_b32_e32 v1, 2, v0
	s_and_saveexec_b64 s[0:1], vcc
; %bb.5:
	v_mov_b32_e32 v2, 0
	ds_write_b32 v1, v2
; %bb.6:
	s_or_b64 exec, exec, s[0:1]
	s_load_dword s9, s[4:5], 0xd8
	s_mul_i32 s0, s6, s10
	s_sub_i32 s0, s16, s0
	s_add_i32 s6, s0, 1
	s_mul_i32 s0, s15, s0
	s_lshl_b32 s12, s0, 8
	s_waitcnt lgkmcnt(0)
	s_sub_i32 s0, s9, s12
	s_add_u32 s0, s0, 0xff
	s_addc_u32 s1, 0, 0
	s_lshr_b64 s[0:1], s[0:1], 8
	s_cmp_lt_u32 s6, s10
	s_cselect_b32 s17, s15, s0
	s_cmp_lt_i32 s17, 1
	s_mov_b32 s15, 0
	s_barrier
	s_cbranch_scc1 .LBB24_28
; %bb.7:
	s_load_dword s6, s[4:5], 0x6c
	s_load_dwordx2 s[0:1], s[4:5], 0x0
	s_waitcnt lgkmcnt(0)
	s_mul_i32 s4, s6, s18
	s_add_i32 s4, s4, s7
	s_add_u32 s4, s0, s4
	s_addc_u32 s5, s1, 0
	s_and_b32 s10, s14, 0xff
	s_cmp_lt_u32 s17, 4
	s_cbranch_scc1 .LBB24_22
; %bb.8:
	v_add_u32_e32 v6, s12, v0
	v_add_u32_e32 v2, 0x300, v6
	;; [unrolled: 1-line block ×4, first 2 shown]
	v_mul_lo_u32 v3, s13, v2
	v_mul_lo_u32 v4, s13, v4
	;; [unrolled: 1-line block ×4, first 2 shown]
	s_and_b32 s15, s17, 0x7ffffffc
	s_lshl_b32 s14, s13, 10
	s_mov_b32 s18, 0
	v_mov_b32_e32 v7, 1
	s_mov_b32 s19, 0
	s_branch .LBB24_10
.LBB24_9:                               ;   in Loop: Header=BB24_10 Depth=1
	s_or_b64 exec, exec, s[6:7]
	s_add_i32 s19, s19, 4
	s_add_i32 s18, s18, s14
	s_cmp_eq_u32 s15, s19
	v_add_u32_e32 v2, 0x400, v2
	s_cbranch_scc1 .LBB24_22
.LBB24_10:                              ; =>This Inner Loop Header: Depth=1
	v_add_u32_e32 v8, 0xfffffd00, v2
	v_cmp_gt_u32_e64 s[0:1], s9, v8
	s_and_saveexec_b64 s[6:7], s[0:1]
	s_cbranch_execz .LBB24_13
; %bb.11:                               ;   in Loop: Header=BB24_10 Depth=1
	v_add_u32_e32 v8, s18, v6
	global_load_sbyte v8, v8, s[4:5]
	s_waitcnt vmcnt(0)
	v_add_u32_e32 v8, 0x80, v8
	v_xor_b32_e32 v9, s8, v8
	v_and_b32_e32 v9, s11, v9
	v_cmp_eq_u32_e64 s[0:1], 0, v9
	s_and_b64 exec, exec, s[0:1]
; %bb.12:                               ;   in Loop: Header=BB24_10 Depth=1
	v_lshrrev_b32_e32 v8, s10, v8
	v_lshlrev_b32_e32 v8, 2, v8
	ds_add_u32 v8, v7
.LBB24_13:                              ;   in Loop: Header=BB24_10 Depth=1
	s_or_b64 exec, exec, s[6:7]
	v_add_u32_e32 v8, 0xfffffe00, v2
	v_cmp_gt_u32_e64 s[0:1], s9, v8
	s_and_saveexec_b64 s[6:7], s[0:1]
	s_cbranch_execz .LBB24_16
; %bb.14:                               ;   in Loop: Header=BB24_10 Depth=1
	v_add_u32_e32 v8, s18, v5
	global_load_sbyte v8, v8, s[4:5]
	s_waitcnt vmcnt(0)
	v_add_u32_e32 v8, 0x80, v8
	v_xor_b32_e32 v9, s8, v8
	v_and_b32_e32 v9, s11, v9
	v_cmp_eq_u32_e64 s[0:1], 0, v9
	s_and_b64 exec, exec, s[0:1]
; %bb.15:                               ;   in Loop: Header=BB24_10 Depth=1
	v_lshrrev_b32_e32 v8, s10, v8
	v_lshlrev_b32_e32 v8, 2, v8
	ds_add_u32 v8, v7
.LBB24_16:                              ;   in Loop: Header=BB24_10 Depth=1
	s_or_b64 exec, exec, s[6:7]
	;; [unrolled: 19-line block ×3, first 2 shown]
	v_cmp_gt_u32_e64 s[0:1], s9, v2
	s_and_saveexec_b64 s[6:7], s[0:1]
	s_cbranch_execz .LBB24_9
; %bb.20:                               ;   in Loop: Header=BB24_10 Depth=1
	v_add_u32_e32 v8, s18, v3
	global_load_sbyte v8, v8, s[4:5]
	s_waitcnt vmcnt(0)
	v_add_u32_e32 v8, 0x80, v8
	v_xor_b32_e32 v9, s8, v8
	v_and_b32_e32 v9, s11, v9
	v_cmp_eq_u32_e64 s[0:1], 0, v9
	s_and_b64 exec, exec, s[0:1]
	s_cbranch_execz .LBB24_9
; %bb.21:                               ;   in Loop: Header=BB24_10 Depth=1
	v_lshrrev_b32_e32 v8, s10, v8
	v_lshlrev_b32_e32 v8, 2, v8
	ds_add_u32 v8, v7
	s_branch .LBB24_9
.LBB24_22:
	s_and_b32 s14, s17, 3
	s_cmp_eq_u32 s14, 0
	s_cbranch_scc1 .LBB24_28
; %bb.23:
	s_lshl_b32 s0, s15, 8
	s_add_i32 s0, s0, s12
	v_add_u32_e32 v2, s0, v0
	v_mul_lo_u32 v3, s13, v2
	s_lshl_b32 s12, s13, 8
	v_mov_b32_e32 v4, 1
	s_branch .LBB24_25
.LBB24_24:                              ;   in Loop: Header=BB24_25 Depth=1
	s_or_b64 exec, exec, s[6:7]
	s_add_i32 s14, s14, -1
	v_add_u32_e32 v3, s12, v3
	s_cmp_lg_u32 s14, 0
	v_add_u32_e32 v2, 0x100, v2
	s_cbranch_scc0 .LBB24_28
.LBB24_25:                              ; =>This Inner Loop Header: Depth=1
	v_cmp_gt_u32_e64 s[0:1], s9, v2
	s_and_saveexec_b64 s[6:7], s[0:1]
	s_cbranch_execz .LBB24_24
; %bb.26:                               ;   in Loop: Header=BB24_25 Depth=1
	global_load_sbyte v5, v3, s[4:5]
	s_waitcnt vmcnt(0)
	v_add_u32_e32 v5, 0x80, v5
	v_xor_b32_e32 v6, s8, v5
	v_and_b32_e32 v6, s11, v6
	v_cmp_eq_u32_e64 s[0:1], 0, v6
	s_and_b64 exec, exec, s[0:1]
	s_cbranch_execz .LBB24_24
; %bb.27:                               ;   in Loop: Header=BB24_25 Depth=1
	v_lshrrev_b32_e32 v5, s10, v5
	v_lshlrev_b32_e32 v5, 2, v5
	ds_add_u32 v5, v4
	s_branch .LBB24_24
.LBB24_28:
	s_waitcnt lgkmcnt(0)
	s_barrier
	s_and_saveexec_b64 s[0:1], vcc
	s_cbranch_execz .LBB24_30
; %bb.29:
	v_lshl_or_b32 v2, s16, 8, v0
	v_mov_b32_e32 v3, 0
	ds_read_b32 v5, v1
	v_lshlrev_b64 v[2:3], 1, v[2:3]
	v_mov_b32_e32 v4, s3
	v_add_co_u32_e32 v0, vcc, s2, v2
	v_addc_co_u32_e32 v1, vcc, v4, v3, vcc
	s_waitcnt lgkmcnt(0)
	global_store_short v[0:1], v5, off
.LBB24_30:
	s_endpgm
	.section	.rodata,"a",@progbits
	.p2align	6, 0x0
	.amdhsa_kernel _ZN2at6native6mbtopk23computeBlockDigitCountsIajjLin1EEEvNS_4cuda6detail10TensorInfoIKT_T0_EEjPjjS8_iijT1_PSB_Ps
		.amdhsa_group_segment_fixed_size 1024
		.amdhsa_private_segment_fixed_size 0
		.amdhsa_kernarg_size 528
		.amdhsa_user_sgpr_count 6
		.amdhsa_user_sgpr_private_segment_buffer 1
		.amdhsa_user_sgpr_dispatch_ptr 0
		.amdhsa_user_sgpr_queue_ptr 0
		.amdhsa_user_sgpr_kernarg_segment_ptr 1
		.amdhsa_user_sgpr_dispatch_id 0
		.amdhsa_user_sgpr_flat_scratch_init 0
		.amdhsa_user_sgpr_private_segment_size 0
		.amdhsa_uses_dynamic_stack 0
		.amdhsa_system_sgpr_private_segment_wavefront_offset 0
		.amdhsa_system_sgpr_workgroup_id_x 1
		.amdhsa_system_sgpr_workgroup_id_y 1
		.amdhsa_system_sgpr_workgroup_id_z 1
		.amdhsa_system_sgpr_workgroup_info 0
		.amdhsa_system_vgpr_workitem_id 0
		.amdhsa_next_free_vgpr 10
		.amdhsa_next_free_sgpr 24
		.amdhsa_reserve_vcc 1
		.amdhsa_reserve_flat_scratch 0
		.amdhsa_float_round_mode_32 0
		.amdhsa_float_round_mode_16_64 0
		.amdhsa_float_denorm_mode_32 3
		.amdhsa_float_denorm_mode_16_64 3
		.amdhsa_dx10_clamp 1
		.amdhsa_ieee_mode 1
		.amdhsa_fp16_overflow 0
		.amdhsa_exception_fp_ieee_invalid_op 0
		.amdhsa_exception_fp_denorm_src 0
		.amdhsa_exception_fp_ieee_div_zero 0
		.amdhsa_exception_fp_ieee_overflow 0
		.amdhsa_exception_fp_ieee_underflow 0
		.amdhsa_exception_fp_ieee_inexact 0
		.amdhsa_exception_int_div_zero 0
	.end_amdhsa_kernel
	.section	.text._ZN2at6native6mbtopk23computeBlockDigitCountsIajjLin1EEEvNS_4cuda6detail10TensorInfoIKT_T0_EEjPjjS8_iijT1_PSB_Ps,"axG",@progbits,_ZN2at6native6mbtopk23computeBlockDigitCountsIajjLin1EEEvNS_4cuda6detail10TensorInfoIKT_T0_EEjPjjS8_iijT1_PSB_Ps,comdat
.Lfunc_end24:
	.size	_ZN2at6native6mbtopk23computeBlockDigitCountsIajjLin1EEEvNS_4cuda6detail10TensorInfoIKT_T0_EEjPjjS8_iijT1_PSB_Ps, .Lfunc_end24-_ZN2at6native6mbtopk23computeBlockDigitCountsIajjLin1EEEvNS_4cuda6detail10TensorInfoIKT_T0_EEjPjjS8_iijT1_PSB_Ps
                                        ; -- End function
	.set _ZN2at6native6mbtopk23computeBlockDigitCountsIajjLin1EEEvNS_4cuda6detail10TensorInfoIKT_T0_EEjPjjS8_iijT1_PSB_Ps.num_vgpr, 10
	.set _ZN2at6native6mbtopk23computeBlockDigitCountsIajjLin1EEEvNS_4cuda6detail10TensorInfoIKT_T0_EEjPjjS8_iijT1_PSB_Ps.num_agpr, 0
	.set _ZN2at6native6mbtopk23computeBlockDigitCountsIajjLin1EEEvNS_4cuda6detail10TensorInfoIKT_T0_EEjPjjS8_iijT1_PSB_Ps.numbered_sgpr, 24
	.set _ZN2at6native6mbtopk23computeBlockDigitCountsIajjLin1EEEvNS_4cuda6detail10TensorInfoIKT_T0_EEjPjjS8_iijT1_PSB_Ps.num_named_barrier, 0
	.set _ZN2at6native6mbtopk23computeBlockDigitCountsIajjLin1EEEvNS_4cuda6detail10TensorInfoIKT_T0_EEjPjjS8_iijT1_PSB_Ps.private_seg_size, 0
	.set _ZN2at6native6mbtopk23computeBlockDigitCountsIajjLin1EEEvNS_4cuda6detail10TensorInfoIKT_T0_EEjPjjS8_iijT1_PSB_Ps.uses_vcc, 1
	.set _ZN2at6native6mbtopk23computeBlockDigitCountsIajjLin1EEEvNS_4cuda6detail10TensorInfoIKT_T0_EEjPjjS8_iijT1_PSB_Ps.uses_flat_scratch, 0
	.set _ZN2at6native6mbtopk23computeBlockDigitCountsIajjLin1EEEvNS_4cuda6detail10TensorInfoIKT_T0_EEjPjjS8_iijT1_PSB_Ps.has_dyn_sized_stack, 0
	.set _ZN2at6native6mbtopk23computeBlockDigitCountsIajjLin1EEEvNS_4cuda6detail10TensorInfoIKT_T0_EEjPjjS8_iijT1_PSB_Ps.has_recursion, 0
	.set _ZN2at6native6mbtopk23computeBlockDigitCountsIajjLin1EEEvNS_4cuda6detail10TensorInfoIKT_T0_EEjPjjS8_iijT1_PSB_Ps.has_indirect_call, 0
	.section	.AMDGPU.csdata,"",@progbits
; Kernel info:
; codeLenInByte = 1224
; TotalNumSgprs: 28
; NumVgprs: 10
; ScratchSize: 0
; MemoryBound: 0
; FloatMode: 240
; IeeeMode: 1
; LDSByteSize: 1024 bytes/workgroup (compile time only)
; SGPRBlocks: 3
; VGPRBlocks: 2
; NumSGPRsForWavesPerEU: 28
; NumVGPRsForWavesPerEU: 10
; Occupancy: 10
; WaveLimiterHint : 1
; COMPUTE_PGM_RSRC2:SCRATCH_EN: 0
; COMPUTE_PGM_RSRC2:USER_SGPR: 6
; COMPUTE_PGM_RSRC2:TRAP_HANDLER: 0
; COMPUTE_PGM_RSRC2:TGID_X_EN: 1
; COMPUTE_PGM_RSRC2:TGID_Y_EN: 1
; COMPUTE_PGM_RSRC2:TGID_Z_EN: 1
; COMPUTE_PGM_RSRC2:TIDIG_COMP_CNT: 0
	.section	.text._ZN2at6native6mbtopk10gatherTopKIajLin1EEEvNS_4cuda6detail10TensorInfoIKT_T0_EES8_S8_bjS8_NS5_IS6_S8_EES8_NS5_IlS8_EES8_jjPS6_PjSD_j,"axG",@progbits,_ZN2at6native6mbtopk10gatherTopKIajLin1EEEvNS_4cuda6detail10TensorInfoIKT_T0_EES8_S8_bjS8_NS5_IS6_S8_EES8_NS5_IlS8_EES8_jjPS6_PjSD_j,comdat
	.protected	_ZN2at6native6mbtopk10gatherTopKIajLin1EEEvNS_4cuda6detail10TensorInfoIKT_T0_EES8_S8_bjS8_NS5_IS6_S8_EES8_NS5_IlS8_EES8_jjPS6_PjSD_j ; -- Begin function _ZN2at6native6mbtopk10gatherTopKIajLin1EEEvNS_4cuda6detail10TensorInfoIKT_T0_EES8_S8_bjS8_NS5_IS6_S8_EES8_NS5_IlS8_EES8_jjPS6_PjSD_j
	.globl	_ZN2at6native6mbtopk10gatherTopKIajLin1EEEvNS_4cuda6detail10TensorInfoIKT_T0_EES8_S8_bjS8_NS5_IS6_S8_EES8_NS5_IlS8_EES8_jjPS6_PjSD_j
	.p2align	8
	.type	_ZN2at6native6mbtopk10gatherTopKIajLin1EEEvNS_4cuda6detail10TensorInfoIKT_T0_EES8_S8_bjS8_NS5_IS6_S8_EES8_NS5_IlS8_EES8_jjPS6_PjSD_j,@function
_ZN2at6native6mbtopk10gatherTopKIajLin1EEEvNS_4cuda6detail10TensorInfoIKT_T0_EES8_S8_bjS8_NS5_IS6_S8_EES8_NS5_IlS8_EES8_jjPS6_PjSD_j: ; @_ZN2at6native6mbtopk10gatherTopKIajLin1EEEvNS_4cuda6detail10TensorInfoIKT_T0_EES8_S8_bjS8_NS5_IS6_S8_EES8_NS5_IlS8_EES8_jjPS6_PjSD_j
; %bb.0:
	s_load_dwordx2 s[0:1], s[4:5], 0x2d8
	s_load_dword s2, s[4:5], 0x2d0
	s_waitcnt lgkmcnt(0)
	s_mul_i32 s1, s1, s8
	s_add_i32 s1, s1, s7
	s_mul_i32 s16, s1, s0
	s_add_i32 s16, s16, s6
	s_cmp_ge_u32 s16, s2
	s_cbranch_scc1 .LBB25_49
; %bb.1:
	s_load_dwordx4 s[8:11], s[4:5], 0x2a8
	s_load_dword s0, s[4:5], 0xd0
	s_mov_b32 s7, 0
	s_waitcnt lgkmcnt(0)
	v_cvt_f32_u32_e32 v1, s10
	s_sub_i32 s1, 0, s10
	v_rcp_iflag_f32_e32 v1, v1
	v_mul_f32_e32 v1, 0x4f7ffffe, v1
	v_cvt_u32_f32_e32 v1, v1
	v_readfirstlane_b32 s2, v1
	s_mul_i32 s1, s1, s2
	s_mul_hi_u32 s1, s2, s1
	s_add_i32 s2, s2, s1
	s_mul_hi_u32 s1, s16, s2
	s_mul_i32 s2, s1, s10
	s_sub_i32 s2, s16, s2
	s_add_i32 s3, s1, 1
	s_sub_i32 s6, s2, s10
	s_cmp_ge_u32 s2, s10
	s_cselect_b32 s1, s3, s1
	s_cselect_b32 s2, s6, s2
	s_add_i32 s3, s1, 1
	s_cmp_ge_u32 s2, s10
	s_cselect_b32 s17, s3, s1
	s_cmp_lt_i32 s0, 2
	s_mov_b32 s6, s17
	s_cbranch_scc1 .LBB25_4
; %bb.2:
	s_add_i32 s6, s0, -1
	s_add_i32 s2, s0, 1
	s_lshl_b64 s[0:1], s[6:7], 2
	s_add_u32 s0, s4, s0
	s_addc_u32 s1, s5, s1
	s_add_u32 s0, s0, 8
	s_addc_u32 s1, s1, 0
	s_mov_b32 s6, s17
.LBB25_3:                               ; =>This Inner Loop Header: Depth=1
	s_load_dword s3, s[0:1], 0x0
	s_load_dword s12, s[0:1], 0x64
	s_mov_b32 s11, s6
	s_waitcnt lgkmcnt(0)
	v_cvt_f32_u32_e32 v1, s3
	s_sub_i32 s6, 0, s3
	v_rcp_iflag_f32_e32 v1, v1
	v_mul_f32_e32 v1, 0x4f7ffffe, v1
	v_cvt_u32_f32_e32 v1, v1
	v_readfirstlane_b32 s13, v1
	s_mul_i32 s6, s6, s13
	s_mul_hi_u32 s6, s13, s6
	s_add_i32 s13, s13, s6
	s_mul_hi_u32 s6, s11, s13
	s_mul_i32 s13, s6, s3
	s_sub_i32 s13, s11, s13
	s_add_i32 s14, s6, 1
	s_sub_i32 s15, s13, s3
	s_cmp_ge_u32 s13, s3
	s_cselect_b32 s6, s14, s6
	s_cselect_b32 s13, s15, s13
	s_add_i32 s14, s6, 1
	s_cmp_ge_u32 s13, s3
	s_cselect_b32 s6, s14, s6
	s_mul_i32 s3, s6, s3
	s_sub_i32 s3, s11, s3
	s_mul_i32 s3, s12, s3
	s_add_i32 s2, s2, -1
	s_add_i32 s7, s3, s7
	s_add_u32 s0, s0, -4
	s_addc_u32 s1, s1, -1
	s_cmp_gt_u32 s2, 2
	s_cbranch_scc1 .LBB25_3
.LBB25_4:
	s_load_dword s2, s[4:5], 0x1c0
	s_add_u32 s0, s4, 0xf0
	s_addc_u32 s1, s5, 0
	s_mov_b32 s21, 0
	s_mov_b32 s11, s17
	s_waitcnt lgkmcnt(0)
	s_cmp_lt_i32 s2, 2
	s_cbranch_scc1 .LBB25_7
; %bb.5:
	s_add_i32 s20, s2, -1
	s_add_i32 s12, s2, 1
	s_lshl_b64 s[2:3], s[20:21], 2
	s_add_u32 s2, s0, s2
	s_addc_u32 s3, s1, s3
	s_add_u32 s2, s2, 8
	s_addc_u32 s3, s3, 0
	s_mov_b32 s11, s17
.LBB25_6:                               ; =>This Inner Loop Header: Depth=1
	s_load_dword s13, s[2:3], 0x0
	s_load_dword s15, s[2:3], 0x64
	s_mov_b32 s14, s11
	s_waitcnt lgkmcnt(0)
	v_cvt_f32_u32_e32 v1, s13
	s_sub_i32 s11, 0, s13
	v_rcp_iflag_f32_e32 v1, v1
	v_mul_f32_e32 v1, 0x4f7ffffe, v1
	v_cvt_u32_f32_e32 v1, v1
	v_readfirstlane_b32 s18, v1
	s_mul_i32 s11, s11, s18
	s_mul_hi_u32 s11, s18, s11
	s_add_i32 s18, s18, s11
	s_mul_hi_u32 s11, s14, s18
	s_mul_i32 s18, s11, s13
	s_sub_i32 s18, s14, s18
	s_add_i32 s19, s11, 1
	s_sub_i32 s20, s18, s13
	s_cmp_ge_u32 s18, s13
	s_cselect_b32 s11, s19, s11
	s_cselect_b32 s18, s20, s18
	s_add_i32 s19, s11, 1
	s_cmp_ge_u32 s18, s13
	s_cselect_b32 s11, s19, s11
	s_mul_i32 s13, s11, s13
	s_sub_i32 s13, s14, s13
	s_mul_i32 s13, s15, s13
	s_add_i32 s12, s12, -1
	s_add_i32 s21, s13, s21
	s_add_u32 s2, s2, -4
	s_addc_u32 s3, s3, -1
	s_cmp_gt_u32 s12, 2
	s_cbranch_scc1 .LBB25_6
.LBB25_7:
	s_load_dword s20, s[4:5], 0x6c
	s_load_dword s13, s[4:5], 0x2a0
	s_add_u32 s2, s4, 0x1d0
	s_addc_u32 s3, s5, 0
	s_mov_b32 s23, 0
	s_mov_b32 s22, s17
	s_waitcnt lgkmcnt(0)
	s_cmp_lt_i32 s13, 2
	s_cbranch_scc1 .LBB25_10
; %bb.8:
	s_add_i32 s22, s13, -1
	s_add_i32 s12, s13, 1
	s_lshl_b64 s[14:15], s[22:23], 2
	s_add_u32 s2, s2, s14
	s_addc_u32 s3, s3, s15
	s_add_u32 s2, s2, 8
	s_addc_u32 s3, s3, 0
	s_mov_b32 s22, s17
.LBB25_9:                               ; =>This Inner Loop Header: Depth=1
	s_load_dword s13, s[2:3], 0x0
	s_load_dword s15, s[2:3], 0x64
	s_mov_b32 s14, s22
	s_waitcnt lgkmcnt(0)
	v_cvt_f32_u32_e32 v1, s13
	s_sub_i32 s18, 0, s13
	v_rcp_iflag_f32_e32 v1, v1
	v_mul_f32_e32 v1, 0x4f7ffffe, v1
	v_cvt_u32_f32_e32 v1, v1
	v_readfirstlane_b32 s19, v1
	s_mul_i32 s18, s18, s19
	s_mul_hi_u32 s18, s19, s18
	s_add_i32 s19, s19, s18
	s_mul_hi_u32 s18, s22, s19
	s_mul_i32 s19, s18, s13
	s_sub_i32 s19, s14, s19
	s_add_i32 s22, s18, 1
	s_sub_i32 s24, s19, s13
	s_cmp_ge_u32 s19, s13
	s_cselect_b32 s18, s22, s18
	s_cselect_b32 s19, s24, s19
	s_add_i32 s22, s18, 1
	s_cmp_ge_u32 s19, s13
	s_cselect_b32 s22, s22, s18
	s_mul_i32 s13, s22, s13
	s_sub_i32 s13, s14, s13
	s_mul_i32 s13, s15, s13
	s_add_i32 s12, s12, -1
	s_add_i32 s23, s13, s23
	s_add_u32 s2, s2, -4
	s_addc_u32 s3, s3, -1
	s_cmp_gt_u32 s12, 2
	s_cbranch_scc1 .LBB25_9
.LBB25_10:
	s_load_dword s33, s[0:1], 0x6c
	s_load_dwordx4 s[12:15], s[4:5], 0x2b8
	v_mov_b32_e32 v1, s17
	s_mul_i32 s30, s17, s10
	s_sub_i32 s40, s16, s30
	s_mov_b32 s31, 0
	s_waitcnt lgkmcnt(0)
	global_load_ubyte v6, v1, s[12:13]
	s_load_dwordx2 s[28:29], s[4:5], 0x0
	s_load_dwordx2 s[26:27], s[4:5], 0xf0
	;; [unrolled: 1-line block ×3, first 2 shown]
	v_cmp_ne_u32_e64 s[0:1], 0, v0
	v_cmp_eq_u32_e64 s[2:3], 0, v0
	s_and_saveexec_b64 s[12:13], s[2:3]
	s_cbranch_execz .LBB25_26
; %bb.11:
	s_load_dwordx2 s[34:35], s[4:5], 0x2c8
	s_lshl_b64 s[36:37], s[30:31], 2
	s_add_u32 s16, s14, s36
	s_addc_u32 s17, s15, s37
	s_mov_b32 s30, 0
	s_waitcnt lgkmcnt(0)
	s_add_u32 s18, s34, s36
	s_addc_u32 s19, s35, s37
	s_mov_b32 s41, 0
	s_cmp_lt_u32 s10, 4
	s_cbranch_scc1 .LBB25_23
; %bb.12:
	s_mov_b32 s42, 0
.LBB25_13:                              ; =>This Inner Loop Header: Depth=1
	s_add_u32 s38, s14, s36
	s_addc_u32 s39, s15, s37
	s_load_dwordx4 s[16:19], s[38:39], 0x0
	s_add_u32 s38, s34, s36
	s_addc_u32 s39, s35, s37
	s_cmp_ge_u32 s42, s40
	s_cbranch_scc0 .LBB25_20
; %bb.14:                               ;   in Loop: Header=BB25_13 Depth=1
	s_add_i32 s43, s42, 1
	s_cmp_ge_u32 s43, s40
	s_cbranch_scc0 .LBB25_21
.LBB25_15:                              ;   in Loop: Header=BB25_13 Depth=1
	s_add_i32 s43, s43, 1
	s_cmp_ge_u32 s43, s40
	s_cbranch_scc0 .LBB25_22
.LBB25_16:                              ;   in Loop: Header=BB25_13 Depth=1
	s_add_i32 s43, s43, 1
	s_cmp_ge_u32 s43, s40
	s_cbranch_scc1 .LBB25_18
.LBB25_17:                              ;   in Loop: Header=BB25_13 Depth=1
	s_load_dword s38, s[38:39], 0xc
	s_waitcnt lgkmcnt(0)
	s_add_i32 s31, s31, s19
	s_add_i32 s30, s38, s30
.LBB25_18:                              ;   in Loop: Header=BB25_13 Depth=1
	s_waitcnt lgkmcnt(0)
	s_add_i32 s16, s16, s41
	s_add_i32 s16, s16, s17
	;; [unrolled: 1-line block ×4, first 2 shown]
	s_add_u32 s14, s14, 16
	s_addc_u32 s15, s15, 0
	s_add_u32 s34, s34, 16
	s_addc_u32 s35, s35, 0
	s_add_i32 s39, s43, 4
	s_add_u32 s18, s34, s36
	s_addc_u32 s19, s35, s37
	s_add_u32 s16, s14, s36
	s_addc_u32 s17, s15, s37
	s_add_i32 s38, s43, 1
	s_cmp_ge_u32 s39, s10
	s_cbranch_scc1 .LBB25_24
; %bb.19:                               ;   in Loop: Header=BB25_13 Depth=1
	s_mov_b32 s42, s38
	s_branch .LBB25_13
.LBB25_20:                              ;   in Loop: Header=BB25_13 Depth=1
	s_load_dword s43, s[38:39], 0x0
	s_waitcnt lgkmcnt(0)
	s_add_i32 s31, s16, s31
	s_add_i32 s30, s43, s30
	s_add_i32 s43, s42, 1
	s_cmp_ge_u32 s43, s40
	s_cbranch_scc1 .LBB25_15
.LBB25_21:                              ;   in Loop: Header=BB25_13 Depth=1
	s_load_dword s44, s[38:39], 0x4
	s_waitcnt lgkmcnt(0)
	s_add_i32 s31, s31, s17
	s_add_i32 s30, s44, s30
	;; [unrolled: 1-line block ×3, first 2 shown]
	s_cmp_ge_u32 s43, s40
	s_cbranch_scc1 .LBB25_16
.LBB25_22:                              ;   in Loop: Header=BB25_13 Depth=1
	s_load_dword s44, s[38:39], 0x8
	s_waitcnt lgkmcnt(0)
	s_add_i32 s31, s31, s18
	s_add_i32 s30, s44, s30
	;; [unrolled: 1-line block ×3, first 2 shown]
	s_cmp_ge_u32 s43, s40
	s_cbranch_scc0 .LBB25_17
	s_branch .LBB25_18
.LBB25_23:
	s_mov_b32 s14, 0
	s_cmp_ge_u32 s14, s10
	s_cbranch_scc0 .LBB25_47
	s_branch .LBB25_25
.LBB25_24:
	s_add_i32 s14, s42, 4
	s_cmp_ge_u32 s14, s10
	s_cbranch_scc0 .LBB25_47
.LBB25_25:
	v_mov_b32_e32 v1, s30
	v_mov_b32_e32 v2, s41
	;; [unrolled: 1-line block ×4, first 2 shown]
	ds_write_b96 v4, v[1:3] offset:1056
.LBB25_26:
	s_or_b64 exec, exec, s[12:13]
	s_load_dword s16, s[4:5], 0x23c
	s_load_dwordx4 s[12:15], s[4:5], 0xd8
	s_waitcnt lgkmcnt(0)
	s_mul_i32 s15, s9, s40
	s_lshl_b32 s15, s15, 8
	s_add_i32 s17, s40, 1
	s_mov_b32 s19, 0
	s_sub_i32 s18, s12, s15
	s_add_u32 s30, s18, 0xff
	s_addc_u32 s31, 0, 0
	s_lshr_b64 s[30:31], s[30:31], 8
	s_cmp_lt_u32 s17, s10
	s_cselect_b32 s9, s9, s30
	s_cmp_eq_u32 s9, 0
	s_waitcnt vmcnt(0)
	s_barrier
	s_cbranch_scc1 .LBB25_49
; %bb.27:
	s_mul_i32 s6, s20, s6
	s_mul_i32 s10, s33, s11
	s_add_i32 s6, s6, s7
	s_mul_i32 s7, s16, s22
	s_add_i32 s17, s10, s21
	s_add_i32 s18, s7, s23
	s_add_u32 s10, s28, s6
	s_addc_u32 s11, s29, 0
	s_add_u32 s16, s26, s17
	v_mov_b32_e32 v5, 0
	s_addc_u32 s17, s27, 0
	s_lshl_b64 s[6:7], s[18:19], 3
	ds_read_b96 v[1:3], v5 offset:1056
	s_add_u32 s18, s24, s6
	s_addc_u32 s19, s25, s7
	v_lshrrev_b32_e32 v4, 1, v0
	s_bitcmp1_b32 s14, 0
	s_load_dword s14, s[4:5], 0xe8
	s_load_dword s21, s[4:5], 0x1c8
	v_and_b32_e32 v8, 0x7c, v4
	v_add_u32_e32 v4, -1, v0
	v_lshrrev_b32_e32 v10, 3, v4
	s_waitcnt lgkmcnt(0)
	v_add_u32_e32 v1, v1, v2
	v_lshrrev_b32_e32 v2, 3, v0
	v_and_b32_e32 v10, 0x1ffffffc, v10
	v_and_b32_e32 v2, 28, v2
	v_lshl_add_u32 v10, v4, 2, v10
	v_add_u32_e32 v4, s15, v0
	v_lshl_add_u32 v2, v0, 2, v2
	v_cmp_gt_u32_e64 s[4:5], 64, v0
	v_lshlrev_b32_e32 v9, 4, v0
	v_mul_lo_u32 v0, s14, v4
	s_movk_i32 s20, 0x80
	v_mbcnt_lo_u32_b32 v11, -1, 0
	v_add_u32_sdwa v7, sext(v6), s20 dst_sel:DWORD dst_unused:UNUSED_PAD src0_sel:BYTE_0 src1_sel:DWORD
	s_cselect_b64 s[6:7], -1, 0
	s_lshl_b32 s22, s14, 8
	v_mbcnt_hi_u32_b32 v11, -1, v11
                                        ; implicit-def: $vgpr12
	s_branch .LBB25_30
.LBB25_28:                              ;   in Loop: Header=BB25_30 Depth=1
	s_or_b64 exec, exec, s[14:15]
	v_add_u32_e32 v1, v15, v1
.LBB25_29:                              ;   in Loop: Header=BB25_30 Depth=1
	s_add_i32 s9, s9, -1
	v_add_u32_e32 v3, v14, v3
	v_add_u32_e32 v0, s22, v0
	s_cmp_lg_u32 s9, 0
	v_add_u32_e32 v4, 0x100, v4
	s_cbranch_scc0 .LBB25_49
.LBB25_30:                              ; =>This Inner Loop Header: Depth=1
	v_cmp_gt_u32_e32 vcc, s12, v4
	v_mov_b32_e32 v15, 0
	v_mov_b32_e32 v13, 0
	s_and_saveexec_b64 s[14:15], vcc
	s_cbranch_execz .LBB25_32
; %bb.31:                               ;   in Loop: Header=BB25_30 Depth=1
	global_load_ubyte v12, v0, s[10:11]
	s_waitcnt vmcnt(0)
	v_add_u32_sdwa v13, sext(v12), s20 dst_sel:DWORD dst_unused:UNUSED_PAD src0_sel:BYTE_0 src1_sel:DWORD
	v_cmp_gt_u32_e32 vcc, v13, v7
	v_cndmask_b32_e64 v14, 0, 1, vcc
	v_cmp_lt_u32_e32 vcc, v13, v7
	v_cndmask_b32_e64 v13, 0, 1, vcc
	v_cndmask_b32_e64 v13, v13, v14, s[6:7]
	v_cmp_eq_u16_sdwa s[24:25], v12, v6 src0_sel:DWORD src1_sel:BYTE_0
	v_and_b32_e32 v15, 1, v13
	v_cndmask_b32_e64 v13, 0, 1, s[24:25]
.LBB25_32:                              ;   in Loop: Header=BB25_30 Depth=1
	s_or_b64 exec, exec, s[14:15]
	ds_write_b32 v2, v15
	s_waitcnt vmcnt(0) lgkmcnt(0)
	s_barrier
	s_and_saveexec_b64 s[14:15], s[4:5]
	s_cbranch_execz .LBB25_34
; %bb.33:                               ;   in Loop: Header=BB25_30 Depth=1
	v_add_u32_e32 v14, v8, v9
	ds_read2_b32 v[16:17], v14 offset1:1
	ds_read2_b32 v[18:19], v14 offset0:2 offset1:3
	v_and_b32_e32 v20, 15, v11
	v_cmp_ne_u32_e32 vcc, 0, v20
	s_waitcnt lgkmcnt(1)
	v_add_u32_e32 v17, v17, v16
	s_waitcnt lgkmcnt(0)
	v_add3_u32 v17, v17, v18, v19
	v_bfe_i32 v19, v11, 4, 1
	; wave barrier
	s_nop 0
	v_mov_b32_dpp v18, v17 row_shr:1 row_mask:0xf bank_mask:0xf
	v_cndmask_b32_e32 v18, 0, v18, vcc
	v_add_u32_e32 v17, v18, v17
	v_cmp_lt_u32_e32 vcc, 1, v20
	s_nop 0
	v_mov_b32_dpp v18, v17 row_shr:2 row_mask:0xf bank_mask:0xf
	v_cndmask_b32_e32 v18, 0, v18, vcc
	v_add_u32_e32 v17, v17, v18
	v_cmp_lt_u32_e32 vcc, 3, v20
	;; [unrolled: 5-line block ×4, first 2 shown]
	s_nop 0
	v_mov_b32_dpp v18, v17 row_bcast:15 row_mask:0xf bank_mask:0xf
	v_and_b32_e32 v18, v19, v18
	v_add_u32_e32 v17, v17, v18
	v_and_b32_e32 v19, 64, v11
	s_nop 0
	v_mov_b32_dpp v18, v17 row_bcast:31 row_mask:0xf bank_mask:0xf
	v_cndmask_b32_e32 v18, 0, v18, vcc
	v_add_u32_e32 v17, v17, v18
	v_add_u32_e32 v18, -1, v11
	v_cmp_lt_i32_e32 vcc, v18, v19
	v_cndmask_b32_e32 v18, v18, v11, vcc
	v_lshlrev_b32_e32 v18, 2, v18
	ds_bpermute_b32 v17, v18, v17
	s_waitcnt lgkmcnt(0)
	v_add_u32_e32 v16, v17, v16
	v_cndmask_b32_e64 v18, v16, v15, s[2:3]
	ds_write_b32 v14, v18
	; wave barrier
	ds_read2_b32 v[16:17], v14 offset0:1 offset1:2
	ds_read_b32 v19, v14 offset:12
	s_waitcnt lgkmcnt(1)
	v_add_u32_e32 v16, v16, v18
	v_add_u32_e32 v17, v17, v16
	ds_write2_b32 v14, v16, v17 offset0:1 offset1:2
	s_waitcnt lgkmcnt(1)
	v_add_u32_e32 v16, v19, v17
	ds_write_b32 v14, v16 offset:12
.LBB25_34:                              ;   in Loop: Header=BB25_30 Depth=1
	s_or_b64 exec, exec, s[14:15]
	v_mov_b32_e32 v16, 0
	s_waitcnt lgkmcnt(0)
	s_barrier
	s_and_saveexec_b64 s[14:15], s[0:1]
; %bb.35:                               ;   in Loop: Header=BB25_30 Depth=1
	ds_read_b32 v16, v10
; %bb.36:                               ;   in Loop: Header=BB25_30 Depth=1
	s_or_b64 exec, exec, s[14:15]
	ds_read_b32 v14, v5 offset:1048
	v_cmp_ne_u32_e32 vcc, 0, v15
	s_waitcnt lgkmcnt(0)
	s_barrier
	s_and_saveexec_b64 s[14:15], vcc
	s_cbranch_execz .LBB25_38
; %bb.37:                               ;   in Loop: Header=BB25_30 Depth=1
	v_add_u32_e32 v15, v16, v3
	v_mul_lo_u32 v17, v15, s21
	v_mul_lo_u32 v15, v15, s8
	v_mov_b32_e32 v16, v5
	global_store_byte v17, v12, s[16:17]
	v_lshlrev_b64 v[15:16], 3, v[15:16]
	v_mov_b32_e32 v17, s19
	v_add_co_u32_e32 v15, vcc, s18, v15
	v_addc_co_u32_e32 v16, vcc, v17, v16, vcc
	global_store_dwordx2 v[15:16], v[4:5], off
.LBB25_38:                              ;   in Loop: Header=BB25_30 Depth=1
	s_or_b64 exec, exec, s[14:15]
	v_cmp_le_u32_e32 vcc, s13, v1
	s_cbranch_vccnz .LBB25_29
; %bb.39:                               ;   in Loop: Header=BB25_30 Depth=1
	ds_write_b32 v2, v13
	s_waitcnt vmcnt(0) lgkmcnt(0)
	s_barrier
	s_and_saveexec_b64 s[14:15], s[4:5]
	s_cbranch_execz .LBB25_41
; %bb.40:                               ;   in Loop: Header=BB25_30 Depth=1
	v_add_u32_e32 v19, v8, v9
	ds_read2_b32 v[15:16], v19 offset1:1
	ds_read2_b32 v[17:18], v19 offset0:2 offset1:3
	v_and_b32_e32 v20, 15, v11
	v_cmp_ne_u32_e32 vcc, 0, v20
	s_waitcnt lgkmcnt(1)
	v_add_u32_e32 v16, v16, v15
	s_waitcnt lgkmcnt(0)
	v_add3_u32 v16, v16, v17, v18
	v_bfe_i32 v18, v11, 4, 1
	; wave barrier
	s_nop 0
	v_mov_b32_dpp v17, v16 row_shr:1 row_mask:0xf bank_mask:0xf
	v_cndmask_b32_e32 v17, 0, v17, vcc
	v_add_u32_e32 v16, v17, v16
	v_cmp_lt_u32_e32 vcc, 1, v20
	s_nop 0
	v_mov_b32_dpp v17, v16 row_shr:2 row_mask:0xf bank_mask:0xf
	v_cndmask_b32_e32 v17, 0, v17, vcc
	v_add_u32_e32 v16, v16, v17
	v_cmp_lt_u32_e32 vcc, 3, v20
	;; [unrolled: 5-line block ×4, first 2 shown]
	s_nop 0
	v_mov_b32_dpp v17, v16 row_bcast:15 row_mask:0xf bank_mask:0xf
	v_and_b32_e32 v17, v18, v17
	v_add_u32_e32 v16, v16, v17
	v_and_b32_e32 v18, 64, v11
	s_nop 0
	v_mov_b32_dpp v17, v16 row_bcast:31 row_mask:0xf bank_mask:0xf
	v_cndmask_b32_e32 v17, 0, v17, vcc
	v_add_u32_e32 v16, v16, v17
	v_add_u32_e32 v17, -1, v11
	v_cmp_lt_i32_e32 vcc, v17, v18
	v_cndmask_b32_e32 v17, v17, v11, vcc
	v_lshlrev_b32_e32 v17, 2, v17
	ds_bpermute_b32 v16, v17, v16
	s_waitcnt lgkmcnt(0)
	v_add_u32_e32 v15, v16, v15
	v_cndmask_b32_e64 v17, v15, v13, s[2:3]
	ds_write_b32 v19, v17
	; wave barrier
	ds_read2_b32 v[15:16], v19 offset0:1 offset1:2
	ds_read_b32 v18, v19 offset:12
	s_waitcnt lgkmcnt(1)
	v_add_u32_e32 v15, v15, v17
	v_add_u32_e32 v16, v16, v15
	ds_write2_b32 v19, v15, v16 offset0:1 offset1:2
	s_waitcnt lgkmcnt(1)
	v_add_u32_e32 v15, v18, v16
	ds_write_b32 v19, v15 offset:12
.LBB25_41:                              ;   in Loop: Header=BB25_30 Depth=1
	s_or_b64 exec, exec, s[14:15]
	v_mov_b32_e32 v16, 0
	s_waitcnt lgkmcnt(0)
	s_barrier
	s_and_saveexec_b64 s[14:15], s[0:1]
; %bb.42:                               ;   in Loop: Header=BB25_30 Depth=1
	ds_read_b32 v16, v10
; %bb.43:                               ;   in Loop: Header=BB25_30 Depth=1
	s_or_b64 exec, exec, s[14:15]
	ds_read_b32 v15, v5 offset:1048
	v_cmp_ne_u32_e32 vcc, 0, v13
	s_waitcnt lgkmcnt(0)
	s_barrier
	s_and_saveexec_b64 s[14:15], vcc
	s_cbranch_execz .LBB25_28
; %bb.44:                               ;   in Loop: Header=BB25_30 Depth=1
	v_add_u32_e32 v13, v16, v1
	v_cmp_gt_u32_e32 vcc, s13, v13
	s_and_b64 exec, exec, vcc
	s_cbranch_execz .LBB25_28
; %bb.45:                               ;   in Loop: Header=BB25_30 Depth=1
	v_mul_lo_u32 v16, v13, s8
	v_mov_b32_e32 v17, v5
	v_mul_lo_u32 v18, v13, s21
	v_mov_b32_e32 v13, s19
	v_lshlrev_b64 v[16:17], 3, v[16:17]
	global_store_byte v18, v12, s[16:17]
	v_add_co_u32_e32 v16, vcc, s18, v16
	v_addc_co_u32_e32 v17, vcc, v13, v17, vcc
	global_store_dwordx2 v[16:17], v[4:5], off
	s_branch .LBB25_28
.LBB25_46:                              ;   in Loop: Header=BB25_47 Depth=1
	s_add_u32 s16, s16, 4
	s_addc_u32 s17, s17, 0
	s_waitcnt lgkmcnt(0)
	s_add_i32 s41, s15, s41
	s_add_u32 s18, s18, 4
	s_addc_u32 s19, s19, 0
	s_add_i32 s14, s14, 1
	s_cmp_lt_u32 s14, s10
	s_cbranch_scc0 .LBB25_25
.LBB25_47:                              ; =>This Inner Loop Header: Depth=1
	s_load_dword s15, s[16:17], 0x0
	s_cmp_ge_u32 s14, s40
	s_cbranch_scc1 .LBB25_46
; %bb.48:                               ;   in Loop: Header=BB25_47 Depth=1
	s_load_dword s34, s[18:19], 0x0
	s_waitcnt lgkmcnt(0)
	s_add_i32 s31, s15, s31
	s_add_i32 s30, s34, s30
	s_branch .LBB25_46
.LBB25_49:
	s_endpgm
	.section	.rodata,"a",@progbits
	.p2align	6, 0x0
	.amdhsa_kernel _ZN2at6native6mbtopk10gatherTopKIajLin1EEEvNS_4cuda6detail10TensorInfoIKT_T0_EES8_S8_bjS8_NS5_IS6_S8_EES8_NS5_IlS8_EES8_jjPS6_PjSD_j
		.amdhsa_group_segment_fixed_size 1068
		.amdhsa_private_segment_fixed_size 0
		.amdhsa_kernarg_size 984
		.amdhsa_user_sgpr_count 6
		.amdhsa_user_sgpr_private_segment_buffer 1
		.amdhsa_user_sgpr_dispatch_ptr 0
		.amdhsa_user_sgpr_queue_ptr 0
		.amdhsa_user_sgpr_kernarg_segment_ptr 1
		.amdhsa_user_sgpr_dispatch_id 0
		.amdhsa_user_sgpr_flat_scratch_init 0
		.amdhsa_user_sgpr_private_segment_size 0
		.amdhsa_uses_dynamic_stack 0
		.amdhsa_system_sgpr_private_segment_wavefront_offset 0
		.amdhsa_system_sgpr_workgroup_id_x 1
		.amdhsa_system_sgpr_workgroup_id_y 1
		.amdhsa_system_sgpr_workgroup_id_z 1
		.amdhsa_system_sgpr_workgroup_info 0
		.amdhsa_system_vgpr_workitem_id 0
		.amdhsa_next_free_vgpr 21
		.amdhsa_next_free_sgpr 45
		.amdhsa_reserve_vcc 1
		.amdhsa_reserve_flat_scratch 0
		.amdhsa_float_round_mode_32 0
		.amdhsa_float_round_mode_16_64 0
		.amdhsa_float_denorm_mode_32 3
		.amdhsa_float_denorm_mode_16_64 3
		.amdhsa_dx10_clamp 1
		.amdhsa_ieee_mode 1
		.amdhsa_fp16_overflow 0
		.amdhsa_exception_fp_ieee_invalid_op 0
		.amdhsa_exception_fp_denorm_src 0
		.amdhsa_exception_fp_ieee_div_zero 0
		.amdhsa_exception_fp_ieee_overflow 0
		.amdhsa_exception_fp_ieee_underflow 0
		.amdhsa_exception_fp_ieee_inexact 0
		.amdhsa_exception_int_div_zero 0
	.end_amdhsa_kernel
	.section	.text._ZN2at6native6mbtopk10gatherTopKIajLin1EEEvNS_4cuda6detail10TensorInfoIKT_T0_EES8_S8_bjS8_NS5_IS6_S8_EES8_NS5_IlS8_EES8_jjPS6_PjSD_j,"axG",@progbits,_ZN2at6native6mbtopk10gatherTopKIajLin1EEEvNS_4cuda6detail10TensorInfoIKT_T0_EES8_S8_bjS8_NS5_IS6_S8_EES8_NS5_IlS8_EES8_jjPS6_PjSD_j,comdat
.Lfunc_end25:
	.size	_ZN2at6native6mbtopk10gatherTopKIajLin1EEEvNS_4cuda6detail10TensorInfoIKT_T0_EES8_S8_bjS8_NS5_IS6_S8_EES8_NS5_IlS8_EES8_jjPS6_PjSD_j, .Lfunc_end25-_ZN2at6native6mbtopk10gatherTopKIajLin1EEEvNS_4cuda6detail10TensorInfoIKT_T0_EES8_S8_bjS8_NS5_IS6_S8_EES8_NS5_IlS8_EES8_jjPS6_PjSD_j
                                        ; -- End function
	.set _ZN2at6native6mbtopk10gatherTopKIajLin1EEEvNS_4cuda6detail10TensorInfoIKT_T0_EES8_S8_bjS8_NS5_IS6_S8_EES8_NS5_IlS8_EES8_jjPS6_PjSD_j.num_vgpr, 21
	.set _ZN2at6native6mbtopk10gatherTopKIajLin1EEEvNS_4cuda6detail10TensorInfoIKT_T0_EES8_S8_bjS8_NS5_IS6_S8_EES8_NS5_IlS8_EES8_jjPS6_PjSD_j.num_agpr, 0
	.set _ZN2at6native6mbtopk10gatherTopKIajLin1EEEvNS_4cuda6detail10TensorInfoIKT_T0_EES8_S8_bjS8_NS5_IS6_S8_EES8_NS5_IlS8_EES8_jjPS6_PjSD_j.numbered_sgpr, 45
	.set _ZN2at6native6mbtopk10gatherTopKIajLin1EEEvNS_4cuda6detail10TensorInfoIKT_T0_EES8_S8_bjS8_NS5_IS6_S8_EES8_NS5_IlS8_EES8_jjPS6_PjSD_j.num_named_barrier, 0
	.set _ZN2at6native6mbtopk10gatherTopKIajLin1EEEvNS_4cuda6detail10TensorInfoIKT_T0_EES8_S8_bjS8_NS5_IS6_S8_EES8_NS5_IlS8_EES8_jjPS6_PjSD_j.private_seg_size, 0
	.set _ZN2at6native6mbtopk10gatherTopKIajLin1EEEvNS_4cuda6detail10TensorInfoIKT_T0_EES8_S8_bjS8_NS5_IS6_S8_EES8_NS5_IlS8_EES8_jjPS6_PjSD_j.uses_vcc, 1
	.set _ZN2at6native6mbtopk10gatherTopKIajLin1EEEvNS_4cuda6detail10TensorInfoIKT_T0_EES8_S8_bjS8_NS5_IS6_S8_EES8_NS5_IlS8_EES8_jjPS6_PjSD_j.uses_flat_scratch, 0
	.set _ZN2at6native6mbtopk10gatherTopKIajLin1EEEvNS_4cuda6detail10TensorInfoIKT_T0_EES8_S8_bjS8_NS5_IS6_S8_EES8_NS5_IlS8_EES8_jjPS6_PjSD_j.has_dyn_sized_stack, 0
	.set _ZN2at6native6mbtopk10gatherTopKIajLin1EEEvNS_4cuda6detail10TensorInfoIKT_T0_EES8_S8_bjS8_NS5_IS6_S8_EES8_NS5_IlS8_EES8_jjPS6_PjSD_j.has_recursion, 0
	.set _ZN2at6native6mbtopk10gatherTopKIajLin1EEEvNS_4cuda6detail10TensorInfoIKT_T0_EES8_S8_bjS8_NS5_IS6_S8_EES8_NS5_IlS8_EES8_jjPS6_PjSD_j.has_indirect_call, 0
	.section	.AMDGPU.csdata,"",@progbits
; Kernel info:
; codeLenInByte = 2652
; TotalNumSgprs: 49
; NumVgprs: 21
; ScratchSize: 0
; MemoryBound: 0
; FloatMode: 240
; IeeeMode: 1
; LDSByteSize: 1068 bytes/workgroup (compile time only)
; SGPRBlocks: 6
; VGPRBlocks: 5
; NumSGPRsForWavesPerEU: 49
; NumVGPRsForWavesPerEU: 21
; Occupancy: 10
; WaveLimiterHint : 1
; COMPUTE_PGM_RSRC2:SCRATCH_EN: 0
; COMPUTE_PGM_RSRC2:USER_SGPR: 6
; COMPUTE_PGM_RSRC2:TRAP_HANDLER: 0
; COMPUTE_PGM_RSRC2:TGID_X_EN: 1
; COMPUTE_PGM_RSRC2:TGID_Y_EN: 1
; COMPUTE_PGM_RSRC2:TGID_Z_EN: 1
; COMPUTE_PGM_RSRC2:TIDIG_COMP_CNT: 0
	.section	.text._ZN2at6native6sbtopk10gatherTopKIajLin1ELb0EEEvNS_4cuda6detail10TensorInfoIKT_T0_EES8_S8_bS8_S8_NS5_IS6_S8_EES8_NS5_IlS8_EES8_PS6_,"axG",@progbits,_ZN2at6native6sbtopk10gatherTopKIajLin1ELb0EEEvNS_4cuda6detail10TensorInfoIKT_T0_EES8_S8_bS8_S8_NS5_IS6_S8_EES8_NS5_IlS8_EES8_PS6_,comdat
	.protected	_ZN2at6native6sbtopk10gatherTopKIajLin1ELb0EEEvNS_4cuda6detail10TensorInfoIKT_T0_EES8_S8_bS8_S8_NS5_IS6_S8_EES8_NS5_IlS8_EES8_PS6_ ; -- Begin function _ZN2at6native6sbtopk10gatherTopKIajLin1ELb0EEEvNS_4cuda6detail10TensorInfoIKT_T0_EES8_S8_bS8_S8_NS5_IS6_S8_EES8_NS5_IlS8_EES8_PS6_
	.globl	_ZN2at6native6sbtopk10gatherTopKIajLin1ELb0EEEvNS_4cuda6detail10TensorInfoIKT_T0_EES8_S8_bS8_S8_NS5_IS6_S8_EES8_NS5_IlS8_EES8_PS6_
	.p2align	8
	.type	_ZN2at6native6sbtopk10gatherTopKIajLin1ELb0EEEvNS_4cuda6detail10TensorInfoIKT_T0_EES8_S8_bS8_S8_NS5_IS6_S8_EES8_NS5_IlS8_EES8_PS6_,@function
_ZN2at6native6sbtopk10gatherTopKIajLin1ELb0EEEvNS_4cuda6detail10TensorInfoIKT_T0_EES8_S8_bS8_S8_NS5_IS6_S8_EES8_NS5_IlS8_EES8_PS6_: ; @_ZN2at6native6sbtopk10gatherTopKIajLin1ELb0EEEvNS_4cuda6detail10TensorInfoIKT_T0_EES8_S8_bS8_S8_NS5_IS6_S8_EES8_NS5_IlS8_EES8_PS6_
; %bb.0:
	s_load_dwordx2 s[14:15], s[4:5], 0x2b8
	s_load_dwordx4 s[36:39], s[4:5], 0xd8
	s_mov_b64 s[18:19], s[4:5]
	s_add_u32 s12, s18, 0x2b8
	s_addc_u32 s13, s19, 0
	s_waitcnt lgkmcnt(0)
	s_mul_i32 s0, s15, s8
	s_add_i32 s0, s0, s7
	s_mul_i32 s0, s0, s14
	s_add_i32 s54, s0, s6
	s_cmp_ge_u32 s54, s39
	s_cbranch_scc1 .LBB26_421
; %bb.1:
	s_load_dword s2, s[18:19], 0xd0
	s_load_dword s33, s[18:19], 0xe8
	s_mov_b32 s1, 0
	s_mov_b32 s0, s54
	s_waitcnt lgkmcnt(0)
	s_cmp_lt_i32 s2, 2
	s_cbranch_scc1 .LBB26_4
; %bb.2:
	s_add_i32 s0, s2, -1
	s_add_i32 s4, s2, 1
	s_lshl_b64 s[2:3], s[0:1], 2
	s_add_u32 s0, s18, s2
	s_addc_u32 s3, s19, s3
	s_add_u32 s2, s0, 8
	s_addc_u32 s3, s3, 0
	s_mov_b32 s0, s54
.LBB26_3:                               ; =>This Inner Loop Header: Depth=1
	s_load_dword s5, s[2:3], 0x0
	s_load_dword s8, s[2:3], 0x64
	s_mov_b32 s7, s0
	s_waitcnt lgkmcnt(0)
	v_cvt_f32_u32_e32 v1, s5
	s_sub_i32 s0, 0, s5
	v_rcp_iflag_f32_e32 v1, v1
	v_mul_f32_e32 v1, 0x4f7ffffe, v1
	v_cvt_u32_f32_e32 v1, v1
	v_readfirstlane_b32 s9, v1
	s_mul_i32 s0, s0, s9
	s_mul_hi_u32 s0, s9, s0
	s_add_i32 s9, s9, s0
	s_mul_hi_u32 s0, s7, s9
	s_mul_i32 s9, s0, s5
	s_sub_i32 s9, s7, s9
	s_add_i32 s10, s0, 1
	s_sub_i32 s11, s9, s5
	s_cmp_ge_u32 s9, s5
	s_cselect_b32 s0, s10, s0
	s_cselect_b32 s9, s11, s9
	s_add_i32 s10, s0, 1
	s_cmp_ge_u32 s9, s5
	s_cselect_b32 s0, s10, s0
	s_mul_i32 s5, s0, s5
	s_sub_i32 s5, s7, s5
	s_mul_i32 s5, s8, s5
	s_add_i32 s4, s4, -1
	s_add_i32 s1, s5, s1
	s_add_u32 s2, s2, -4
	s_addc_u32 s3, s3, -1
	s_cmp_gt_u32 s4, 2
	s_cbranch_scc1 .LBB26_3
.LBB26_4:
	s_load_dword s5, s[18:19], 0x1c0
	s_add_u32 s2, s18, 0xf0
	s_addc_u32 s3, s19, 0
	s_mov_b32 s43, 0
	s_mov_b32 s55, s54
	s_waitcnt lgkmcnt(0)
	s_cmp_lt_i32 s5, 2
	s_cbranch_scc1 .LBB26_7
; %bb.5:
	s_add_i32 s42, s5, -1
	s_add_i32 s4, s5, 1
	s_lshl_b64 s[8:9], s[42:43], 2
	s_add_u32 s5, s2, s8
	s_addc_u32 s7, s3, s9
	s_add_u32 s8, s5, 8
	s_addc_u32 s9, s7, 0
	s_mov_b32 s55, s54
.LBB26_6:                               ; =>This Inner Loop Header: Depth=1
	s_load_dword s5, s[8:9], 0x0
	s_load_dword s10, s[8:9], 0x64
	s_mov_b32 s7, s55
	s_waitcnt lgkmcnt(0)
	v_cvt_f32_u32_e32 v1, s5
	s_sub_i32 s11, 0, s5
	v_rcp_iflag_f32_e32 v1, v1
	v_mul_f32_e32 v1, 0x4f7ffffe, v1
	v_cvt_u32_f32_e32 v1, v1
	v_readfirstlane_b32 s15, v1
	s_mul_i32 s11, s11, s15
	s_mul_hi_u32 s11, s15, s11
	s_add_i32 s15, s15, s11
	s_mul_hi_u32 s11, s55, s15
	s_mul_i32 s15, s11, s5
	s_sub_i32 s15, s55, s15
	s_add_i32 s16, s11, 1
	s_sub_i32 s17, s15, s5
	s_cmp_ge_u32 s15, s5
	s_cselect_b32 s11, s16, s11
	s_cselect_b32 s15, s17, s15
	s_add_i32 s16, s11, 1
	s_cmp_ge_u32 s15, s5
	s_cselect_b32 s55, s16, s11
	s_mul_i32 s5, s55, s5
	s_sub_i32 s5, s7, s5
	s_mul_i32 s5, s10, s5
	s_add_i32 s4, s4, -1
	s_add_i32 s43, s5, s43
	s_add_u32 s8, s8, -4
	s_addc_u32 s9, s9, -1
	s_cmp_gt_u32 s4, 2
	s_cbranch_scc1 .LBB26_6
.LBB26_7:
	s_load_dword s4, s[18:19], 0x6c
	s_load_dword s9, s[18:19], 0x2a0
	s_add_u32 s7, s18, 0x1d0
                                        ; implicit-def: $vgpr51 : SGPR spill to VGPR lane
	s_mov_b32 s45, 0
	v_writelane_b32 v51, s18, 0
	s_addc_u32 s8, s19, 0
	s_waitcnt lgkmcnt(0)
	s_cmp_lt_i32 s9, 2
	v_writelane_b32 v51, s19, 1
	s_cbranch_scc1 .LBB26_10
; %bb.8:
	s_add_i32 s44, s9, -1
	s_add_i32 s5, s9, 1
	s_lshl_b64 s[10:11], s[44:45], 2
	s_add_u32 s7, s7, s10
	s_addc_u32 s9, s8, s11
	s_add_u32 s8, s7, 8
	s_addc_u32 s9, s9, 0
.LBB26_9:                               ; =>This Inner Loop Header: Depth=1
	s_load_dword s7, s[8:9], 0x0
	s_load_dword s11, s[8:9], 0x64
	s_mov_b32 s10, s54
	s_waitcnt lgkmcnt(0)
	v_cvt_f32_u32_e32 v1, s7
	s_sub_i32 s15, 0, s7
	v_rcp_iflag_f32_e32 v1, v1
	v_mul_f32_e32 v1, 0x4f7ffffe, v1
	v_cvt_u32_f32_e32 v1, v1
	v_readfirstlane_b32 s16, v1
	s_mul_i32 s15, s15, s16
	s_mul_hi_u32 s15, s16, s15
	s_add_i32 s16, s16, s15
	s_mul_hi_u32 s15, s54, s16
	s_mul_i32 s16, s15, s7
	s_sub_i32 s16, s54, s16
	s_add_i32 s17, s15, 1
	s_sub_i32 s18, s16, s7
	s_cmp_ge_u32 s16, s7
	s_cselect_b32 s15, s17, s15
	s_cselect_b32 s16, s18, s16
	s_add_i32 s17, s15, 1
	s_cmp_ge_u32 s16, s7
	s_cselect_b32 s54, s17, s15
	s_mul_i32 s7, s54, s7
	s_sub_i32 s7, s10, s7
	s_mul_i32 s7, s11, s7
	s_add_i32 s5, s5, -1
	s_add_i32 s45, s7, s45
	s_add_u32 s8, s8, -4
	s_addc_u32 s9, s9, -1
	s_cmp_gt_u32 s5, 2
	s_cbranch_scc1 .LBB26_9
.LBB26_10:
	s_load_dword s2, s[2:3], 0x6c
	s_mov_b32 s18, 0
	s_waitcnt lgkmcnt(0)
	v_writelane_b32 v51, s2, 2
	v_readlane_b32 s8, v51, 0
	v_readlane_b32 s9, v51, 1
	s_load_dwordx2 s[2:3], s[8:9], 0x0
	s_load_dwordx2 s[10:11], s[8:9], 0xf0
	s_waitcnt lgkmcnt(0)
	v_writelane_b32 v51, s10, 3
	s_load_dwordx2 s[8:9], s[8:9], 0x1d0
	v_writelane_b32 v51, s11, 4
	v_cmp_eq_u32_e64 s[10:11], 0, v0
	s_waitcnt lgkmcnt(0)
	v_writelane_b32 v51, s8, 5
	v_writelane_b32 v51, s9, 6
	s_mov_b64 s[8:9], exec
	v_writelane_b32 v51, s10, 7
	v_writelane_b32 v51, s11, 8
	s_and_b64 s[10:11], s[8:9], s[10:11]
	s_mov_b64 exec, s[10:11]
; %bb.11:
	v_mov_b32_e32 v1, 0
	v_mov_b32_e32 v2, s36
	;; [unrolled: 1-line block ×3, first 2 shown]
	ds_write_b96 v1, v[1:3] offset:4096
; %bb.12:
	s_or_b64 exec, exec, s[8:9]
	s_mul_i32 s0, s4, s0
	s_add_i32 s0, s0, s1
	s_add_u32 s40, s2, s0
	s_addc_u32 s41, s3, 0
	s_waitcnt lgkmcnt(0)
	s_barrier
	s_load_dword s0, s[12:13], 0xc
	s_bitcmp1_b32 s38, 0
	s_cselect_b64 s[2:3], -1, 0
	v_writelane_b32 v51, s2, 9
	v_writelane_b32 v51, s3, 10
	s_xor_b64 s[2:3], s[2:3], -1
	v_mbcnt_lo_u32_b32 v1, -1, 0
	v_writelane_b32 v51, s2, 11
	v_mbcnt_hi_u32_b32 v21, -1, v1
	v_writelane_b32 v51, s3, 12
	s_waitcnt lgkmcnt(0)
	s_and_b32 s42, s0, 0xffff
	v_cmp_gt_u32_e32 vcc, 64, v0
	v_cmp_gt_i32_e64 s[2:3], 4, v21
	s_lshl_b32 s19, s42, 2
	s_bfe_u32 s4, s0, 0xa0006
	s_and_b64 s[2:3], vcc, s[2:3]
	v_writelane_b32 v51, s2, 13
	s_cmpk_gt_u32 s36, 0xc00
	v_writelane_b32 v51, s3, 14
	s_cselect_b64 s[2:3], -1, 0
	v_writelane_b32 v51, s2, 15
	v_writelane_b32 v51, s3, 16
	v_cmp_gt_u32_e64 s[2:3], s36, v0
	v_writelane_b32 v51, s2, 17
	s_cmp_gt_u32 s42, 63
	v_writelane_b32 v51, s3, 18
	s_cselect_b64 s[2:3], -1, 0
	v_mul_lo_u32 v22, s33, v0
	v_writelane_b32 v51, s2, 19
	v_writelane_b32 v51, s3, 20
	v_cmp_gt_u32_e64 s[2:3], 2, v0
	v_writelane_b32 v51, s2, 21
	v_writelane_b32 v51, s3, 22
	s_add_i32 s2, s42, -1
	v_mov_b32_e32 v1, s41
	v_add_co_u32_e32 v13, vcc, s40, v22
	v_writelane_b32 v51, s2, 23
	s_add_i32 s2, s2, s36
	v_addc_co_u32_e32 v14, vcc, 0, v1, vcc
	v_lshrrev_b32_e32 v1, 2, v0
	s_cmp_lt_u32 s6, s14
	v_and_b32_e32 v1, 0xf0, v1
	s_cselect_b32 s3, 12, 18
	v_or_b32_e32 v24, 0xc00, v1
	s_add_u32 s6, s12, s3
	v_add_u32_e32 v1, 2, v0
	s_addc_u32 s7, s13, 0
	v_max_u32_e32 v1, s36, v1
	v_lshlrev_b64 v[3:4], v21, -1
	v_writelane_b32 v51, s6, 24
	v_xad_u32 v1, v0, -1, v1
	v_writelane_b32 v51, s7, 25
	v_cmp_lt_u32_e64 s[6:7], 31, v1
	v_not_b32_e32 v19, v3
	v_add_u32_e32 v3, -4, v1
	v_writelane_b32 v51, s6, 26
	v_not_b32_e32 v18, v4
	v_lshrrev_b32_e32 v4, 2, v3
	v_writelane_b32 v51, s7, 27
	v_cmp_lt_u32_e64 s[6:7], 11, v3
	v_cvt_f32_u32_e32 v3, s19
	v_writelane_b32 v51, s33, 28
	v_writelane_b32 v51, s33, 29
	v_add_u32_e32 v4, 1, v4
	v_writelane_b32 v51, s33, 30
	v_rcp_iflag_f32_e32 v3, v3
	v_and_b32_e32 v5, 3, v4
	v_writelane_b32 v51, s6, 31
	s_add_i32 s3, s4, -1
	v_writelane_b32 v51, s7, 32
	v_cmp_ne_u32_e64 s[6:7], 0, v5
	s_bfe_u32 s5, s42, 0x30006
	s_and_b32 s3, s3, 0xffff
	v_writelane_b32 v51, s6, 33
	s_cmp_gt_u32 s3, 6
	v_writelane_b32 v51, s7, 34
	s_cselect_b64 s[6:7], -1, 0
	v_mul_f32_e32 v3, 0x4f7ffffe, v3
	v_writelane_b32 v51, s6, 35
	s_and_b32 s61, s4, 0x3f8
	v_cvt_u32_f32_e32 v3, v3
	v_writelane_b32 v51, s7, 36
	s_cmp_lg_u32 s5, 0
	v_writelane_b32 v51, s5, 37
	s_cselect_b64 s[4:5], -1, 0
	v_writelane_b32 v51, s4, 38
	v_writelane_b32 v51, s5, 39
	s_sub_i32 s3, 0, s19
	v_readfirstlane_b32 s4, v3
	s_mul_i32 s3, s3, s4
	s_mul_hi_u32 s3, s4, s3
	s_add_i32 s3, s4, s3
	v_writelane_b32 v51, s3, 40
	s_mul_hi_u32 s3, s36, s3
	s_mul_i32 s3, s3, s19
	v_cvt_f32_u32_e32 v3, s42
	s_sub_i32 s3, s36, s3
	s_sub_i32 s4, s3, s19
	s_cmp_ge_u32 s3, s19
	s_cselect_b32 s3, s4, s3
	v_rcp_iflag_f32_e32 v3, v3
	s_sub_i32 s4, s3, s19
	s_cmp_ge_u32 s3, s19
	s_cselect_b32 s3, s4, s3
	v_lshlrev_b32_e32 v20, 2, v0
	s_sub_i32 s11, s36, s3
	v_mul_f32_e32 v3, 0x4f7ffffe, v3
	v_cmp_gt_u32_e64 s[4:5], s11, v20
	v_cvt_u32_f32_e32 v3, v3
	v_writelane_b32 v51, s4, 41
	v_add_u32_e32 v28, s11, v0
	v_writelane_b32 v51, s5, 42
	v_cmp_gt_u32_e64 s[4:5], s36, v28
	v_writelane_b32 v51, s4, 43
	v_writelane_b32 v51, s5, 44
	s_sub_i32 s4, 0, s42
	v_readfirstlane_b32 s5, v3
	s_mul_i32 s4, s4, s5
	s_mul_hi_u32 s4, s5, s4
	s_add_i32 s4, s5, s4
	v_writelane_b32 v51, s4, 45
	s_mul_hi_u32 s4, s2, s4
	s_mul_i32 s4, s4, s42
	s_sub_i32 s4, s2, s4
	s_sub_i32 s5, s4, s42
	s_cmp_ge_u32 s4, s42
	v_mul_lo_u32 v3, s33, v20
	s_cselect_b32 s4, s5, s4
	s_sub_i32 s5, s4, s42
	s_cmp_ge_u32 s4, s42
	s_cselect_b32 s4, s5, s4
	v_add_u32_e32 v30, s33, v3
	v_or_b32_e32 v3, 2, v20
	s_sub_i32 s4, s2, s4
	v_mul_lo_u32 v31, s33, v3
	v_or_b32_e32 v3, 3, v20
	s_add_i32 s2, s42, s36
	v_and_b32_e32 v27, 0x7ffffffc, v4
	v_mul_lo_u32 v4, v28, s33
	v_mul_lo_u32 v33, s33, v3
	v_add_u32_e32 v3, s2, v0
	v_subrev_u32_e32 v3, s3, v3
	v_cmp_gt_u32_e64 s[6:7], s4, v0
	v_mul_lo_u32 v35, s33, v3
	v_and_b32_e32 v25, -4, v1
	v_writelane_b32 v51, s6, 46
	v_lshlrev_b32_e32 v2, 2, v21
	v_mov_b32_e32 v6, s41
	v_add_co_u32_e32 v15, vcc, s40, v4
	v_writelane_b32 v51, s7, 47
	s_mul_i32 s44, s33, s42
	v_cmp_ne_u32_e64 s[2:3], v1, v25
	v_cmp_eq_u32_e64 s[0:1], 0, v21
	v_mov_b32_e32 v23, 0
	v_and_b32_e32 v17, 0x100, v2
	v_add_u32_e32 v26, v0, v25
	s_mov_b32 s10, 6
	v_addc_co_u32_e32 v16, vcc, 0, v6, vcc
	v_lshlrev_b32_e32 v29, 2, v5
	s_lshl_b32 s5, s44, 2
	v_lshlrev_b32_e32 v34, 2, v22
	v_or_b32_e32 v36, 0xc00, v2
	s_mov_b64 s[62:63], 0
	v_mov_b32_e32 v40, s37
	s_movk_i32 s20, 0x80
	v_mov_b32_e32 v37, 8
	v_mov_b32_e32 v39, 0
	;; [unrolled: 1-line block ×4, first 2 shown]
	v_writelane_b32 v51, s2, 48
                                        ; implicit-def: $sgpr64_sgpr65
                                        ; implicit-def: $sgpr66_sgpr67
                                        ; implicit-def: $sgpr70_sgpr71
                                        ; implicit-def: $sgpr72_sgpr73
                                        ; implicit-def: $sgpr68_sgpr69
                                        ; implicit-def: $sgpr74_sgpr75
                                        ; implicit-def: $sgpr76_sgpr77
                                        ; implicit-def: $sgpr78_sgpr79
                                        ; implicit-def: $sgpr80_sgpr81
	v_writelane_b32 v51, s3, 49
                                        ; implicit-def: $sgpr82_sgpr83
	s_branch .LBB26_15
.LBB26_13:                              ;   in Loop: Header=BB26_15 Depth=1
	s_or_b64 exec, exec, s[12:13]
	s_andn2_b64 s[12:13], s[82:83], exec
	s_and_b64 s[8:9], s[8:9], exec
	s_or_b64 s[82:83], s[12:13], s[8:9]
	s_andn2_b64 s[80:81], s[80:81], exec
	s_andn2_b64 s[78:79], s[78:79], exec
	;; [unrolled: 1-line block ×4, first 2 shown]
	s_orn2_b64 s[6:7], s[6:7], exec
	v_mov_b32_e32 v40, v4
.LBB26_14:                              ;   in Loop: Header=BB26_15 Depth=1
	s_or_b64 exec, exec, s[2:3]
	s_and_b64 s[2:3], exec, s[6:7]
	s_or_b64 s[62:63], s[2:3], s[62:63]
	s_andn2_b64 s[2:3], s[68:69], exec
	s_and_b64 s[6:7], s[82:83], exec
	s_or_b64 s[68:69], s[2:3], s[6:7]
	s_andn2_b64 s[2:3], s[72:73], exec
	s_and_b64 s[6:7], s[80:81], exec
	;; [unrolled: 3-line block ×5, first 2 shown]
	s_or_b64 s[64:65], s[2:3], s[6:7]
	s_andn2_b64 exec, exec, s[62:63]
	s_cbranch_execz .LBB26_417
.LBB26_15:                              ; =>This Loop Header: Depth=1
                                        ;     Child Loop BB26_20 Depth 2
                                        ;     Child Loop BB26_41 Depth 2
	;; [unrolled: 1-line block ×26, first 2 shown]
	ds_read_b64 v[1:2], v23 offset:4096
	s_waitcnt lgkmcnt(0)
	v_readfirstlane_b32 s14, v1
	s_cmp_lg_u32 s14, 0
	s_cbranch_scc1 .LBB26_60
; %bb.16:                               ;   in Loop: Header=BB26_15 Depth=1
	v_readlane_b32 s2, v51, 15
	v_readlane_b32 s3, v51, 16
	s_and_b64 vcc, exec, s[2:3]
	s_cbranch_vccz .LBB26_28
; %bb.17:                               ;   in Loop: Header=BB26_15 Depth=1
	s_movk_i32 s6, 0xc01
	v_cmp_gt_u32_e32 vcc, s6, v2
	s_mov_b64 s[2:3], 0
	s_mov_b64 s[6:7], 0
	s_cbranch_vccz .LBB26_29
; %bb.18:                               ;   in Loop: Header=BB26_15 Depth=1
	v_readlane_b32 s6, v51, 24
	v_readlane_b32 s7, v51, 25
	s_nop 4
	global_load_ushort v1, v23, s[6:7]
	global_load_ubyte v4, v[13:14], off
	s_mov_b64 s[12:13], 0
	v_mov_b32_e32 v5, v0
	s_waitcnt vmcnt(1)
	v_add_u32_e32 v2, v0, v1
	v_mul_lo_u32 v2, s33, v2
	v_mul_lo_u32 v3, s33, v1
	s_branch .LBB26_20
.LBB26_19:                              ;   in Loop: Header=BB26_20 Depth=2
	s_or_b64 exec, exec, s[6:7]
	v_add_u32_e32 v2, v2, v3
	v_mov_b32_e32 v4, v6
	s_andn2_b64 exec, exec, s[12:13]
	s_cbranch_execz .LBB26_35
.LBB26_20:                              ;   Parent Loop BB26_15 Depth=1
                                        ; =>  This Inner Loop Header: Depth=2
	v_add_u32_e32 v5, v5, v1
	v_cmp_gt_u32_e64 s[6:7], s36, v5
	v_cmp_le_u32_e32 vcc, s36, v5
	s_waitcnt lgkmcnt(0)
	v_mov_b32_e32 v7, 0
	v_mov_b32_e32 v6, 0
	s_and_saveexec_b64 s[8:9], s[6:7]
	s_cbranch_execz .LBB26_22
; %bb.21:                               ;   in Loop: Header=BB26_20 Depth=2
	global_load_ubyte v6, v2, s[40:41]
.LBB26_22:                              ;   in Loop: Header=BB26_20 Depth=2
	s_or_b64 exec, exec, s[8:9]
	s_waitcnt vmcnt(0)
	v_add_u32_sdwa v8, sext(v4), s20 dst_sel:DWORD dst_unused:UNUSED_PAD src0_sel:BYTE_0 src1_sel:DWORD
	v_and_b32_e32 v8, v8, v38
	v_cmp_eq_u32_e64 s[26:27], v8, v32
	s_cmp_lg_u64 s[26:27], 0
	s_cselect_b64 s[6:7], -1, 0
	s_and_b64 s[6:7], s[0:1], s[6:7]
	s_and_saveexec_b64 s[8:9], s[6:7]
	s_cbranch_execz .LBB26_26
; %bb.23:                               ;   in Loop: Header=BB26_20 Depth=2
	s_mov_b64 s[16:17], exec
	v_mbcnt_lo_u32_b32 v7, s16, 0
	v_mbcnt_hi_u32_b32 v7, s17, v7
	s_bcnt1_i32_b64 s21, s[26:27]
	v_cmp_eq_u32_e64 s[6:7], 0, v7
                                        ; implicit-def: $vgpr8
	s_and_saveexec_b64 s[14:15], s[6:7]
; %bb.24:                               ;   in Loop: Header=BB26_20 Depth=2
	s_bcnt1_i32_b64 s6, s[16:17]
	s_mul_i32 s6, s21, s6
	v_mov_b32_e32 v8, s6
	ds_add_rtn_u32 v8, v23, v8 offset:4104
; %bb.25:                               ;   in Loop: Header=BB26_20 Depth=2
	s_or_b64 exec, exec, s[14:15]
	s_waitcnt lgkmcnt(0)
	v_readfirstlane_b32 s6, v8
	v_mov_b32_e32 v8, s6
	v_mad_u32_u24 v7, s21, v7, v8
.LBB26_26:                              ;   in Loop: Header=BB26_20 Depth=2
	s_or_b64 exec, exec, s[8:9]
	ds_bpermute_b32 v7, v17, v7
	s_and_b64 s[6:7], exec, vcc
	s_or_b64 s[12:13], s[6:7], s[12:13]
	s_and_saveexec_b64 s[6:7], s[26:27]
	s_cbranch_execz .LBB26_19
; %bb.27:                               ;   in Loop: Header=BB26_20 Depth=2
	v_and_b32_e32 v9, s26, v19
	v_and_b32_e32 v8, s27, v18
	v_bcnt_u32_b32 v9, v9, 0
	v_bcnt_u32_b32 v8, v8, v9
	s_waitcnt lgkmcnt(0)
	v_add_u32_e32 v7, v7, v8
	ds_write_b8 v7, v4
	s_branch .LBB26_19
.LBB26_28:                              ;   in Loop: Header=BB26_15 Depth=1
	s_mov_b64 s[2:3], -1
	s_mov_b64 s[6:7], 0
.LBB26_29:                              ;   in Loop: Header=BB26_15 Depth=1
	s_and_b64 vcc, exec, s[2:3]
	s_cbranch_vccz .LBB26_58
.LBB26_30:                              ;   in Loop: Header=BB26_15 Depth=1
	s_mov_b64 s[26:27], exec
	v_readlane_b32 s2, v51, 17
	v_readlane_b32 s3, v51, 18
	s_and_b64 s[2:3], s[26:27], s[2:3]
	s_mov_b64 exec, s[2:3]
	s_cbranch_execz .LBB26_55
; %bb.31:                               ;   in Loop: Header=BB26_15 Depth=1
	v_readlane_b32 s2, v51, 24
	v_readlane_b32 s3, v51, 25
	s_nop 4
	global_load_ushort v1, v23, s[2:3]
	global_load_ubyte v42, v[13:14], off
	v_mov_b32_e32 v2, v0
	s_waitcnt vmcnt(1)
	v_readfirstlane_b32 s8, v1
	v_add_u32_e32 v1, v0, v1
	v_cmp_gt_u32_e32 vcc, s36, v1
	s_and_saveexec_b64 s[30:31], vcc
	s_cbranch_execz .LBB26_54
; %bb.32:                               ;   in Loop: Header=BB26_15 Depth=1
	s_mov_b64 s[6:7], 0
	s_mul_i32 s9, s33, s8
                                        ; implicit-def: $vgpr2
                                        ; implicit-def: $vgpr5
                                        ; implicit-def: $vgpr4
                                        ; implicit-def: $vgpr3
	s_mov_b64 s[2:3], exec
	v_readlane_b32 s12, v51, 26
	v_readlane_b32 s13, v51, 27
	s_and_b64 s[12:13], s[2:3], s[12:13]
	s_xor_b64 s[34:35], s[12:13], s[2:3]
	s_mov_b64 exec, s[12:13]
	s_cbranch_execnz .LBB26_38
; %bb.33:                               ;   in Loop: Header=BB26_15 Depth=1
	s_andn2_saveexec_b64 s[2:3], s[34:35]
	s_cbranch_execnz .LBB26_49
.LBB26_34:                              ;   in Loop: Header=BB26_15 Depth=1
	s_or_b64 exec, exec, s[2:3]
	s_and_saveexec_b64 s[2:3], s[6:7]
	s_cbranch_execnz .LBB26_50
	s_branch .LBB26_53
.LBB26_35:                              ;   in Loop: Header=BB26_15 Depth=1
	s_or_b64 exec, exec, s[12:13]
	s_waitcnt lgkmcnt(0)
	s_barrier
	s_mov_b64 s[6:7], exec
	v_readlane_b32 s8, v51, 7
	v_readlane_b32 s9, v51, 8
	s_and_b64 s[8:9], s[6:7], s[8:9]
	s_mov_b64 exec, s[8:9]
	s_cbranch_execz .LBB26_37
; %bb.36:                               ;   in Loop: Header=BB26_15 Depth=1
	ds_read_b32 v1, v23 offset:4104
	s_waitcnt lgkmcnt(0)
	ds_write_b32 v23, v1 offset:4096
.LBB26_37:                              ;   in Loop: Header=BB26_15 Depth=1
	s_or_b64 exec, exec, s[6:7]
	s_waitcnt lgkmcnt(0)
	s_barrier
	s_mov_b64 s[6:7], -1
	s_and_b64 vcc, exec, s[2:3]
	s_cbranch_vccnz .LBB26_30
	s_branch .LBB26_58
.LBB26_38:                              ;   in Loop: Header=BB26_15 Depth=1
	v_cvt_f32_u32_e32 v2, s8
	s_sub_i32 s3, 0, s8
	v_add_u32_e32 v3, s8, v1
	v_max_u32_e32 v3, s36, v3
	v_rcp_iflag_f32_e32 v2, v2
	s_lshl_b32 s2, s8, 1
	v_sub_u32_e32 v3, v3, v0
	v_cmp_ne_u32_e32 vcc, s2, v3
	v_mul_f32_e32 v2, 0x4f7ffffe, v2
	v_cvt_u32_f32_e32 v2, v2
	v_cndmask_b32_e64 v6, 0, 1, vcc
	v_or_b32_e32 v6, s2, v6
	v_sub_u32_e32 v3, v3, v6
	v_mul_lo_u32 v4, s3, v2
	s_not_b32 s6, s9
	s_ashr_i32 s14, s6, 31
	s_abs_i32 s12, s9
	v_mul_hi_u32 v4, v2, v4
	v_mul_lo_u32 v5, s33, v1
	s_cmp_eq_u32 s8, 1
	s_mov_b64 s[2:3], -1
	v_add_u32_e32 v2, v2, v4
	v_mul_hi_u32 v4, v3, v2
	v_xor_b32_e32 v5, s14, v5
                                        ; implicit-def: $vgpr2
	v_mul_lo_u32 v6, v4, s8
	v_add_u32_e32 v7, 1, v4
	v_sub_u32_e32 v3, v3, v6
	v_subrev_u32_e32 v6, s8, v3
	v_cmp_le_u32_e64 s[6:7], s8, v3
	v_cndmask_b32_e64 v4, v4, v7, s[6:7]
	v_cndmask_b32_e64 v3, v3, v6, s[6:7]
	v_add_u32_e32 v6, 1, v4
	v_cmp_le_u32_e64 s[6:7], s8, v3
	v_cndmask_b32_e64 v3, v4, v6, s[6:7]
	v_addc_co_u32_e32 v3, vcc, 0, v3, vcc
	v_mul_hi_u32 v4, s12, v3
	v_mul_lo_u32 v3, s12, v3
	s_cselect_b64 s[12:13], -1, 0
	v_cmp_eq_u32_e32 vcc, 0, v4
	v_cmp_le_u32_e64 s[6:7], v3, v5
	s_and_b64 s[12:13], vcc, s[12:13]
	s_and_b64 s[12:13], s[12:13], s[6:7]
	v_mov_b32_e32 v4, v0
	s_and_saveexec_b64 s[6:7], s[12:13]
	s_cbranch_execz .LBB26_48
; %bb.39:                               ;   in Loop: Header=BB26_15 Depth=1
	v_add_u32_e32 v4, 3, v1
	v_add_u32_e32 v3, 2, v1
	;; [unrolled: 1-line block ×3, first 2 shown]
	v_mov_b32_e32 v8, v4
	s_waitcnt vmcnt(0)
	v_lshlrev_b32_e32 v43, 24, v42
	v_mov_b32_e32 v9, 0
	v_mov_b32_e32 v7, v3
	;; [unrolled: 1-line block ×4, first 2 shown]
                                        ; implicit-def: $vgpr42
	s_mov_b64 s[14:15], exec
	v_readlane_b32 s2, v51, 31
	v_readlane_b32 s3, v51, 32
	s_and_b64 s[2:3], s[14:15], s[2:3]
	s_mov_b64 exec, s[2:3]
	s_cbranch_execz .LBB26_43
; %bb.40:                               ;   in Loop: Header=BB26_15 Depth=1
	v_mov_b32_e32 v8, v4
	s_mov_b32 s2, 0
	s_mov_b64 s[46:47], 0
	v_mov_b32_e32 v41, v27
	v_mov_b32_e32 v7, v3
	;; [unrolled: 1-line block ×4, first 2 shown]
	v_readlane_b32 s3, v51, 28
	v_readlane_b32 s12, v51, 29
	;; [unrolled: 1-line block ×3, first 2 shown]
	s_mov_b32 s16, 0xc0c0004
	s_mov_b32 s17, 0xc0c0007
.LBB26_41:                              ;   Parent Loop BB26_15 Depth=1
                                        ; =>  This Inner Loop Header: Depth=2
	v_mul_lo_u32 v2, v5, s33
	v_mul_lo_u32 v9, v6, s3
	v_mul_lo_u32 v11, v7, s12
	v_mov_b32_e32 v12, s41
	v_add_co_u32_e32 v2, vcc, s40, v2
	v_addc_co_u32_e32 v3, vcc, 0, v12, vcc
	v_mul_lo_u32 v4, v8, s13
	v_add_co_u32_e32 v9, vcc, s40, v9
	v_addc_co_u32_e32 v10, vcc, 0, v12, vcc
	v_add_co_u32_e32 v44, vcc, s40, v11
	v_addc_co_u32_e32 v45, vcc, 0, v12, vcc
	v_add_co_u32_e32 v46, vcc, s40, v4
	global_load_ubyte v4, v[44:45], off
	s_nop 0
	global_load_ubyte v9, v[9:10], off
	v_add_u32_e32 v10, 4, v7
	global_load_ubyte v2, v[2:3], off
	v_add_u32_e32 v3, 4, v6
	v_mul_lo_u32 v42, v10, s12
	v_mul_lo_u32 v10, v3, s3
	v_addc_co_u32_e32 v47, vcc, 0, v12, vcc
	v_add_u32_e32 v11, 4, v8
	v_mul_lo_u32 v44, v11, s13
	v_add_u32_e32 v41, -4, v41
	s_waitcnt vmcnt(1)
	v_perm_b32 v4, v9, v4, s16
	s_waitcnt vmcnt(0)
	v_perm_b32 v2, v43, v2, s17
	v_lshl_or_b32 v9, v4, 16, v2
	v_add_u32_e32 v2, 4, v5
	v_mul_lo_u32 v2, v2, s33
	v_add_u32_e32 v4, s2, v0
	s_add_i32 s2, s2, 16
	v_add_co_u32_e32 v2, vcc, s40, v2
	v_addc_co_u32_e32 v3, vcc, 0, v12, vcc
	v_add_co_u32_e32 v10, vcc, s40, v10
	v_addc_co_u32_e32 v11, vcc, 0, v12, vcc
	v_add_co_u32_e32 v42, vcc, s40, v42
	v_addc_co_u32_e32 v43, vcc, 0, v12, vcc
	global_load_ubyte v46, v[46:47], off
	s_nop 0
	global_load_ubyte v2, v[2:3], off
	s_nop 0
	;; [unrolled: 2-line block ×3, first 2 shown]
	global_load_ubyte v10, v[10:11], off
	v_add_co_u32_e32 v44, vcc, s40, v44
	v_addc_co_u32_e32 v45, vcc, 0, v12, vcc
	v_add_u32_e32 v11, 8, v7
	v_add_u32_e32 v42, 8, v8
	v_mul_lo_u32 v50, v42, s13
	v_mul_lo_u32 v11, v11, s12
	s_waitcnt vmcnt(2)
	v_perm_b32 v2, v46, v2, s16
	s_waitcnt vmcnt(0)
	v_perm_b32 v3, v10, v3, s16
	v_lshl_or_b32 v10, v3, 16, v2
	v_add_u32_e32 v2, 8, v5
	v_mul_lo_u32 v2, v2, s33
	v_add_u32_e32 v3, 8, v6
	v_mul_lo_u32 v3, v3, s3
	v_add_co_u32_e32 v42, vcc, s40, v2
	v_addc_co_u32_e32 v43, vcc, 0, v12, vcc
	v_add_co_u32_e32 v46, vcc, s40, v3
	v_addc_co_u32_e32 v47, vcc, 0, v12, vcc
	v_add_co_u32_e32 v48, vcc, s40, v11
	global_load_ubyte v11, v[42:43], off
	s_nop 0
	global_load_ubyte v42, v[44:45], off
	v_addc_co_u32_e32 v49, vcc, 0, v12, vcc
	v_add_u32_e32 v45, 12, v8
	v_add_co_u32_e32 v2, vcc, s40, v50
	v_addc_co_u32_e32 v3, vcc, 0, v12, vcc
	v_add_u32_e32 v44, 12, v7
	v_add_u32_e32 v8, 16, v8
	;; [unrolled: 1-line block ×3, first 2 shown]
	s_waitcnt vmcnt(0)
	v_perm_b32 v11, v42, v11, s16
	global_load_ubyte v42, v[48:49], off
	global_load_ubyte v43, v[46:47], off
	v_mul_lo_u32 v49, v45, s13
	v_mul_lo_u32 v47, v44, s12
	s_waitcnt vmcnt(0)
	v_perm_b32 v42, v43, v42, s16
	v_lshl_or_b32 v11, v42, 16, v11
	v_add_u32_e32 v42, 12, v5
	v_mul_lo_u32 v42, v42, s33
	v_add_u32_e32 v43, 12, v6
	v_mul_lo_u32 v45, v43, s3
	v_add_u32_e32 v6, 16, v6
	v_add_co_u32_e32 v43, vcc, s40, v42
	v_addc_co_u32_e32 v44, vcc, 0, v12, vcc
	v_add_co_u32_e32 v45, vcc, s40, v45
	v_addc_co_u32_e32 v46, vcc, 0, v12, vcc
	;; [unrolled: 2-line block ×4, first 2 shown]
	global_load_ubyte v42, v[49:50], off
	global_load_ubyte v12, v[45:46], off
	s_nop 0
	global_load_ubyte v44, v[43:44], off
	v_cmp_eq_u32_e32 vcc, 0, v41
	global_load_ubyte v45, v[47:48], off
	v_add_u32_e32 v5, 16, v5
	global_load_ubyte v2, v[2:3], off
	s_or_b64 s[46:47], vcc, s[46:47]
	s_waitcnt vmcnt(2)
	v_perm_b32 v43, v44, v12, s16
	s_waitcnt vmcnt(1)
	v_perm_b32 v3, v12, v45, s16
	v_perm_b32 v46, v45, v42, s16
	s_waitcnt vmcnt(0)
	v_perm_b32 v2, v2, v44, s16
	v_lshl_or_b32 v12, v3, 16, v2
	v_lshl_or_b32 v43, v46, 16, v43
	ds_write_b128 v4, v[9:12]
	v_mov_b32_e32 v9, s2
	s_andn2_b64 exec, exec, s[46:47]
	s_cbranch_execnz .LBB26_41
; %bb.42:                               ;   in Loop: Header=BB26_15 Depth=1
	s_or_b64 exec, exec, s[46:47]
.LBB26_43:                              ;   in Loop: Header=BB26_15 Depth=1
	s_or_b64 exec, exec, s[14:15]
	s_mov_b64 s[2:3], exec
	v_readlane_b32 s12, v51, 33
	v_readlane_b32 s13, v51, 34
	s_and_b64 s[12:13], s[2:3], s[12:13]
	s_mov_b64 exec, s[12:13]
	s_cbranch_execz .LBB26_47
; %bb.44:                               ;   in Loop: Header=BB26_15 Depth=1
	v_add_u32_e32 v2, v0, v9
	s_mov_b64 s[12:13], 0
	v_mov_b32_e32 v3, v29
	v_readlane_b32 s14, v51, 28
	v_readlane_b32 s15, v51, 29
	;; [unrolled: 1-line block ×3, first 2 shown]
	s_mov_b32 s17, 0xc0c0004
	s_mov_b32 s21, 0xc0c0007
.LBB26_45:                              ;   Parent Loop BB26_15 Depth=1
                                        ; =>  This Inner Loop Header: Depth=2
	v_mul_lo_u32 v9, v5, s33
	v_mul_lo_u32 v11, v6, s14
	;; [unrolled: 1-line block ×3, first 2 shown]
	v_mov_b32_e32 v45, s41
	v_add_co_u32_e32 v9, vcc, s40, v9
	v_addc_co_u32_e32 v10, vcc, 0, v45, vcc
	v_mul_lo_u32 v4, v8, s16
	v_add_co_u32_e32 v11, vcc, s40, v11
	v_addc_co_u32_e32 v12, vcc, 0, v45, vcc
	v_add_co_u32_e32 v41, vcc, s40, v41
	v_addc_co_u32_e32 v42, vcc, 0, v45, vcc
	;; [unrolled: 2-line block ×3, first 2 shown]
	global_load_ubyte v4, v[11:12], off
	s_nop 0
	global_load_ubyte v11, v[41:42], off
	s_nop 0
	;; [unrolled: 2-line block ×3, first 2 shown]
	global_load_ubyte v9, v[9:10], off
	v_add_u32_e32 v3, -4, v3
	v_cmp_eq_u32_e32 vcc, 0, v3
	v_add_u32_e32 v8, 4, v8
	v_add_u32_e32 v7, 4, v7
	;; [unrolled: 1-line block ×4, first 2 shown]
	s_or_b64 s[12:13], vcc, s[12:13]
	s_waitcnt vmcnt(1)
	v_perm_b32 v12, v11, v42, s17
	s_waitcnt vmcnt(0)
	v_perm_b32 v10, v9, v4, s17
	v_perm_b32 v4, v4, v11, s17
	;; [unrolled: 1-line block ×3, first 2 shown]
	v_lshl_or_b32 v4, v4, 16, v9
	v_lshl_or_b32 v43, v12, 16, v10
	ds_write_b32 v2, v4
	v_add_u32_e32 v2, 4, v2
	s_andn2_b64 exec, exec, s[12:13]
	s_cbranch_execnz .LBB26_45
; %bb.46:                               ;   in Loop: Header=BB26_15 Depth=1
	s_or_b64 exec, exec, s[12:13]
.LBB26_47:                              ;   in Loop: Header=BB26_15 Depth=1
	s_or_b64 exec, exec, s[2:3]
	v_readlane_b32 s2, v51, 48
	v_add_u32_e32 v1, v1, v25
	v_readlane_b32 s3, v51, 49
	v_add_u32_e32 v2, -1, v1
	s_orn2_b64 s[2:3], s[2:3], exec
	v_mov_b32_e32 v4, v26
.LBB26_48:                              ;   in Loop: Header=BB26_15 Depth=1
	s_or_b64 exec, exec, s[6:7]
	v_mov_b32_e32 v3, s9
	s_and_b64 s[6:7], s[2:3], exec
	s_waitcnt vmcnt(0)
	v_mov_b32_e32 v5, v42
	s_andn2_saveexec_b64 s[2:3], s[34:35]
	s_cbranch_execz .LBB26_34
.LBB26_49:                              ;   in Loop: Header=BB26_15 Depth=1
	v_mov_b32_e32 v3, s9
	s_or_b64 s[6:7], s[6:7], exec
	s_waitcnt vmcnt(0)
	v_mov_b32_e32 v5, v42
	v_mov_b32_e32 v4, v0
	s_or_b64 exec, exec, s[2:3]
	s_and_saveexec_b64 s[2:3], s[6:7]
	s_cbranch_execz .LBB26_53
.LBB26_50:                              ;   in Loop: Header=BB26_15 Depth=1
	v_mul_lo_u32 v2, s33, v1
	s_sub_i32 s9, 0, s8
	s_mov_b64 s[6:7], 0
.LBB26_51:                              ;   Parent Loop BB26_15 Depth=1
                                        ; =>  This Inner Loop Header: Depth=2
	global_load_ubyte v42, v2, s[40:41]
	v_mov_b32_e32 v6, v1
	v_add_u32_e32 v1, s8, v6
	v_cmp_le_u32_e32 vcc, s36, v1
	ds_write_b8 v4, v5
	v_add_u32_e32 v2, v2, v3
	s_or_b64 s[6:7], vcc, s[6:7]
	v_mov_b32_e32 v4, v6
	s_waitcnt vmcnt(0)
	v_mov_b32_e32 v5, v42
	s_andn2_b64 exec, exec, s[6:7]
	s_cbranch_execnz .LBB26_51
; %bb.52:                               ;   in Loop: Header=BB26_15 Depth=1
	s_or_b64 exec, exec, s[6:7]
	v_add_u32_e32 v2, s9, v1
.LBB26_53:                              ;   in Loop: Header=BB26_15 Depth=1
	s_or_b64 exec, exec, s[2:3]
.LBB26_54:                              ;   in Loop: Header=BB26_15 Depth=1
	s_or_b64 exec, exec, s[30:31]
	s_waitcnt vmcnt(0)
	ds_write_b8 v2, v42
.LBB26_55:                              ;   in Loop: Header=BB26_15 Depth=1
	s_or_b64 exec, exec, s[26:27]
	s_waitcnt lgkmcnt(0)
	s_barrier
	s_mov_b64 s[2:3], exec
	v_readlane_b32 s6, v51, 7
	v_readlane_b32 s7, v51, 8
	s_and_b64 s[6:7], s[2:3], s[6:7]
	s_mov_b64 exec, s[6:7]
; %bb.56:                               ;   in Loop: Header=BB26_15 Depth=1
	v_mov_b32_e32 v1, s36
	ds_write_b32 v23, v1 offset:4096
; %bb.57:                               ;   in Loop: Header=BB26_15 Depth=1
	s_or_b64 exec, exec, s[2:3]
	s_mov_b64 s[6:7], -1
	s_waitcnt lgkmcnt(0)
	s_barrier
.LBB26_58:                              ;   in Loop: Header=BB26_15 Depth=1
	s_mov_b32 s14, 0
	s_and_b64 vcc, exec, s[6:7]
	s_cbranch_vccz .LBB26_60
; %bb.59:                               ;   in Loop: Header=BB26_15 Depth=1
	ds_read_b32 v1, v23 offset:4096
	s_waitcnt lgkmcnt(0)
	v_readfirstlane_b32 s14, v1
.LBB26_60:                              ;   in Loop: Header=BB26_15 Depth=1
	s_cmp_lt_i32 s14, 1
	s_mov_b64 s[2:3], -1
                                        ; implicit-def: $vgpr4
	s_cbranch_scc1 .LBB26_70
; %bb.61:                               ;   in Loop: Header=BB26_15 Depth=1
	s_and_b64 vcc, exec, s[2:3]
	s_cbranch_vccnz .LBB26_81
.LBB26_62:                              ;   in Loop: Header=BB26_15 Depth=1
	s_lshl_b32 s6, s18, 6
	s_and_saveexec_b64 s[2:3], s[0:1]
.LBB26_63:                              ;   in Loop: Header=BB26_15 Depth=1
	v_lshl_add_u32 v5, s6, 2, v24
	ds_write_b128 v5, v[1:4]
.LBB26_64:                              ;   in Loop: Header=BB26_15 Depth=1
	s_or_b64 exec, exec, s[2:3]
	s_waitcnt lgkmcnt(0)
	s_barrier
	s_mov_b64 s[2:3], exec
	v_readlane_b32 s8, v51, 13
	v_readlane_b32 s9, v51, 14
	s_and_b64 s[8:9], s[2:3], s[8:9]
	s_mov_b64 exec, s[8:9]
	s_cbranch_execz .LBB26_95
; %bb.65:                               ;   in Loop: Header=BB26_15 Depth=1
	v_readlane_b32 s8, v51, 19
	v_readlane_b32 s9, v51, 20
	s_andn2_b64 vcc, exec, s[8:9]
	v_mov_b32_e32 v1, 0
	s_cbranch_vccnz .LBB26_94
; %bb.66:                               ;   in Loop: Header=BB26_15 Depth=1
	v_readlane_b32 s8, v51, 35
	v_readlane_b32 s9, v51, 36
	s_andn2_b64 vcc, exec, s[8:9]
	s_cbranch_vccnz .LBB26_90
; %bb.67:                               ;   in Loop: Header=BB26_15 Depth=1
	v_lshl_add_u32 v2, s18, 8, v36
	s_mov_b32 s7, 0
	v_mov_b32_e32 v1, 0
.LBB26_68:                              ;   Parent Loop BB26_15 Depth=1
                                        ; =>  This Inner Loop Header: Depth=2
	ds_read2_b32 v[3:4], v2 offset1:4
	ds_read2_b32 v[5:6], v2 offset0:8 offset1:12
	ds_read2_b32 v[7:8], v2 offset0:16 offset1:20
	;; [unrolled: 1-line block ×3, first 2 shown]
	s_add_i32 s7, s7, 8
	s_waitcnt lgkmcnt(3)
	v_add3_u32 v1, v3, v1, v4
	s_waitcnt lgkmcnt(2)
	v_add3_u32 v1, v5, v1, v6
	;; [unrolled: 2-line block ×3, first 2 shown]
	v_add_u32_e32 v2, 0x80, v2
	s_cmp_eq_u32 s61, s7
	s_waitcnt lgkmcnt(0)
	v_add3_u32 v1, v9, v1, v10
	s_cbranch_scc0 .LBB26_68
; %bb.69:                               ;   in Loop: Header=BB26_15 Depth=1
	s_mov_b32 s7, s61
	s_branch .LBB26_91
.LBB26_70:                              ;   in Loop: Header=BB26_15 Depth=1
	v_mov_b32_e32 v1, 0
	v_mov_b32_e32 v2, 0
	;; [unrolled: 1-line block ×4, first 2 shown]
	s_mov_b64 s[84:85], exec
	v_readlane_b32 s2, v51, 41
	v_readlane_b32 s3, v51, 42
	s_and_b64 s[2:3], s[84:85], s[2:3]
	s_mov_b64 exec, s[2:3]
	s_cbranch_execz .LBB26_74
; %bb.71:                               ;   in Loop: Header=BB26_15 Depth=1
	s_mov_b32 s2, 0
	s_mov_b64 s[86:87], 0
	s_mov_b32 s3, 0
	s_mov_b32 s8, 0
	;; [unrolled: 1-line block ×4, first 2 shown]
	v_mov_b32_e32 v5, v20
.LBB26_72:                              ;   Parent Loop BB26_15 Depth=1
                                        ; =>  This Inner Loop Header: Depth=2
	v_add_u32_e32 v1, s2, v34
	global_load_sbyte v1, v1, s[40:41]
	v_add_u32_e32 v2, s2, v30
	global_load_sbyte v2, v2, s[40:41]
	;; [unrolled: 2-line block ×4, first 2 shown]
	v_add_u32_e32 v5, s19, v5
	s_add_i32 s2, s2, s5
	s_waitcnt vmcnt(3)
	v_add_u32_e32 v1, 0x80, v1
	v_and_b32_e32 v6, v1, v38
	s_waitcnt vmcnt(2)
	v_add_u32_e32 v2, 0x80, v2
	v_bfe_u32 v1, v1, s10, 2
	s_waitcnt vmcnt(1)
	v_add_u32_e32 v3, 0x80, v3
	v_cmp_eq_u32_e32 vcc, v6, v32
	v_and_b32_e32 v6, v2, v38
	v_bfe_u32 v2, v2, s10, 2
	v_cmp_eq_u32_e64 s[34:35], 0, v1
	s_waitcnt vmcnt(0)
	v_add_u32_e32 v4, 0x80, v4
	v_cmp_eq_u32_e64 s[6:7], v6, v32
	v_and_b32_e32 v6, v3, v38
	v_bfe_u32 v3, v3, s10, 2
	s_and_b64 s[16:17], vcc, s[34:35]
	v_cmp_eq_u32_e64 s[34:35], 0, v2
	v_cmp_eq_u32_e64 s[26:27], v6, v32
	v_and_b32_e32 v6, v4, v38
	v_bfe_u32 v4, v4, s10, 2
	s_and_b64 s[22:23], s[6:7], s[34:35]
	v_cmp_eq_u32_e64 s[34:35], 0, v3
	v_cmp_eq_u32_e64 s[30:31], v6, v32
	s_and_b64 s[24:25], s[26:27], s[34:35]
	v_cmp_eq_u32_e64 s[34:35], 0, v4
	v_cndmask_b32_e64 v6, 0, 1, s[16:17]
	s_and_b64 s[28:29], s[30:31], s[34:35]
	v_cmp_ne_u32_e64 s[34:35], 0, v6
	v_cndmask_b32_e64 v6, 0, 1, s[22:23]
	s_bcnt1_i32_b64 s13, s[34:35]
	v_cmp_ne_u32_e64 s[34:35], 0, v6
	v_cndmask_b32_e64 v6, 0, 1, s[24:25]
	s_bcnt1_i32_b64 s15, s[34:35]
	v_cmp_ne_u32_e64 s[34:35], 0, v6
	v_cndmask_b32_e64 v6, 0, 1, s[28:29]
	s_add_i32 s12, s12, s13
	s_bcnt1_i32_b64 s16, s[34:35]
	v_cmp_ne_u32_e64 s[34:35], 0, v6
	s_add_i32 s12, s12, s15
	s_bcnt1_i32_b64 s17, s[34:35]
	s_add_i32 s12, s12, s16
	v_cmp_eq_u32_e64 s[34:35], 1, v1
	s_add_i32 s12, s12, s17
	s_and_b64 s[16:17], vcc, s[34:35]
	v_cmp_eq_u32_e64 s[34:35], 1, v2
	s_and_b64 s[22:23], s[6:7], s[34:35]
	v_cmp_eq_u32_e64 s[34:35], 1, v3
	s_and_b64 s[24:25], s[26:27], s[34:35]
	v_cmp_eq_u32_e64 s[34:35], 1, v4
	v_cndmask_b32_e64 v6, 0, 1, s[16:17]
	s_and_b64 s[28:29], s[30:31], s[34:35]
	v_cmp_ne_u32_e64 s[34:35], 0, v6
	v_cndmask_b32_e64 v6, 0, 1, s[22:23]
	s_bcnt1_i32_b64 s13, s[34:35]
	v_cmp_ne_u32_e64 s[34:35], 0, v6
	v_cndmask_b32_e64 v6, 0, 1, s[24:25]
	s_bcnt1_i32_b64 s15, s[34:35]
	v_cmp_ne_u32_e64 s[34:35], 0, v6
	v_cndmask_b32_e64 v6, 0, 1, s[28:29]
	s_add_i32 s9, s9, s13
	s_bcnt1_i32_b64 s16, s[34:35]
	v_cmp_ne_u32_e64 s[34:35], 0, v6
	s_add_i32 s9, s9, s15
	s_bcnt1_i32_b64 s17, s[34:35]
	s_add_i32 s9, s9, s16
	v_cmp_eq_u32_e64 s[34:35], 2, v1
	s_add_i32 s9, s9, s17
	s_and_b64 s[16:17], vcc, s[34:35]
	v_cmp_eq_u32_e64 s[34:35], 2, v2
	s_and_b64 s[22:23], s[6:7], s[34:35]
	v_cmp_eq_u32_e64 s[34:35], 2, v3
	s_and_b64 s[24:25], s[26:27], s[34:35]
	v_cmp_eq_u32_e64 s[34:35], 2, v4
	v_cndmask_b32_e64 v6, 0, 1, s[16:17]
	s_and_b64 s[28:29], s[30:31], s[34:35]
	v_cmp_ne_u32_e64 s[34:35], 0, v6
	v_cndmask_b32_e64 v6, 0, 1, s[22:23]
	s_bcnt1_i32_b64 s13, s[34:35]
	v_cmp_ne_u32_e64 s[34:35], 0, v6
	v_cndmask_b32_e64 v6, 0, 1, s[24:25]
	s_bcnt1_i32_b64 s15, s[34:35]
	v_cmp_ne_u32_e64 s[34:35], 0, v6
	v_cndmask_b32_e64 v6, 0, 1, s[28:29]
	s_add_i32 s8, s8, s13
	s_bcnt1_i32_b64 s16, s[34:35]
	v_cmp_ne_u32_e64 s[34:35], 0, v6
	s_add_i32 s8, s8, s15
	s_bcnt1_i32_b64 s17, s[34:35]
	s_add_i32 s8, s8, s16
	v_cmp_eq_u32_e64 s[34:35], 3, v1
	s_add_i32 s8, s8, s17
	s_and_b64 s[16:17], vcc, s[34:35]
	v_cmp_eq_u32_e32 vcc, 3, v2
	s_and_b64 s[6:7], s[6:7], vcc
	v_cmp_eq_u32_e32 vcc, 3, v3
	s_and_b64 s[22:23], s[26:27], vcc
	v_cmp_eq_u32_e32 vcc, 3, v4
	v_cndmask_b32_e64 v1, 0, 1, s[16:17]
	s_and_b64 s[24:25], s[30:31], vcc
	v_cmp_ne_u32_e32 vcc, 0, v1
	v_cndmask_b32_e64 v1, 0, 1, s[6:7]
	s_bcnt1_i32_b64 s13, vcc
	v_cmp_ne_u32_e32 vcc, 0, v1
	v_cndmask_b32_e64 v1, 0, 1, s[22:23]
	s_bcnt1_i32_b64 s6, vcc
	v_cmp_ne_u32_e32 vcc, 0, v1
	v_cndmask_b32_e64 v1, 0, 1, s[24:25]
	s_add_i32 s3, s3, s13
	s_bcnt1_i32_b64 s7, vcc
	v_cmp_ne_u32_e32 vcc, 0, v1
	s_add_i32 s3, s3, s6
	s_bcnt1_i32_b64 s15, vcc
	s_add_i32 s3, s3, s7
	s_add_i32 s3, s3, s15
	v_cmp_le_u32_e32 vcc, s11, v5
	s_or_b64 s[86:87], vcc, s[86:87]
	v_mov_b32_e32 v1, s12
	v_mov_b32_e32 v2, s9
	;; [unrolled: 1-line block ×4, first 2 shown]
	s_andn2_b64 exec, exec, s[86:87]
	s_cbranch_execnz .LBB26_72
; %bb.73:                               ;   in Loop: Header=BB26_15 Depth=1
	s_or_b64 exec, exec, s[86:87]
.LBB26_74:                              ;   in Loop: Header=BB26_15 Depth=1
	s_or_b64 exec, exec, s[84:85]
	s_mov_b64 s[2:3], exec
	v_readlane_b32 s6, v51, 43
	v_readlane_b32 s7, v51, 44
	s_and_b64 s[6:7], s[2:3], s[6:7]
	s_mov_b64 exec, s[6:7]
	s_cbranch_execz .LBB26_80
; %bb.75:                               ;   in Loop: Header=BB26_15 Depth=1
	global_load_ubyte v8, v[15:16], off
	s_mov_b64 s[12:13], 0
	v_mov_b32_e32 v5, v35
	v_mov_b32_e32 v6, v28
	s_branch .LBB26_77
.LBB26_76:                              ;   in Loop: Header=BB26_77 Depth=2
	s_or_b64 exec, exec, s[8:9]
	s_waitcnt vmcnt(0)
	v_add_u32_sdwa v8, sext(v8), s20 dst_sel:DWORD dst_unused:UNUSED_PAD src0_sel:BYTE_0 src1_sel:DWORD
	s_and_b64 s[6:7], exec, vcc
	v_and_b32_e32 v9, v8, v38
	v_bfe_u32 v8, v8, s10, 2
	s_or_b64 s[12:13], s[6:7], s[12:13]
	v_cmp_eq_u32_e32 vcc, v9, v32
	v_cmp_eq_u32_e64 s[6:7], 0, v8
	s_and_b64 s[6:7], vcc, s[6:7]
	v_cndmask_b32_e64 v9, 0, 1, s[6:7]
	v_cmp_ne_u32_e64 s[6:7], 0, v9
	s_bcnt1_i32_b64 s6, s[6:7]
	v_add_u32_e32 v1, s6, v1
	v_cmp_eq_u32_e64 s[6:7], 1, v8
	s_and_b64 s[6:7], vcc, s[6:7]
	v_cndmask_b32_e64 v9, 0, 1, s[6:7]
	v_cmp_ne_u32_e64 s[6:7], 0, v9
	s_bcnt1_i32_b64 s6, s[6:7]
	v_add_u32_e32 v2, s6, v2
	;; [unrolled: 6-line block ×3, first 2 shown]
	v_cmp_eq_u32_e64 s[6:7], 3, v8
	s_and_b64 s[6:7], vcc, s[6:7]
	v_cndmask_b32_e64 v8, 0, 1, s[6:7]
	v_cmp_ne_u32_e32 vcc, 0, v8
	s_bcnt1_i32_b64 s6, vcc
	v_add_u32_e32 v4, s6, v4
	v_add_u32_e32 v5, s44, v5
	v_mov_b32_e32 v8, v7
	s_andn2_b64 exec, exec, s[12:13]
	s_cbranch_execz .LBB26_79
.LBB26_77:                              ;   Parent Loop BB26_15 Depth=1
                                        ; =>  This Inner Loop Header: Depth=2
	v_add_u32_e32 v6, s42, v6
	v_cmp_gt_u32_e64 s[6:7], s36, v6
	v_cmp_le_u32_e32 vcc, s36, v6
	v_mov_b32_e32 v7, 0
	s_and_saveexec_b64 s[8:9], s[6:7]
	s_cbranch_execz .LBB26_76
; %bb.78:                               ;   in Loop: Header=BB26_77 Depth=2
	global_load_ubyte v7, v5, s[40:41]
	s_branch .LBB26_76
.LBB26_79:                              ;   in Loop: Header=BB26_15 Depth=1
	s_or_b64 exec, exec, s[12:13]
.LBB26_80:                              ;   in Loop: Header=BB26_15 Depth=1
	s_or_b64 exec, exec, s[2:3]
	s_branch .LBB26_62
.LBB26_81:                              ;   in Loop: Header=BB26_15 Depth=1
	v_readlane_b32 s2, v51, 40
	s_mul_hi_u32 s2, s14, s2
	s_mul_i32 s2, s2, s19
	s_sub_i32 s2, s14, s2
	s_sub_i32 s3, s2, s19
	s_cmp_ge_u32 s2, s19
	s_cselect_b32 s2, s3, s2
	s_sub_i32 s3, s2, s19
	s_cmp_ge_u32 s2, s19
	s_cselect_b32 s2, s3, s2
	s_sub_i32 s2, s14, s2
	v_cmp_gt_u32_e32 vcc, s2, v20
	v_mov_b32_e32 v1, 0
	v_mov_b32_e32 v2, 0
	;; [unrolled: 1-line block ×4, first 2 shown]
	s_and_saveexec_b64 s[84:85], vcc
	s_cbranch_execz .LBB26_85
; %bb.82:                               ;   in Loop: Header=BB26_15 Depth=1
	s_mov_b32 s3, 0
	s_mov_b64 s[86:87], 0
	s_mov_b32 s8, 0
	s_mov_b32 s9, 0
	;; [unrolled: 1-line block ×3, first 2 shown]
	v_mov_b32_e32 v5, v20
.LBB26_83:                              ;   Parent Loop BB26_15 Depth=1
                                        ; =>  This Inner Loop Header: Depth=2
	ds_read_b32 v1, v5
	v_add_u32_e32 v5, s19, v5
	s_waitcnt lgkmcnt(0)
	v_add_u32_sdwa v2, sext(v1), s20 dst_sel:DWORD dst_unused:UNUSED_PAD src0_sel:BYTE_0 src1_sel:DWORD
	v_add_u32_sdwa v3, sext(v1), s20 dst_sel:DWORD dst_unused:UNUSED_PAD src0_sel:BYTE_1 src1_sel:DWORD
	v_and_b32_e32 v6, v2, v38
	v_bfe_u32 v2, v2, s10, 2
	v_add_u32_sdwa v4, sext(v1), s20 dst_sel:DWORD dst_unused:UNUSED_PAD src0_sel:BYTE_2 src1_sel:DWORD
	v_cmp_eq_u32_e32 vcc, v6, v32
	v_and_b32_e32 v6, v3, v38
	v_bfe_u32 v3, v3, s10, 2
	v_cmp_eq_u32_e64 s[34:35], 0, v2
	v_add_u32_sdwa v1, sext(v1), s20 dst_sel:DWORD dst_unused:UNUSED_PAD src0_sel:BYTE_3 src1_sel:DWORD
	v_cmp_eq_u32_e64 s[6:7], v6, v32
	v_and_b32_e32 v6, v4, v38
	v_bfe_u32 v4, v4, s10, 2
	s_and_b64 s[16:17], vcc, s[34:35]
	v_cmp_eq_u32_e64 s[34:35], 0, v3
	v_cmp_eq_u32_e64 s[26:27], v6, v32
	v_and_b32_e32 v6, v1, v38
	v_bfe_u32 v1, v1, s10, 2
	s_and_b64 s[22:23], s[6:7], s[34:35]
	v_cmp_eq_u32_e64 s[34:35], 0, v4
	v_cmp_eq_u32_e64 s[30:31], v6, v32
	s_and_b64 s[24:25], s[26:27], s[34:35]
	v_cmp_eq_u32_e64 s[34:35], 0, v1
	v_cndmask_b32_e64 v6, 0, 1, s[16:17]
	s_and_b64 s[28:29], s[30:31], s[34:35]
	v_cmp_ne_u32_e64 s[34:35], 0, v6
	v_cndmask_b32_e64 v6, 0, 1, s[22:23]
	s_bcnt1_i32_b64 s13, s[34:35]
	v_cmp_ne_u32_e64 s[34:35], 0, v6
	v_cndmask_b32_e64 v6, 0, 1, s[24:25]
	s_bcnt1_i32_b64 s15, s[34:35]
	v_cmp_ne_u32_e64 s[34:35], 0, v6
	v_cndmask_b32_e64 v6, 0, 1, s[28:29]
	s_add_i32 s12, s12, s13
	s_bcnt1_i32_b64 s16, s[34:35]
	v_cmp_ne_u32_e64 s[34:35], 0, v6
	s_add_i32 s12, s12, s15
	s_bcnt1_i32_b64 s17, s[34:35]
	s_add_i32 s12, s12, s16
	v_cmp_eq_u32_e64 s[34:35], 1, v2
	s_add_i32 s12, s12, s17
	s_and_b64 s[16:17], vcc, s[34:35]
	v_cmp_eq_u32_e64 s[34:35], 1, v3
	s_and_b64 s[22:23], s[6:7], s[34:35]
	v_cmp_eq_u32_e64 s[34:35], 1, v4
	s_and_b64 s[24:25], s[26:27], s[34:35]
	v_cmp_eq_u32_e64 s[34:35], 1, v1
	v_cndmask_b32_e64 v6, 0, 1, s[16:17]
	s_and_b64 s[28:29], s[30:31], s[34:35]
	v_cmp_ne_u32_e64 s[34:35], 0, v6
	v_cndmask_b32_e64 v6, 0, 1, s[22:23]
	s_bcnt1_i32_b64 s13, s[34:35]
	v_cmp_ne_u32_e64 s[34:35], 0, v6
	v_cndmask_b32_e64 v6, 0, 1, s[24:25]
	s_bcnt1_i32_b64 s15, s[34:35]
	v_cmp_ne_u32_e64 s[34:35], 0, v6
	v_cndmask_b32_e64 v6, 0, 1, s[28:29]
	s_add_i32 s9, s9, s13
	s_bcnt1_i32_b64 s16, s[34:35]
	v_cmp_ne_u32_e64 s[34:35], 0, v6
	s_add_i32 s9, s9, s15
	s_bcnt1_i32_b64 s17, s[34:35]
	s_add_i32 s9, s9, s16
	v_cmp_eq_u32_e64 s[34:35], 2, v2
	s_add_i32 s9, s9, s17
	s_and_b64 s[16:17], vcc, s[34:35]
	v_cmp_eq_u32_e64 s[34:35], 2, v3
	s_and_b64 s[22:23], s[6:7], s[34:35]
	v_cmp_eq_u32_e64 s[34:35], 2, v4
	s_and_b64 s[24:25], s[26:27], s[34:35]
	v_cmp_eq_u32_e64 s[34:35], 2, v1
	v_cndmask_b32_e64 v6, 0, 1, s[16:17]
	s_and_b64 s[28:29], s[30:31], s[34:35]
	v_cmp_ne_u32_e64 s[34:35], 0, v6
	v_cndmask_b32_e64 v6, 0, 1, s[22:23]
	s_bcnt1_i32_b64 s13, s[34:35]
	v_cmp_ne_u32_e64 s[34:35], 0, v6
	v_cndmask_b32_e64 v6, 0, 1, s[24:25]
	s_bcnt1_i32_b64 s15, s[34:35]
	v_cmp_ne_u32_e64 s[34:35], 0, v6
	v_cndmask_b32_e64 v6, 0, 1, s[28:29]
	s_add_i32 s8, s8, s13
	s_bcnt1_i32_b64 s16, s[34:35]
	v_cmp_ne_u32_e64 s[34:35], 0, v6
	s_add_i32 s8, s8, s15
	s_bcnt1_i32_b64 s17, s[34:35]
	s_add_i32 s8, s8, s16
	v_cmp_eq_u32_e64 s[34:35], 3, v2
	s_add_i32 s8, s8, s17
	s_and_b64 s[16:17], vcc, s[34:35]
	v_cmp_eq_u32_e32 vcc, 3, v3
	s_and_b64 s[6:7], s[6:7], vcc
	v_cmp_eq_u32_e32 vcc, 3, v4
	s_and_b64 s[22:23], s[26:27], vcc
	v_cmp_eq_u32_e32 vcc, 3, v1
	v_cndmask_b32_e64 v1, 0, 1, s[16:17]
	s_and_b64 s[24:25], s[30:31], vcc
	v_cmp_ne_u32_e32 vcc, 0, v1
	v_cndmask_b32_e64 v1, 0, 1, s[6:7]
	s_bcnt1_i32_b64 s13, vcc
	v_cmp_ne_u32_e32 vcc, 0, v1
	v_cndmask_b32_e64 v1, 0, 1, s[22:23]
	s_bcnt1_i32_b64 s6, vcc
	v_cmp_ne_u32_e32 vcc, 0, v1
	v_cndmask_b32_e64 v1, 0, 1, s[24:25]
	s_add_i32 s3, s3, s13
	s_bcnt1_i32_b64 s7, vcc
	v_cmp_ne_u32_e32 vcc, 0, v1
	s_add_i32 s3, s3, s6
	s_bcnt1_i32_b64 s15, vcc
	s_add_i32 s3, s3, s7
	s_add_i32 s3, s3, s15
	v_cmp_le_u32_e32 vcc, s2, v5
	s_or_b64 s[86:87], vcc, s[86:87]
	v_mov_b32_e32 v1, s12
	v_mov_b32_e32 v2, s9
	v_mov_b32_e32 v3, s8
	v_mov_b32_e32 v4, s3
	s_andn2_b64 exec, exec, s[86:87]
	s_cbranch_execnz .LBB26_83
; %bb.84:                               ;   in Loop: Header=BB26_15 Depth=1
	s_or_b64 exec, exec, s[86:87]
.LBB26_85:                              ;   in Loop: Header=BB26_15 Depth=1
	s_or_b64 exec, exec, s[84:85]
	v_add_u32_e32 v5, s2, v0
	v_cmp_gt_u32_e32 vcc, s14, v5
	s_and_saveexec_b64 s[2:3], vcc
	s_cbranch_execz .LBB26_89
; %bb.86:                               ;   in Loop: Header=BB26_15 Depth=1
	s_mov_b64 s[12:13], 0
.LBB26_87:                              ;   Parent Loop BB26_15 Depth=1
                                        ; =>  This Inner Loop Header: Depth=2
	ds_read_i8 v6, v5
	v_add_u32_e32 v5, s42, v5
	s_waitcnt lgkmcnt(0)
	v_add_u32_e32 v6, 0x80, v6
	v_and_b32_e32 v7, v6, v38
	v_bfe_u32 v6, v6, s10, 2
	v_cmp_eq_u32_e32 vcc, v7, v32
	v_cmp_eq_u32_e64 s[6:7], 0, v6
	s_and_b64 s[6:7], vcc, s[6:7]
	v_cndmask_b32_e64 v7, 0, 1, s[6:7]
	v_cmp_ne_u32_e64 s[6:7], 0, v7
	s_bcnt1_i32_b64 s6, s[6:7]
	v_add_u32_e32 v1, s6, v1
	v_cmp_eq_u32_e64 s[6:7], 1, v6
	s_and_b64 s[6:7], vcc, s[6:7]
	v_cndmask_b32_e64 v7, 0, 1, s[6:7]
	v_cmp_ne_u32_e64 s[6:7], 0, v7
	s_bcnt1_i32_b64 s6, s[6:7]
	v_add_u32_e32 v2, s6, v2
	;; [unrolled: 6-line block ×3, first 2 shown]
	v_cmp_eq_u32_e64 s[6:7], 3, v6
	s_and_b64 s[6:7], vcc, s[6:7]
	v_cndmask_b32_e64 v6, 0, 1, s[6:7]
	v_cmp_ne_u32_e32 vcc, 0, v6
	s_bcnt1_i32_b64 s6, vcc
	v_cmp_le_u32_e32 vcc, s14, v5
	v_add_u32_e32 v4, s6, v4
	s_or_b64 s[12:13], vcc, s[12:13]
	s_andn2_b64 exec, exec, s[12:13]
	s_cbranch_execnz .LBB26_87
; %bb.88:                               ;   in Loop: Header=BB26_15 Depth=1
	s_or_b64 exec, exec, s[12:13]
.LBB26_89:                              ;   in Loop: Header=BB26_15 Depth=1
	s_or_b64 exec, exec, s[2:3]
	s_lshl_b32 s6, s18, 6
	s_and_saveexec_b64 s[2:3], s[0:1]
	s_cbranch_execnz .LBB26_63
	s_branch .LBB26_64
.LBB26_90:                              ;   in Loop: Header=BB26_15 Depth=1
	v_mov_b32_e32 v1, 0
	s_mov_b32 s7, 0
.LBB26_91:                              ;   in Loop: Header=BB26_15 Depth=1
	v_readlane_b32 s8, v51, 38
	v_readlane_b32 s9, v51, 39
	s_andn2_b64 vcc, exec, s[8:9]
	s_cbranch_vccnz .LBB26_94
; %bb.92:                               ;   in Loop: Header=BB26_15 Depth=1
	s_lshl_b32 s8, s18, 8
	s_lshl_b32 s7, s7, 4
	s_add_i32 s8, s8, s7
	v_add_u32_e32 v2, s8, v36
	v_readlane_b32 s7, v51, 37
.LBB26_93:                              ;   Parent Loop BB26_15 Depth=1
                                        ; =>  This Inner Loop Header: Depth=2
	ds_read_b32 v3, v2
	s_add_i32 s7, s7, -1
	v_add_u32_e32 v2, 16, v2
	s_cmp_lg_u32 s7, 0
	s_waitcnt lgkmcnt(0)
	v_add_u32_e32 v1, v3, v1
	s_cbranch_scc1 .LBB26_93
.LBB26_94:                              ;   in Loop: Header=BB26_15 Depth=1
	v_add_lshl_u32 v2, s6, v21, 2
	ds_write_b32 v2, v1 offset:3072
.LBB26_95:                              ;   in Loop: Header=BB26_15 Depth=1
	s_or_b64 exec, exec, s[2:3]
	s_lshl_b32 s2, s6, 2
	v_mov_b32_e32 v1, s2
	s_waitcnt lgkmcnt(0)
	s_barrier
	ds_read_b128 v[1:4], v1 offset:3072
	v_readlane_b32 s2, v51, 11
	s_lshl_b32 s38, 3, s10
	v_readlane_b32 s3, v51, 12
	s_not_b32 s39, s38
	s_waitcnt lgkmcnt(0)
	v_readfirstlane_b32 s60, v1
	v_readfirstlane_b32 s50, v2
	;; [unrolled: 1-line block ×4, first 2 shown]
	v_cmp_eq_u32_e64 s[26:27], 1, v40
	s_mov_b64 s[90:91], -1
	s_mov_b64 s[30:31], 0
	s_andn2_b64 vcc, exec, s[2:3]
	s_mov_b64 s[84:85], 0
	s_mov_b64 s[34:35], 0
                                        ; implicit-def: $sgpr86_sgpr87
                                        ; implicit-def: $sgpr88_sgpr89
                                        ; implicit-def: $vgpr4
                                        ; implicit-def: $vgpr1
                                        ; implicit-def: $vgpr3
                                        ; implicit-def: $vgpr2
                                        ; implicit-def: $vgpr5
	s_cbranch_vccnz .LBB26_254
; %bb.96:                               ;   in Loop: Header=BB26_15 Depth=1
	s_cmp_eq_u32 s60, 1
	s_cselect_b64 s[2:3], -1, 0
	s_and_b64 s[6:7], s[2:3], s[26:27]
	s_mov_b64 s[8:9], -1
	v_mov_b32_e32 v3, v32
	v_mov_b32_e32 v2, v38
	;; [unrolled: 1-line block ×3, first 2 shown]
                                        ; implicit-def: $sgpr88_sgpr89
                                        ; implicit-def: $sgpr86_sgpr87
	s_and_saveexec_b64 s[2:3], s[6:7]
	s_cbranch_execz .LBB26_122
; %bb.97:                               ;   in Loop: Header=BB26_15 Depth=1
	ds_read_b32 v1, v23 offset:4096
	s_waitcnt lgkmcnt(0)
	s_barrier
	v_readfirstlane_b32 s28, v1
	s_mov_b64 s[8:9], exec
	v_readlane_b32 s12, v51, 21
	v_readlane_b32 s13, v51, 22
	s_and_b64 s[12:13], s[8:9], s[12:13]
	s_mov_b64 exec, s[12:13]
; %bb.98:                               ;   in Loop: Header=BB26_15 Depth=1
	ds_write_b8 v0, v23 offset:3072
; %bb.99:                               ;   in Loop: Header=BB26_15 Depth=1
	s_or_b64 exec, exec, s[8:9]
	v_and_b32_e32 v3, s39, v32
	v_or_b32_e32 v2, s38, v38
	s_mov_b64 s[86:87], -1
	s_mov_b64 s[88:89], 0
	s_cmp_eq_u32 s28, 0
	s_mov_b64 s[12:13], 0
	s_mov_b64 s[14:15], -1
	s_waitcnt lgkmcnt(0)
	s_barrier
                                        ; implicit-def: $vgpr5
	s_cbranch_scc1 .LBB26_110
; %bb.100:                              ;   in Loop: Header=BB26_15 Depth=1
	v_readlane_b32 s8, v51, 23
	s_add_i32 s8, s28, s8
	v_readlane_b32 s9, v51, 45
	s_mul_hi_u32 s9, s8, s9
	s_mul_i32 s9, s9, s42
	s_sub_i32 s9, s8, s9
	s_sub_i32 s12, s9, s42
	s_cmp_ge_u32 s9, s42
	s_cselect_b32 s9, s12, s9
	s_sub_i32 s12, s9, s42
	s_cmp_ge_u32 s9, s42
	s_cselect_b32 s9, s12, s9
	s_sub_i32 s29, s8, s9
	v_cmp_gt_u32_e32 vcc, s29, v0
	s_mov_b64 s[14:15], 0
	s_mov_b64 s[12:13], 0
                                        ; implicit-def: $vgpr5
	s_and_saveexec_b64 s[16:17], vcc
	s_cbranch_execz .LBB26_109
; %bb.101:                              ;   in Loop: Header=BB26_15 Depth=1
	v_mov_b32_e32 v1, v0
                                        ; implicit-def: $sgpr8_sgpr9
	s_branch .LBB26_104
.LBB26_102:                             ;   in Loop: Header=BB26_104 Depth=2
	s_or_b64 exec, exec, s[22:23]
	s_waitcnt lgkmcnt(0)
	s_barrier
	ds_read_u16 v4, v23 offset:3072
	s_mov_b64 s[22:23], -1
	s_waitcnt lgkmcnt(0)
	s_barrier
	v_cmp_ne_u32_sdwa s[24:25], v4, v23 src0_sel:BYTE_0 src1_sel:DWORD
	s_and_b64 vcc, exec, s[24:25]
	s_mov_b64 s[24:25], -1
	s_cbranch_vccz .LBB26_107
.LBB26_103:                             ;   in Loop: Header=BB26_104 Depth=2
	s_and_b64 s[22:23], exec, s[22:23]
	s_or_b64 s[12:13], s[22:23], s[12:13]
	s_andn2_b64 s[8:9], s[8:9], exec
	s_and_b64 s[22:23], s[24:25], exec
	s_or_b64 s[8:9], s[8:9], s[22:23]
	s_andn2_b64 exec, exec, s[12:13]
	s_cbranch_execz .LBB26_108
.LBB26_104:                             ;   Parent Loop BB26_15 Depth=1
                                        ; =>  This Inner Loop Header: Depth=2
	v_cmp_gt_u32_e32 vcc, s28, v1
	s_and_saveexec_b64 s[22:23], vcc
	s_cbranch_execz .LBB26_102
; %bb.105:                              ;   in Loop: Header=BB26_104 Depth=2
	ds_read_u8 v4, v1
	s_waitcnt lgkmcnt(0)
	v_add_u32_sdwa v5, sext(v4), s20 dst_sel:DWORD dst_unused:UNUSED_PAD src0_sel:BYTE_0 src1_sel:DWORD
	v_and_b32_e32 v5, v5, v2
	v_cmp_eq_u32_e32 vcc, v5, v3
	s_and_b64 exec, exec, vcc
	s_cbranch_execz .LBB26_102
; %bb.106:                              ;   in Loop: Header=BB26_104 Depth=2
	v_lshlrev_b16_e32 v4, 8, v4
	v_or_b32_e32 v4, 1, v4
	ds_write_b16 v23, v4 offset:3072
	s_branch .LBB26_102
.LBB26_107:                             ;   in Loop: Header=BB26_104 Depth=2
	v_add_u32_e32 v1, s42, v1
	v_cmp_le_u32_e32 vcc, s29, v1
	s_mov_b64 s[24:25], 0
	s_orn2_b64 s[22:23], vcc, exec
	s_branch .LBB26_103
.LBB26_108:                             ;   in Loop: Header=BB26_15 Depth=1
	s_or_b64 exec, exec, s[12:13]
	v_lshrrev_b32_sdwa v5, v37, v4 dst_sel:DWORD dst_unused:UNUSED_PAD src0_sel:DWORD src1_sel:WORD_0
	s_and_b64 s[12:13], s[8:9], exec
.LBB26_109:                             ;   in Loop: Header=BB26_15 Depth=1
	s_or_b64 exec, exec, s[16:17]
.LBB26_110:                             ;   in Loop: Header=BB26_15 Depth=1
	s_and_b64 vcc, exec, s[14:15]
	s_cbranch_vccz .LBB26_121
; %bb.111:                              ;   in Loop: Header=BB26_15 Depth=1
                                        ; implicit-def: $vgpr5
	s_mov_b64 s[14:15], exec
	v_readlane_b32 s8, v51, 46
	v_readlane_b32 s9, v51, 47
	s_and_b64 s[8:9], s[14:15], s[8:9]
	s_mov_b64 exec, s[8:9]
	s_cbranch_execz .LBB26_120
; %bb.112:                              ;   in Loop: Header=BB26_15 Depth=1
	s_mov_b64 s[16:17], 0
	v_mov_b32_e32 v1, v22
	v_mov_b32_e32 v4, v0
                                        ; implicit-def: $sgpr22_sgpr23
	s_branch .LBB26_115
.LBB26_113:                             ;   in Loop: Header=BB26_115 Depth=2
	s_or_b64 exec, exec, s[8:9]
	s_waitcnt lgkmcnt(0)
	s_barrier
	ds_read_u16 v5, v23 offset:3072
	s_mov_b64 s[8:9], -1
	s_waitcnt lgkmcnt(0)
	s_barrier
	v_cmp_ne_u32_sdwa s[24:25], v5, v23 src0_sel:BYTE_0 src1_sel:DWORD
	s_and_b64 vcc, exec, s[24:25]
	s_mov_b64 s[24:25], -1
	s_cbranch_vccz .LBB26_118
.LBB26_114:                             ;   in Loop: Header=BB26_115 Depth=2
	s_and_b64 s[8:9], exec, s[8:9]
	s_or_b64 s[16:17], s[8:9], s[16:17]
	s_andn2_b64 s[8:9], s[22:23], exec
	s_and_b64 s[22:23], s[24:25], exec
	s_or_b64 s[22:23], s[8:9], s[22:23]
	s_andn2_b64 exec, exec, s[16:17]
	s_cbranch_execz .LBB26_119
.LBB26_115:                             ;   Parent Loop BB26_15 Depth=1
                                        ; =>  This Inner Loop Header: Depth=2
	v_cmp_gt_u32_e32 vcc, s36, v4
	s_and_saveexec_b64 s[8:9], vcc
	s_cbranch_execz .LBB26_113
; %bb.116:                              ;   in Loop: Header=BB26_115 Depth=2
	global_load_ubyte v5, v1, s[40:41]
	s_waitcnt vmcnt(0)
	v_add_u32_sdwa v6, sext(v5), s20 dst_sel:DWORD dst_unused:UNUSED_PAD src0_sel:BYTE_0 src1_sel:DWORD
	v_and_b32_e32 v6, v6, v2
	v_cmp_eq_u32_e32 vcc, v6, v3
	s_and_b64 exec, exec, vcc
	s_cbranch_execz .LBB26_113
; %bb.117:                              ;   in Loop: Header=BB26_115 Depth=2
	v_lshlrev_b16_e32 v5, 8, v5
	v_or_b32_e32 v5, 1, v5
	ds_write_b16 v23, v5 offset:3072
	s_branch .LBB26_113
.LBB26_118:                             ;   in Loop: Header=BB26_115 Depth=2
	v_add_u32_e32 v4, s42, v4
	v_cmp_le_u32_e32 vcc, s4, v4
	v_add_u32_e32 v1, s44, v1
	s_mov_b64 s[24:25], 0
	s_orn2_b64 s[8:9], vcc, exec
	s_branch .LBB26_114
.LBB26_119:                             ;   in Loop: Header=BB26_15 Depth=1
	s_or_b64 exec, exec, s[16:17]
	s_andn2_b64 s[8:9], s[12:13], exec
	s_and_b64 s[12:13], s[22:23], exec
	v_lshrrev_b32_sdwa v5, v37, v5 dst_sel:DWORD dst_unused:UNUSED_PAD src0_sel:DWORD src1_sel:WORD_0
	s_or_b64 s[12:13], s[8:9], s[12:13]
.LBB26_120:                             ;   in Loop: Header=BB26_15 Depth=1
	s_or_b64 exec, exec, s[14:15]
	s_mov_b64 s[86:87], 0
	s_mov_b64 s[88:89], -1
.LBB26_121:                             ;   in Loop: Header=BB26_15 Depth=1
	s_orn2_b64 s[8:9], s[12:13], exec
.LBB26_122:                             ;   in Loop: Header=BB26_15 Depth=1
	s_or_b64 exec, exec, s[2:3]
	s_mov_b64 s[90:91], 0
	s_mov_b64 s[84:85], 0
	;; [unrolled: 1-line block ×3, first 2 shown]
                                        ; implicit-def: $vgpr4
                                        ; implicit-def: $vgpr1
	s_and_saveexec_b64 s[92:93], s[8:9]
	s_cbranch_execz .LBB26_253
; %bb.123:                              ;   in Loop: Header=BB26_15 Depth=1
	s_xor_b64 s[8:9], s[6:7], -1
	s_mov_b64 s[6:7], 0
	v_mov_b32_e32 v4, 1
	v_mov_b32_e32 v1, 1
	s_and_saveexec_b64 s[2:3], s[8:9]
	s_cbranch_execz .LBB26_132
; %bb.124:                              ;   in Loop: Header=BB26_15 Depth=1
	v_cmp_ge_u32_e32 vcc, s60, v40
	s_and_saveexec_b64 s[6:7], vcc
	s_xor_b64 s[6:7], exec, s[6:7]
	s_cbranch_execz .LBB26_129
; %bb.125:                              ;   in Loop: Header=BB26_15 Depth=1
	ds_read_b32 v1, v23 offset:4096
	v_and_b32_e32 v3, s39, v3
	v_or_b32_e32 v2, s38, v2
	s_waitcnt lgkmcnt(0)
	v_cmp_ne_u32_e32 vcc, 0, v1
	s_cbranch_vccnz .LBB26_129
; %bb.126:                              ;   in Loop: Header=BB26_15 Depth=1
	s_mov_b64 s[8:9], exec
	v_readlane_b32 s12, v51, 7
	v_readlane_b32 s13, v51, 8
	s_and_b64 s[12:13], s[8:9], s[12:13]
	s_mov_b64 exec, s[12:13]
; %bb.127:                              ;   in Loop: Header=BB26_15 Depth=1
	v_mov_b32_e32 v1, s60
	ds_write_b32 v23, v1 offset:4100
; %bb.128:                              ;   in Loop: Header=BB26_15 Depth=1
	s_or_b64 exec, exec, s[8:9]
	s_waitcnt lgkmcnt(0)
	s_barrier
.LBB26_129:                             ;   in Loop: Header=BB26_15 Depth=1
	s_or_saveexec_b64 s[6:7], s[6:7]
	s_mov_b64 s[8:9], 0
	v_mov_b32_e32 v1, 8
	v_mov_b32_e32 v4, v40
	s_xor_b64 exec, exec, s[6:7]
; %bb.130:                              ;   in Loop: Header=BB26_15 Depth=1
	s_mov_b64 s[8:9], exec
	v_subrev_u32_e32 v4, s60, v40
	v_mov_b32_e32 v1, 0
; %bb.131:                              ;   in Loop: Header=BB26_15 Depth=1
	s_or_b64 exec, exec, s[6:7]
	s_and_b64 s[6:7], s[8:9], exec
.LBB26_132:                             ;   in Loop: Header=BB26_15 Depth=1
	s_or_b64 exec, exec, s[2:3]
	s_mov_b64 s[2:3], -1
                                        ; implicit-def: $sgpr34_sgpr35
                                        ; implicit-def: $sgpr84_sgpr85
	s_and_saveexec_b64 s[8:9], s[6:7]
	s_xor_b64 s[6:7], exec, s[8:9]
	s_cbranch_execz .LBB26_250
; %bb.133:                              ;   in Loop: Header=BB26_15 Depth=1
	s_cmp_eq_u32 s50, 1
	s_cselect_b64 s[2:3], -1, 0
	v_cmp_eq_u32_e32 vcc, 1, v4
	s_and_b64 s[12:13], s[2:3], vcc
	s_mov_b64 s[8:9], -1
                                        ; implicit-def: $sgpr84_sgpr85
                                        ; implicit-def: $sgpr34_sgpr35
	s_and_saveexec_b64 s[2:3], s[12:13]
	s_cbranch_execz .LBB26_159
; %bb.134:                              ;   in Loop: Header=BB26_15 Depth=1
	ds_read_b32 v5, v23 offset:4096
	s_waitcnt lgkmcnt(0)
	s_barrier
	v_readfirstlane_b32 s46, v5
	s_mov_b64 s[8:9], exec
	v_readlane_b32 s14, v51, 21
	v_readlane_b32 s15, v51, 22
	s_and_b64 s[14:15], s[8:9], s[14:15]
	s_mov_b64 exec, s[14:15]
; %bb.135:                              ;   in Loop: Header=BB26_15 Depth=1
	ds_write_b8 v0, v23 offset:3072
; %bb.136:                              ;   in Loop: Header=BB26_15 Depth=1
	s_or_b64 exec, exec, s[8:9]
	v_and_b32_e32 v3, s39, v3
	v_lshl_or_b32 v3, 1, s10, v3
	v_or_b32_e32 v2, s38, v2
	s_mov_b64 s[34:35], -1
	s_mov_b64 s[84:85], 0
	s_cmp_eq_u32 s46, 0
	s_mov_b64 s[14:15], 0
	s_mov_b64 s[16:17], -1
	s_waitcnt lgkmcnt(0)
	s_barrier
                                        ; implicit-def: $vgpr5
	s_cbranch_scc1 .LBB26_147
; %bb.137:                              ;   in Loop: Header=BB26_15 Depth=1
	v_readlane_b32 s8, v51, 23
	s_add_i32 s8, s46, s8
	v_readlane_b32 s9, v51, 45
	s_mul_hi_u32 s9, s8, s9
	s_mul_i32 s9, s9, s42
	s_sub_i32 s9, s8, s9
	s_sub_i32 s14, s9, s42
	s_cmp_ge_u32 s9, s42
	s_cselect_b32 s9, s14, s9
	s_sub_i32 s14, s9, s42
	s_cmp_ge_u32 s9, s42
	s_cselect_b32 s9, s14, s9
	s_sub_i32 s47, s8, s9
	v_cmp_gt_u32_e32 vcc, s47, v0
	s_mov_b64 s[16:17], 0
	s_mov_b64 s[14:15], 0
                                        ; implicit-def: $vgpr5
	s_and_saveexec_b64 s[24:25], vcc
	s_cbranch_execz .LBB26_146
; %bb.138:                              ;   in Loop: Header=BB26_15 Depth=1
	v_mov_b32_e32 v5, v0
                                        ; implicit-def: $sgpr22_sgpr23
	s_branch .LBB26_141
.LBB26_139:                             ;   in Loop: Header=BB26_141 Depth=2
	s_or_b64 exec, exec, s[8:9]
	s_waitcnt lgkmcnt(0)
	s_barrier
	ds_read_u16 v6, v23 offset:3072
	s_mov_b64 s[8:9], -1
	s_waitcnt lgkmcnt(0)
	s_barrier
	v_cmp_ne_u32_sdwa s[28:29], v6, v23 src0_sel:BYTE_0 src1_sel:DWORD
	s_and_b64 vcc, exec, s[28:29]
	s_mov_b64 s[28:29], -1
	s_cbranch_vccz .LBB26_144
.LBB26_140:                             ;   in Loop: Header=BB26_141 Depth=2
	s_and_b64 s[8:9], exec, s[8:9]
	s_or_b64 s[14:15], s[8:9], s[14:15]
	s_andn2_b64 s[8:9], s[22:23], exec
	s_and_b64 s[22:23], s[28:29], exec
	s_or_b64 s[22:23], s[8:9], s[22:23]
	s_andn2_b64 exec, exec, s[14:15]
	s_cbranch_execz .LBB26_145
.LBB26_141:                             ;   Parent Loop BB26_15 Depth=1
                                        ; =>  This Inner Loop Header: Depth=2
	v_cmp_gt_u32_e32 vcc, s46, v5
	s_and_saveexec_b64 s[8:9], vcc
	s_cbranch_execz .LBB26_139
; %bb.142:                              ;   in Loop: Header=BB26_141 Depth=2
	ds_read_u8 v6, v5
	s_waitcnt lgkmcnt(0)
	v_add_u32_sdwa v7, sext(v6), s20 dst_sel:DWORD dst_unused:UNUSED_PAD src0_sel:BYTE_0 src1_sel:DWORD
	v_and_b32_e32 v7, v7, v2
	v_cmp_eq_u32_e32 vcc, v7, v3
	s_and_b64 exec, exec, vcc
	s_cbranch_execz .LBB26_139
; %bb.143:                              ;   in Loop: Header=BB26_141 Depth=2
	v_lshlrev_b16_e32 v6, 8, v6
	v_or_b32_e32 v6, 1, v6
	ds_write_b16 v23, v6 offset:3072
	s_branch .LBB26_139
.LBB26_144:                             ;   in Loop: Header=BB26_141 Depth=2
	v_add_u32_e32 v5, s42, v5
	v_cmp_le_u32_e32 vcc, s47, v5
	s_mov_b64 s[28:29], 0
	s_orn2_b64 s[8:9], vcc, exec
	s_branch .LBB26_140
.LBB26_145:                             ;   in Loop: Header=BB26_15 Depth=1
	s_or_b64 exec, exec, s[14:15]
	v_lshrrev_b32_sdwa v5, v37, v6 dst_sel:DWORD dst_unused:UNUSED_PAD src0_sel:DWORD src1_sel:WORD_0
	s_and_b64 s[14:15], s[22:23], exec
.LBB26_146:                             ;   in Loop: Header=BB26_15 Depth=1
	s_or_b64 exec, exec, s[24:25]
.LBB26_147:                             ;   in Loop: Header=BB26_15 Depth=1
	s_and_b64 vcc, exec, s[16:17]
	s_cbranch_vccz .LBB26_158
; %bb.148:                              ;   in Loop: Header=BB26_15 Depth=1
                                        ; implicit-def: $vgpr5
	s_mov_b64 s[16:17], exec
	v_readlane_b32 s8, v51, 46
	v_readlane_b32 s9, v51, 47
	s_and_b64 s[8:9], s[16:17], s[8:9]
	s_mov_b64 exec, s[8:9]
	s_cbranch_execz .LBB26_157
; %bb.149:                              ;   in Loop: Header=BB26_15 Depth=1
	s_mov_b64 s[22:23], 0
	v_mov_b32_e32 v5, v22
	v_mov_b32_e32 v6, v0
                                        ; implicit-def: $sgpr24_sgpr25
	s_branch .LBB26_152
.LBB26_150:                             ;   in Loop: Header=BB26_152 Depth=2
	s_or_b64 exec, exec, s[8:9]
	s_waitcnt lgkmcnt(0)
	s_barrier
	ds_read_u16 v7, v23 offset:3072
	s_mov_b64 s[8:9], -1
	s_waitcnt lgkmcnt(0)
	s_barrier
	v_cmp_eq_u32_sdwa s[28:29], v7, v23 src0_sel:BYTE_0 src1_sel:DWORD
	s_and_b64 vcc, exec, s[28:29]
	s_mov_b64 s[28:29], -1
	s_cbranch_vccnz .LBB26_155
.LBB26_151:                             ;   in Loop: Header=BB26_152 Depth=2
	s_and_b64 s[8:9], exec, s[8:9]
	s_or_b64 s[22:23], s[8:9], s[22:23]
	s_andn2_b64 s[8:9], s[24:25], exec
	s_and_b64 s[24:25], s[28:29], exec
	s_or_b64 s[24:25], s[8:9], s[24:25]
	s_andn2_b64 exec, exec, s[22:23]
	s_cbranch_execz .LBB26_156
.LBB26_152:                             ;   Parent Loop BB26_15 Depth=1
                                        ; =>  This Inner Loop Header: Depth=2
	v_cmp_gt_u32_e32 vcc, s36, v6
	s_and_saveexec_b64 s[8:9], vcc
	s_cbranch_execz .LBB26_150
; %bb.153:                              ;   in Loop: Header=BB26_152 Depth=2
	global_load_ubyte v7, v5, s[40:41]
	s_waitcnt vmcnt(0)
	v_add_u32_sdwa v8, sext(v7), s20 dst_sel:DWORD dst_unused:UNUSED_PAD src0_sel:BYTE_0 src1_sel:DWORD
	v_and_b32_e32 v8, v8, v2
	v_cmp_eq_u32_e32 vcc, v8, v3
	s_and_b64 exec, exec, vcc
	s_cbranch_execz .LBB26_150
; %bb.154:                              ;   in Loop: Header=BB26_152 Depth=2
	v_lshlrev_b16_e32 v7, 8, v7
	v_or_b32_e32 v7, 1, v7
	ds_write_b16 v23, v7 offset:3072
	s_branch .LBB26_150
.LBB26_155:                             ;   in Loop: Header=BB26_152 Depth=2
	v_add_u32_e32 v6, s42, v6
	v_cmp_le_u32_e32 vcc, s4, v6
	v_add_u32_e32 v5, s44, v5
	s_mov_b64 s[28:29], 0
	s_orn2_b64 s[8:9], vcc, exec
	s_branch .LBB26_151
.LBB26_156:                             ;   in Loop: Header=BB26_15 Depth=1
	s_or_b64 exec, exec, s[22:23]
	s_andn2_b64 s[8:9], s[14:15], exec
	s_and_b64 s[14:15], s[24:25], exec
	v_lshrrev_b32_sdwa v5, v37, v7 dst_sel:DWORD dst_unused:UNUSED_PAD src0_sel:DWORD src1_sel:WORD_0
	s_or_b64 s[14:15], s[8:9], s[14:15]
.LBB26_157:                             ;   in Loop: Header=BB26_15 Depth=1
	s_or_b64 exec, exec, s[16:17]
	s_mov_b64 s[34:35], 0
	s_mov_b64 s[84:85], -1
.LBB26_158:                             ;   in Loop: Header=BB26_15 Depth=1
	s_orn2_b64 s[8:9], s[14:15], exec
.LBB26_159:                             ;   in Loop: Header=BB26_15 Depth=1
	s_or_b64 exec, exec, s[2:3]
	s_mov_b64 s[2:3], 0
	s_and_saveexec_b64 s[94:95], s[8:9]
	s_cbranch_execz .LBB26_249
; %bb.160:                              ;   in Loop: Header=BB26_15 Depth=1
	s_xor_b64 s[12:13], s[12:13], -1
	s_mov_b64 s[8:9], 0
	v_mov_b32_e32 v6, 1
	v_mov_b32_e32 v1, 1
	s_and_saveexec_b64 s[2:3], s[12:13]
	s_cbranch_execz .LBB26_169
; %bb.161:                              ;   in Loop: Header=BB26_15 Depth=1
	v_cmp_ge_u32_e32 vcc, s50, v4
	s_and_saveexec_b64 s[8:9], vcc
	s_xor_b64 s[8:9], exec, s[8:9]
	s_cbranch_execz .LBB26_166
; %bb.162:                              ;   in Loop: Header=BB26_15 Depth=1
	v_and_b32_e32 v1, s39, v3
	v_lshl_or_b32 v3, 1, s10, v1
	ds_read_b32 v1, v23 offset:4096
	v_or_b32_e32 v2, s38, v2
	s_waitcnt lgkmcnt(0)
	v_cmp_ne_u32_e32 vcc, 0, v1
	s_cbranch_vccnz .LBB26_166
; %bb.163:                              ;   in Loop: Header=BB26_15 Depth=1
	s_mov_b64 s[12:13], exec
	v_readlane_b32 s14, v51, 7
	v_readlane_b32 s15, v51, 8
	s_and_b64 s[14:15], s[12:13], s[14:15]
	s_mov_b64 exec, s[14:15]
; %bb.164:                              ;   in Loop: Header=BB26_15 Depth=1
	v_mov_b32_e32 v1, s50
	ds_write_b32 v23, v1 offset:4100
; %bb.165:                              ;   in Loop: Header=BB26_15 Depth=1
	s_or_b64 exec, exec, s[12:13]
	s_waitcnt lgkmcnt(0)
	s_barrier
.LBB26_166:                             ;   in Loop: Header=BB26_15 Depth=1
	s_or_saveexec_b64 s[8:9], s[8:9]
	s_mov_b64 s[12:13], 0
	v_mov_b32_e32 v1, 8
	s_xor_b64 exec, exec, s[8:9]
; %bb.167:                              ;   in Loop: Header=BB26_15 Depth=1
	s_mov_b64 s[12:13], exec
	v_subrev_u32_e32 v4, s50, v4
	v_mov_b32_e32 v1, 0
; %bb.168:                              ;   in Loop: Header=BB26_15 Depth=1
	s_or_b64 exec, exec, s[8:9]
	s_and_b64 s[8:9], s[12:13], exec
	v_mov_b32_e32 v6, v4
.LBB26_169:                             ;   in Loop: Header=BB26_15 Depth=1
	s_or_b64 exec, exec, s[2:3]
	s_mov_b64 s[2:3], -1
                                        ; implicit-def: $sgpr48_sgpr49
                                        ; implicit-def: $sgpr14_sgpr15
	s_and_saveexec_b64 s[46:47], s[8:9]
	s_cbranch_execz .LBB26_248
; %bb.170:                              ;   in Loop: Header=BB26_15 Depth=1
	s_cmp_eq_u32 s51, 1
	s_cselect_b64 s[2:3], -1, 0
	v_cmp_eq_u32_e32 vcc, 1, v6
	s_and_b64 s[12:13], s[2:3], vcc
	s_mov_b64 s[8:9], -1
                                        ; implicit-def: $sgpr14_sgpr15
                                        ; implicit-def: $sgpr48_sgpr49
	s_and_saveexec_b64 s[2:3], s[12:13]
	s_cbranch_execz .LBB26_196
; %bb.171:                              ;   in Loop: Header=BB26_15 Depth=1
	ds_read_b32 v4, v23 offset:4096
	s_waitcnt lgkmcnt(0)
	s_barrier
	v_readfirstlane_b32 s56, v4
	s_mov_b64 s[8:9], exec
	v_readlane_b32 s14, v51, 21
	v_readlane_b32 s15, v51, 22
	s_and_b64 s[14:15], s[8:9], s[14:15]
	s_mov_b64 exec, s[14:15]
; %bb.172:                              ;   in Loop: Header=BB26_15 Depth=1
	ds_write_b8 v0, v23 offset:3072
; %bb.173:                              ;   in Loop: Header=BB26_15 Depth=1
	s_or_b64 exec, exec, s[8:9]
	v_and_b32_e32 v3, s39, v3
	v_lshl_or_b32 v3, 2, s10, v3
	v_or_b32_e32 v2, s38, v2
	s_mov_b64 s[48:49], -1
	s_mov_b64 s[14:15], 0
	s_cmp_eq_u32 s56, 0
	s_mov_b64 s[16:17], 0
	s_mov_b64 s[24:25], -1
	s_waitcnt lgkmcnt(0)
	s_barrier
                                        ; implicit-def: $vgpr5
	s_cbranch_scc1 .LBB26_184
; %bb.174:                              ;   in Loop: Header=BB26_15 Depth=1
	v_readlane_b32 s8, v51, 23
	s_add_i32 s8, s56, s8
	v_readlane_b32 s9, v51, 45
	s_mul_hi_u32 s9, s8, s9
	s_mul_i32 s9, s9, s42
	s_sub_i32 s9, s8, s9
	s_sub_i32 s16, s9, s42
	s_cmp_ge_u32 s9, s42
	s_cselect_b32 s9, s16, s9
	s_sub_i32 s16, s9, s42
	s_cmp_ge_u32 s9, s42
	s_cselect_b32 s9, s16, s9
	s_sub_i32 s57, s8, s9
	v_cmp_gt_u32_e32 vcc, s57, v0
	s_mov_b64 s[24:25], 0
	s_mov_b64 s[16:17], 0
                                        ; implicit-def: $vgpr5
	s_and_saveexec_b64 s[28:29], vcc
	s_cbranch_execz .LBB26_183
; %bb.175:                              ;   in Loop: Header=BB26_15 Depth=1
	v_mov_b32_e32 v4, v0
                                        ; implicit-def: $sgpr22_sgpr23
	s_branch .LBB26_178
.LBB26_176:                             ;   in Loop: Header=BB26_178 Depth=2
	s_or_b64 exec, exec, s[8:9]
	s_waitcnt lgkmcnt(0)
	s_barrier
	ds_read_u16 v5, v23 offset:3072
	s_mov_b64 s[8:9], -1
	s_waitcnt lgkmcnt(0)
	s_barrier
	v_cmp_ne_u32_sdwa s[52:53], v5, v23 src0_sel:BYTE_0 src1_sel:DWORD
	s_and_b64 vcc, exec, s[52:53]
	s_mov_b64 s[52:53], -1
	s_cbranch_vccz .LBB26_181
.LBB26_177:                             ;   in Loop: Header=BB26_178 Depth=2
	s_and_b64 s[8:9], exec, s[8:9]
	s_or_b64 s[16:17], s[8:9], s[16:17]
	s_andn2_b64 s[8:9], s[22:23], exec
	s_and_b64 s[22:23], s[52:53], exec
	s_or_b64 s[22:23], s[8:9], s[22:23]
	s_andn2_b64 exec, exec, s[16:17]
	s_cbranch_execz .LBB26_182
.LBB26_178:                             ;   Parent Loop BB26_15 Depth=1
                                        ; =>  This Inner Loop Header: Depth=2
	v_cmp_gt_u32_e32 vcc, s56, v4
	s_and_saveexec_b64 s[8:9], vcc
	s_cbranch_execz .LBB26_176
; %bb.179:                              ;   in Loop: Header=BB26_178 Depth=2
	ds_read_u8 v5, v4
	s_waitcnt lgkmcnt(0)
	v_add_u32_sdwa v7, sext(v5), s20 dst_sel:DWORD dst_unused:UNUSED_PAD src0_sel:BYTE_0 src1_sel:DWORD
	v_and_b32_e32 v7, v7, v2
	v_cmp_eq_u32_e32 vcc, v7, v3
	s_and_b64 exec, exec, vcc
	s_cbranch_execz .LBB26_176
; %bb.180:                              ;   in Loop: Header=BB26_178 Depth=2
	v_lshlrev_b16_e32 v5, 8, v5
	v_or_b32_e32 v5, 1, v5
	ds_write_b16 v23, v5 offset:3072
	s_branch .LBB26_176
.LBB26_181:                             ;   in Loop: Header=BB26_178 Depth=2
	v_add_u32_e32 v4, s42, v4
	v_cmp_le_u32_e32 vcc, s57, v4
	s_mov_b64 s[52:53], 0
	s_orn2_b64 s[8:9], vcc, exec
	s_branch .LBB26_177
.LBB26_182:                             ;   in Loop: Header=BB26_15 Depth=1
	s_or_b64 exec, exec, s[16:17]
	v_lshrrev_b32_sdwa v5, v37, v5 dst_sel:DWORD dst_unused:UNUSED_PAD src0_sel:DWORD src1_sel:WORD_0
	s_and_b64 s[16:17], s[22:23], exec
.LBB26_183:                             ;   in Loop: Header=BB26_15 Depth=1
	s_or_b64 exec, exec, s[28:29]
.LBB26_184:                             ;   in Loop: Header=BB26_15 Depth=1
	s_and_b64 vcc, exec, s[24:25]
	s_cbranch_vccz .LBB26_195
; %bb.185:                              ;   in Loop: Header=BB26_15 Depth=1
                                        ; implicit-def: $vgpr5
	s_mov_b64 s[14:15], exec
	v_readlane_b32 s8, v51, 46
	v_readlane_b32 s9, v51, 47
	s_and_b64 s[8:9], s[14:15], s[8:9]
	s_mov_b64 exec, s[8:9]
	s_cbranch_execz .LBB26_194
; %bb.186:                              ;   in Loop: Header=BB26_15 Depth=1
	s_mov_b64 s[22:23], 0
	v_mov_b32_e32 v4, v22
	v_mov_b32_e32 v5, v0
                                        ; implicit-def: $sgpr24_sgpr25
	s_branch .LBB26_189
.LBB26_187:                             ;   in Loop: Header=BB26_189 Depth=2
	s_or_b64 exec, exec, s[8:9]
	s_waitcnt lgkmcnt(0)
	s_barrier
	ds_read_u16 v7, v23 offset:3072
	s_mov_b64 s[8:9], -1
	s_waitcnt lgkmcnt(0)
	s_barrier
	v_cmp_eq_u32_sdwa s[28:29], v7, v23 src0_sel:BYTE_0 src1_sel:DWORD
	s_and_b64 vcc, exec, s[28:29]
	s_mov_b64 s[28:29], -1
	s_cbranch_vccnz .LBB26_192
.LBB26_188:                             ;   in Loop: Header=BB26_189 Depth=2
	s_and_b64 s[8:9], exec, s[8:9]
	s_or_b64 s[22:23], s[8:9], s[22:23]
	s_andn2_b64 s[8:9], s[24:25], exec
	s_and_b64 s[24:25], s[28:29], exec
	s_or_b64 s[24:25], s[8:9], s[24:25]
	s_andn2_b64 exec, exec, s[22:23]
	s_cbranch_execz .LBB26_193
.LBB26_189:                             ;   Parent Loop BB26_15 Depth=1
                                        ; =>  This Inner Loop Header: Depth=2
	v_cmp_gt_u32_e32 vcc, s36, v5
	s_and_saveexec_b64 s[8:9], vcc
	s_cbranch_execz .LBB26_187
; %bb.190:                              ;   in Loop: Header=BB26_189 Depth=2
	global_load_ubyte v7, v4, s[40:41]
	s_waitcnt vmcnt(0)
	v_add_u32_sdwa v8, sext(v7), s20 dst_sel:DWORD dst_unused:UNUSED_PAD src0_sel:BYTE_0 src1_sel:DWORD
	v_and_b32_e32 v8, v8, v2
	v_cmp_eq_u32_e32 vcc, v8, v3
	s_and_b64 exec, exec, vcc
	s_cbranch_execz .LBB26_187
; %bb.191:                              ;   in Loop: Header=BB26_189 Depth=2
	v_lshlrev_b16_e32 v7, 8, v7
	v_or_b32_e32 v7, 1, v7
	ds_write_b16 v23, v7 offset:3072
	s_branch .LBB26_187
.LBB26_192:                             ;   in Loop: Header=BB26_189 Depth=2
	v_add_u32_e32 v5, s42, v5
	v_cmp_le_u32_e32 vcc, s4, v5
	v_add_u32_e32 v4, s44, v4
	s_mov_b64 s[28:29], 0
	s_orn2_b64 s[8:9], vcc, exec
	s_branch .LBB26_188
.LBB26_193:                             ;   in Loop: Header=BB26_15 Depth=1
	s_or_b64 exec, exec, s[22:23]
	s_andn2_b64 s[8:9], s[16:17], exec
	s_and_b64 s[16:17], s[24:25], exec
	v_lshrrev_b32_sdwa v5, v37, v7 dst_sel:DWORD dst_unused:UNUSED_PAD src0_sel:DWORD src1_sel:WORD_0
	s_or_b64 s[16:17], s[8:9], s[16:17]
.LBB26_194:                             ;   in Loop: Header=BB26_15 Depth=1
	s_or_b64 exec, exec, s[14:15]
	s_mov_b64 s[48:49], 0
	s_mov_b64 s[14:15], -1
.LBB26_195:                             ;   in Loop: Header=BB26_15 Depth=1
	s_orn2_b64 s[8:9], s[16:17], exec
.LBB26_196:                             ;   in Loop: Header=BB26_15 Depth=1
	s_or_b64 exec, exec, s[2:3]
	s_mov_b64 s[2:3], 0
	s_and_saveexec_b64 s[16:17], s[8:9]
	s_cbranch_execz .LBB26_247
; %bb.197:                              ;   in Loop: Header=BB26_15 Depth=1
	s_xor_b64 s[12:13], s[12:13], -1
	s_mov_b64 s[8:9], 0
	v_mov_b32_e32 v4, 1
	v_mov_b32_e32 v1, 1
	s_and_saveexec_b64 s[2:3], s[12:13]
	s_cbranch_execz .LBB26_206
; %bb.198:                              ;   in Loop: Header=BB26_15 Depth=1
	v_cmp_ge_u32_e32 vcc, s51, v6
	s_and_saveexec_b64 s[8:9], vcc
	s_xor_b64 s[8:9], exec, s[8:9]
	s_cbranch_execz .LBB26_203
; %bb.199:                              ;   in Loop: Header=BB26_15 Depth=1
	v_and_b32_e32 v1, s39, v3
	v_lshl_or_b32 v3, 2, s10, v1
	ds_read_b32 v1, v23 offset:4096
	v_or_b32_e32 v2, s38, v2
	s_waitcnt lgkmcnt(0)
	v_cmp_ne_u32_e32 vcc, 0, v1
	s_cbranch_vccnz .LBB26_203
; %bb.200:                              ;   in Loop: Header=BB26_15 Depth=1
	s_mov_b64 s[12:13], exec
	v_readlane_b32 s22, v51, 7
	v_readlane_b32 s23, v51, 8
	s_and_b64 s[22:23], s[12:13], s[22:23]
	s_mov_b64 exec, s[22:23]
; %bb.201:                              ;   in Loop: Header=BB26_15 Depth=1
	v_mov_b32_e32 v1, s51
	ds_write_b32 v23, v1 offset:4100
; %bb.202:                              ;   in Loop: Header=BB26_15 Depth=1
	s_or_b64 exec, exec, s[12:13]
	s_waitcnt lgkmcnt(0)
	s_barrier
.LBB26_203:                             ;   in Loop: Header=BB26_15 Depth=1
	s_or_saveexec_b64 s[8:9], s[8:9]
	s_mov_b64 s[12:13], 0
	v_mov_b32_e32 v1, 8
	s_xor_b64 exec, exec, s[8:9]
; %bb.204:                              ;   in Loop: Header=BB26_15 Depth=1
	s_mov_b64 s[12:13], exec
	v_subrev_u32_e32 v6, s51, v6
	v_mov_b32_e32 v1, 0
; %bb.205:                              ;   in Loop: Header=BB26_15 Depth=1
	s_or_b64 exec, exec, s[8:9]
	s_and_b64 s[8:9], s[12:13], exec
	v_mov_b32_e32 v4, v6
.LBB26_206:                             ;   in Loop: Header=BB26_15 Depth=1
	s_or_b64 exec, exec, s[2:3]
	s_mov_b64 s[2:3], -1
                                        ; implicit-def: $sgpr28_sgpr29
                                        ; implicit-def: $sgpr52_sgpr53
	s_and_saveexec_b64 s[24:25], s[8:9]
	s_cbranch_execz .LBB26_246
; %bb.207:                              ;   in Loop: Header=BB26_15 Depth=1
	s_cmp_eq_u32 s21, 1
	s_cselect_b64 s[2:3], -1, 0
	v_cmp_eq_u32_e32 vcc, 1, v4
	s_mov_b64 s[8:9], -1
	s_and_b64 s[2:3], s[2:3], vcc
                                        ; implicit-def: $sgpr28_sgpr29
                                        ; implicit-def: $sgpr52_sgpr53
	s_mov_b64 s[56:57], exec
	v_writelane_b32 v51, s2, 50
	v_writelane_b32 v51, s3, 51
	s_and_b64 s[2:3], s[56:57], s[2:3]
	s_mov_b64 exec, s[2:3]
	s_cbranch_execz .LBB26_234
; %bb.208:                              ;   in Loop: Header=BB26_15 Depth=1
	ds_read_b32 v5, v23 offset:4096
	s_waitcnt lgkmcnt(0)
	s_barrier
	v_readfirstlane_b32 s28, v5
	s_mov_b64 s[2:3], exec
	v_readlane_b32 s8, v51, 21
	v_readlane_b32 s9, v51, 22
	s_and_b64 s[8:9], s[2:3], s[8:9]
	s_mov_b64 exec, s[8:9]
; %bb.209:                              ;   in Loop: Header=BB26_15 Depth=1
	ds_write_b8 v0, v23 offset:3072
; %bb.210:                              ;   in Loop: Header=BB26_15 Depth=1
	s_or_b64 exec, exec, s[2:3]
	v_or_b32_e32 v3, s38, v3
	v_or_b32_e32 v2, s38, v2
	s_mov_b64 s[52:53], -1
	s_cmp_eq_u32 s28, 0
	s_mov_b64 s[58:59], 0
	s_mov_b64 s[12:13], -1
	s_waitcnt lgkmcnt(0)
	s_barrier
                                        ; implicit-def: $vgpr5
	s_cbranch_scc1 .LBB26_221
; %bb.211:                              ;   in Loop: Header=BB26_15 Depth=1
	v_readlane_b32 s2, v51, 23
	s_add_i32 s2, s28, s2
	v_readlane_b32 s3, v51, 45
	s_mul_hi_u32 s3, s2, s3
	s_mul_i32 s3, s3, s42
	s_sub_i32 s3, s2, s3
	s_sub_i32 s8, s3, s42
	s_cmp_ge_u32 s3, s42
	s_cselect_b32 s3, s8, s3
	s_sub_i32 s8, s3, s42
	s_cmp_ge_u32 s3, s42
	s_cselect_b32 s3, s8, s3
	s_sub_i32 s29, s2, s3
	v_cmp_gt_u32_e32 vcc, s29, v0
	s_mov_b64 s[12:13], 0
                                        ; implicit-def: $vgpr5
	s_and_saveexec_b64 s[22:23], vcc
	s_cbranch_execz .LBB26_220
; %bb.212:                              ;   in Loop: Header=BB26_15 Depth=1
	v_mov_b32_e32 v5, v0
                                        ; implicit-def: $sgpr8_sgpr9
	s_branch .LBB26_215
.LBB26_213:                             ;   in Loop: Header=BB26_215 Depth=2
	s_or_b64 exec, exec, s[52:53]
	s_waitcnt lgkmcnt(0)
	s_barrier
	ds_read_u16 v6, v23 offset:3072
	s_mov_b64 s[52:53], -1
	s_waitcnt lgkmcnt(0)
	s_barrier
	v_cmp_ne_u32_sdwa s[2:3], v6, v23 src0_sel:BYTE_0 src1_sel:DWORD
	s_and_b64 vcc, exec, s[2:3]
	s_mov_b64 s[2:3], -1
	s_cbranch_vccz .LBB26_218
.LBB26_214:                             ;   in Loop: Header=BB26_215 Depth=2
	s_and_b64 s[52:53], exec, s[52:53]
	s_or_b64 s[58:59], s[52:53], s[58:59]
	s_andn2_b64 s[8:9], s[8:9], exec
	s_and_b64 s[2:3], s[2:3], exec
	s_or_b64 s[8:9], s[8:9], s[2:3]
	s_andn2_b64 exec, exec, s[58:59]
	s_cbranch_execz .LBB26_219
.LBB26_215:                             ;   Parent Loop BB26_15 Depth=1
                                        ; =>  This Inner Loop Header: Depth=2
	v_cmp_gt_u32_e32 vcc, s28, v5
	s_and_saveexec_b64 s[52:53], vcc
	s_cbranch_execz .LBB26_213
; %bb.216:                              ;   in Loop: Header=BB26_215 Depth=2
	ds_read_u8 v6, v5
	s_waitcnt lgkmcnt(0)
	v_add_u32_sdwa v7, sext(v6), s20 dst_sel:DWORD dst_unused:UNUSED_PAD src0_sel:BYTE_0 src1_sel:DWORD
	v_and_b32_e32 v7, v7, v2
	v_cmp_eq_u32_e32 vcc, v7, v3
	s_and_b64 exec, exec, vcc
	s_cbranch_execz .LBB26_213
; %bb.217:                              ;   in Loop: Header=BB26_215 Depth=2
	v_lshlrev_b16_e32 v6, 8, v6
	v_or_b32_e32 v6, 1, v6
	ds_write_b16 v23, v6 offset:3072
	s_branch .LBB26_213
.LBB26_218:                             ;   in Loop: Header=BB26_215 Depth=2
	v_add_u32_e32 v5, s42, v5
	v_cmp_le_u32_e32 vcc, s29, v5
	s_mov_b64 s[2:3], 0
	s_orn2_b64 s[52:53], vcc, exec
	s_branch .LBB26_214
.LBB26_219:                             ;   in Loop: Header=BB26_15 Depth=1
	s_or_b64 exec, exec, s[58:59]
	v_lshrrev_b32_sdwa v5, v37, v6 dst_sel:DWORD dst_unused:UNUSED_PAD src0_sel:DWORD src1_sel:WORD_0
	s_and_b64 s[58:59], s[8:9], exec
	s_mov_b64 s[52:53], -1
.LBB26_220:                             ;   in Loop: Header=BB26_15 Depth=1
	s_or_b64 exec, exec, s[22:23]
.LBB26_221:                             ;   in Loop: Header=BB26_15 Depth=1
	s_and_b64 vcc, exec, s[12:13]
	s_cbranch_vccz .LBB26_230
; %bb.222:                              ;   in Loop: Header=BB26_15 Depth=1
                                        ; implicit-def: $vgpr5
	s_mov_b64 s[12:13], exec
	v_readlane_b32 s2, v51, 46
	v_readlane_b32 s3, v51, 47
	s_and_b64 s[2:3], s[12:13], s[2:3]
	s_mov_b64 exec, s[2:3]
	s_cbranch_execz .LBB26_232
; %bb.223:                              ;   in Loop: Header=BB26_15 Depth=1
	s_mov_b64 s[22:23], 0
	v_mov_b32_e32 v5, v22
	v_mov_b32_e32 v6, v0
                                        ; implicit-def: $sgpr28_sgpr29
	s_branch .LBB26_226
.LBB26_224:                             ;   in Loop: Header=BB26_226 Depth=2
	s_or_b64 exec, exec, s[8:9]
	s_waitcnt lgkmcnt(0)
	s_barrier
	ds_read_u16 v7, v23 offset:3072
	s_mov_b64 s[8:9], -1
	s_mov_b64 s[52:53], -1
	s_waitcnt lgkmcnt(0)
	s_barrier
	v_cmp_eq_u32_sdwa s[2:3], v7, v23 src0_sel:BYTE_0 src1_sel:DWORD
	s_and_b64 vcc, exec, s[2:3]
	s_cbranch_vccnz .LBB26_229
.LBB26_225:                             ;   in Loop: Header=BB26_226 Depth=2
	s_and_b64 s[2:3], exec, s[8:9]
	s_or_b64 s[22:23], s[2:3], s[22:23]
	s_andn2_b64 s[2:3], s[28:29], exec
	s_and_b64 s[8:9], s[52:53], exec
	s_or_b64 s[28:29], s[2:3], s[8:9]
	s_andn2_b64 exec, exec, s[22:23]
	s_cbranch_execz .LBB26_231
.LBB26_226:                             ;   Parent Loop BB26_15 Depth=1
                                        ; =>  This Inner Loop Header: Depth=2
	v_cmp_gt_u32_e32 vcc, s36, v6
	s_and_saveexec_b64 s[8:9], vcc
	s_cbranch_execz .LBB26_224
; %bb.227:                              ;   in Loop: Header=BB26_226 Depth=2
	global_load_ubyte v7, v5, s[40:41]
	s_waitcnt vmcnt(0)
	v_add_u32_sdwa v8, sext(v7), s20 dst_sel:DWORD dst_unused:UNUSED_PAD src0_sel:BYTE_0 src1_sel:DWORD
	v_and_b32_e32 v8, v8, v2
	v_cmp_eq_u32_e32 vcc, v8, v3
	s_and_b64 exec, exec, vcc
	s_cbranch_execz .LBB26_224
; %bb.228:                              ;   in Loop: Header=BB26_226 Depth=2
	v_lshlrev_b16_e32 v7, 8, v7
	v_or_b32_e32 v7, 1, v7
	ds_write_b16 v23, v7 offset:3072
	s_branch .LBB26_224
.LBB26_229:                             ;   in Loop: Header=BB26_226 Depth=2
	v_add_u32_e32 v6, s42, v6
	v_cmp_le_u32_e32 vcc, s4, v6
	v_add_u32_e32 v5, s44, v5
	s_mov_b64 s[52:53], 0
	s_orn2_b64 s[8:9], vcc, exec
	s_branch .LBB26_225
.LBB26_230:                             ;   in Loop: Header=BB26_15 Depth=1
	s_mov_b64 s[28:29], 0
	s_branch .LBB26_233
.LBB26_231:                             ;   in Loop: Header=BB26_15 Depth=1
	s_or_b64 exec, exec, s[22:23]
	s_andn2_b64 s[2:3], s[58:59], exec
	s_and_b64 s[8:9], s[28:29], exec
	v_lshrrev_b32_sdwa v5, v37, v7 dst_sel:DWORD dst_unused:UNUSED_PAD src0_sel:DWORD src1_sel:WORD_0
	s_or_b64 s[58:59], s[2:3], s[8:9]
.LBB26_232:                             ;   in Loop: Header=BB26_15 Depth=1
	s_or_b64 exec, exec, s[12:13]
	s_mov_b64 s[52:53], 0
	s_mov_b64 s[28:29], -1
.LBB26_233:                             ;   in Loop: Header=BB26_15 Depth=1
	s_orn2_b64 s[8:9], s[58:59], exec
.LBB26_234:                             ;   in Loop: Header=BB26_15 Depth=1
	s_or_b64 exec, exec, s[56:57]
	s_mov_b64 s[22:23], 0
	s_and_saveexec_b64 s[56:57], s[8:9]
	s_cbranch_execz .LBB26_245
; %bb.235:                              ;   in Loop: Header=BB26_15 Depth=1
	v_readlane_b32 s2, v51, 50
	v_readlane_b32 s3, v51, 51
	s_xor_b64 s[8:9], s[2:3], -1
	v_mov_b32_e32 v1, 1
	v_mov_b32_e32 v6, 1
	s_and_saveexec_b64 s[2:3], s[8:9]
	s_cbranch_execz .LBB26_244
; %bb.236:                              ;   in Loop: Header=BB26_15 Depth=1
	v_cmp_ge_u32_e32 vcc, s21, v4
	s_and_saveexec_b64 s[8:9], vcc
	s_xor_b64 s[8:9], exec, s[8:9]
	s_cbranch_execz .LBB26_241
; %bb.237:                              ;   in Loop: Header=BB26_15 Depth=1
	ds_read_b32 v1, v23 offset:4096
	v_or_b32_e32 v3, s38, v3
	v_or_b32_e32 v2, s38, v2
	s_waitcnt lgkmcnt(0)
	v_cmp_ne_u32_e32 vcc, 0, v1
	s_cbranch_vccnz .LBB26_241
; %bb.238:                              ;   in Loop: Header=BB26_15 Depth=1
	s_mov_b64 s[22:23], exec
	v_readlane_b32 s12, v51, 7
	v_readlane_b32 s13, v51, 8
	s_and_b64 s[12:13], s[22:23], s[12:13]
	s_mov_b64 exec, s[12:13]
; %bb.239:                              ;   in Loop: Header=BB26_15 Depth=1
	v_mov_b32_e32 v1, s21
	ds_write_b32 v23, v1 offset:4100
; %bb.240:                              ;   in Loop: Header=BB26_15 Depth=1
	s_or_b64 exec, exec, s[22:23]
	s_waitcnt lgkmcnt(0)
	s_barrier
.LBB26_241:                             ;   in Loop: Header=BB26_15 Depth=1
	s_andn2_saveexec_b64 s[8:9], s[8:9]
; %bb.242:                              ;   in Loop: Header=BB26_15 Depth=1
	v_subrev_u32_e32 v4, s21, v4
; %bb.243:                              ;   in Loop: Header=BB26_15 Depth=1
	s_or_b64 exec, exec, s[8:9]
	v_mov_b32_e32 v1, 8
	v_mov_b32_e32 v6, v4
.LBB26_244:                             ;   in Loop: Header=BB26_15 Depth=1
	s_or_b64 exec, exec, s[2:3]
	s_mov_b64 s[22:23], exec
	v_mov_b32_e32 v4, v6
.LBB26_245:                             ;   in Loop: Header=BB26_15 Depth=1
	s_or_b64 exec, exec, s[56:57]
	s_orn2_b64 s[2:3], s[22:23], exec
.LBB26_246:                             ;   in Loop: Header=BB26_15 Depth=1
	s_or_b64 exec, exec, s[24:25]
	s_andn2_b64 s[8:9], s[14:15], exec
	s_and_b64 s[12:13], s[28:29], exec
	s_or_b64 s[14:15], s[8:9], s[12:13]
	s_andn2_b64 s[8:9], s[48:49], exec
	s_and_b64 s[12:13], s[52:53], exec
	s_or_b64 s[48:49], s[8:9], s[12:13]
	s_and_b64 s[2:3], s[2:3], exec
	v_mov_b32_e32 v6, v4
.LBB26_247:                             ;   in Loop: Header=BB26_15 Depth=1
	s_or_b64 exec, exec, s[16:17]
	s_orn2_b64 s[2:3], s[2:3], exec
.LBB26_248:                             ;   in Loop: Header=BB26_15 Depth=1
	s_or_b64 exec, exec, s[46:47]
	s_andn2_b64 s[8:9], s[84:85], exec
	s_and_b64 s[12:13], s[14:15], exec
	s_or_b64 s[84:85], s[8:9], s[12:13]
	s_andn2_b64 s[8:9], s[34:35], exec
	s_and_b64 s[12:13], s[48:49], exec
	s_or_b64 s[34:35], s[8:9], s[12:13]
	s_and_b64 s[2:3], s[2:3], exec
	v_mov_b32_e32 v4, v6
.LBB26_249:                             ;   in Loop: Header=BB26_15 Depth=1
	s_or_b64 exec, exec, s[94:95]
	s_orn2_b64 s[2:3], s[2:3], exec
.LBB26_250:                             ;   in Loop: Header=BB26_15 Depth=1
	s_or_b64 exec, exec, s[6:7]
	s_mov_b64 s[6:7], 0
	s_mov_b64 s[8:9], 0
	s_and_saveexec_b64 s[12:13], s[2:3]
	s_xor_b64 s[2:3], exec, s[12:13]
; %bb.251:                              ;   in Loop: Header=BB26_15 Depth=1
	v_cmp_eq_u32_e32 vcc, 8, v1
	v_cmp_ne_u32_e64 s[6:7], 8, v1
	s_and_b64 s[8:9], s[6:7], exec
	s_and_b64 s[6:7], vcc, exec
; %bb.252:                              ;   in Loop: Header=BB26_15 Depth=1
	s_or_b64 exec, exec, s[2:3]
	s_andn2_b64 s[2:3], s[88:89], exec
	s_and_b64 s[12:13], s[84:85], exec
	s_or_b64 s[88:89], s[2:3], s[12:13]
	s_andn2_b64 s[2:3], s[86:87], exec
	s_and_b64 s[12:13], s[34:35], exec
	s_or_b64 s[86:87], s[2:3], s[12:13]
	s_and_b64 s[34:35], s[8:9], exec
	s_and_b64 s[84:85], s[6:7], exec
.LBB26_253:                             ;   in Loop: Header=BB26_15 Depth=1
	s_or_b64 exec, exec, s[92:93]
.LBB26_254:                             ;   in Loop: Header=BB26_15 Depth=1
	s_and_b64 vcc, exec, s[90:91]
	s_cbranch_vccz .LBB26_267
; %bb.255:                              ;   in Loop: Header=BB26_15 Depth=1
	s_cmp_eq_u32 s21, 1
	s_cselect_b64 s[2:3], -1, 0
	s_and_b64 s[6:7], s[2:3], s[26:27]
	s_mov_b64 s[8:9], -1
                                        ; implicit-def: $sgpr26_sgpr27
                                        ; implicit-def: $sgpr30_sgpr31
	s_and_saveexec_b64 s[2:3], s[6:7]
	s_cbranch_execz .LBB26_282
; %bb.256:                              ;   in Loop: Header=BB26_15 Depth=1
	ds_read_b32 v1, v23 offset:4096
	s_waitcnt lgkmcnt(0)
	s_barrier
	v_readfirstlane_b32 s28, v1
	s_mov_b64 s[8:9], exec
	v_readlane_b32 s12, v51, 21
	v_readlane_b32 s13, v51, 22
	s_and_b64 s[12:13], s[8:9], s[12:13]
	s_mov_b64 exec, s[12:13]
; %bb.257:                              ;   in Loop: Header=BB26_15 Depth=1
	ds_write_b8 v0, v23 offset:3072
; %bb.258:                              ;   in Loop: Header=BB26_15 Depth=1
	s_or_b64 exec, exec, s[8:9]
	v_or_b32_e32 v32, s38, v32
	v_or_b32_e32 v38, s38, v38
	s_mov_b64 s[30:31], -1
	s_mov_b64 s[26:27], 0
	s_cmp_eq_u32 s28, 0
	s_mov_b64 s[12:13], 0
	s_mov_b64 s[14:15], -1
	s_waitcnt lgkmcnt(0)
	s_barrier
                                        ; implicit-def: $vgpr39
	s_cbranch_scc1 .LBB26_270
; %bb.259:                              ;   in Loop: Header=BB26_15 Depth=1
	v_readlane_b32 s8, v51, 23
	s_add_i32 s8, s28, s8
	v_readlane_b32 s9, v51, 45
	s_mul_hi_u32 s9, s8, s9
	s_mul_i32 s9, s9, s42
	s_sub_i32 s9, s8, s9
	s_sub_i32 s12, s9, s42
	s_cmp_ge_u32 s9, s42
	s_cselect_b32 s9, s12, s9
	s_sub_i32 s12, s9, s42
	s_cmp_ge_u32 s9, s42
	s_cselect_b32 s9, s12, s9
	s_sub_i32 s29, s8, s9
	v_cmp_gt_u32_e32 vcc, s29, v0
	s_mov_b64 s[14:15], 0
	s_mov_b64 s[12:13], 0
                                        ; implicit-def: $vgpr39
	s_and_saveexec_b64 s[16:17], vcc
	s_cbranch_execz .LBB26_269
; %bb.260:                              ;   in Loop: Header=BB26_15 Depth=1
	v_mov_b32_e32 v1, v0
                                        ; implicit-def: $sgpr22_sgpr23
	s_branch .LBB26_263
.LBB26_261:                             ;   in Loop: Header=BB26_263 Depth=2
	s_or_b64 exec, exec, s[8:9]
	s_waitcnt lgkmcnt(0)
	s_barrier
	ds_read_u16 v2, v23 offset:3072
	s_mov_b64 s[8:9], -1
	s_waitcnt lgkmcnt(0)
	s_barrier
	v_cmp_ne_u32_sdwa s[24:25], v2, v23 src0_sel:BYTE_0 src1_sel:DWORD
	s_and_b64 vcc, exec, s[24:25]
	s_mov_b64 s[24:25], -1
	s_cbranch_vccz .LBB26_266
.LBB26_262:                             ;   in Loop: Header=BB26_263 Depth=2
	s_and_b64 s[8:9], exec, s[8:9]
	s_or_b64 s[12:13], s[8:9], s[12:13]
	s_andn2_b64 s[8:9], s[22:23], exec
	s_and_b64 s[22:23], s[24:25], exec
	s_or_b64 s[22:23], s[8:9], s[22:23]
	s_andn2_b64 exec, exec, s[12:13]
	s_cbranch_execz .LBB26_268
.LBB26_263:                             ;   Parent Loop BB26_15 Depth=1
                                        ; =>  This Inner Loop Header: Depth=2
	v_cmp_gt_u32_e32 vcc, s28, v1
	s_and_saveexec_b64 s[8:9], vcc
	s_cbranch_execz .LBB26_261
; %bb.264:                              ;   in Loop: Header=BB26_263 Depth=2
	ds_read_u8 v2, v1
	s_waitcnt lgkmcnt(0)
	v_add_u32_sdwa v3, sext(v2), s20 dst_sel:DWORD dst_unused:UNUSED_PAD src0_sel:BYTE_0 src1_sel:DWORD
	v_and_b32_e32 v3, v3, v38
	v_cmp_eq_u32_e32 vcc, v3, v32
	s_and_b64 exec, exec, vcc
	s_cbranch_execz .LBB26_261
; %bb.265:                              ;   in Loop: Header=BB26_263 Depth=2
	v_lshlrev_b16_e32 v2, 8, v2
	v_or_b32_e32 v2, 1, v2
	ds_write_b16 v23, v2 offset:3072
	s_branch .LBB26_261
.LBB26_266:                             ;   in Loop: Header=BB26_263 Depth=2
	v_add_u32_e32 v1, s42, v1
	v_cmp_le_u32_e32 vcc, s29, v1
	s_mov_b64 s[24:25], 0
	s_orn2_b64 s[8:9], vcc, exec
	s_branch .LBB26_262
.LBB26_267:                             ;   in Loop: Header=BB26_15 Depth=1
	s_mov_b64 s[26:27], 0
	v_mov_b32_e32 v32, v3
	v_mov_b32_e32 v38, v2
	;; [unrolled: 1-line block ×3, first 2 shown]
	s_and_saveexec_b64 s[2:3], s[84:85]
	s_cbranch_execnz .LBB26_413
	s_branch .LBB26_414
.LBB26_268:                             ;   in Loop: Header=BB26_15 Depth=1
	s_or_b64 exec, exec, s[12:13]
	v_lshrrev_b32_sdwa v39, v37, v2 dst_sel:DWORD dst_unused:UNUSED_PAD src0_sel:DWORD src1_sel:WORD_0
	s_and_b64 s[12:13], s[22:23], exec
.LBB26_269:                             ;   in Loop: Header=BB26_15 Depth=1
	s_or_b64 exec, exec, s[16:17]
.LBB26_270:                             ;   in Loop: Header=BB26_15 Depth=1
	s_and_b64 vcc, exec, s[14:15]
	s_cbranch_vccz .LBB26_281
; %bb.271:                              ;   in Loop: Header=BB26_15 Depth=1
                                        ; implicit-def: $vgpr39
	s_mov_b64 s[14:15], exec
	v_readlane_b32 s8, v51, 46
	v_readlane_b32 s9, v51, 47
	s_and_b64 s[8:9], s[14:15], s[8:9]
	s_mov_b64 exec, s[8:9]
	s_cbranch_execz .LBB26_280
; %bb.272:                              ;   in Loop: Header=BB26_15 Depth=1
	s_mov_b64 s[16:17], 0
	v_mov_b32_e32 v1, v22
	v_mov_b32_e32 v2, v0
                                        ; implicit-def: $sgpr22_sgpr23
	s_branch .LBB26_275
.LBB26_273:                             ;   in Loop: Header=BB26_275 Depth=2
	s_or_b64 exec, exec, s[8:9]
	s_waitcnt lgkmcnt(0)
	s_barrier
	ds_read_u16 v3, v23 offset:3072
	s_mov_b64 s[8:9], -1
	s_waitcnt lgkmcnt(0)
	s_barrier
	v_cmp_ne_u32_sdwa s[24:25], v3, v23 src0_sel:BYTE_0 src1_sel:DWORD
	s_and_b64 vcc, exec, s[24:25]
	s_mov_b64 s[24:25], -1
	s_cbranch_vccz .LBB26_278
.LBB26_274:                             ;   in Loop: Header=BB26_275 Depth=2
	s_and_b64 s[8:9], exec, s[8:9]
	s_or_b64 s[16:17], s[8:9], s[16:17]
	s_andn2_b64 s[8:9], s[22:23], exec
	s_and_b64 s[22:23], s[24:25], exec
	s_or_b64 s[22:23], s[8:9], s[22:23]
	s_andn2_b64 exec, exec, s[16:17]
	s_cbranch_execz .LBB26_279
.LBB26_275:                             ;   Parent Loop BB26_15 Depth=1
                                        ; =>  This Inner Loop Header: Depth=2
	v_cmp_gt_u32_e32 vcc, s36, v2
	s_and_saveexec_b64 s[8:9], vcc
	s_cbranch_execz .LBB26_273
; %bb.276:                              ;   in Loop: Header=BB26_275 Depth=2
	global_load_ubyte v3, v1, s[40:41]
	s_waitcnt vmcnt(0)
	v_add_u32_sdwa v4, sext(v3), s20 dst_sel:DWORD dst_unused:UNUSED_PAD src0_sel:BYTE_0 src1_sel:DWORD
	v_and_b32_e32 v4, v4, v38
	v_cmp_eq_u32_e32 vcc, v4, v32
	s_and_b64 exec, exec, vcc
	s_cbranch_execz .LBB26_273
; %bb.277:                              ;   in Loop: Header=BB26_275 Depth=2
	v_lshlrev_b16_e32 v3, 8, v3
	v_or_b32_e32 v3, 1, v3
	ds_write_b16 v23, v3 offset:3072
	s_branch .LBB26_273
.LBB26_278:                             ;   in Loop: Header=BB26_275 Depth=2
	v_add_u32_e32 v2, s42, v2
	v_cmp_le_u32_e32 vcc, s4, v2
	v_add_u32_e32 v1, s44, v1
	s_mov_b64 s[24:25], 0
	s_orn2_b64 s[8:9], vcc, exec
	s_branch .LBB26_274
.LBB26_279:                             ;   in Loop: Header=BB26_15 Depth=1
	s_or_b64 exec, exec, s[16:17]
	s_andn2_b64 s[8:9], s[12:13], exec
	s_and_b64 s[12:13], s[22:23], exec
	v_lshrrev_b32_sdwa v39, v37, v3 dst_sel:DWORD dst_unused:UNUSED_PAD src0_sel:DWORD src1_sel:WORD_0
	s_or_b64 s[12:13], s[8:9], s[12:13]
.LBB26_280:                             ;   in Loop: Header=BB26_15 Depth=1
	s_or_b64 exec, exec, s[14:15]
	s_mov_b64 s[30:31], 0
	s_mov_b64 s[26:27], -1
.LBB26_281:                             ;   in Loop: Header=BB26_15 Depth=1
	s_orn2_b64 s[8:9], s[12:13], exec
.LBB26_282:                             ;   in Loop: Header=BB26_15 Depth=1
	s_or_b64 exec, exec, s[2:3]
                                        ; implicit-def: $vgpr4
                                        ; implicit-def: $vgpr1
	s_and_saveexec_b64 s[86:87], s[8:9]
	s_cbranch_execz .LBB26_412
; %bb.283:                              ;   in Loop: Header=BB26_15 Depth=1
	s_xor_b64 s[8:9], s[6:7], -1
	s_mov_b64 s[6:7], 0
	v_mov_b32_e32 v4, 1
	v_mov_b32_e32 v1, 1
	s_and_saveexec_b64 s[2:3], s[8:9]
	s_cbranch_execz .LBB26_292
; %bb.284:                              ;   in Loop: Header=BB26_15 Depth=1
	v_cmp_ge_u32_e32 vcc, s21, v40
	s_and_saveexec_b64 s[6:7], vcc
	s_xor_b64 s[6:7], exec, s[6:7]
	s_cbranch_execz .LBB26_289
; %bb.285:                              ;   in Loop: Header=BB26_15 Depth=1
	ds_read_b32 v1, v23 offset:4096
	v_or_b32_e32 v32, s38, v32
	v_or_b32_e32 v38, s38, v38
	s_waitcnt lgkmcnt(0)
	v_cmp_ne_u32_e32 vcc, 0, v1
	s_cbranch_vccnz .LBB26_289
; %bb.286:                              ;   in Loop: Header=BB26_15 Depth=1
	s_mov_b64 s[8:9], exec
	v_readlane_b32 s12, v51, 7
	v_readlane_b32 s13, v51, 8
	s_and_b64 s[12:13], s[8:9], s[12:13]
	s_mov_b64 exec, s[12:13]
; %bb.287:                              ;   in Loop: Header=BB26_15 Depth=1
	v_mov_b32_e32 v1, s21
	ds_write_b32 v23, v1 offset:4100
; %bb.288:                              ;   in Loop: Header=BB26_15 Depth=1
	s_or_b64 exec, exec, s[8:9]
	s_waitcnt lgkmcnt(0)
	s_barrier
.LBB26_289:                             ;   in Loop: Header=BB26_15 Depth=1
	s_or_saveexec_b64 s[6:7], s[6:7]
	s_mov_b64 s[8:9], 0
	v_mov_b32_e32 v1, 5
	s_xor_b64 exec, exec, s[6:7]
; %bb.290:                              ;   in Loop: Header=BB26_15 Depth=1
	v_subrev_u32_e32 v40, s21, v40
	v_mov_b32_e32 v1, 0
	s_mov_b64 s[8:9], exec
; %bb.291:                              ;   in Loop: Header=BB26_15 Depth=1
	s_or_b64 exec, exec, s[6:7]
	s_and_b64 s[6:7], s[8:9], exec
	v_mov_b32_e32 v4, v40
.LBB26_292:                             ;   in Loop: Header=BB26_15 Depth=1
	s_or_b64 exec, exec, s[2:3]
	s_mov_b64 s[2:3], -1
                                        ; implicit-def: $sgpr88_sgpr89
                                        ; implicit-def: $sgpr90_sgpr91
	s_and_saveexec_b64 s[8:9], s[6:7]
	s_xor_b64 s[6:7], exec, s[8:9]
	s_cbranch_execz .LBB26_409
; %bb.293:                              ;   in Loop: Header=BB26_15 Depth=1
	s_cmp_eq_u32 s51, 1
	s_cselect_b64 s[2:3], -1, 0
	v_cmp_eq_u32_e32 vcc, 1, v4
	s_and_b64 s[12:13], s[2:3], vcc
	s_mov_b64 s[8:9], -1
                                        ; implicit-def: $sgpr90_sgpr91
                                        ; implicit-def: $sgpr88_sgpr89
	s_and_saveexec_b64 s[2:3], s[12:13]
	s_cbranch_execz .LBB26_319
; %bb.294:                              ;   in Loop: Header=BB26_15 Depth=1
	ds_read_b32 v2, v23 offset:4096
	s_waitcnt lgkmcnt(0)
	s_barrier
	v_readfirstlane_b32 s21, v2
	s_mov_b64 s[8:9], exec
	v_readlane_b32 s14, v51, 21
	v_readlane_b32 s15, v51, 22
	s_and_b64 s[14:15], s[8:9], s[14:15]
	s_mov_b64 exec, s[14:15]
; %bb.295:                              ;   in Loop: Header=BB26_15 Depth=1
	ds_write_b8 v0, v23 offset:3072
; %bb.296:                              ;   in Loop: Header=BB26_15 Depth=1
	s_or_b64 exec, exec, s[8:9]
	v_and_b32_e32 v2, s39, v32
	v_lshl_or_b32 v32, 2, s10, v2
	v_or_b32_e32 v38, s38, v38
	s_mov_b64 s[88:89], -1
	s_mov_b64 s[90:91], 0
	s_cmp_eq_u32 s21, 0
	s_mov_b64 s[14:15], 0
	s_mov_b64 s[16:17], -1
	s_waitcnt lgkmcnt(0)
	s_barrier
                                        ; implicit-def: $vgpr39
	s_cbranch_scc1 .LBB26_307
; %bb.297:                              ;   in Loop: Header=BB26_15 Depth=1
	v_readlane_b32 s8, v51, 23
	s_add_i32 s8, s21, s8
	v_readlane_b32 s9, v51, 45
	s_mul_hi_u32 s9, s8, s9
	s_mul_i32 s9, s9, s42
	s_sub_i32 s9, s8, s9
	s_sub_i32 s14, s9, s42
	s_cmp_ge_u32 s9, s42
	s_cselect_b32 s9, s14, s9
	s_sub_i32 s14, s9, s42
	s_cmp_ge_u32 s9, s42
	s_cselect_b32 s9, s14, s9
	s_sub_i32 s46, s8, s9
	v_cmp_gt_u32_e32 vcc, s46, v0
	s_mov_b64 s[16:17], 0
	s_mov_b64 s[14:15], 0
                                        ; implicit-def: $vgpr39
	s_and_saveexec_b64 s[24:25], vcc
	s_cbranch_execz .LBB26_306
; %bb.298:                              ;   in Loop: Header=BB26_15 Depth=1
	v_mov_b32_e32 v2, v0
                                        ; implicit-def: $sgpr22_sgpr23
	s_branch .LBB26_301
.LBB26_299:                             ;   in Loop: Header=BB26_301 Depth=2
	s_or_b64 exec, exec, s[8:9]
	s_waitcnt lgkmcnt(0)
	s_barrier
	ds_read_u16 v3, v23 offset:3072
	s_mov_b64 s[8:9], -1
	s_waitcnt lgkmcnt(0)
	s_barrier
	v_cmp_ne_u32_sdwa s[28:29], v3, v23 src0_sel:BYTE_0 src1_sel:DWORD
	s_and_b64 vcc, exec, s[28:29]
	s_mov_b64 s[28:29], -1
	s_cbranch_vccz .LBB26_304
.LBB26_300:                             ;   in Loop: Header=BB26_301 Depth=2
	s_and_b64 s[8:9], exec, s[8:9]
	s_or_b64 s[14:15], s[8:9], s[14:15]
	s_andn2_b64 s[8:9], s[22:23], exec
	s_and_b64 s[22:23], s[28:29], exec
	s_or_b64 s[22:23], s[8:9], s[22:23]
	s_andn2_b64 exec, exec, s[14:15]
	s_cbranch_execz .LBB26_305
.LBB26_301:                             ;   Parent Loop BB26_15 Depth=1
                                        ; =>  This Inner Loop Header: Depth=2
	v_cmp_gt_u32_e32 vcc, s21, v2
	s_and_saveexec_b64 s[8:9], vcc
	s_cbranch_execz .LBB26_299
; %bb.302:                              ;   in Loop: Header=BB26_301 Depth=2
	ds_read_u8 v3, v2
	s_waitcnt lgkmcnt(0)
	v_add_u32_sdwa v5, sext(v3), s20 dst_sel:DWORD dst_unused:UNUSED_PAD src0_sel:BYTE_0 src1_sel:DWORD
	v_and_b32_e32 v5, v5, v38
	v_cmp_eq_u32_e32 vcc, v5, v32
	s_and_b64 exec, exec, vcc
	s_cbranch_execz .LBB26_299
; %bb.303:                              ;   in Loop: Header=BB26_301 Depth=2
	v_lshlrev_b16_e32 v3, 8, v3
	v_or_b32_e32 v3, 1, v3
	ds_write_b16 v23, v3 offset:3072
	s_branch .LBB26_299
.LBB26_304:                             ;   in Loop: Header=BB26_301 Depth=2
	v_add_u32_e32 v2, s42, v2
	v_cmp_le_u32_e32 vcc, s46, v2
	s_mov_b64 s[28:29], 0
	s_orn2_b64 s[8:9], vcc, exec
	s_branch .LBB26_300
.LBB26_305:                             ;   in Loop: Header=BB26_15 Depth=1
	s_or_b64 exec, exec, s[14:15]
	v_lshrrev_b32_sdwa v39, v37, v3 dst_sel:DWORD dst_unused:UNUSED_PAD src0_sel:DWORD src1_sel:WORD_0
	s_and_b64 s[14:15], s[22:23], exec
.LBB26_306:                             ;   in Loop: Header=BB26_15 Depth=1
	s_or_b64 exec, exec, s[24:25]
.LBB26_307:                             ;   in Loop: Header=BB26_15 Depth=1
	s_and_b64 vcc, exec, s[16:17]
	s_cbranch_vccz .LBB26_318
; %bb.308:                              ;   in Loop: Header=BB26_15 Depth=1
                                        ; implicit-def: $vgpr39
	s_mov_b64 s[16:17], exec
	v_readlane_b32 s8, v51, 46
	v_readlane_b32 s9, v51, 47
	s_and_b64 s[8:9], s[16:17], s[8:9]
	s_mov_b64 exec, s[8:9]
	s_cbranch_execz .LBB26_317
; %bb.309:                              ;   in Loop: Header=BB26_15 Depth=1
	s_mov_b64 s[22:23], 0
	v_mov_b32_e32 v2, v22
	v_mov_b32_e32 v3, v0
                                        ; implicit-def: $sgpr24_sgpr25
	s_branch .LBB26_312
.LBB26_310:                             ;   in Loop: Header=BB26_312 Depth=2
	s_or_b64 exec, exec, s[8:9]
	s_waitcnt lgkmcnt(0)
	s_barrier
	ds_read_u16 v5, v23 offset:3072
	s_mov_b64 s[8:9], -1
	s_waitcnt lgkmcnt(0)
	s_barrier
	v_cmp_eq_u32_sdwa s[28:29], v5, v23 src0_sel:BYTE_0 src1_sel:DWORD
	s_and_b64 vcc, exec, s[28:29]
	s_mov_b64 s[28:29], -1
	s_cbranch_vccnz .LBB26_315
.LBB26_311:                             ;   in Loop: Header=BB26_312 Depth=2
	s_and_b64 s[8:9], exec, s[8:9]
	s_or_b64 s[22:23], s[8:9], s[22:23]
	s_andn2_b64 s[8:9], s[24:25], exec
	s_and_b64 s[24:25], s[28:29], exec
	s_or_b64 s[24:25], s[8:9], s[24:25]
	s_andn2_b64 exec, exec, s[22:23]
	s_cbranch_execz .LBB26_316
.LBB26_312:                             ;   Parent Loop BB26_15 Depth=1
                                        ; =>  This Inner Loop Header: Depth=2
	v_cmp_gt_u32_e32 vcc, s36, v3
	s_and_saveexec_b64 s[8:9], vcc
	s_cbranch_execz .LBB26_310
; %bb.313:                              ;   in Loop: Header=BB26_312 Depth=2
	global_load_ubyte v5, v2, s[40:41]
	s_waitcnt vmcnt(0)
	v_add_u32_sdwa v6, sext(v5), s20 dst_sel:DWORD dst_unused:UNUSED_PAD src0_sel:BYTE_0 src1_sel:DWORD
	v_and_b32_e32 v6, v6, v38
	v_cmp_eq_u32_e32 vcc, v6, v32
	s_and_b64 exec, exec, vcc
	s_cbranch_execz .LBB26_310
; %bb.314:                              ;   in Loop: Header=BB26_312 Depth=2
	v_lshlrev_b16_e32 v5, 8, v5
	v_or_b32_e32 v5, 1, v5
	ds_write_b16 v23, v5 offset:3072
	s_branch .LBB26_310
.LBB26_315:                             ;   in Loop: Header=BB26_312 Depth=2
	v_add_u32_e32 v3, s42, v3
	v_cmp_le_u32_e32 vcc, s4, v3
	v_add_u32_e32 v2, s44, v2
	s_mov_b64 s[28:29], 0
	s_orn2_b64 s[8:9], vcc, exec
	s_branch .LBB26_311
.LBB26_316:                             ;   in Loop: Header=BB26_15 Depth=1
	s_or_b64 exec, exec, s[22:23]
	s_andn2_b64 s[8:9], s[14:15], exec
	s_and_b64 s[14:15], s[24:25], exec
	v_lshrrev_b32_sdwa v39, v37, v5 dst_sel:DWORD dst_unused:UNUSED_PAD src0_sel:DWORD src1_sel:WORD_0
	s_or_b64 s[14:15], s[8:9], s[14:15]
.LBB26_317:                             ;   in Loop: Header=BB26_15 Depth=1
	s_or_b64 exec, exec, s[16:17]
	s_mov_b64 s[88:89], 0
	s_mov_b64 s[90:91], -1
.LBB26_318:                             ;   in Loop: Header=BB26_15 Depth=1
	s_orn2_b64 s[8:9], s[14:15], exec
.LBB26_319:                             ;   in Loop: Header=BB26_15 Depth=1
	s_or_b64 exec, exec, s[2:3]
	s_mov_b64 s[2:3], 0
	s_and_saveexec_b64 s[92:93], s[8:9]
	s_cbranch_execz .LBB26_408
; %bb.320:                              ;   in Loop: Header=BB26_15 Depth=1
	s_xor_b64 s[12:13], s[12:13], -1
	s_mov_b64 s[8:9], 0
	v_mov_b32_e32 v2, 1
	v_mov_b32_e32 v1, 1
	s_and_saveexec_b64 s[2:3], s[12:13]
	s_cbranch_execz .LBB26_329
; %bb.321:                              ;   in Loop: Header=BB26_15 Depth=1
	v_cmp_ge_u32_e32 vcc, s51, v4
	s_and_saveexec_b64 s[8:9], vcc
	s_xor_b64 s[8:9], exec, s[8:9]
	s_cbranch_execz .LBB26_326
; %bb.322:                              ;   in Loop: Header=BB26_15 Depth=1
	v_and_b32_e32 v1, s39, v32
	v_lshl_or_b32 v32, 2, s10, v1
	ds_read_b32 v1, v23 offset:4096
	v_or_b32_e32 v38, s38, v38
	s_waitcnt lgkmcnt(0)
	v_cmp_ne_u32_e32 vcc, 0, v1
	s_cbranch_vccnz .LBB26_326
; %bb.323:                              ;   in Loop: Header=BB26_15 Depth=1
	s_mov_b64 s[12:13], exec
	v_readlane_b32 s14, v51, 7
	v_readlane_b32 s15, v51, 8
	s_and_b64 s[14:15], s[12:13], s[14:15]
	s_mov_b64 exec, s[14:15]
; %bb.324:                              ;   in Loop: Header=BB26_15 Depth=1
	v_mov_b32_e32 v1, s51
	ds_write_b32 v23, v1 offset:4100
; %bb.325:                              ;   in Loop: Header=BB26_15 Depth=1
	s_or_b64 exec, exec, s[12:13]
	s_waitcnt lgkmcnt(0)
	s_barrier
.LBB26_326:                             ;   in Loop: Header=BB26_15 Depth=1
	s_or_saveexec_b64 s[8:9], s[8:9]
	s_mov_b64 s[12:13], 0
	v_mov_b32_e32 v1, 5
	s_xor_b64 exec, exec, s[8:9]
; %bb.327:                              ;   in Loop: Header=BB26_15 Depth=1
	v_subrev_u32_e32 v4, s51, v4
	v_mov_b32_e32 v1, 0
	s_mov_b64 s[12:13], exec
; %bb.328:                              ;   in Loop: Header=BB26_15 Depth=1
	s_or_b64 exec, exec, s[8:9]
	s_and_b64 s[8:9], s[12:13], exec
	v_mov_b32_e32 v2, v4
.LBB26_329:                             ;   in Loop: Header=BB26_15 Depth=1
	s_or_b64 exec, exec, s[2:3]
	s_mov_b64 s[2:3], -1
                                        ; implicit-def: $sgpr46_sgpr47
                                        ; implicit-def: $sgpr48_sgpr49
	s_and_saveexec_b64 s[94:95], s[8:9]
	s_cbranch_execz .LBB26_407
; %bb.330:                              ;   in Loop: Header=BB26_15 Depth=1
	s_cmp_eq_u32 s50, 1
	s_cselect_b64 s[2:3], -1, 0
	v_cmp_eq_u32_e32 vcc, 1, v2
	s_and_b64 s[12:13], s[2:3], vcc
	s_mov_b64 s[8:9], -1
                                        ; implicit-def: $sgpr48_sgpr49
                                        ; implicit-def: $sgpr46_sgpr47
	s_and_saveexec_b64 s[2:3], s[12:13]
	s_cbranch_execz .LBB26_356
; %bb.331:                              ;   in Loop: Header=BB26_15 Depth=1
	ds_read_b32 v3, v23 offset:4096
	s_waitcnt lgkmcnt(0)
	s_barrier
	v_readfirstlane_b32 s21, v3
	s_mov_b64 s[8:9], exec
	v_readlane_b32 s14, v51, 21
	v_readlane_b32 s15, v51, 22
	s_and_b64 s[14:15], s[8:9], s[14:15]
	s_mov_b64 exec, s[14:15]
; %bb.332:                              ;   in Loop: Header=BB26_15 Depth=1
	ds_write_b8 v0, v23 offset:3072
; %bb.333:                              ;   in Loop: Header=BB26_15 Depth=1
	s_or_b64 exec, exec, s[8:9]
	v_and_b32_e32 v3, s39, v32
	v_lshl_or_b32 v32, 1, s10, v3
	v_or_b32_e32 v38, s38, v38
	s_mov_b64 s[46:47], -1
	s_mov_b64 s[48:49], 0
	s_cmp_eq_u32 s21, 0
	s_mov_b64 s[14:15], 0
	s_mov_b64 s[16:17], -1
	s_waitcnt lgkmcnt(0)
	s_barrier
                                        ; implicit-def: $vgpr39
	s_cbranch_scc1 .LBB26_344
; %bb.334:                              ;   in Loop: Header=BB26_15 Depth=1
	v_readlane_b32 s8, v51, 23
	s_add_i32 s8, s21, s8
	v_readlane_b32 s9, v51, 45
	s_mul_hi_u32 s9, s8, s9
	s_mul_i32 s9, s9, s42
	s_sub_i32 s9, s8, s9
	s_sub_i32 s14, s9, s42
	s_cmp_ge_u32 s9, s42
	s_cselect_b32 s9, s14, s9
	s_sub_i32 s14, s9, s42
	s_cmp_ge_u32 s9, s42
	s_cselect_b32 s9, s14, s9
	s_sub_i32 s51, s8, s9
	v_cmp_gt_u32_e32 vcc, s51, v0
	s_mov_b64 s[16:17], 0
	s_mov_b64 s[14:15], 0
                                        ; implicit-def: $vgpr39
	s_and_saveexec_b64 s[24:25], vcc
	s_cbranch_execz .LBB26_343
; %bb.335:                              ;   in Loop: Header=BB26_15 Depth=1
	v_mov_b32_e32 v3, v0
                                        ; implicit-def: $sgpr22_sgpr23
	s_branch .LBB26_338
.LBB26_336:                             ;   in Loop: Header=BB26_338 Depth=2
	s_or_b64 exec, exec, s[8:9]
	s_waitcnt lgkmcnt(0)
	s_barrier
	ds_read_u16 v4, v23 offset:3072
	s_mov_b64 s[8:9], -1
	s_waitcnt lgkmcnt(0)
	s_barrier
	v_cmp_ne_u32_sdwa s[28:29], v4, v23 src0_sel:BYTE_0 src1_sel:DWORD
	s_and_b64 vcc, exec, s[28:29]
	s_mov_b64 s[28:29], -1
	s_cbranch_vccz .LBB26_341
.LBB26_337:                             ;   in Loop: Header=BB26_338 Depth=2
	s_and_b64 s[8:9], exec, s[8:9]
	s_or_b64 s[14:15], s[8:9], s[14:15]
	s_andn2_b64 s[8:9], s[22:23], exec
	s_and_b64 s[22:23], s[28:29], exec
	s_or_b64 s[22:23], s[8:9], s[22:23]
	s_andn2_b64 exec, exec, s[14:15]
	s_cbranch_execz .LBB26_342
.LBB26_338:                             ;   Parent Loop BB26_15 Depth=1
                                        ; =>  This Inner Loop Header: Depth=2
	v_cmp_gt_u32_e32 vcc, s21, v3
	s_and_saveexec_b64 s[8:9], vcc
	s_cbranch_execz .LBB26_336
; %bb.339:                              ;   in Loop: Header=BB26_338 Depth=2
	ds_read_u8 v4, v3
	s_waitcnt lgkmcnt(0)
	v_add_u32_sdwa v5, sext(v4), s20 dst_sel:DWORD dst_unused:UNUSED_PAD src0_sel:BYTE_0 src1_sel:DWORD
	v_and_b32_e32 v5, v5, v38
	v_cmp_eq_u32_e32 vcc, v5, v32
	s_and_b64 exec, exec, vcc
	s_cbranch_execz .LBB26_336
; %bb.340:                              ;   in Loop: Header=BB26_338 Depth=2
	v_lshlrev_b16_e32 v4, 8, v4
	v_or_b32_e32 v4, 1, v4
	ds_write_b16 v23, v4 offset:3072
	s_branch .LBB26_336
.LBB26_341:                             ;   in Loop: Header=BB26_338 Depth=2
	v_add_u32_e32 v3, s42, v3
	v_cmp_le_u32_e32 vcc, s51, v3
	s_mov_b64 s[28:29], 0
	s_orn2_b64 s[8:9], vcc, exec
	s_branch .LBB26_337
.LBB26_342:                             ;   in Loop: Header=BB26_15 Depth=1
	s_or_b64 exec, exec, s[14:15]
	v_lshrrev_b32_sdwa v39, v37, v4 dst_sel:DWORD dst_unused:UNUSED_PAD src0_sel:DWORD src1_sel:WORD_0
	s_and_b64 s[14:15], s[22:23], exec
.LBB26_343:                             ;   in Loop: Header=BB26_15 Depth=1
	s_or_b64 exec, exec, s[24:25]
.LBB26_344:                             ;   in Loop: Header=BB26_15 Depth=1
	s_and_b64 vcc, exec, s[16:17]
	s_cbranch_vccz .LBB26_355
; %bb.345:                              ;   in Loop: Header=BB26_15 Depth=1
                                        ; implicit-def: $vgpr39
	s_mov_b64 s[16:17], exec
	v_readlane_b32 s8, v51, 46
	v_readlane_b32 s9, v51, 47
	s_and_b64 s[8:9], s[16:17], s[8:9]
	s_mov_b64 exec, s[8:9]
	s_cbranch_execz .LBB26_354
; %bb.346:                              ;   in Loop: Header=BB26_15 Depth=1
	s_mov_b64 s[22:23], 0
	v_mov_b32_e32 v3, v22
	v_mov_b32_e32 v4, v0
                                        ; implicit-def: $sgpr24_sgpr25
	s_branch .LBB26_349
.LBB26_347:                             ;   in Loop: Header=BB26_349 Depth=2
	s_or_b64 exec, exec, s[8:9]
	s_waitcnt lgkmcnt(0)
	s_barrier
	ds_read_u16 v5, v23 offset:3072
	s_mov_b64 s[8:9], -1
	s_waitcnt lgkmcnt(0)
	s_barrier
	v_cmp_eq_u32_sdwa s[28:29], v5, v23 src0_sel:BYTE_0 src1_sel:DWORD
	s_and_b64 vcc, exec, s[28:29]
	s_mov_b64 s[28:29], -1
	s_cbranch_vccnz .LBB26_352
.LBB26_348:                             ;   in Loop: Header=BB26_349 Depth=2
	s_and_b64 s[8:9], exec, s[8:9]
	s_or_b64 s[22:23], s[8:9], s[22:23]
	s_andn2_b64 s[8:9], s[24:25], exec
	s_and_b64 s[24:25], s[28:29], exec
	s_or_b64 s[24:25], s[8:9], s[24:25]
	s_andn2_b64 exec, exec, s[22:23]
	s_cbranch_execz .LBB26_353
.LBB26_349:                             ;   Parent Loop BB26_15 Depth=1
                                        ; =>  This Inner Loop Header: Depth=2
	v_cmp_gt_u32_e32 vcc, s36, v4
	s_and_saveexec_b64 s[8:9], vcc
	s_cbranch_execz .LBB26_347
; %bb.350:                              ;   in Loop: Header=BB26_349 Depth=2
	global_load_ubyte v5, v3, s[40:41]
	s_waitcnt vmcnt(0)
	v_add_u32_sdwa v6, sext(v5), s20 dst_sel:DWORD dst_unused:UNUSED_PAD src0_sel:BYTE_0 src1_sel:DWORD
	v_and_b32_e32 v6, v6, v38
	v_cmp_eq_u32_e32 vcc, v6, v32
	s_and_b64 exec, exec, vcc
	s_cbranch_execz .LBB26_347
; %bb.351:                              ;   in Loop: Header=BB26_349 Depth=2
	v_lshlrev_b16_e32 v5, 8, v5
	v_or_b32_e32 v5, 1, v5
	ds_write_b16 v23, v5 offset:3072
	s_branch .LBB26_347
.LBB26_352:                             ;   in Loop: Header=BB26_349 Depth=2
	v_add_u32_e32 v4, s42, v4
	v_cmp_le_u32_e32 vcc, s4, v4
	v_add_u32_e32 v3, s44, v3
	s_mov_b64 s[28:29], 0
	s_orn2_b64 s[8:9], vcc, exec
	s_branch .LBB26_348
.LBB26_353:                             ;   in Loop: Header=BB26_15 Depth=1
	s_or_b64 exec, exec, s[22:23]
	s_andn2_b64 s[8:9], s[14:15], exec
	s_and_b64 s[14:15], s[24:25], exec
	v_lshrrev_b32_sdwa v39, v37, v5 dst_sel:DWORD dst_unused:UNUSED_PAD src0_sel:DWORD src1_sel:WORD_0
	s_or_b64 s[14:15], s[8:9], s[14:15]
.LBB26_354:                             ;   in Loop: Header=BB26_15 Depth=1
	s_or_b64 exec, exec, s[16:17]
	s_mov_b64 s[46:47], 0
	s_mov_b64 s[48:49], -1
.LBB26_355:                             ;   in Loop: Header=BB26_15 Depth=1
	s_orn2_b64 s[8:9], s[14:15], exec
.LBB26_356:                             ;   in Loop: Header=BB26_15 Depth=1
	s_or_b64 exec, exec, s[2:3]
	s_mov_b64 s[2:3], 0
	s_and_saveexec_b64 s[14:15], s[8:9]
	s_cbranch_execz .LBB26_406
; %bb.357:                              ;   in Loop: Header=BB26_15 Depth=1
	s_xor_b64 s[12:13], s[12:13], -1
	s_mov_b64 s[8:9], 0
	v_mov_b32_e32 v3, 1
	v_mov_b32_e32 v1, 1
	s_and_saveexec_b64 s[2:3], s[12:13]
	s_cbranch_execz .LBB26_366
; %bb.358:                              ;   in Loop: Header=BB26_15 Depth=1
	v_cmp_ge_u32_e32 vcc, s50, v2
	s_and_saveexec_b64 s[8:9], vcc
	s_xor_b64 s[8:9], exec, s[8:9]
	s_cbranch_execz .LBB26_363
; %bb.359:                              ;   in Loop: Header=BB26_15 Depth=1
	v_and_b32_e32 v1, s39, v32
	v_lshl_or_b32 v32, 1, s10, v1
	ds_read_b32 v1, v23 offset:4096
	v_or_b32_e32 v38, s38, v38
	s_waitcnt lgkmcnt(0)
	v_cmp_ne_u32_e32 vcc, 0, v1
	s_cbranch_vccnz .LBB26_363
; %bb.360:                              ;   in Loop: Header=BB26_15 Depth=1
	s_mov_b64 s[12:13], exec
	v_readlane_b32 s16, v51, 7
	v_readlane_b32 s17, v51, 8
	s_and_b64 s[16:17], s[12:13], s[16:17]
	s_mov_b64 exec, s[16:17]
; %bb.361:                              ;   in Loop: Header=BB26_15 Depth=1
	v_mov_b32_e32 v1, s50
	ds_write_b32 v23, v1 offset:4100
; %bb.362:                              ;   in Loop: Header=BB26_15 Depth=1
	s_or_b64 exec, exec, s[12:13]
	s_waitcnt lgkmcnt(0)
	s_barrier
.LBB26_363:                             ;   in Loop: Header=BB26_15 Depth=1
	s_or_saveexec_b64 s[8:9], s[8:9]
	s_mov_b64 s[12:13], 0
	v_mov_b32_e32 v1, 5
	s_xor_b64 exec, exec, s[8:9]
; %bb.364:                              ;   in Loop: Header=BB26_15 Depth=1
	v_subrev_u32_e32 v2, s50, v2
	v_mov_b32_e32 v1, 0
	s_mov_b64 s[12:13], exec
; %bb.365:                              ;   in Loop: Header=BB26_15 Depth=1
	s_or_b64 exec, exec, s[8:9]
	s_and_b64 s[8:9], s[12:13], exec
	v_mov_b32_e32 v3, v2
.LBB26_366:                             ;   in Loop: Header=BB26_15 Depth=1
	s_or_b64 exec, exec, s[2:3]
	s_mov_b64 s[2:3], -1
                                        ; implicit-def: $sgpr12_sgpr13
                                        ; implicit-def: $sgpr24_sgpr25
	s_and_saveexec_b64 s[16:17], s[8:9]
	s_cbranch_execz .LBB26_405
; %bb.367:                              ;   in Loop: Header=BB26_15 Depth=1
	s_cmp_eq_u32 s60, 1
	s_cselect_b64 s[2:3], -1, 0
	v_cmp_eq_u32_e32 vcc, 1, v3
	s_mov_b64 s[8:9], -1
	s_and_b64 s[2:3], s[2:3], vcc
                                        ; implicit-def: $sgpr12_sgpr13
                                        ; implicit-def: $sgpr24_sgpr25
	s_mov_b64 s[28:29], exec
	v_writelane_b32 v51, s2, 50
	v_writelane_b32 v51, s3, 51
	s_and_b64 s[2:3], s[28:29], s[2:3]
	s_mov_b64 exec, s[2:3]
	s_cbranch_execz .LBB26_393
; %bb.368:                              ;   in Loop: Header=BB26_15 Depth=1
	ds_read_b32 v2, v23 offset:4096
	s_waitcnt lgkmcnt(0)
	s_barrier
	v_readfirstlane_b32 s21, v2
	s_mov_b64 s[8:9], exec
	v_readlane_b32 s2, v51, 21
	v_readlane_b32 s3, v51, 22
	s_and_b64 s[2:3], s[8:9], s[2:3]
	s_mov_b64 exec, s[2:3]
; %bb.369:                              ;   in Loop: Header=BB26_15 Depth=1
	ds_write_b8 v0, v23 offset:3072
; %bb.370:                              ;   in Loop: Header=BB26_15 Depth=1
	s_or_b64 exec, exec, s[8:9]
	v_and_b32_e32 v32, s39, v32
	v_or_b32_e32 v38, s38, v38
	s_mov_b64 s[24:25], -1
	s_mov_b64 s[12:13], 0
	s_cmp_eq_u32 s21, 0
	s_mov_b64 s[56:57], 0
	s_mov_b64 s[58:59], -1
	s_waitcnt lgkmcnt(0)
	s_barrier
                                        ; implicit-def: $vgpr39
	s_cbranch_scc1 .LBB26_381
; %bb.371:                              ;   in Loop: Header=BB26_15 Depth=1
	v_readlane_b32 s2, v51, 23
	s_add_i32 s2, s21, s2
	v_readlane_b32 s3, v51, 45
	s_mul_hi_u32 s3, s2, s3
	s_mul_i32 s3, s3, s42
	s_sub_i32 s3, s2, s3
	s_sub_i32 s8, s3, s42
	s_cmp_ge_u32 s3, s42
	s_cselect_b32 s3, s8, s3
	s_sub_i32 s8, s3, s42
	s_cmp_ge_u32 s3, s42
	s_cselect_b32 s3, s8, s3
	s_sub_i32 s50, s2, s3
	v_cmp_gt_u32_e32 vcc, s50, v0
	s_mov_b64 s[58:59], 0
                                        ; implicit-def: $vgpr39
	s_and_saveexec_b64 s[2:3], vcc
	s_cbranch_execz .LBB26_380
; %bb.372:                              ;   in Loop: Header=BB26_15 Depth=1
	s_mov_b64 s[22:23], 0
	v_mov_b32_e32 v2, v0
                                        ; implicit-def: $sgpr56_sgpr57
	s_branch .LBB26_375
.LBB26_373:                             ;   in Loop: Header=BB26_375 Depth=2
	s_or_b64 exec, exec, s[8:9]
	s_waitcnt lgkmcnt(0)
	s_barrier
	ds_read_u16 v4, v23 offset:3072
	s_mov_b64 s[8:9], -1
	s_waitcnt lgkmcnt(0)
	s_barrier
	v_cmp_ne_u32_sdwa s[52:53], v4, v23 src0_sel:BYTE_0 src1_sel:DWORD
	s_and_b64 vcc, exec, s[52:53]
	s_mov_b64 s[52:53], -1
	s_cbranch_vccz .LBB26_378
.LBB26_374:                             ;   in Loop: Header=BB26_375 Depth=2
	s_and_b64 s[8:9], exec, s[8:9]
	s_or_b64 s[22:23], s[8:9], s[22:23]
	s_andn2_b64 s[8:9], s[56:57], exec
	s_and_b64 s[52:53], s[52:53], exec
	s_or_b64 s[56:57], s[8:9], s[52:53]
	s_andn2_b64 exec, exec, s[22:23]
	s_cbranch_execz .LBB26_379
.LBB26_375:                             ;   Parent Loop BB26_15 Depth=1
                                        ; =>  This Inner Loop Header: Depth=2
	v_cmp_gt_u32_e32 vcc, s21, v2
	s_and_saveexec_b64 s[8:9], vcc
	s_cbranch_execz .LBB26_373
; %bb.376:                              ;   in Loop: Header=BB26_375 Depth=2
	ds_read_u8 v4, v2
	s_waitcnt lgkmcnt(0)
	v_add_u32_sdwa v5, sext(v4), s20 dst_sel:DWORD dst_unused:UNUSED_PAD src0_sel:BYTE_0 src1_sel:DWORD
	v_and_b32_e32 v5, v5, v38
	v_cmp_eq_u32_e32 vcc, v5, v32
	s_and_b64 exec, exec, vcc
	s_cbranch_execz .LBB26_373
; %bb.377:                              ;   in Loop: Header=BB26_375 Depth=2
	v_lshlrev_b16_e32 v4, 8, v4
	v_or_b32_e32 v4, 1, v4
	ds_write_b16 v23, v4 offset:3072
	s_branch .LBB26_373
.LBB26_378:                             ;   in Loop: Header=BB26_375 Depth=2
	v_add_u32_e32 v2, s42, v2
	v_cmp_le_u32_e32 vcc, s50, v2
	s_mov_b64 s[52:53], 0
	s_orn2_b64 s[8:9], vcc, exec
	s_branch .LBB26_374
.LBB26_379:                             ;   in Loop: Header=BB26_15 Depth=1
	s_or_b64 exec, exec, s[22:23]
	v_lshrrev_b32_sdwa v39, v37, v4 dst_sel:DWORD dst_unused:UNUSED_PAD src0_sel:DWORD src1_sel:WORD_0
	s_and_b64 s[56:57], s[56:57], exec
.LBB26_380:                             ;   in Loop: Header=BB26_15 Depth=1
	s_or_b64 exec, exec, s[2:3]
.LBB26_381:                             ;   in Loop: Header=BB26_15 Depth=1
	s_and_b64 vcc, exec, s[58:59]
	s_cbranch_vccz .LBB26_392
; %bb.382:                              ;   in Loop: Header=BB26_15 Depth=1
                                        ; implicit-def: $vgpr39
	s_mov_b64 s[12:13], exec
	v_readlane_b32 s2, v51, 46
	v_readlane_b32 s3, v51, 47
	s_and_b64 s[2:3], s[12:13], s[2:3]
	s_mov_b64 exec, s[2:3]
	s_cbranch_execz .LBB26_391
; %bb.383:                              ;   in Loop: Header=BB26_15 Depth=1
	s_mov_b64 s[22:23], 0
	v_mov_b32_e32 v2, v22
	v_mov_b32_e32 v4, v0
                                        ; implicit-def: $sgpr24_sgpr25
	s_branch .LBB26_386
.LBB26_384:                             ;   in Loop: Header=BB26_386 Depth=2
	s_or_b64 exec, exec, s[8:9]
	s_waitcnt lgkmcnt(0)
	s_barrier
	ds_read_u16 v5, v23 offset:3072
	s_mov_b64 s[8:9], -1
	s_mov_b64 s[52:53], -1
	s_waitcnt lgkmcnt(0)
	s_barrier
	v_cmp_eq_u32_sdwa s[2:3], v5, v23 src0_sel:BYTE_0 src1_sel:DWORD
	s_and_b64 vcc, exec, s[2:3]
	s_cbranch_vccnz .LBB26_389
.LBB26_385:                             ;   in Loop: Header=BB26_386 Depth=2
	s_and_b64 s[2:3], exec, s[8:9]
	s_or_b64 s[22:23], s[2:3], s[22:23]
	s_andn2_b64 s[2:3], s[24:25], exec
	s_and_b64 s[8:9], s[52:53], exec
	s_or_b64 s[24:25], s[2:3], s[8:9]
	s_andn2_b64 exec, exec, s[22:23]
	s_cbranch_execz .LBB26_390
.LBB26_386:                             ;   Parent Loop BB26_15 Depth=1
                                        ; =>  This Inner Loop Header: Depth=2
	v_cmp_gt_u32_e32 vcc, s36, v4
	s_and_saveexec_b64 s[8:9], vcc
	s_cbranch_execz .LBB26_384
; %bb.387:                              ;   in Loop: Header=BB26_386 Depth=2
	global_load_ubyte v5, v2, s[40:41]
	s_waitcnt vmcnt(0)
	v_add_u32_sdwa v6, sext(v5), s20 dst_sel:DWORD dst_unused:UNUSED_PAD src0_sel:BYTE_0 src1_sel:DWORD
	v_and_b32_e32 v6, v6, v38
	v_cmp_eq_u32_e32 vcc, v6, v32
	s_and_b64 exec, exec, vcc
	s_cbranch_execz .LBB26_384
; %bb.388:                              ;   in Loop: Header=BB26_386 Depth=2
	v_lshlrev_b16_e32 v5, 8, v5
	v_or_b32_e32 v5, 1, v5
	ds_write_b16 v23, v5 offset:3072
	s_branch .LBB26_384
.LBB26_389:                             ;   in Loop: Header=BB26_386 Depth=2
	v_add_u32_e32 v4, s42, v4
	v_cmp_le_u32_e32 vcc, s4, v4
	v_add_u32_e32 v2, s44, v2
	s_mov_b64 s[52:53], 0
	s_orn2_b64 s[8:9], vcc, exec
	s_branch .LBB26_385
.LBB26_390:                             ;   in Loop: Header=BB26_15 Depth=1
	s_or_b64 exec, exec, s[22:23]
	s_andn2_b64 s[2:3], s[56:57], exec
	s_and_b64 s[8:9], s[24:25], exec
	v_lshrrev_b32_sdwa v39, v37, v5 dst_sel:DWORD dst_unused:UNUSED_PAD src0_sel:DWORD src1_sel:WORD_0
	s_or_b64 s[56:57], s[2:3], s[8:9]
.LBB26_391:                             ;   in Loop: Header=BB26_15 Depth=1
	s_or_b64 exec, exec, s[12:13]
	s_mov_b64 s[24:25], 0
	s_mov_b64 s[12:13], -1
.LBB26_392:                             ;   in Loop: Header=BB26_15 Depth=1
	s_orn2_b64 s[8:9], s[56:57], exec
.LBB26_393:                             ;   in Loop: Header=BB26_15 Depth=1
	s_or_b64 exec, exec, s[28:29]
	s_mov_b64 s[22:23], 0
	s_and_saveexec_b64 s[28:29], s[8:9]
	s_cbranch_execz .LBB26_404
; %bb.394:                              ;   in Loop: Header=BB26_15 Depth=1
	v_readlane_b32 s2, v51, 50
	v_readlane_b32 s3, v51, 51
	s_xor_b64 s[8:9], s[2:3], -1
	v_mov_b32_e32 v1, 1
	v_mov_b32_e32 v2, 1
	s_and_saveexec_b64 s[2:3], s[8:9]
	s_cbranch_execz .LBB26_403
; %bb.395:                              ;   in Loop: Header=BB26_15 Depth=1
	v_cmp_ge_u32_e32 vcc, s60, v3
	s_and_saveexec_b64 s[8:9], vcc
	s_xor_b64 s[8:9], exec, s[8:9]
	s_cbranch_execz .LBB26_400
; %bb.396:                              ;   in Loop: Header=BB26_15 Depth=1
	ds_read_b32 v1, v23 offset:4096
	v_and_b32_e32 v32, s39, v32
	v_or_b32_e32 v38, s38, v38
	s_waitcnt lgkmcnt(0)
	v_cmp_ne_u32_e32 vcc, 0, v1
	s_cbranch_vccnz .LBB26_400
; %bb.397:                              ;   in Loop: Header=BB26_15 Depth=1
	s_mov_b64 s[22:23], exec
	v_readlane_b32 s38, v51, 7
	v_readlane_b32 s39, v51, 8
	s_and_b64 s[38:39], s[22:23], s[38:39]
	s_mov_b64 exec, s[38:39]
; %bb.398:                              ;   in Loop: Header=BB26_15 Depth=1
	v_mov_b32_e32 v1, s60
	ds_write_b32 v23, v1 offset:4100
; %bb.399:                              ;   in Loop: Header=BB26_15 Depth=1
	s_or_b64 exec, exec, s[22:23]
	s_waitcnt lgkmcnt(0)
	s_barrier
.LBB26_400:                             ;   in Loop: Header=BB26_15 Depth=1
	s_andn2_saveexec_b64 s[8:9], s[8:9]
; %bb.401:                              ;   in Loop: Header=BB26_15 Depth=1
	v_subrev_u32_e32 v3, s60, v3
; %bb.402:                              ;   in Loop: Header=BB26_15 Depth=1
	s_or_b64 exec, exec, s[8:9]
	v_mov_b32_e32 v1, 5
	v_mov_b32_e32 v2, v3
.LBB26_403:                             ;   in Loop: Header=BB26_15 Depth=1
	s_or_b64 exec, exec, s[2:3]
	s_mov_b64 s[22:23], exec
	v_mov_b32_e32 v3, v2
.LBB26_404:                             ;   in Loop: Header=BB26_15 Depth=1
	s_or_b64 exec, exec, s[28:29]
	s_orn2_b64 s[2:3], s[22:23], exec
.LBB26_405:                             ;   in Loop: Header=BB26_15 Depth=1
	s_or_b64 exec, exec, s[16:17]
	s_andn2_b64 s[8:9], s[48:49], exec
	s_and_b64 s[12:13], s[12:13], exec
	s_or_b64 s[48:49], s[8:9], s[12:13]
	s_andn2_b64 s[8:9], s[46:47], exec
	s_and_b64 s[12:13], s[24:25], exec
	s_or_b64 s[46:47], s[8:9], s[12:13]
	s_and_b64 s[2:3], s[2:3], exec
	v_mov_b32_e32 v2, v3
.LBB26_406:                             ;   in Loop: Header=BB26_15 Depth=1
	s_or_b64 exec, exec, s[14:15]
	s_orn2_b64 s[2:3], s[2:3], exec
.LBB26_407:                             ;   in Loop: Header=BB26_15 Depth=1
	s_or_b64 exec, exec, s[94:95]
	s_andn2_b64 s[8:9], s[90:91], exec
	s_and_b64 s[12:13], s[48:49], exec
	s_or_b64 s[90:91], s[8:9], s[12:13]
	s_andn2_b64 s[8:9], s[88:89], exec
	s_and_b64 s[12:13], s[46:47], exec
	s_or_b64 s[88:89], s[8:9], s[12:13]
	s_and_b64 s[2:3], s[2:3], exec
	v_mov_b32_e32 v4, v2
.LBB26_408:                             ;   in Loop: Header=BB26_15 Depth=1
	s_or_b64 exec, exec, s[92:93]
	s_orn2_b64 s[2:3], s[2:3], exec
.LBB26_409:                             ;   in Loop: Header=BB26_15 Depth=1
	s_or_b64 exec, exec, s[6:7]
	s_mov_b64 s[6:7], s[84:85]
	s_mov_b64 s[8:9], s[34:35]
	s_and_saveexec_b64 s[12:13], s[2:3]
; %bb.410:                              ;   in Loop: Header=BB26_15 Depth=1
	v_cmp_ne_u32_e64 s[6:7], 5, v1
	v_cmp_eq_u32_e32 vcc, 5, v1
	s_andn2_b64 s[2:3], s[34:35], exec
	s_and_b64 s[6:7], s[6:7], exec
	s_or_b64 s[8:9], s[2:3], s[6:7]
	s_andn2_b64 s[2:3], s[84:85], exec
	s_and_b64 s[6:7], vcc, exec
	s_or_b64 s[6:7], s[2:3], s[6:7]
; %bb.411:                              ;   in Loop: Header=BB26_15 Depth=1
	s_or_b64 exec, exec, s[12:13]
	s_andn2_b64 s[2:3], s[26:27], exec
	s_and_b64 s[12:13], s[90:91], exec
	s_or_b64 s[26:27], s[2:3], s[12:13]
	s_andn2_b64 s[2:3], s[30:31], exec
	s_and_b64 s[12:13], s[88:89], exec
	s_or_b64 s[30:31], s[2:3], s[12:13]
	s_andn2_b64 s[2:3], s[34:35], exec
	s_and_b64 s[8:9], s[8:9], exec
	s_or_b64 s[34:35], s[2:3], s[8:9]
	s_andn2_b64 s[2:3], s[84:85], exec
	s_and_b64 s[6:7], s[6:7], exec
	s_or_b64 s[84:85], s[2:3], s[6:7]
.LBB26_412:                             ;   in Loop: Header=BB26_15 Depth=1
	s_or_b64 exec, exec, s[86:87]
	s_mov_b64 s[86:87], 0
	s_mov_b64 s[88:89], 0
	s_and_saveexec_b64 s[2:3], s[84:85]
.LBB26_413:                             ;   in Loop: Header=BB26_15 Depth=1
	v_mov_b32_e32 v1, 0
	s_or_b64 s[34:35], s[34:35], exec
.LBB26_414:                             ;   in Loop: Header=BB26_15 Depth=1
	s_or_b64 exec, exec, s[2:3]
	s_andn2_b64 s[2:3], s[80:81], exec
	s_and_b64 s[8:9], s[26:27], exec
	s_or_b64 s[80:81], s[2:3], s[8:9]
	s_andn2_b64 s[2:3], s[78:79], exec
	s_and_b64 s[8:9], s[30:31], exec
	s_or_b64 s[78:79], s[2:3], s[8:9]
	;; [unrolled: 3-line block ×3, first 2 shown]
	s_andn2_b64 s[2:3], s[74:75], exec
	s_and_b64 s[8:9], s[86:87], exec
	s_mov_b64 s[6:7], -1
	s_andn2_b64 s[82:83], s[82:83], exec
	s_or_b64 s[74:75], s[2:3], s[8:9]
	v_mov_b32_e32 v40, v4
	s_and_saveexec_b64 s[2:3], s[34:35]
	s_xor_b64 s[2:3], exec, s[2:3]
	s_cbranch_execz .LBB26_14
; %bb.415:                              ;   in Loop: Header=BB26_15 Depth=1
	v_cmp_eq_u32_e32 vcc, 0, v1
	s_mov_b64 s[8:9], -1
	s_and_saveexec_b64 s[12:13], vcc
	s_cbranch_execz .LBB26_13
; %bb.416:                              ;   in Loop: Header=BB26_15 Depth=1
	s_xor_b32 s18, s18, 1
	s_add_i32 s14, s10, -2
	s_cmp_eq_u32 s10, 0
	s_cselect_b64 s[6:7], -1, 0
	s_xor_b64 s[8:9], exec, -1
	s_orn2_b64 s[6:7], s[6:7], exec
	s_mov_b32 s10, s14
	s_branch .LBB26_13
.LBB26_417:
	s_or_b64 exec, exec, s[62:63]
	s_xor_b64 s[6:7], s[72:73], -1
	s_xor_b64 s[14:15], s[70:71], -1
	;; [unrolled: 1-line block ×5, first 2 shown]
	s_mov_b64 s[8:9], 0
	s_and_saveexec_b64 s[10:11], s[4:5]
	s_xor_b64 s[10:11], exec, s[10:11]
	s_cbranch_execnz .LBB26_422
; %bb.418:
	s_andn2_saveexec_b64 s[0:1], s[10:11]
	s_cbranch_execnz .LBB26_441
.LBB26_419:
	s_or_b64 exec, exec, s[0:1]
	s_and_saveexec_b64 s[0:1], s[8:9]
.LBB26_420:
	; divergent unreachable
.LBB26_421:
	s_endpgm
.LBB26_422:
	s_and_saveexec_b64 s[4:5], s[12:13]
	s_xor_b64 s[12:13], exec, s[4:5]
	s_cbranch_execz .LBB26_439
; %bb.423:
	s_and_saveexec_b64 s[4:5], s[14:15]
	s_xor_b64 s[14:15], exec, s[4:5]
	s_cbranch_execz .LBB26_437
; %bb.424:
	;; [unrolled: 4-line block ×3, first 2 shown]
	s_and_saveexec_b64 s[4:5], s[2:3]
	s_xor_b64 s[2:3], exec, s[4:5]
; %bb.426:
	v_xor_b32_e32 v39, 0xffffff80, v32
; %bb.427:
	s_or_b64 exec, exec, s[2:3]
	s_mov_b64 s[2:3], exec
	v_readlane_b32 s4, v51, 7
	v_readlane_b32 s5, v51, 8
	;; [unrolled: 1-line block ×3, first 2 shown]
	s_and_b64 s[4:5], s[2:3], s[4:5]
	v_readlane_b32 s49, v51, 10
	s_mov_b64 exec, s[4:5]
; %bb.428:
	v_mov_b32_e32 v1, 0
	ds_write_b32 v1, v1 offset:4108
; %bb.429:
	s_or_b64 exec, exec, s[2:3]
	v_mov_b32_e32 v3, 0
	s_waitcnt lgkmcnt(0)
	s_barrier
	s_mov_b64 s[2:3], exec
	v_readlane_b32 s4, v51, 17
	v_readlane_b32 s5, v51, 18
	s_and_b64 s[4:5], s[2:3], s[4:5]
	s_mov_b64 exec, s[4:5]
	s_cbranch_execz .LBB26_431
; %bb.430:
	global_load_ubyte v3, v[13:14], off
.LBB26_431:
	s_or_b64 exec, exec, s[2:3]
	v_readlane_b32 s6, v51, 0
	v_readlane_b32 s7, v51, 1
	s_load_dword s2, s[6:7], 0x23c
	v_readlane_b32 s3, v51, 2
	s_add_i32 s34, s36, 63
	s_mul_i32 s3, s3, s55
	s_andn2_b32 s34, s34, 63
	s_waitcnt lgkmcnt(0)
	s_mul_i32 s2, s2, s54
	s_add_i32 s4, s3, s43
	s_load_dword s35, s[6:7], 0x2a8
	s_load_dword s38, s[6:7], 0x1c8
	s_add_i32 s2, s2, s45
	v_readlane_b32 s6, v51, 3
	s_mov_b32 s3, 0
	v_readlane_b32 s7, v51, 4
	s_add_u32 s8, s6, s4
	s_addc_u32 s9, s7, 0
	s_lshl_b64 s[2:3], s[2:3], 3
	v_readlane_b32 s4, v51, 5
	v_readlane_b32 s5, v51, 6
	s_add_u32 s39, s4, s2
	s_addc_u32 s43, s5, s3
	v_cmp_gt_u32_e32 vcc, s34, v0
	s_mov_b64 s[20:21], -1
	s_mov_b64 s[2:3], 0
	s_mov_b64 s[4:5], 0
	s_and_saveexec_b64 s[18:19], vcc
	s_cbranch_execnz .LBB26_442
; %bb.432:
	s_or_b64 exec, exec, s[18:19]
	s_and_saveexec_b64 s[6:7], s[20:21]
	s_cbranch_execnz .LBB26_457
.LBB26_433:
	s_or_b64 exec, exec, s[6:7]
	s_and_saveexec_b64 s[0:1], s[4:5]
	s_xor_b64 s[0:1], exec, s[0:1]
	s_cbranch_execnz .LBB26_480
.LBB26_434:
	s_or_b64 exec, exec, s[0:1]
	s_and_b64 s[8:9], s[2:3], exec
.LBB26_435:
	s_andn2_saveexec_b64 s[0:1], s[16:17]
	s_cbranch_execnz .LBB26_482
.LBB26_436:
	s_or_b64 exec, exec, s[0:1]
	s_and_b64 s[8:9], s[8:9], exec
.LBB26_437:
	s_andn2_saveexec_b64 s[0:1], s[14:15]
	s_cbranch_execnz .LBB26_481
.LBB26_438:
	s_or_b64 exec, exec, s[0:1]
	s_and_b64 s[8:9], s[8:9], exec
.LBB26_439:
	s_andn2_saveexec_b64 s[0:1], s[12:13]
	s_cbranch_execnz .LBB26_476
.LBB26_440:
	s_or_b64 exec, exec, s[0:1]
	s_and_b64 s[8:9], s[8:9], exec
	s_andn2_saveexec_b64 s[0:1], s[10:11]
	s_cbranch_execz .LBB26_419
.LBB26_441:
	s_or_b64 s[8:9], s[8:9], exec
	s_trap 2
	s_or_b64 exec, exec, s[0:1]
	s_and_saveexec_b64 s[0:1], s[8:9]
	s_cbranch_execnz .LBB26_420
	s_branch .LBB26_421
.LBB26_442:
	v_add_u32_e32 v1, s42, v0
	v_mul_lo_u32 v5, s33, v1
	s_movk_i32 s45, 0x80
	v_add_u32_sdwa v4, sext(v39), s45 dst_sel:DWORD dst_unused:UNUSED_PAD src0_sel:BYTE_0 src1_sel:DWORD
	s_mov_b64 s[20:21], 0
	v_mov_b32_e32 v2, 0
	v_mov_b32_e32 v1, v0
                                        ; implicit-def: $sgpr22_sgpr23
                                        ; implicit-def: $vgpr8
	s_branch .LBB26_444
.LBB26_443:                             ;   in Loop: Header=BB26_444 Depth=1
	s_or_b64 exec, exec, s[26:27]
	s_xor_b64 s[4:5], s[24:25], -1
	s_and_b64 s[6:7], exec, s[6:7]
	s_or_b64 s[20:21], s[6:7], s[20:21]
	s_andn2_b64 s[6:7], s[22:23], exec
	s_and_b64 s[4:5], s[4:5], exec
	s_or_b64 s[22:23], s[6:7], s[4:5]
	v_mov_b32_e32 v3, v7
	v_mov_b32_e32 v1, v6
	s_andn2_b64 exec, exec, s[20:21]
	s_cbranch_execz .LBB26_456
.LBB26_444:                             ; =>This Inner Loop Header: Depth=1
	v_add_u32_e32 v6, s42, v1
	v_cmp_gt_u32_e64 s[4:5], s36, v6
	v_mov_b32_e32 v7, 0
	s_and_saveexec_b64 s[6:7], s[4:5]
	s_cbranch_execz .LBB26_446
; %bb.445:                              ;   in Loop: Header=BB26_444 Depth=1
	global_load_ubyte v7, v5, s[40:41]
.LBB26_446:                             ;   in Loop: Header=BB26_444 Depth=1
	s_or_b64 exec, exec, s[6:7]
	s_waitcnt vmcnt(0)
	v_add_u32_sdwa v9, sext(v3), s45 dst_sel:DWORD dst_unused:UNUSED_PAD src0_sel:BYTE_0 src1_sel:DWORD
	v_cmp_gt_u32_e64 s[6:7], v9, v4
	v_cndmask_b32_e64 v10, 0, 1, s[6:7]
	v_cmp_lt_u32_e64 s[6:7], v9, v4
	v_cndmask_b32_e64 v9, 0, 1, s[6:7]
	v_cndmask_b32_e64 v9, v9, v10, s[48:49]
	v_and_b32_e32 v9, 1, v9
	v_cmp_gt_u32_e64 s[4:5], s36, v1
	v_cmp_eq_u32_e64 s[6:7], 1, v9
	s_and_b64 s[24:25], s[4:5], s[6:7]
	v_cndmask_b32_e64 v9, 0, 1, s[24:25]
	v_cmp_ne_u32_e64 s[4:5], 0, v9
	s_cmp_lg_u64 s[4:5], 0
	s_cselect_b64 s[6:7], -1, 0
	s_and_b64 s[6:7], s[0:1], s[6:7]
	s_and_saveexec_b64 s[26:27], s[6:7]
	s_cbranch_execz .LBB26_450
; %bb.447:                              ;   in Loop: Header=BB26_444 Depth=1
	s_mov_b64 s[30:31], exec
	s_waitcnt lgkmcnt(0)
	v_mbcnt_lo_u32_b32 v8, s30, 0
	v_mbcnt_hi_u32_b32 v8, s31, v8
	s_bcnt1_i32_b64 s46, s[4:5]
	v_cmp_eq_u32_e64 s[6:7], 0, v8
                                        ; implicit-def: $vgpr9
	s_and_saveexec_b64 s[28:29], s[6:7]
; %bb.448:                              ;   in Loop: Header=BB26_444 Depth=1
	s_bcnt1_i32_b64 s6, s[30:31]
	s_mul_i32 s6, s46, s6
	v_mov_b32_e32 v9, s6
	ds_add_rtn_u32 v9, v2, v9 offset:4108
; %bb.449:                              ;   in Loop: Header=BB26_444 Depth=1
	s_or_b64 exec, exec, s[28:29]
	s_waitcnt lgkmcnt(0)
	v_readfirstlane_b32 s6, v9
	v_mov_b32_e32 v9, s6
	v_mad_u32_u24 v8, s46, v8, v9
.LBB26_450:                             ;   in Loop: Header=BB26_444 Depth=1
	s_or_b64 exec, exec, s[26:27]
	s_waitcnt lgkmcnt(0)
	ds_bpermute_b32 v8, v17, v8
	s_mov_b64 s[6:7], -1
	s_mov_b64 s[28:29], -1
	s_and_saveexec_b64 s[26:27], s[24:25]
	s_cbranch_execz .LBB26_454
; %bb.451:                              ;   in Loop: Header=BB26_444 Depth=1
	v_and_b32_e32 v10, s4, v19
	v_and_b32_e32 v9, s5, v18
	v_bcnt_u32_b32 v10, v10, 0
	v_bcnt_u32_b32 v9, v9, v10
	s_waitcnt lgkmcnt(0)
	v_add_u32_e32 v9, v8, v9
	v_cmp_gt_u32_e64 s[4:5], s37, v9
	s_mov_b64 s[24:25], 0
	s_and_saveexec_b64 s[28:29], s[4:5]
; %bb.452:                              ;   in Loop: Header=BB26_444 Depth=1
	v_mul_lo_u32 v11, v9, s38
	v_mul_lo_u32 v9, v9, s35
	v_mov_b32_e32 v10, v2
	s_mov_b64 s[24:25], exec
	global_store_byte v11, v3, s[8:9]
	v_lshlrev_b64 v[9:10], 3, v[9:10]
	v_mov_b32_e32 v3, s43
	v_add_co_u32_e64 v9, s[4:5], s39, v9
	v_addc_co_u32_e64 v10, s[4:5], v3, v10, s[4:5]
	global_store_dwordx2 v[9:10], v[1:2], off
; %bb.453:                              ;   in Loop: Header=BB26_444 Depth=1
	s_or_b64 exec, exec, s[28:29]
	s_orn2_b64 s[28:29], s[24:25], exec
.LBB26_454:                             ;   in Loop: Header=BB26_444 Depth=1
	s_or_b64 exec, exec, s[26:27]
	s_mov_b64 s[24:25], -1
	s_and_saveexec_b64 s[26:27], s[28:29]
	s_cbranch_execz .LBB26_443
; %bb.455:                              ;   in Loop: Header=BB26_444 Depth=1
	v_cmp_le_u32_e64 s[4:5], s34, v6
	v_add_u32_e32 v5, s44, v5
	s_xor_b64 s[24:25], exec, -1
	s_orn2_b64 s[6:7], s[4:5], exec
	s_branch .LBB26_443
.LBB26_456:
	s_or_b64 exec, exec, s[20:21]
	s_mov_b64 s[4:5], exec
	s_orn2_b64 s[20:21], s[22:23], exec
	s_or_b64 exec, exec, s[18:19]
	s_and_saveexec_b64 s[6:7], s[20:21]
	s_cbranch_execz .LBB26_433
.LBB26_457:
	v_mov_b32_e32 v6, 0
	s_waitcnt vmcnt(0) lgkmcnt(0)
	s_barrier
	s_mov_b64 s[2:3], exec
	v_readlane_b32 s18, v51, 17
	v_readlane_b32 s19, v51, 18
	s_and_b64 s[18:19], s[2:3], s[18:19]
	s_mov_b64 exec, s[18:19]
	s_cbranch_execz .LBB26_459
; %bb.458:
	global_load_ubyte v6, v[13:14], off
.LBB26_459:
	s_or_b64 exec, exec, s[2:3]
	s_mov_b64 s[2:3], 0
	s_and_saveexec_b64 s[18:19], vcc
	s_cbranch_execz .LBB26_479
; %bb.460:
	v_add_u32_e32 v1, s42, v0
	v_mul_lo_u32 v2, s33, v1
	s_mov_b64 s[20:21], 0
	v_mov_b32_e32 v1, 0
                                        ; implicit-def: $sgpr22_sgpr23
                                        ; implicit-def: $vgpr5
	s_branch .LBB26_463
.LBB26_461:                             ;   in Loop: Header=BB26_463 Depth=1
	s_or_b64 exec, exec, s[26:27]
	s_orn2_b64 s[28:29], s[28:29], exec
	s_orn2_b64 s[26:27], s[24:25], exec
.LBB26_462:                             ;   in Loop: Header=BB26_463 Depth=1
	s_or_b64 exec, exec, s[2:3]
	s_xor_b64 s[2:3], s[28:29], -1
	s_and_b64 s[24:25], exec, s[26:27]
	s_or_b64 s[20:21], s[24:25], s[20:21]
	s_andn2_b64 s[22:23], s[22:23], exec
	s_and_b64 s[2:3], s[2:3], exec
	s_or_b64 s[22:23], s[22:23], s[2:3]
	v_mov_b32_e32 v0, v3
	v_mov_b32_e32 v6, v4
	s_andn2_b64 exec, exec, s[20:21]
	s_cbranch_execz .LBB26_477
.LBB26_463:                             ; =>This Inner Loop Header: Depth=1
	v_add_u32_e32 v3, s42, v0
	v_cmp_gt_u32_e32 vcc, s36, v3
	v_mov_b32_e32 v4, 0
	s_and_saveexec_b64 s[2:3], vcc
	s_cbranch_execz .LBB26_465
; %bb.464:                              ;   in Loop: Header=BB26_463 Depth=1
	global_load_ubyte v4, v2, s[40:41]
.LBB26_465:                             ;   in Loop: Header=BB26_463 Depth=1
	s_or_b64 exec, exec, s[2:3]
	v_cmp_gt_u32_e32 vcc, s36, v0
	s_waitcnt vmcnt(0)
	v_cmp_eq_u16_sdwa s[2:3], v6, v39 src0_sel:BYTE_0 src1_sel:BYTE_0
	s_and_b64 s[24:25], vcc, s[2:3]
	v_cndmask_b32_e64 v6, 0, 1, s[24:25]
	v_cmp_ne_u32_e32 vcc, 0, v6
	s_cmp_lg_u64 vcc, 0
	s_cselect_b64 s[2:3], -1, 0
	s_and_b64 s[2:3], s[0:1], s[2:3]
	s_and_saveexec_b64 s[26:27], s[2:3]
	s_cbranch_execz .LBB26_469
; %bb.466:                              ;   in Loop: Header=BB26_463 Depth=1
	s_mov_b64 s[30:31], exec
	v_mbcnt_lo_u32_b32 v5, s30, 0
	v_mbcnt_hi_u32_b32 v5, s31, v5
	s_bcnt1_i32_b64 s33, vcc
	v_cmp_eq_u32_e64 s[2:3], 0, v5
                                        ; implicit-def: $vgpr6
	s_and_saveexec_b64 s[28:29], s[2:3]
; %bb.467:                              ;   in Loop: Header=BB26_463 Depth=1
	s_bcnt1_i32_b64 s2, s[30:31]
	s_mul_i32 s2, s33, s2
	v_mov_b32_e32 v6, s2
	ds_add_rtn_u32 v6, v1, v6 offset:4108
; %bb.468:                              ;   in Loop: Header=BB26_463 Depth=1
	s_or_b64 exec, exec, s[28:29]
	s_waitcnt lgkmcnt(0)
	v_readfirstlane_b32 s2, v6
	v_mov_b32_e32 v6, s2
	v_mad_u32_u24 v5, s33, v5, v6
.LBB26_469:                             ;   in Loop: Header=BB26_463 Depth=1
	s_or_b64 exec, exec, s[26:27]
	ds_bpermute_b32 v5, v17, v5
	s_cmp_eq_u64 vcc, 0
	s_cselect_b64 s[28:29], -1, 0
	s_mov_b64 s[26:27], -1
	s_waitcnt lgkmcnt(0)
	v_cmp_gt_u32_e64 s[2:3], s37, v5
	s_or_b64 s[30:31], s[28:29], s[2:3]
	s_mov_b64 s[28:29], -1
	s_and_saveexec_b64 s[2:3], s[30:31]
	s_cbranch_execz .LBB26_462
; %bb.470:                              ;   in Loop: Header=BB26_463 Depth=1
	v_and_b32_e32 v7, vcc_lo, v19
	v_and_b32_e32 v6, vcc_hi, v18
	v_bcnt_u32_b32 v7, v7, 0
	v_bcnt_u32_b32 v6, v6, v7
	v_sub_u32_e32 v7, s37, v5
	v_cmp_gt_u32_e32 vcc, v7, v6
	s_and_b64 s[46:47], s[24:25], vcc
	s_mov_b64 s[24:25], -1
	s_mov_b64 s[30:31], -1
	s_and_saveexec_b64 s[26:27], s[46:47]
	s_cbranch_execz .LBB26_474
; %bb.471:                              ;   in Loop: Header=BB26_463 Depth=1
	v_add_u32_e32 v6, v5, v6
	v_cmp_gt_u32_e32 vcc, s37, v6
	s_mov_b64 s[30:31], 0
	s_and_saveexec_b64 s[28:29], vcc
; %bb.472:                              ;   in Loop: Header=BB26_463 Depth=1
	v_mul_lo_u32 v8, v6, s38
	v_mul_lo_u32 v6, v6, s35
	v_mov_b32_e32 v7, v1
	s_mov_b64 s[30:31], exec
	global_store_byte v8, v39, s[8:9]
	v_lshlrev_b64 v[6:7], 3, v[6:7]
	v_mov_b32_e32 v8, s43
	v_add_co_u32_e32 v6, vcc, s39, v6
	v_addc_co_u32_e32 v7, vcc, v8, v7, vcc
	global_store_dwordx2 v[6:7], v[0:1], off
; %bb.473:                              ;   in Loop: Header=BB26_463 Depth=1
	s_or_b64 exec, exec, s[28:29]
	s_xor_b64 s[28:29], exec, -1
	s_orn2_b64 s[30:31], s[30:31], exec
.LBB26_474:                             ;   in Loop: Header=BB26_463 Depth=1
	s_or_b64 exec, exec, s[26:27]
	s_and_saveexec_b64 s[26:27], s[30:31]
	s_cbranch_execz .LBB26_461
; %bb.475:                              ;   in Loop: Header=BB26_463 Depth=1
	v_cmp_le_u32_e32 vcc, s34, v3
	v_add_u32_e32 v2, s44, v2
	s_or_b64 s[28:29], s[28:29], exec
	s_orn2_b64 s[24:25], vcc, exec
	s_branch .LBB26_461
.LBB26_476:
	s_or_b64 s[8:9], s[8:9], exec
	s_trap 2
	s_branch .LBB26_440
.LBB26_477:
	s_or_b64 exec, exec, s[20:21]
	s_mov_b64 s[0:1], 0
	s_and_saveexec_b64 s[2:3], s[22:23]
	s_xor_b64 s[2:3], exec, s[2:3]
	s_cbranch_execnz .LBB26_483
.LBB26_478:
	s_or_b64 exec, exec, s[2:3]
	s_and_b64 s[2:3], s[0:1], exec
.LBB26_479:
	s_or_b64 exec, exec, s[18:19]
	s_and_b64 s[2:3], s[2:3], exec
	s_andn2_b64 s[4:5], s[4:5], exec
	s_or_b64 exec, exec, s[6:7]
	s_and_saveexec_b64 s[0:1], s[4:5]
	s_xor_b64 s[0:1], exec, s[0:1]
	s_cbranch_execz .LBB26_434
.LBB26_480:
	s_trap 2
	s_or_b64 s[2:3], s[2:3], exec
	s_branch .LBB26_434
.LBB26_481:
	s_or_b64 s[8:9], s[8:9], exec
	s_trap 2
	s_branch .LBB26_438
.LBB26_482:
	s_trap 2
	s_or_b64 s[8:9], s[8:9], exec
	s_branch .LBB26_436
.LBB26_483:
	s_mov_b64 s[0:1], exec
	s_trap 2
	s_branch .LBB26_478
	.section	.rodata,"a",@progbits
	.p2align	6, 0x0
	.amdhsa_kernel _ZN2at6native6sbtopk10gatherTopKIajLin1ELb0EEEvNS_4cuda6detail10TensorInfoIKT_T0_EES8_S8_bS8_S8_NS5_IS6_S8_EES8_NS5_IlS8_EES8_PS6_
		.amdhsa_group_segment_fixed_size 4112
		.amdhsa_private_segment_fixed_size 0
		.amdhsa_kernarg_size 952
		.amdhsa_user_sgpr_count 6
		.amdhsa_user_sgpr_private_segment_buffer 1
		.amdhsa_user_sgpr_dispatch_ptr 0
		.amdhsa_user_sgpr_queue_ptr 0
		.amdhsa_user_sgpr_kernarg_segment_ptr 1
		.amdhsa_user_sgpr_dispatch_id 0
		.amdhsa_user_sgpr_flat_scratch_init 0
		.amdhsa_user_sgpr_private_segment_size 0
		.amdhsa_uses_dynamic_stack 0
		.amdhsa_system_sgpr_private_segment_wavefront_offset 0
		.amdhsa_system_sgpr_workgroup_id_x 1
		.amdhsa_system_sgpr_workgroup_id_y 1
		.amdhsa_system_sgpr_workgroup_id_z 1
		.amdhsa_system_sgpr_workgroup_info 0
		.amdhsa_system_vgpr_workitem_id 0
		.amdhsa_next_free_vgpr 52
		.amdhsa_next_free_sgpr 96
		.amdhsa_reserve_vcc 1
		.amdhsa_reserve_flat_scratch 0
		.amdhsa_float_round_mode_32 0
		.amdhsa_float_round_mode_16_64 0
		.amdhsa_float_denorm_mode_32 3
		.amdhsa_float_denorm_mode_16_64 3
		.amdhsa_dx10_clamp 1
		.amdhsa_ieee_mode 1
		.amdhsa_fp16_overflow 0
		.amdhsa_exception_fp_ieee_invalid_op 0
		.amdhsa_exception_fp_denorm_src 0
		.amdhsa_exception_fp_ieee_div_zero 0
		.amdhsa_exception_fp_ieee_overflow 0
		.amdhsa_exception_fp_ieee_underflow 0
		.amdhsa_exception_fp_ieee_inexact 0
		.amdhsa_exception_int_div_zero 0
	.end_amdhsa_kernel
	.section	.text._ZN2at6native6sbtopk10gatherTopKIajLin1ELb0EEEvNS_4cuda6detail10TensorInfoIKT_T0_EES8_S8_bS8_S8_NS5_IS6_S8_EES8_NS5_IlS8_EES8_PS6_,"axG",@progbits,_ZN2at6native6sbtopk10gatherTopKIajLin1ELb0EEEvNS_4cuda6detail10TensorInfoIKT_T0_EES8_S8_bS8_S8_NS5_IS6_S8_EES8_NS5_IlS8_EES8_PS6_,comdat
.Lfunc_end26:
	.size	_ZN2at6native6sbtopk10gatherTopKIajLin1ELb0EEEvNS_4cuda6detail10TensorInfoIKT_T0_EES8_S8_bS8_S8_NS5_IS6_S8_EES8_NS5_IlS8_EES8_PS6_, .Lfunc_end26-_ZN2at6native6sbtopk10gatherTopKIajLin1ELb0EEEvNS_4cuda6detail10TensorInfoIKT_T0_EES8_S8_bS8_S8_NS5_IS6_S8_EES8_NS5_IlS8_EES8_PS6_
                                        ; -- End function
	.set _ZN2at6native6sbtopk10gatherTopKIajLin1ELb0EEEvNS_4cuda6detail10TensorInfoIKT_T0_EES8_S8_bS8_S8_NS5_IS6_S8_EES8_NS5_IlS8_EES8_PS6_.num_vgpr, 52
	.set _ZN2at6native6sbtopk10gatherTopKIajLin1ELb0EEEvNS_4cuda6detail10TensorInfoIKT_T0_EES8_S8_bS8_S8_NS5_IS6_S8_EES8_NS5_IlS8_EES8_PS6_.num_agpr, 0
	.set _ZN2at6native6sbtopk10gatherTopKIajLin1ELb0EEEvNS_4cuda6detail10TensorInfoIKT_T0_EES8_S8_bS8_S8_NS5_IS6_S8_EES8_NS5_IlS8_EES8_PS6_.numbered_sgpr, 96
	.set _ZN2at6native6sbtopk10gatherTopKIajLin1ELb0EEEvNS_4cuda6detail10TensorInfoIKT_T0_EES8_S8_bS8_S8_NS5_IS6_S8_EES8_NS5_IlS8_EES8_PS6_.num_named_barrier, 0
	.set _ZN2at6native6sbtopk10gatherTopKIajLin1ELb0EEEvNS_4cuda6detail10TensorInfoIKT_T0_EES8_S8_bS8_S8_NS5_IS6_S8_EES8_NS5_IlS8_EES8_PS6_.private_seg_size, 0
	.set _ZN2at6native6sbtopk10gatherTopKIajLin1ELb0EEEvNS_4cuda6detail10TensorInfoIKT_T0_EES8_S8_bS8_S8_NS5_IS6_S8_EES8_NS5_IlS8_EES8_PS6_.uses_vcc, 1
	.set _ZN2at6native6sbtopk10gatherTopKIajLin1ELb0EEEvNS_4cuda6detail10TensorInfoIKT_T0_EES8_S8_bS8_S8_NS5_IS6_S8_EES8_NS5_IlS8_EES8_PS6_.uses_flat_scratch, 0
	.set _ZN2at6native6sbtopk10gatherTopKIajLin1ELb0EEEvNS_4cuda6detail10TensorInfoIKT_T0_EES8_S8_bS8_S8_NS5_IS6_S8_EES8_NS5_IlS8_EES8_PS6_.has_dyn_sized_stack, 0
	.set _ZN2at6native6sbtopk10gatherTopKIajLin1ELb0EEEvNS_4cuda6detail10TensorInfoIKT_T0_EES8_S8_bS8_S8_NS5_IS6_S8_EES8_NS5_IlS8_EES8_PS6_.has_recursion, 0
	.set _ZN2at6native6sbtopk10gatherTopKIajLin1ELb0EEEvNS_4cuda6detail10TensorInfoIKT_T0_EES8_S8_bS8_S8_NS5_IS6_S8_EES8_NS5_IlS8_EES8_PS6_.has_indirect_call, 0
	.section	.AMDGPU.csdata,"",@progbits
; Kernel info:
; codeLenInByte = 16296
; TotalNumSgprs: 100
; NumVgprs: 52
; ScratchSize: 0
; MemoryBound: 0
; FloatMode: 240
; IeeeMode: 1
; LDSByteSize: 4112 bytes/workgroup (compile time only)
; SGPRBlocks: 12
; VGPRBlocks: 12
; NumSGPRsForWavesPerEU: 100
; NumVGPRsForWavesPerEU: 52
; Occupancy: 4
; WaveLimiterHint : 1
; COMPUTE_PGM_RSRC2:SCRATCH_EN: 0
; COMPUTE_PGM_RSRC2:USER_SGPR: 6
; COMPUTE_PGM_RSRC2:TRAP_HANDLER: 0
; COMPUTE_PGM_RSRC2:TGID_X_EN: 1
; COMPUTE_PGM_RSRC2:TGID_Y_EN: 1
; COMPUTE_PGM_RSRC2:TGID_Z_EN: 1
; COMPUTE_PGM_RSRC2:TIDIG_COMP_CNT: 0
	.section	.text._ZN2at6native6mbtopk23computeBlockDigitCountsIijjLi1EEEvNS_4cuda6detail10TensorInfoIKT_T0_EEjPjjS8_iijT1_PSB_Ps,"axG",@progbits,_ZN2at6native6mbtopk23computeBlockDigitCountsIijjLi1EEEvNS_4cuda6detail10TensorInfoIKT_T0_EEjPjjS8_iijT1_PSB_Ps,comdat
	.protected	_ZN2at6native6mbtopk23computeBlockDigitCountsIijjLi1EEEvNS_4cuda6detail10TensorInfoIKT_T0_EEjPjjS8_iijT1_PSB_Ps ; -- Begin function _ZN2at6native6mbtopk23computeBlockDigitCountsIijjLi1EEEvNS_4cuda6detail10TensorInfoIKT_T0_EEjPjjS8_iijT1_PSB_Ps
	.globl	_ZN2at6native6mbtopk23computeBlockDigitCountsIijjLi1EEEvNS_4cuda6detail10TensorInfoIKT_T0_EEjPjjS8_iijT1_PSB_Ps
	.p2align	8
	.type	_ZN2at6native6mbtopk23computeBlockDigitCountsIijjLi1EEEvNS_4cuda6detail10TensorInfoIKT_T0_EEjPjjS8_iijT1_PSB_Ps,@function
_ZN2at6native6mbtopk23computeBlockDigitCountsIijjLi1EEEvNS_4cuda6detail10TensorInfoIKT_T0_EEjPjjS8_iijT1_PSB_Ps: ; @_ZN2at6native6mbtopk23computeBlockDigitCountsIijjLi1EEEvNS_4cuda6detail10TensorInfoIKT_T0_EEjPjjS8_iijT1_PSB_Ps
; %bb.0:
	s_load_dwordx2 s[10:11], s[4:5], 0xf8
	s_load_dwordx4 s[12:15], s[4:5], 0xe8
	s_load_dwordx2 s[0:1], s[4:5], 0x110
	s_waitcnt lgkmcnt(0)
	v_cvt_f32_u32_e32 v1, s10
	s_sub_i32 s2, 0, s10
	s_mul_i32 s1, s1, s8
	s_add_i32 s1, s1, s7
	v_rcp_iflag_f32_e32 v1, v1
	s_mul_i32 s16, s1, s0
	s_add_i32 s16, s16, s6
	s_mov_b32 s7, 0
	v_mul_f32_e32 v1, 0x4f7ffffe, v1
	v_cvt_u32_f32_e32 v1, v1
	v_readfirstlane_b32 s0, v1
	s_mul_i32 s2, s2, s0
	s_mul_hi_u32 s1, s0, s2
	s_add_i32 s0, s0, s1
	s_mul_hi_u32 s0, s16, s0
	s_mul_i32 s1, s0, s10
	s_sub_i32 s1, s16, s1
	s_add_i32 s2, s0, 1
	s_sub_i32 s3, s1, s10
	s_cmp_ge_u32 s1, s10
	s_cselect_b32 s0, s2, s0
	s_cselect_b32 s1, s3, s1
	s_add_i32 s2, s0, 1
	s_cmp_ge_u32 s1, s10
	s_cselect_b32 s6, s2, s0
	s_cmp_ge_u32 s6, s12
	s_cbranch_scc1 .LBB27_27
; %bb.1:
	s_load_dwordx4 s[0:3], s[4:5], 0x100
	s_lshl_b64 s[8:9], s[6:7], 2
	s_movk_i32 s7, 0x100
	v_cmp_gt_u32_e32 vcc, s7, v0
	v_lshlrev_b32_e32 v3, 2, v0
	s_waitcnt lgkmcnt(0)
	s_add_u32 s0, s0, s8
	s_addc_u32 s1, s1, s9
	s_and_saveexec_b64 s[8:9], vcc
; %bb.2:
	v_mov_b32_e32 v1, 0
	ds_write_b32 v3, v1
; %bb.3:
	s_or_b64 exec, exec, s[8:9]
	s_load_dword s8, s[4:5], 0xd8
	s_mul_i32 s7, s6, s10
	s_sub_i32 s7, s16, s7
	s_add_i32 s9, s7, 1
	s_mul_i32 s7, s15, s7
	s_lshl_b32 s17, s7, 8
	s_waitcnt lgkmcnt(0)
	s_sub_i32 s7, s8, s17
	s_add_u32 s18, s7, 0xff
	s_addc_u32 s19, 0, 0
	s_lshr_b64 s[18:19], s[18:19], 8
	s_cmp_lt_u32 s9, s10
	s_cselect_b32 s15, s15, s18
	s_cmp_lt_i32 s15, 1
	s_mov_b32 s7, 0
	s_barrier
	s_cbranch_scc1 .LBB27_25
; %bb.4:
	s_load_dword s10, s[4:5], 0x6c
	s_load_dwordx2 s[18:19], s[4:5], 0x0
	s_load_dword s9, s[0:1], 0x0
	s_waitcnt lgkmcnt(0)
	s_mul_i32 s6, s10, s6
	s_lshl_b64 s[0:1], s[6:7], 2
	s_add_u32 s6, s18, s0
	s_addc_u32 s10, s19, s1
	s_and_b32 s12, s14, 0xff
	s_cmp_lt_u32 s15, 4
	s_cbranch_scc1 .LBB27_19
; %bb.5:
	v_add_u32_e32 v1, s17, v0
	v_add_u32_e32 v2, 0x200, v1
	;; [unrolled: 1-line block ×3, first 2 shown]
	v_mul_lo_u32 v6, s13, v2
	v_add_u32_e32 v2, 0x100, v1
	v_mul_lo_u32 v5, s13, v4
	v_mul_lo_u32 v7, s13, v2
	;; [unrolled: 1-line block ×3, first 2 shown]
	s_and_b32 s7, s15, 0x7ffffffc
	s_lshl_b32 s14, s13, 10
	s_mov_b32 s18, 0
	v_mov_b32_e32 v2, 0
	v_mov_b32_e32 v9, 1
	s_mov_b32 s19, 0
	s_branch .LBB27_7
.LBB27_6:                               ;   in Loop: Header=BB27_7 Depth=1
	s_or_b64 exec, exec, s[4:5]
	s_add_i32 s19, s19, 4
	s_add_i32 s18, s18, s14
	s_cmp_eq_u32 s7, s19
	v_add_u32_e32 v4, 0x400, v4
	s_cbranch_scc1 .LBB27_19
.LBB27_7:                               ; =>This Inner Loop Header: Depth=1
	v_add_u32_e32 v1, 0xfffffd00, v4
	v_cmp_gt_u32_e64 s[0:1], s8, v1
	s_and_saveexec_b64 s[4:5], s[0:1]
	s_cbranch_execz .LBB27_10
; %bb.8:                                ;   in Loop: Header=BB27_7 Depth=1
	v_add_u32_e32 v1, s18, v8
	v_lshlrev_b64 v[10:11], 2, v[1:2]
	v_mov_b32_e32 v1, s10
	v_add_co_u32_e64 v10, s[0:1], s6, v10
	v_addc_co_u32_e64 v11, s[0:1], v1, v11, s[0:1]
	global_load_dword v1, v[10:11], off
	s_waitcnt vmcnt(0)
	v_xor_b32_e32 v1, 0x80000000, v1
	v_xor_b32_e32 v10, s9, v1
	v_and_b32_e32 v10, s11, v10
	v_cmp_eq_u32_e64 s[0:1], 0, v10
	s_and_b64 exec, exec, s[0:1]
; %bb.9:                                ;   in Loop: Header=BB27_7 Depth=1
	v_bfe_u32 v1, v1, s12, 8
	v_lshlrev_b32_e32 v1, 2, v1
	ds_add_u32 v1, v9
.LBB27_10:                              ;   in Loop: Header=BB27_7 Depth=1
	s_or_b64 exec, exec, s[4:5]
	v_add_u32_e32 v1, 0xfffffe00, v4
	v_cmp_gt_u32_e64 s[0:1], s8, v1
	s_and_saveexec_b64 s[4:5], s[0:1]
	s_cbranch_execz .LBB27_13
; %bb.11:                               ;   in Loop: Header=BB27_7 Depth=1
	v_add_u32_e32 v1, s18, v7
	v_lshlrev_b64 v[10:11], 2, v[1:2]
	v_mov_b32_e32 v1, s10
	v_add_co_u32_e64 v10, s[0:1], s6, v10
	v_addc_co_u32_e64 v11, s[0:1], v1, v11, s[0:1]
	global_load_dword v1, v[10:11], off
	s_waitcnt vmcnt(0)
	v_xor_b32_e32 v1, 0x80000000, v1
	v_xor_b32_e32 v10, s9, v1
	v_and_b32_e32 v10, s11, v10
	v_cmp_eq_u32_e64 s[0:1], 0, v10
	s_and_b64 exec, exec, s[0:1]
; %bb.12:                               ;   in Loop: Header=BB27_7 Depth=1
	v_bfe_u32 v1, v1, s12, 8
	v_lshlrev_b32_e32 v1, 2, v1
	ds_add_u32 v1, v9
.LBB27_13:                              ;   in Loop: Header=BB27_7 Depth=1
	s_or_b64 exec, exec, s[4:5]
	v_add_u32_e32 v1, 0xffffff00, v4
	v_cmp_gt_u32_e64 s[0:1], s8, v1
	s_and_saveexec_b64 s[4:5], s[0:1]
	s_cbranch_execz .LBB27_16
; %bb.14:                               ;   in Loop: Header=BB27_7 Depth=1
	v_add_u32_e32 v1, s18, v6
	v_lshlrev_b64 v[10:11], 2, v[1:2]
	v_mov_b32_e32 v1, s10
	v_add_co_u32_e64 v10, s[0:1], s6, v10
	v_addc_co_u32_e64 v11, s[0:1], v1, v11, s[0:1]
	global_load_dword v1, v[10:11], off
	s_waitcnt vmcnt(0)
	v_xor_b32_e32 v1, 0x80000000, v1
	v_xor_b32_e32 v10, s9, v1
	v_and_b32_e32 v10, s11, v10
	v_cmp_eq_u32_e64 s[0:1], 0, v10
	s_and_b64 exec, exec, s[0:1]
; %bb.15:                               ;   in Loop: Header=BB27_7 Depth=1
	v_bfe_u32 v1, v1, s12, 8
	v_lshlrev_b32_e32 v1, 2, v1
	ds_add_u32 v1, v9
.LBB27_16:                              ;   in Loop: Header=BB27_7 Depth=1
	s_or_b64 exec, exec, s[4:5]
	v_cmp_gt_u32_e64 s[0:1], s8, v4
	s_and_saveexec_b64 s[4:5], s[0:1]
	s_cbranch_execz .LBB27_6
; %bb.17:                               ;   in Loop: Header=BB27_7 Depth=1
	v_add_u32_e32 v1, s18, v5
	v_lshlrev_b64 v[10:11], 2, v[1:2]
	v_mov_b32_e32 v1, s10
	v_add_co_u32_e64 v10, s[0:1], s6, v10
	v_addc_co_u32_e64 v11, s[0:1], v1, v11, s[0:1]
	global_load_dword v1, v[10:11], off
	s_waitcnt vmcnt(0)
	v_xor_b32_e32 v1, 0x80000000, v1
	v_xor_b32_e32 v10, s9, v1
	v_and_b32_e32 v10, s11, v10
	v_cmp_eq_u32_e64 s[0:1], 0, v10
	s_and_b64 exec, exec, s[0:1]
	s_cbranch_execz .LBB27_6
; %bb.18:                               ;   in Loop: Header=BB27_7 Depth=1
	v_bfe_u32 v1, v1, s12, 8
	v_lshlrev_b32_e32 v1, 2, v1
	ds_add_u32 v1, v9
	s_branch .LBB27_6
.LBB27_19:
	s_and_b32 s14, s15, 3
	s_cmp_eq_u32 s14, 0
	s_cbranch_scc1 .LBB27_25
; %bb.20:
	s_lshl_b32 s0, s7, 8
	s_add_i32 s0, s0, s17
	v_add_u32_e32 v4, s0, v0
	v_mul_lo_u32 v1, s13, v4
	s_lshl_b32 s7, s13, 8
	v_mov_b32_e32 v2, 0
	v_mov_b32_e32 v5, 1
	s_branch .LBB27_22
.LBB27_21:                              ;   in Loop: Header=BB27_22 Depth=1
	s_or_b64 exec, exec, s[4:5]
	s_add_i32 s14, s14, -1
	v_add_u32_e32 v1, s7, v1
	s_cmp_lg_u32 s14, 0
	v_add_u32_e32 v4, 0x100, v4
	s_cbranch_scc0 .LBB27_25
.LBB27_22:                              ; =>This Inner Loop Header: Depth=1
	v_cmp_gt_u32_e64 s[0:1], s8, v4
	s_and_saveexec_b64 s[4:5], s[0:1]
	s_cbranch_execz .LBB27_21
; %bb.23:                               ;   in Loop: Header=BB27_22 Depth=1
	v_lshlrev_b64 v[6:7], 2, v[1:2]
	v_mov_b32_e32 v8, s10
	v_add_co_u32_e64 v6, s[0:1], s6, v6
	v_addc_co_u32_e64 v7, s[0:1], v8, v7, s[0:1]
	global_load_dword v6, v[6:7], off
	s_waitcnt vmcnt(0)
	v_xor_b32_e32 v6, 0x80000000, v6
	v_xor_b32_e32 v7, s9, v6
	v_and_b32_e32 v7, s11, v7
	v_cmp_eq_u32_e64 s[0:1], 0, v7
	s_and_b64 exec, exec, s[0:1]
	s_cbranch_execz .LBB27_21
; %bb.24:                               ;   in Loop: Header=BB27_22 Depth=1
	v_bfe_u32 v6, v6, s12, 8
	v_lshlrev_b32_e32 v6, 2, v6
	ds_add_u32 v6, v5
	s_branch .LBB27_21
.LBB27_25:
	s_waitcnt lgkmcnt(0)
	s_barrier
	s_and_saveexec_b64 s[0:1], vcc
	s_cbranch_execz .LBB27_27
; %bb.26:
	v_lshl_or_b32 v0, s16, 8, v0
	v_mov_b32_e32 v1, 0
	ds_read_b32 v3, v3
	v_lshlrev_b64 v[0:1], 1, v[0:1]
	v_mov_b32_e32 v2, s3
	v_add_co_u32_e32 v0, vcc, s2, v0
	v_addc_co_u32_e32 v1, vcc, v2, v1, vcc
	s_waitcnt lgkmcnt(0)
	global_store_short v[0:1], v3, off
.LBB27_27:
	s_endpgm
	.section	.rodata,"a",@progbits
	.p2align	6, 0x0
	.amdhsa_kernel _ZN2at6native6mbtopk23computeBlockDigitCountsIijjLi1EEEvNS_4cuda6detail10TensorInfoIKT_T0_EEjPjjS8_iijT1_PSB_Ps
		.amdhsa_group_segment_fixed_size 1024
		.amdhsa_private_segment_fixed_size 0
		.amdhsa_kernarg_size 528
		.amdhsa_user_sgpr_count 6
		.amdhsa_user_sgpr_private_segment_buffer 1
		.amdhsa_user_sgpr_dispatch_ptr 0
		.amdhsa_user_sgpr_queue_ptr 0
		.amdhsa_user_sgpr_kernarg_segment_ptr 1
		.amdhsa_user_sgpr_dispatch_id 0
		.amdhsa_user_sgpr_flat_scratch_init 0
		.amdhsa_user_sgpr_private_segment_size 0
		.amdhsa_uses_dynamic_stack 0
		.amdhsa_system_sgpr_private_segment_wavefront_offset 0
		.amdhsa_system_sgpr_workgroup_id_x 1
		.amdhsa_system_sgpr_workgroup_id_y 1
		.amdhsa_system_sgpr_workgroup_id_z 1
		.amdhsa_system_sgpr_workgroup_info 0
		.amdhsa_system_vgpr_workitem_id 0
		.amdhsa_next_free_vgpr 12
		.amdhsa_next_free_sgpr 20
		.amdhsa_reserve_vcc 1
		.amdhsa_reserve_flat_scratch 0
		.amdhsa_float_round_mode_32 0
		.amdhsa_float_round_mode_16_64 0
		.amdhsa_float_denorm_mode_32 3
		.amdhsa_float_denorm_mode_16_64 3
		.amdhsa_dx10_clamp 1
		.amdhsa_ieee_mode 1
		.amdhsa_fp16_overflow 0
		.amdhsa_exception_fp_ieee_invalid_op 0
		.amdhsa_exception_fp_denorm_src 0
		.amdhsa_exception_fp_ieee_div_zero 0
		.amdhsa_exception_fp_ieee_overflow 0
		.amdhsa_exception_fp_ieee_underflow 0
		.amdhsa_exception_fp_ieee_inexact 0
		.amdhsa_exception_int_div_zero 0
	.end_amdhsa_kernel
	.section	.text._ZN2at6native6mbtopk23computeBlockDigitCountsIijjLi1EEEvNS_4cuda6detail10TensorInfoIKT_T0_EEjPjjS8_iijT1_PSB_Ps,"axG",@progbits,_ZN2at6native6mbtopk23computeBlockDigitCountsIijjLi1EEEvNS_4cuda6detail10TensorInfoIKT_T0_EEjPjjS8_iijT1_PSB_Ps,comdat
.Lfunc_end27:
	.size	_ZN2at6native6mbtopk23computeBlockDigitCountsIijjLi1EEEvNS_4cuda6detail10TensorInfoIKT_T0_EEjPjjS8_iijT1_PSB_Ps, .Lfunc_end27-_ZN2at6native6mbtopk23computeBlockDigitCountsIijjLi1EEEvNS_4cuda6detail10TensorInfoIKT_T0_EEjPjjS8_iijT1_PSB_Ps
                                        ; -- End function
	.set _ZN2at6native6mbtopk23computeBlockDigitCountsIijjLi1EEEvNS_4cuda6detail10TensorInfoIKT_T0_EEjPjjS8_iijT1_PSB_Ps.num_vgpr, 12
	.set _ZN2at6native6mbtopk23computeBlockDigitCountsIijjLi1EEEvNS_4cuda6detail10TensorInfoIKT_T0_EEjPjjS8_iijT1_PSB_Ps.num_agpr, 0
	.set _ZN2at6native6mbtopk23computeBlockDigitCountsIijjLi1EEEvNS_4cuda6detail10TensorInfoIKT_T0_EEjPjjS8_iijT1_PSB_Ps.numbered_sgpr, 20
	.set _ZN2at6native6mbtopk23computeBlockDigitCountsIijjLi1EEEvNS_4cuda6detail10TensorInfoIKT_T0_EEjPjjS8_iijT1_PSB_Ps.num_named_barrier, 0
	.set _ZN2at6native6mbtopk23computeBlockDigitCountsIijjLi1EEEvNS_4cuda6detail10TensorInfoIKT_T0_EEjPjjS8_iijT1_PSB_Ps.private_seg_size, 0
	.set _ZN2at6native6mbtopk23computeBlockDigitCountsIijjLi1EEEvNS_4cuda6detail10TensorInfoIKT_T0_EEjPjjS8_iijT1_PSB_Ps.uses_vcc, 1
	.set _ZN2at6native6mbtopk23computeBlockDigitCountsIijjLi1EEEvNS_4cuda6detail10TensorInfoIKT_T0_EEjPjjS8_iijT1_PSB_Ps.uses_flat_scratch, 0
	.set _ZN2at6native6mbtopk23computeBlockDigitCountsIijjLi1EEEvNS_4cuda6detail10TensorInfoIKT_T0_EEjPjjS8_iijT1_PSB_Ps.has_dyn_sized_stack, 0
	.set _ZN2at6native6mbtopk23computeBlockDigitCountsIijjLi1EEEvNS_4cuda6detail10TensorInfoIKT_T0_EEjPjjS8_iijT1_PSB_Ps.has_recursion, 0
	.set _ZN2at6native6mbtopk23computeBlockDigitCountsIijjLi1EEEvNS_4cuda6detail10TensorInfoIKT_T0_EEjPjjS8_iijT1_PSB_Ps.has_indirect_call, 0
	.section	.AMDGPU.csdata,"",@progbits
; Kernel info:
; codeLenInByte = 1188
; TotalNumSgprs: 24
; NumVgprs: 12
; ScratchSize: 0
; MemoryBound: 0
; FloatMode: 240
; IeeeMode: 1
; LDSByteSize: 1024 bytes/workgroup (compile time only)
; SGPRBlocks: 2
; VGPRBlocks: 2
; NumSGPRsForWavesPerEU: 24
; NumVGPRsForWavesPerEU: 12
; Occupancy: 10
; WaveLimiterHint : 1
; COMPUTE_PGM_RSRC2:SCRATCH_EN: 0
; COMPUTE_PGM_RSRC2:USER_SGPR: 6
; COMPUTE_PGM_RSRC2:TRAP_HANDLER: 0
; COMPUTE_PGM_RSRC2:TGID_X_EN: 1
; COMPUTE_PGM_RSRC2:TGID_Y_EN: 1
; COMPUTE_PGM_RSRC2:TGID_Z_EN: 1
; COMPUTE_PGM_RSRC2:TIDIG_COMP_CNT: 0
	.section	.text._ZN2at6native6mbtopk29computeBlockwiseWithinKCountsIjiEEvPT_PsPjjibS6_PT0_S6_S4_S6_j,"axG",@progbits,_ZN2at6native6mbtopk29computeBlockwiseWithinKCountsIjiEEvPT_PsPjjibS6_PT0_S6_S4_S6_j,comdat
	.protected	_ZN2at6native6mbtopk29computeBlockwiseWithinKCountsIjiEEvPT_PsPjjibS6_PT0_S6_S4_S6_j ; -- Begin function _ZN2at6native6mbtopk29computeBlockwiseWithinKCountsIjiEEvPT_PsPjjibS6_PT0_S6_S4_S6_j
	.globl	_ZN2at6native6mbtopk29computeBlockwiseWithinKCountsIjiEEvPT_PsPjjibS6_PT0_S6_S4_S6_j
	.p2align	8
	.type	_ZN2at6native6mbtopk29computeBlockwiseWithinKCountsIjiEEvPT_PsPjjibS6_PT0_S6_S4_S6_j,@function
_ZN2at6native6mbtopk29computeBlockwiseWithinKCountsIjiEEvPT_PsPjjibS6_PT0_S6_S4_S6_j: ; @_ZN2at6native6mbtopk29computeBlockwiseWithinKCountsIjiEEvPT_PsPjjibS6_PT0_S6_S4_S6_j
; %bb.0:
	s_load_dwordx4 s[16:19], s[4:5], 0x18
	s_load_dword s2, s[4:5], 0x50
	s_load_dwordx2 s[0:1], s[4:5], 0x58
	s_waitcnt lgkmcnt(0)
	v_cvt_f32_u32_e32 v1, s16
	s_mul_i32 s1, s1, s8
	s_add_i32 s1, s1, s7
	v_rcp_iflag_f32_e32 v1, v1
	s_mul_i32 s0, s1, s0
	s_add_i32 s6, s0, s6
	s_cmp_ge_u32 s6, s2
	v_mul_f32_e32 v1, 0x4f7ffffe, v1
	v_cvt_u32_f32_e32 v1, v1
	v_readfirstlane_b32 s0, v1
	s_cbranch_scc1 .LBB28_37
; %bb.1:
	s_sub_i32 s1, 0, s16
	s_mul_i32 s1, s1, s0
	s_mul_hi_u32 s1, s0, s1
	s_add_i32 s0, s0, s1
	s_mul_hi_u32 s2, s6, s0
	s_mul_i32 s3, s2, s16
	s_sub_i32 s3, s6, s3
	s_add_i32 s8, s2, 1
	s_sub_i32 s9, s3, s16
	s_cmp_ge_u32 s3, s16
	s_load_dwordx4 s[20:23], s[4:5], 0x0
	s_load_dwordx2 s[0:1], s[4:5], 0x10
	s_cselect_b32 s2, s8, s2
	s_cselect_b32 s3, s9, s3
	s_add_i32 s8, s2, 1
	s_mov_b32 s7, 0
	s_cmp_ge_u32 s3, s16
	s_cselect_b32 s28, s8, s2
	s_mov_b32 s29, s7
	s_lshl_b64 s[24:25], s[28:29], 2
	s_waitcnt lgkmcnt(0)
	s_add_u32 s0, s0, s24
	s_movk_i32 s2, 0x100
	s_addc_u32 s1, s1, s25
	v_cmp_gt_u32_e64 s[2:3], s2, v0
	s_and_saveexec_b64 s[8:9], s[2:3]
	s_cbranch_execz .LBB28_8
; %bb.2:
	s_mul_i32 s10, s28, s16
	s_lshl_b32 s10, s10, 8
	s_mov_b32 s11, s7
	s_lshl_b64 s[10:11], s[10:11], 1
	s_add_u32 s10, s22, s10
	s_addc_u32 s11, s23, s11
	v_lshlrev_b32_e32 v1, 1, v0
	v_mov_b32_e32 v2, s11
	v_add_co_u32_e32 v1, vcc, s10, v1
	v_mov_b32_e32 v3, 0
	s_cmp_lt_u32 s16, 4
	v_addc_co_u32_e32 v2, vcc, 0, v2, vcc
	s_cbranch_scc1 .LBB28_38
; %bb.3:
	v_mov_b32_e32 v3, 0
	s_mov_b32 s10, 0
.LBB28_4:                               ; =>This Inner Loop Header: Depth=1
	global_load_sshort v4, v[1:2], off
	global_load_sshort v5, v[1:2], off offset:512
	global_load_sshort v6, v[1:2], off offset:1024
	;; [unrolled: 1-line block ×3, first 2 shown]
	s_mov_b32 s11, s10
	v_add_co_u32_e32 v1, vcc, 0x800, v1
	s_add_i32 s10, s10, 4
	s_add_i32 s11, s11, 7
	v_addc_co_u32_e32 v2, vcc, 0, v2, vcc
	s_cmp_ge_u32 s11, s16
	s_waitcnt vmcnt(2)
	v_add3_u32 v3, v3, v4, v5
	s_waitcnt vmcnt(0)
	v_add3_u32 v3, v3, v6, v7
	s_cbranch_scc0 .LBB28_4
; %bb.5:
	s_cmp_ge_u32 s10, s16
	s_cbranch_scc1 .LBB28_7
.LBB28_6:                               ; =>This Inner Loop Header: Depth=1
	global_load_sshort v4, v[1:2], off
	v_add_co_u32_e32 v1, vcc, 0x200, v1
	s_add_i32 s10, s10, 1
	v_addc_co_u32_e32 v2, vcc, 0, v2, vcc
	s_cmp_lt_u32 s10, s16
	s_waitcnt vmcnt(0)
	v_add_u32_e32 v3, v3, v4
	s_cbranch_scc1 .LBB28_6
.LBB28_7:
	v_lshlrev_b32_e32 v1, 2, v0
	ds_write_b32 v1, v3 offset:1056
.LBB28_8:
	s_or_b64 exec, exec, s[8:9]
	s_load_dword s19, s[0:1], 0x0
	v_mov_b32_e32 v3, 0
	s_waitcnt lgkmcnt(0)
	s_barrier
	s_and_saveexec_b64 s[0:1], s[2:3]
; %bb.9:
	v_lshlrev_b32_e32 v1, 2, v0
	ds_read_b32 v3, v1 offset:1056
; %bb.10:
	s_or_b64 exec, exec, s[0:1]
	v_lshrrev_b32_e32 v1, 3, v0
	v_and_b32_e32 v1, 28, v1
	v_lshl_add_u32 v2, v0, 2, v1
	v_cmp_gt_u32_e64 s[0:1], 64, v0
	v_mbcnt_lo_u32_b32 v1, -1, 0
	s_waitcnt lgkmcnt(0)
	ds_write_b32 v2, v3
	s_waitcnt lgkmcnt(0)
	s_barrier
	s_and_saveexec_b64 s[8:9], s[0:1]
	s_cbranch_execz .LBB28_12
; %bb.11:
	v_lshrrev_b32_e32 v4, 1, v0
	v_and_b32_e32 v4, 0x7c, v4
	v_lshl_add_u32 v8, v0, 4, v4
	ds_read2_b32 v[4:5], v8 offset1:1
	ds_read2_b32 v[6:7], v8 offset0:2 offset1:3
	v_mbcnt_hi_u32_b32 v9, -1, v1
	v_and_b32_e32 v10, 15, v9
	v_cmp_ne_u32_e32 vcc, 0, v10
	s_waitcnt lgkmcnt(1)
	v_add_u32_e32 v5, v5, v4
	s_waitcnt lgkmcnt(0)
	v_add3_u32 v5, v5, v6, v7
	v_bfe_i32 v7, v9, 4, 1
	s_nop 0
	v_mov_b32_dpp v6, v5 row_shr:1 row_mask:0xf bank_mask:0xf
	v_cndmask_b32_e32 v6, 0, v6, vcc
	v_add_u32_e32 v5, v6, v5
	v_cmp_lt_u32_e32 vcc, 1, v10
	; wave barrier
	s_nop 0
	v_mov_b32_dpp v6, v5 row_shr:2 row_mask:0xf bank_mask:0xf
	v_cndmask_b32_e32 v6, 0, v6, vcc
	v_add_u32_e32 v5, v5, v6
	v_cmp_lt_u32_e32 vcc, 3, v10
	s_nop 0
	v_mov_b32_dpp v6, v5 row_shr:4 row_mask:0xf bank_mask:0xf
	v_cndmask_b32_e32 v6, 0, v6, vcc
	v_add_u32_e32 v5, v5, v6
	v_cmp_lt_u32_e32 vcc, 7, v10
	;; [unrolled: 5-line block ×3, first 2 shown]
	s_nop 0
	v_mov_b32_dpp v6, v5 row_bcast:15 row_mask:0xf bank_mask:0xf
	v_and_b32_e32 v6, v7, v6
	v_add_u32_e32 v5, v5, v6
	v_and_b32_e32 v7, 64, v9
	s_nop 0
	v_mov_b32_dpp v6, v5 row_bcast:31 row_mask:0xf bank_mask:0xf
	v_cndmask_b32_e32 v6, 0, v6, vcc
	v_add_u32_e32 v5, v5, v6
	v_add_u32_e32 v6, -1, v9
	v_cmp_lt_i32_e32 vcc, v6, v7
	v_cndmask_b32_e32 v6, v6, v9, vcc
	v_lshlrev_b32_e32 v6, 2, v6
	ds_bpermute_b32 v5, v6, v5
	v_cmp_eq_u32_e32 vcc, 0, v0
	s_waitcnt lgkmcnt(0)
	v_add_u32_e32 v4, v5, v4
	v_cndmask_b32_e32 v5, v4, v3, vcc
	ds_write_b32 v8, v5
	; wave barrier
	ds_read2_b32 v[3:4], v8 offset0:1 offset1:2
	ds_read_b32 v6, v8 offset:12
	s_waitcnt lgkmcnt(1)
	v_add_u32_e32 v3, v3, v5
	v_add_u32_e32 v4, v4, v3
	ds_write2_b32 v8, v3, v4 offset0:1 offset1:2
	s_waitcnt lgkmcnt(1)
	v_add_u32_e32 v3, v6, v4
	ds_write_b32 v8, v3 offset:12
.LBB28_12:
	s_or_b64 exec, exec, s[8:9]
	s_waitcnt lgkmcnt(0)
	s_barrier
	ds_read_b32 v3, v2
	s_waitcnt lgkmcnt(0)
	s_barrier
	s_and_saveexec_b64 s[8:9], s[2:3]
; %bb.13:
	v_lshlrev_b32_e32 v2, 2, v0
	ds_write_b32 v2, v3 offset:1056
; %bb.14:
	s_or_b64 exec, exec, s[8:9]
	s_load_dwordx8 s[8:15], s[4:5], 0x28
	s_load_dwordx2 s[26:27], s[4:5], 0x48
	s_waitcnt lgkmcnt(0)
	s_barrier
	s_and_saveexec_b64 s[4:5], s[2:3]
	s_cbranch_execz .LBB28_20
; %bb.15:
	v_mov_b32_e32 v2, 0
	v_cmp_ne_u32_e32 vcc, 0, v0
	s_and_saveexec_b64 s[2:3], vcc
; %bb.16:
	v_lshlrev_b32_e32 v2, 2, v0
	ds_read_b32 v2, v2 offset:1052
; %bb.17:
	s_or_b64 exec, exec, s[2:3]
	s_waitcnt lgkmcnt(0)
	v_cmp_gt_u32_e32 vcc, s19, v2
	v_cmp_le_u32_e64 s[2:3], s19, v3
	s_and_b64 s[2:3], vcc, s[2:3]
	s_and_b64 exec, exec, s[2:3]
	s_cbranch_execz .LBB28_20
; %bb.18:
	s_add_u32 s2, s20, s24
	s_addc_u32 s3, s21, s25
	v_mov_b32_e32 v3, 0
	global_load_dword v4, v3, s[2:3]
	s_lshl_b32 s3, 0xff, s17
	v_not_b32_e32 v6, s3
	v_lshlrev_b32_e32 v5, s17, v0
	s_mul_i32 s2, s28, s16
	s_cmp_lg_u32 s6, s2
	s_waitcnt vmcnt(0)
	v_and_b32_e32 v4, v4, v6
	v_or_b32_e32 v4, v4, v5
	ds_write_b32 v3, v4 offset:2096
	s_cbranch_scc1 .LBB28_20
; %bb.19:
	s_add_u32 s2, s14, s24
	s_addc_u32 s3, s15, s25
	s_cmp_gt_i32 s17, 0
	global_store_dword v3, v4, s[2:3]
	v_sub_u32_e32 v2, s19, v2
	s_cselect_b64 s[2:3], -1, 0
	v_cndmask_b32_e64 v2, -v4, v2, s[2:3]
	s_and_b64 s[2:3], s[2:3], exec
	s_cselect_b32 s2, s12, s10
	s_cselect_b32 s3, s13, s11
	s_add_u32 s2, s2, s24
	s_addc_u32 s3, s3, s25
	global_store_dword v3, v2, s[2:3]
.LBB28_20:
	s_or_b64 exec, exec, s[4:5]
	v_mov_b32_e32 v2, 0
	s_waitcnt vmcnt(0) lgkmcnt(0)
	s_barrier
	ds_read_b32 v2, v2 offset:2096
	s_bitcmp0_b32 s18, 0
	s_waitcnt lgkmcnt(0)
	v_lshrrev_b32_e32 v2, s17, v2
	s_cbranch_scc0 .LBB28_22
; %bb.21:
	v_and_b32_e32 v3, 0xc0, v0
	v_cmp_lt_u32_sdwa s[10:11], v3, v2 src0_sel:DWORD src1_sel:BYTE_0
	v_cmp_lt_u32_sdwa s[4:5], v0, v2 src0_sel:DWORD src1_sel:BYTE_0
	s_cbranch_execz .LBB28_23
	s_branch .LBB28_24
.LBB28_22:
                                        ; implicit-def: $sgpr4_sgpr5
                                        ; implicit-def: $sgpr10_sgpr11
.LBB28_23:
	v_or_b32_e32 v3, 63, v0
	v_cmp_gt_u32_sdwa s[2:3], v3, v2 src0_sel:DWORD src1_sel:BYTE_0
	v_cmp_gt_u32_sdwa s[12:13], v0, v2 src0_sel:DWORD src1_sel:BYTE_0
	s_andn2_b64 s[4:5], s[4:5], exec
	s_and_b64 s[12:13], s[12:13], exec
	s_andn2_b64 s[10:11], s[10:11], exec
	s_and_b64 s[2:3], s[2:3], exec
	s_or_b64 s[4:5], s[4:5], s[12:13]
	s_or_b64 s[10:11], s[10:11], s[2:3]
.LBB28_24:
	v_mov_b32_e32 v2, 0
	s_and_saveexec_b64 s[2:3], s[10:11]
	s_cbranch_execz .LBB28_28
; %bb.25:
	v_mov_b32_e32 v2, 0
	s_and_saveexec_b64 s[10:11], s[4:5]
	s_cbranch_execz .LBB28_27
; %bb.26:
	s_lshl_b32 s4, s6, 8
	s_mov_b32 s5, 0
	s_lshl_b64 s[4:5], s[4:5], 1
	s_add_u32 s4, s22, s4
	s_addc_u32 s5, s23, s5
	v_lshlrev_b32_e32 v2, 1, v0
	global_load_sshort v2, v2, s[4:5]
.LBB28_27:
	s_or_b64 exec, exec, s[10:11]
	v_mbcnt_hi_u32_b32 v3, -1, v1
	v_mov_b32_e32 v4, 0x80
	v_lshl_or_b32 v4, v3, 2, v4
	s_waitcnt vmcnt(0)
	ds_bpermute_b32 v4, v4, v2
	v_and_b32_e32 v5, 63, v3
	v_cmp_gt_u32_e32 vcc, 48, v5
	v_cndmask_b32_e64 v6, 0, 16, vcc
	v_cmp_gt_u32_e32 vcc, 56, v5
	s_waitcnt lgkmcnt(0)
	v_add_u32_e32 v2, v4, v2
	v_add_lshl_u32 v4, v6, v3, 2
	ds_bpermute_b32 v4, v4, v2
	v_cndmask_b32_e64 v6, 0, 8, vcc
	v_add_lshl_u32 v6, v6, v3, 2
	v_cmp_gt_u32_e32 vcc, 60, v5
	s_waitcnt lgkmcnt(0)
	v_add_u32_e32 v2, v4, v2
	ds_bpermute_b32 v4, v6, v2
	v_cndmask_b32_e64 v6, 0, 4, vcc
	v_add_lshl_u32 v6, v6, v3, 2
	v_cmp_gt_u32_e32 vcc, 62, v5
	s_waitcnt lgkmcnt(0)
	v_add_u32_e32 v2, v4, v2
	ds_bpermute_b32 v4, v6, v2
	v_cndmask_b32_e64 v6, 0, 2, vcc
	v_add_lshl_u32 v6, v6, v3, 2
	v_cmp_ne_u32_e32 vcc, 63, v5
	v_addc_co_u32_e32 v3, vcc, 0, v3, vcc
	s_waitcnt lgkmcnt(0)
	v_add_u32_e32 v2, v4, v2
	ds_bpermute_b32 v4, v6, v2
	v_lshlrev_b32_e32 v3, 2, v3
	s_waitcnt lgkmcnt(0)
	v_add_u32_e32 v2, v4, v2
	ds_bpermute_b32 v3, v3, v2
	s_waitcnt lgkmcnt(0)
	v_add_u32_e32 v2, v3, v2
.LBB28_28:
	s_or_b64 exec, exec, s[2:3]
	v_and_b32_e32 v3, 63, v0
	v_cmp_eq_u32_e32 vcc, 0, v3
	s_and_saveexec_b64 s[2:3], vcc
; %bb.29:
	v_lshrrev_b32_e32 v3, 4, v0
	v_and_b32_e32 v3, 12, v3
	ds_write_b32 v3, v2 offset:2080
; %bb.30:
	s_or_b64 exec, exec, s[2:3]
	s_waitcnt lgkmcnt(0)
	s_barrier
	s_and_saveexec_b64 s[2:3], s[0:1]
	s_cbranch_execz .LBB28_37
; %bb.31:
	v_cmp_gt_u32_e32 vcc, 4, v0
	v_mov_b32_e32 v2, 0
	s_and_saveexec_b64 s[0:1], vcc
; %bb.32:
	v_lshlrev_b32_e32 v2, 2, v0
	ds_read_b32 v2, v2 offset:2080
; %bb.33:
	s_or_b64 exec, exec, s[0:1]
	v_mbcnt_hi_u32_b32 v1, -1, v1
	v_and_b32_e32 v3, 63, v1
	v_cmp_gt_u32_e32 vcc, 62, v3
	v_cndmask_b32_e64 v4, 0, 2, vcc
	v_add_lshl_u32 v4, v4, v1, 2
	s_waitcnt lgkmcnt(0)
	ds_bpermute_b32 v4, v4, v2
	v_cmp_ne_u32_e32 vcc, 63, v3
	v_addc_co_u32_e32 v3, vcc, 0, v1, vcc
	v_cmp_eq_u32_e32 vcc, 0, v0
	s_waitcnt lgkmcnt(0)
	v_add_u32_e32 v1, v4, v2
	v_lshlrev_b32_e32 v2, 2, v3
	ds_bpermute_b32 v2, v2, v1
	s_and_saveexec_b64 s[0:1], vcc
	s_cbranch_execz .LBB28_35
; %bb.34:
	s_lshl_b64 s[2:3], s[6:7], 2
	s_add_u32 s2, s8, s2
	s_addc_u32 s3, s9, s3
	v_mov_b32_e32 v3, 0
	global_load_dword v4, v3, s[2:3]
	s_waitcnt vmcnt(0) lgkmcnt(0)
	v_add3_u32 v1, v2, v1, v4
	global_store_dword v3, v1, s[2:3]
.LBB28_35:
	s_or_b64 exec, exec, s[0:1]
	v_or_b32_e32 v0, s17, v0
	v_cmp_eq_u32_e32 vcc, 0, v0
	s_and_b64 exec, exec, vcc
	s_cbranch_execz .LBB28_37
; %bb.36:
	v_mov_b32_e32 v0, 0
	ds_read_b32 v1, v0 offset:2096
	s_lshl_b32 s0, s6, 8
	s_mov_b32 s1, 0
	s_lshl_b64 s[0:1], s[0:1], 1
	s_add_u32 s0, s22, s0
	s_waitcnt lgkmcnt(1)
	v_mov_b32_e32 v2, 1
	s_addc_u32 s1, s23, s1
	s_waitcnt lgkmcnt(0)
	v_lshlrev_b32_sdwa v1, v2, v1 dst_sel:DWORD dst_unused:UNUSED_PAD src0_sel:DWORD src1_sel:BYTE_0
	global_load_sshort v1, v1, s[0:1]
	s_lshl_b64 s[0:1], s[6:7], 2
	s_add_u32 s0, s26, s0
	s_addc_u32 s1, s27, s1
	s_waitcnt vmcnt(0)
	global_store_dword v0, v1, s[0:1]
.LBB28_37:
	s_endpgm
.LBB28_38:
	s_mov_b32 s10, s7
	s_cmp_ge_u32 s10, s16
	s_cbranch_scc0 .LBB28_6
	s_branch .LBB28_7
	.section	.rodata,"a",@progbits
	.p2align	6, 0x0
	.amdhsa_kernel _ZN2at6native6mbtopk29computeBlockwiseWithinKCountsIjiEEvPT_PsPjjibS6_PT0_S6_S4_S6_j
		.amdhsa_group_segment_fixed_size 2100
		.amdhsa_private_segment_fixed_size 0
		.amdhsa_kernarg_size 344
		.amdhsa_user_sgpr_count 6
		.amdhsa_user_sgpr_private_segment_buffer 1
		.amdhsa_user_sgpr_dispatch_ptr 0
		.amdhsa_user_sgpr_queue_ptr 0
		.amdhsa_user_sgpr_kernarg_segment_ptr 1
		.amdhsa_user_sgpr_dispatch_id 0
		.amdhsa_user_sgpr_flat_scratch_init 0
		.amdhsa_user_sgpr_private_segment_size 0
		.amdhsa_uses_dynamic_stack 0
		.amdhsa_system_sgpr_private_segment_wavefront_offset 0
		.amdhsa_system_sgpr_workgroup_id_x 1
		.amdhsa_system_sgpr_workgroup_id_y 1
		.amdhsa_system_sgpr_workgroup_id_z 1
		.amdhsa_system_sgpr_workgroup_info 0
		.amdhsa_system_vgpr_workitem_id 0
		.amdhsa_next_free_vgpr 11
		.amdhsa_next_free_sgpr 30
		.amdhsa_reserve_vcc 1
		.amdhsa_reserve_flat_scratch 0
		.amdhsa_float_round_mode_32 0
		.amdhsa_float_round_mode_16_64 0
		.amdhsa_float_denorm_mode_32 3
		.amdhsa_float_denorm_mode_16_64 3
		.amdhsa_dx10_clamp 1
		.amdhsa_ieee_mode 1
		.amdhsa_fp16_overflow 0
		.amdhsa_exception_fp_ieee_invalid_op 0
		.amdhsa_exception_fp_denorm_src 0
		.amdhsa_exception_fp_ieee_div_zero 0
		.amdhsa_exception_fp_ieee_overflow 0
		.amdhsa_exception_fp_ieee_underflow 0
		.amdhsa_exception_fp_ieee_inexact 0
		.amdhsa_exception_int_div_zero 0
	.end_amdhsa_kernel
	.section	.text._ZN2at6native6mbtopk29computeBlockwiseWithinKCountsIjiEEvPT_PsPjjibS6_PT0_S6_S4_S6_j,"axG",@progbits,_ZN2at6native6mbtopk29computeBlockwiseWithinKCountsIjiEEvPT_PsPjjibS6_PT0_S6_S4_S6_j,comdat
.Lfunc_end28:
	.size	_ZN2at6native6mbtopk29computeBlockwiseWithinKCountsIjiEEvPT_PsPjjibS6_PT0_S6_S4_S6_j, .Lfunc_end28-_ZN2at6native6mbtopk29computeBlockwiseWithinKCountsIjiEEvPT_PsPjjibS6_PT0_S6_S4_S6_j
                                        ; -- End function
	.set _ZN2at6native6mbtopk29computeBlockwiseWithinKCountsIjiEEvPT_PsPjjibS6_PT0_S6_S4_S6_j.num_vgpr, 11
	.set _ZN2at6native6mbtopk29computeBlockwiseWithinKCountsIjiEEvPT_PsPjjibS6_PT0_S6_S4_S6_j.num_agpr, 0
	.set _ZN2at6native6mbtopk29computeBlockwiseWithinKCountsIjiEEvPT_PsPjjibS6_PT0_S6_S4_S6_j.numbered_sgpr, 30
	.set _ZN2at6native6mbtopk29computeBlockwiseWithinKCountsIjiEEvPT_PsPjjibS6_PT0_S6_S4_S6_j.num_named_barrier, 0
	.set _ZN2at6native6mbtopk29computeBlockwiseWithinKCountsIjiEEvPT_PsPjjibS6_PT0_S6_S4_S6_j.private_seg_size, 0
	.set _ZN2at6native6mbtopk29computeBlockwiseWithinKCountsIjiEEvPT_PsPjjibS6_PT0_S6_S4_S6_j.uses_vcc, 1
	.set _ZN2at6native6mbtopk29computeBlockwiseWithinKCountsIjiEEvPT_PsPjjibS6_PT0_S6_S4_S6_j.uses_flat_scratch, 0
	.set _ZN2at6native6mbtopk29computeBlockwiseWithinKCountsIjiEEvPT_PsPjjibS6_PT0_S6_S4_S6_j.has_dyn_sized_stack, 0
	.set _ZN2at6native6mbtopk29computeBlockwiseWithinKCountsIjiEEvPT_PsPjjibS6_PT0_S6_S4_S6_j.has_recursion, 0
	.set _ZN2at6native6mbtopk29computeBlockwiseWithinKCountsIjiEEvPT_PsPjjibS6_PT0_S6_S4_S6_j.has_indirect_call, 0
	.section	.AMDGPU.csdata,"",@progbits
; Kernel info:
; codeLenInByte = 1824
; TotalNumSgprs: 34
; NumVgprs: 11
; ScratchSize: 0
; MemoryBound: 0
; FloatMode: 240
; IeeeMode: 1
; LDSByteSize: 2100 bytes/workgroup (compile time only)
; SGPRBlocks: 4
; VGPRBlocks: 2
; NumSGPRsForWavesPerEU: 34
; NumVGPRsForWavesPerEU: 11
; Occupancy: 10
; WaveLimiterHint : 1
; COMPUTE_PGM_RSRC2:SCRATCH_EN: 0
; COMPUTE_PGM_RSRC2:USER_SGPR: 6
; COMPUTE_PGM_RSRC2:TRAP_HANDLER: 0
; COMPUTE_PGM_RSRC2:TGID_X_EN: 1
; COMPUTE_PGM_RSRC2:TGID_Y_EN: 1
; COMPUTE_PGM_RSRC2:TGID_Z_EN: 1
; COMPUTE_PGM_RSRC2:TIDIG_COMP_CNT: 0
	.section	.text._ZN2at6native6mbtopk10gatherTopKIijLi1EEEvNS_4cuda6detail10TensorInfoIKT_T0_EES8_S8_bjS8_NS5_IS6_S8_EES8_NS5_IlS8_EES8_jjPS6_PjSD_j,"axG",@progbits,_ZN2at6native6mbtopk10gatherTopKIijLi1EEEvNS_4cuda6detail10TensorInfoIKT_T0_EES8_S8_bjS8_NS5_IS6_S8_EES8_NS5_IlS8_EES8_jjPS6_PjSD_j,comdat
	.protected	_ZN2at6native6mbtopk10gatherTopKIijLi1EEEvNS_4cuda6detail10TensorInfoIKT_T0_EES8_S8_bjS8_NS5_IS6_S8_EES8_NS5_IlS8_EES8_jjPS6_PjSD_j ; -- Begin function _ZN2at6native6mbtopk10gatherTopKIijLi1EEEvNS_4cuda6detail10TensorInfoIKT_T0_EES8_S8_bjS8_NS5_IS6_S8_EES8_NS5_IlS8_EES8_jjPS6_PjSD_j
	.globl	_ZN2at6native6mbtopk10gatherTopKIijLi1EEEvNS_4cuda6detail10TensorInfoIKT_T0_EES8_S8_bjS8_NS5_IS6_S8_EES8_NS5_IlS8_EES8_jjPS6_PjSD_j
	.p2align	8
	.type	_ZN2at6native6mbtopk10gatherTopKIijLi1EEEvNS_4cuda6detail10TensorInfoIKT_T0_EES8_S8_bjS8_NS5_IS6_S8_EES8_NS5_IlS8_EES8_jjPS6_PjSD_j,@function
_ZN2at6native6mbtopk10gatherTopKIijLi1EEEvNS_4cuda6detail10TensorInfoIKT_T0_EES8_S8_bjS8_NS5_IS6_S8_EES8_NS5_IlS8_EES8_jjPS6_PjSD_j: ; @_ZN2at6native6mbtopk10gatherTopKIijLi1EEEvNS_4cuda6detail10TensorInfoIKT_T0_EES8_S8_bjS8_NS5_IS6_S8_EES8_NS5_IlS8_EES8_jjPS6_PjSD_j
; %bb.0:
	s_load_dwordx2 s[0:1], s[4:5], 0x2d8
	s_load_dword s2, s[4:5], 0x2d0
	s_waitcnt lgkmcnt(0)
	s_mul_i32 s1, s1, s8
	s_add_i32 s1, s1, s7
	s_mul_i32 s0, s1, s0
	s_add_i32 s0, s0, s6
	s_cmp_ge_u32 s0, s2
	s_cbranch_scc1 .LBB29_40
; %bb.1:
	s_load_dwordx8 s[8:15], s[4:5], 0x2a8
	s_mov_b32 s25, 0
	s_load_dwordx2 s[6:7], s[4:5], 0x1d0
	s_load_dwordx2 s[20:21], s[4:5], 0xf0
	;; [unrolled: 1-line block ×3, first 2 shown]
	s_waitcnt lgkmcnt(0)
	v_cvt_f32_u32_e32 v1, s10
	s_sub_i32 s1, 0, s10
	v_rcp_iflag_f32_e32 v1, v1
	v_mul_f32_e32 v1, 0x4f7ffffe, v1
	v_cvt_u32_f32_e32 v1, v1
	v_readfirstlane_b32 s2, v1
	s_mul_i32 s1, s1, s2
	s_mul_hi_u32 s1, s2, s1
	s_add_i32 s2, s2, s1
	s_mul_hi_u32 s1, s0, s2
	s_mul_i32 s2, s1, s10
	s_sub_i32 s2, s0, s2
	s_add_i32 s3, s1, 1
	s_sub_i32 s11, s2, s10
	s_cmp_ge_u32 s2, s10
	s_cselect_b32 s1, s3, s1
	s_cselect_b32 s2, s11, s2
	s_add_i32 s3, s1, 1
	s_cmp_ge_u32 s2, s10
	s_cselect_b32 s24, s3, s1
	s_mul_i32 s16, s24, s10
	s_sub_i32 s11, s0, s16
	s_lshl_b64 s[0:1], s[24:25], 2
	s_add_u32 s0, s12, s0
	s_addc_u32 s1, s13, s1
	s_load_dword s33, s[0:1], 0x0
	v_cmp_ne_u32_e64 s[0:1], 0, v0
	v_cmp_eq_u32_e64 s[2:3], 0, v0
	s_and_saveexec_b64 s[12:13], s[2:3]
	s_cbranch_execz .LBB29_17
; %bb.2:
	s_load_dwordx2 s[26:27], s[4:5], 0x2c8
	s_mov_b32 s17, s25
	s_lshl_b64 s[28:29], s[16:17], 2
	s_add_u32 s16, s14, s28
	s_addc_u32 s17, s15, s29
	s_waitcnt lgkmcnt(0)
	s_add_u32 s18, s26, s28
	s_addc_u32 s19, s27, s29
	s_cmp_lt_u32 s10, 4
	s_cbranch_scc1 .LBB29_14
; %bb.3:
	s_mov_b32 s34, s25
	s_mov_b32 s35, s25
	;; [unrolled: 1-line block ×3, first 2 shown]
.LBB29_4:                               ; =>This Inner Loop Header: Depth=1
	s_add_u32 s30, s14, s28
	s_addc_u32 s31, s15, s29
	s_load_dwordx4 s[16:19], s[30:31], 0x0
	s_add_u32 s30, s26, s28
	s_addc_u32 s31, s27, s29
	s_cmp_ge_u32 s36, s11
	s_cbranch_scc0 .LBB29_11
; %bb.5:                                ;   in Loop: Header=BB29_4 Depth=1
	s_add_i32 s37, s36, 1
	s_cmp_ge_u32 s37, s11
	s_cbranch_scc0 .LBB29_12
.LBB29_6:                               ;   in Loop: Header=BB29_4 Depth=1
	s_add_i32 s37, s37, 1
	s_cmp_ge_u32 s37, s11
	s_cbranch_scc0 .LBB29_13
.LBB29_7:                               ;   in Loop: Header=BB29_4 Depth=1
	s_add_i32 s37, s37, 1
	s_cmp_ge_u32 s37, s11
	s_cbranch_scc1 .LBB29_9
.LBB29_8:                               ;   in Loop: Header=BB29_4 Depth=1
	s_load_dword s30, s[30:31], 0xc
	s_waitcnt lgkmcnt(0)
	s_add_i32 s25, s25, s19
	s_add_i32 s34, s30, s34
.LBB29_9:                               ;   in Loop: Header=BB29_4 Depth=1
	s_waitcnt lgkmcnt(0)
	s_add_i32 s16, s16, s35
	s_add_i32 s16, s16, s17
	;; [unrolled: 1-line block ×4, first 2 shown]
	s_add_u32 s14, s14, 16
	s_addc_u32 s15, s15, 0
	s_add_u32 s26, s26, 16
	s_addc_u32 s27, s27, 0
	s_add_i32 s31, s37, 4
	s_add_u32 s18, s26, s28
	s_addc_u32 s19, s27, s29
	s_add_u32 s16, s14, s28
	s_addc_u32 s17, s15, s29
	s_add_i32 s30, s37, 1
	s_cmp_ge_u32 s31, s10
	s_cbranch_scc1 .LBB29_15
; %bb.10:                               ;   in Loop: Header=BB29_4 Depth=1
	s_mov_b32 s36, s30
	s_branch .LBB29_4
.LBB29_11:                              ;   in Loop: Header=BB29_4 Depth=1
	s_load_dword s37, s[30:31], 0x0
	s_waitcnt lgkmcnt(0)
	s_add_i32 s25, s16, s25
	s_add_i32 s34, s37, s34
	;; [unrolled: 1-line block ×3, first 2 shown]
	s_cmp_ge_u32 s37, s11
	s_cbranch_scc1 .LBB29_6
.LBB29_12:                              ;   in Loop: Header=BB29_4 Depth=1
	s_load_dword s38, s[30:31], 0x4
	s_waitcnt lgkmcnt(0)
	s_add_i32 s25, s25, s17
	s_add_i32 s34, s38, s34
	;; [unrolled: 1-line block ×3, first 2 shown]
	s_cmp_ge_u32 s37, s11
	s_cbranch_scc1 .LBB29_7
.LBB29_13:                              ;   in Loop: Header=BB29_4 Depth=1
	s_load_dword s38, s[30:31], 0x8
	s_waitcnt lgkmcnt(0)
	s_add_i32 s25, s25, s18
	s_add_i32 s34, s38, s34
	;; [unrolled: 1-line block ×3, first 2 shown]
	s_cmp_ge_u32 s37, s11
	s_cbranch_scc0 .LBB29_8
	s_branch .LBB29_9
.LBB29_14:
	s_mov_b32 s34, 0
	s_mov_b32 s35, 0
	;; [unrolled: 1-line block ×3, first 2 shown]
	s_cmp_ge_u32 s14, s10
	s_cbranch_scc0 .LBB29_38
	s_branch .LBB29_16
.LBB29_15:
	s_add_i32 s14, s36, 4
	s_cmp_ge_u32 s14, s10
	s_cbranch_scc0 .LBB29_38
.LBB29_16:
	v_mov_b32_e32 v1, s34
	v_mov_b32_e32 v2, s35
	;; [unrolled: 1-line block ×4, first 2 shown]
	ds_write_b96 v4, v[1:3] offset:1056
.LBB29_17:
	s_or_b64 exec, exec, s[12:13]
	s_load_dword s16, s[4:5], 0x23c
	s_load_dword s17, s[4:5], 0x15c
	;; [unrolled: 1-line block ×3, first 2 shown]
	s_load_dwordx4 s[12:15], s[4:5], 0xd8
	s_mul_i32 s19, s9, s11
	s_lshl_b32 s25, s19, 8
	s_waitcnt lgkmcnt(0)
	s_add_i32 s15, s11, 1
	s_mov_b32 s11, 0
	s_sub_i32 s19, s12, s25
	s_add_u32 s26, s19, 0xff
	s_addc_u32 s27, 0, 0
	s_lshr_b64 s[26:27], s[26:27], 8
	s_cmp_lt_u32 s15, s10
	s_cselect_b32 s9, s9, s26
	s_cmp_eq_u32 s9, 0
	s_barrier
	s_cbranch_scc1 .LBB29_40
; %bb.18:
	s_mul_i32 s10, s24, s18
	v_mov_b32_e32 v5, 0
	s_mul_i32 s18, s24, s17
	s_mul_i32 s26, s24, s16
	s_lshl_b64 s[16:17], s[10:11], 2
	ds_read_b96 v[1:3], v5 offset:1056
	s_add_u32 s15, s22, s16
	s_mov_b32 s19, s11
	s_addc_u32 s16, s23, s17
	s_lshl_b64 s[18:19], s[18:19], 2
	s_add_u32 s17, s20, s18
	s_mov_b32 s27, s11
	s_addc_u32 s18, s21, s19
	s_lshl_b64 s[10:11], s[26:27], 3
	s_add_u32 s19, s6, s10
	s_waitcnt lgkmcnt(0)
	v_add_u32_e32 v2, v1, v2
	v_lshrrev_b32_e32 v1, 3, v0
	s_addc_u32 s20, s7, s11
	s_xor_b32 s21, s33, 0x80000000
	v_and_b32_e32 v1, 28, v1
	s_bitcmp1_b32 s14, 0
	s_load_dword s10, s[4:5], 0xe8
	s_load_dword s14, s[4:5], 0x1c8
	v_lshl_add_u32 v6, v0, 2, v1
	v_lshrrev_b32_e32 v1, 1, v0
	v_and_b32_e32 v7, 0x7c, v1
	v_add_u32_e32 v1, -1, v0
	v_lshrrev_b32_e32 v4, 3, v1
	v_cmp_gt_u32_e64 s[4:5], 64, v0
	v_lshlrev_b32_e32 v8, 4, v0
	v_and_b32_e32 v4, 0x1ffffffc, v4
	v_add_u32_e32 v0, s25, v0
	v_lshl_add_u32 v9, v1, 2, v4
	s_waitcnt lgkmcnt(0)
	v_mul_lo_u32 v4, s10, v0
	v_mbcnt_lo_u32_b32 v1, -1, 0
	s_cselect_b64 s[6:7], -1, 0
	s_lshl_b32 s22, s10, 8
	v_mbcnt_hi_u32_b32 v10, -1, v1
                                        ; implicit-def: $vgpr11
	s_branch .LBB29_21
.LBB29_19:                              ;   in Loop: Header=BB29_21 Depth=1
	s_or_b64 exec, exec, s[10:11]
	v_add_u32_e32 v2, v14, v2
.LBB29_20:                              ;   in Loop: Header=BB29_21 Depth=1
	s_add_i32 s9, s9, -1
	v_add_u32_e32 v3, v13, v3
	v_add_u32_e32 v4, s22, v4
	s_cmp_lg_u32 s9, 0
	v_add_u32_e32 v0, 0x100, v0
	s_cbranch_scc0 .LBB29_40
.LBB29_21:                              ; =>This Inner Loop Header: Depth=1
	v_cmp_gt_u32_e32 vcc, s12, v0
	v_mov_b32_e32 v1, 0
	v_mov_b32_e32 v12, 0
	s_and_saveexec_b64 s[10:11], vcc
	s_cbranch_execz .LBB29_23
; %bb.22:                               ;   in Loop: Header=BB29_21 Depth=1
	v_lshlrev_b64 v[11:12], 2, v[4:5]
	v_mov_b32_e32 v1, s16
	v_add_co_u32_e32 v11, vcc, s15, v11
	v_addc_co_u32_e32 v12, vcc, v1, v12, vcc
	global_load_dword v11, v[11:12], off
	s_waitcnt vmcnt(0)
	v_xor_b32_e32 v1, 0x80000000, v11
	v_cmp_lt_u32_e32 vcc, s21, v1
	v_cndmask_b32_e64 v12, 0, 1, vcc
	v_cmp_gt_u32_e32 vcc, s21, v1
	v_cndmask_b32_e64 v1, 0, 1, vcc
	v_cndmask_b32_e64 v1, v1, v12, s[6:7]
	v_cmp_eq_u32_e32 vcc, s33, v11
	v_and_b32_e32 v1, 1, v1
	v_cndmask_b32_e64 v12, 0, 1, vcc
.LBB29_23:                              ;   in Loop: Header=BB29_21 Depth=1
	s_or_b64 exec, exec, s[10:11]
	ds_write_b32 v6, v1
	s_waitcnt vmcnt(0) lgkmcnt(0)
	s_barrier
	s_and_saveexec_b64 s[10:11], s[4:5]
	s_cbranch_execz .LBB29_25
; %bb.24:                               ;   in Loop: Header=BB29_21 Depth=1
	v_add_u32_e32 v17, v7, v8
	ds_read2_b32 v[13:14], v17 offset1:1
	ds_read2_b32 v[15:16], v17 offset0:2 offset1:3
	v_and_b32_e32 v18, 15, v10
	v_cmp_ne_u32_e32 vcc, 0, v18
	s_waitcnt lgkmcnt(1)
	v_add_u32_e32 v14, v14, v13
	s_waitcnt lgkmcnt(0)
	v_add3_u32 v14, v14, v15, v16
	v_bfe_i32 v16, v10, 4, 1
	; wave barrier
	s_nop 0
	v_mov_b32_dpp v15, v14 row_shr:1 row_mask:0xf bank_mask:0xf
	v_cndmask_b32_e32 v15, 0, v15, vcc
	v_add_u32_e32 v14, v15, v14
	v_cmp_lt_u32_e32 vcc, 1, v18
	s_nop 0
	v_mov_b32_dpp v15, v14 row_shr:2 row_mask:0xf bank_mask:0xf
	v_cndmask_b32_e32 v15, 0, v15, vcc
	v_add_u32_e32 v14, v14, v15
	v_cmp_lt_u32_e32 vcc, 3, v18
	;; [unrolled: 5-line block ×4, first 2 shown]
	s_nop 0
	v_mov_b32_dpp v15, v14 row_bcast:15 row_mask:0xf bank_mask:0xf
	v_and_b32_e32 v15, v16, v15
	v_add_u32_e32 v14, v14, v15
	v_and_b32_e32 v16, 64, v10
	s_nop 0
	v_mov_b32_dpp v15, v14 row_bcast:31 row_mask:0xf bank_mask:0xf
	v_cndmask_b32_e32 v15, 0, v15, vcc
	v_add_u32_e32 v14, v14, v15
	v_add_u32_e32 v15, -1, v10
	v_cmp_lt_i32_e32 vcc, v15, v16
	v_cndmask_b32_e32 v15, v15, v10, vcc
	v_lshlrev_b32_e32 v15, 2, v15
	ds_bpermute_b32 v14, v15, v14
	s_waitcnt lgkmcnt(0)
	v_add_u32_e32 v13, v14, v13
	v_cndmask_b32_e64 v15, v13, v1, s[2:3]
	ds_write_b32 v17, v15
	; wave barrier
	ds_read2_b32 v[13:14], v17 offset0:1 offset1:2
	ds_read_b32 v16, v17 offset:12
	s_waitcnt lgkmcnt(1)
	v_add_u32_e32 v13, v13, v15
	v_add_u32_e32 v14, v14, v13
	ds_write2_b32 v17, v13, v14 offset0:1 offset1:2
	s_waitcnt lgkmcnt(1)
	v_add_u32_e32 v13, v16, v14
	ds_write_b32 v17, v13 offset:12
.LBB29_25:                              ;   in Loop: Header=BB29_21 Depth=1
	s_or_b64 exec, exec, s[10:11]
	v_mov_b32_e32 v14, 0
	s_waitcnt lgkmcnt(0)
	s_barrier
	s_and_saveexec_b64 s[10:11], s[0:1]
; %bb.26:                               ;   in Loop: Header=BB29_21 Depth=1
	ds_read_b32 v14, v9
; %bb.27:                               ;   in Loop: Header=BB29_21 Depth=1
	s_or_b64 exec, exec, s[10:11]
	ds_read_b32 v13, v5 offset:1048
	v_cmp_ne_u32_e32 vcc, 0, v1
	s_waitcnt lgkmcnt(0)
	s_barrier
	s_and_saveexec_b64 s[10:11], vcc
	s_cbranch_execz .LBB29_29
; %bb.28:                               ;   in Loop: Header=BB29_21 Depth=1
	v_add_u32_e32 v1, v14, v3
	v_mul_lo_u32 v14, v1, s14
	v_mov_b32_e32 v15, v5
	v_mov_b32_e32 v16, s18
	;; [unrolled: 1-line block ×3, first 2 shown]
	v_lshlrev_b64 v[14:15], 2, v[14:15]
	v_add_co_u32_e32 v14, vcc, s17, v14
	v_addc_co_u32_e32 v15, vcc, v16, v15, vcc
	v_mul_lo_u32 v16, v1, s8
	global_store_dword v[14:15], v11, off
	v_mov_b32_e32 v1, v5
	v_lshlrev_b64 v[14:15], 3, v[16:17]
	v_mov_b32_e32 v16, s20
	v_add_co_u32_e32 v14, vcc, s19, v14
	v_addc_co_u32_e32 v15, vcc, v16, v15, vcc
	global_store_dwordx2 v[14:15], v[0:1], off
.LBB29_29:                              ;   in Loop: Header=BB29_21 Depth=1
	s_or_b64 exec, exec, s[10:11]
	v_cmp_le_u32_e32 vcc, s13, v2
	s_cbranch_vccnz .LBB29_20
; %bb.30:                               ;   in Loop: Header=BB29_21 Depth=1
	ds_write_b32 v6, v12
	s_waitcnt vmcnt(0) lgkmcnt(0)
	s_barrier
	s_and_saveexec_b64 s[10:11], s[4:5]
	s_cbranch_execz .LBB29_32
; %bb.31:                               ;   in Loop: Header=BB29_21 Depth=1
	v_add_u32_e32 v1, v7, v8
	ds_read2_b32 v[14:15], v1 offset1:1
	ds_read2_b32 v[16:17], v1 offset0:2 offset1:3
	v_and_b32_e32 v18, 15, v10
	v_cmp_ne_u32_e32 vcc, 0, v18
	s_waitcnt lgkmcnt(1)
	v_add_u32_e32 v15, v15, v14
	s_waitcnt lgkmcnt(0)
	v_add3_u32 v15, v15, v16, v17
	v_bfe_i32 v17, v10, 4, 1
	; wave barrier
	s_nop 0
	v_mov_b32_dpp v16, v15 row_shr:1 row_mask:0xf bank_mask:0xf
	v_cndmask_b32_e32 v16, 0, v16, vcc
	v_add_u32_e32 v15, v16, v15
	v_cmp_lt_u32_e32 vcc, 1, v18
	s_nop 0
	v_mov_b32_dpp v16, v15 row_shr:2 row_mask:0xf bank_mask:0xf
	v_cndmask_b32_e32 v16, 0, v16, vcc
	v_add_u32_e32 v15, v15, v16
	v_cmp_lt_u32_e32 vcc, 3, v18
	;; [unrolled: 5-line block ×4, first 2 shown]
	s_nop 0
	v_mov_b32_dpp v16, v15 row_bcast:15 row_mask:0xf bank_mask:0xf
	v_and_b32_e32 v16, v17, v16
	v_add_u32_e32 v15, v15, v16
	v_and_b32_e32 v17, 64, v10
	s_nop 0
	v_mov_b32_dpp v16, v15 row_bcast:31 row_mask:0xf bank_mask:0xf
	v_cndmask_b32_e32 v16, 0, v16, vcc
	v_add_u32_e32 v15, v15, v16
	v_add_u32_e32 v16, -1, v10
	v_cmp_lt_i32_e32 vcc, v16, v17
	v_cndmask_b32_e32 v16, v16, v10, vcc
	v_lshlrev_b32_e32 v16, 2, v16
	ds_bpermute_b32 v15, v16, v15
	s_waitcnt lgkmcnt(0)
	v_add_u32_e32 v14, v15, v14
	v_cndmask_b32_e64 v16, v14, v12, s[2:3]
	ds_write_b32 v1, v16
	; wave barrier
	ds_read2_b32 v[14:15], v1 offset0:1 offset1:2
	ds_read_b32 v17, v1 offset:12
	s_waitcnt lgkmcnt(1)
	v_add_u32_e32 v14, v14, v16
	v_add_u32_e32 v15, v15, v14
	ds_write2_b32 v1, v14, v15 offset0:1 offset1:2
	s_waitcnt lgkmcnt(1)
	v_add_u32_e32 v14, v17, v15
	ds_write_b32 v1, v14 offset:12
.LBB29_32:                              ;   in Loop: Header=BB29_21 Depth=1
	s_or_b64 exec, exec, s[10:11]
	v_mov_b32_e32 v1, 0
	s_waitcnt lgkmcnt(0)
	s_barrier
	s_and_saveexec_b64 s[10:11], s[0:1]
; %bb.33:                               ;   in Loop: Header=BB29_21 Depth=1
	ds_read_b32 v1, v9
; %bb.34:                               ;   in Loop: Header=BB29_21 Depth=1
	s_or_b64 exec, exec, s[10:11]
	ds_read_b32 v14, v5 offset:1048
	v_cmp_ne_u32_e32 vcc, 0, v12
	s_waitcnt lgkmcnt(0)
	s_barrier
	s_and_saveexec_b64 s[10:11], vcc
	s_cbranch_execz .LBB29_19
; %bb.35:                               ;   in Loop: Header=BB29_21 Depth=1
	v_add_u32_e32 v1, v1, v2
	v_cmp_gt_u32_e32 vcc, s13, v1
	s_and_b64 exec, exec, vcc
	s_cbranch_execz .LBB29_19
; %bb.36:                               ;   in Loop: Header=BB29_21 Depth=1
	v_mul_lo_u32 v15, v1, s14
	v_mov_b32_e32 v16, v5
	v_mul_lo_u32 v17, v1, s8
	v_mov_b32_e32 v12, s18
	v_lshlrev_b64 v[15:16], 2, v[15:16]
	v_mov_b32_e32 v18, v5
	v_add_co_u32_e32 v15, vcc, s17, v15
	v_addc_co_u32_e32 v16, vcc, v12, v16, vcc
	global_store_dword v[15:16], v11, off
	v_lshlrev_b64 v[15:16], 3, v[17:18]
	v_mov_b32_e32 v12, s20
	v_add_co_u32_e32 v15, vcc, s19, v15
	v_mov_b32_e32 v1, v5
	v_addc_co_u32_e32 v16, vcc, v12, v16, vcc
	global_store_dwordx2 v[15:16], v[0:1], off
	s_branch .LBB29_19
.LBB29_37:                              ;   in Loop: Header=BB29_38 Depth=1
	s_add_u32 s16, s16, 4
	s_addc_u32 s17, s17, 0
	s_waitcnt lgkmcnt(0)
	s_add_i32 s35, s15, s35
	s_add_u32 s18, s18, 4
	s_addc_u32 s19, s19, 0
	s_add_i32 s14, s14, 1
	s_cmp_lt_u32 s14, s10
	s_cbranch_scc0 .LBB29_16
.LBB29_38:                              ; =>This Inner Loop Header: Depth=1
	s_load_dword s15, s[16:17], 0x0
	s_cmp_ge_u32 s14, s11
	s_cbranch_scc1 .LBB29_37
; %bb.39:                               ;   in Loop: Header=BB29_38 Depth=1
	s_load_dword s26, s[18:19], 0x0
	s_waitcnt lgkmcnt(0)
	s_add_i32 s25, s15, s25
	s_add_i32 s34, s26, s34
	s_branch .LBB29_37
.LBB29_40:
	s_endpgm
	.section	.rodata,"a",@progbits
	.p2align	6, 0x0
	.amdhsa_kernel _ZN2at6native6mbtopk10gatherTopKIijLi1EEEvNS_4cuda6detail10TensorInfoIKT_T0_EES8_S8_bjS8_NS5_IS6_S8_EES8_NS5_IlS8_EES8_jjPS6_PjSD_j
		.amdhsa_group_segment_fixed_size 1068
		.amdhsa_private_segment_fixed_size 0
		.amdhsa_kernarg_size 984
		.amdhsa_user_sgpr_count 6
		.amdhsa_user_sgpr_private_segment_buffer 1
		.amdhsa_user_sgpr_dispatch_ptr 0
		.amdhsa_user_sgpr_queue_ptr 0
		.amdhsa_user_sgpr_kernarg_segment_ptr 1
		.amdhsa_user_sgpr_dispatch_id 0
		.amdhsa_user_sgpr_flat_scratch_init 0
		.amdhsa_user_sgpr_private_segment_size 0
		.amdhsa_uses_dynamic_stack 0
		.amdhsa_system_sgpr_private_segment_wavefront_offset 0
		.amdhsa_system_sgpr_workgroup_id_x 1
		.amdhsa_system_sgpr_workgroup_id_y 1
		.amdhsa_system_sgpr_workgroup_id_z 1
		.amdhsa_system_sgpr_workgroup_info 0
		.amdhsa_system_vgpr_workitem_id 0
		.amdhsa_next_free_vgpr 19
		.amdhsa_next_free_sgpr 39
		.amdhsa_reserve_vcc 1
		.amdhsa_reserve_flat_scratch 0
		.amdhsa_float_round_mode_32 0
		.amdhsa_float_round_mode_16_64 0
		.amdhsa_float_denorm_mode_32 3
		.amdhsa_float_denorm_mode_16_64 3
		.amdhsa_dx10_clamp 1
		.amdhsa_ieee_mode 1
		.amdhsa_fp16_overflow 0
		.amdhsa_exception_fp_ieee_invalid_op 0
		.amdhsa_exception_fp_denorm_src 0
		.amdhsa_exception_fp_ieee_div_zero 0
		.amdhsa_exception_fp_ieee_overflow 0
		.amdhsa_exception_fp_ieee_underflow 0
		.amdhsa_exception_fp_ieee_inexact 0
		.amdhsa_exception_int_div_zero 0
	.end_amdhsa_kernel
	.section	.text._ZN2at6native6mbtopk10gatherTopKIijLi1EEEvNS_4cuda6detail10TensorInfoIKT_T0_EES8_S8_bjS8_NS5_IS6_S8_EES8_NS5_IlS8_EES8_jjPS6_PjSD_j,"axG",@progbits,_ZN2at6native6mbtopk10gatherTopKIijLi1EEEvNS_4cuda6detail10TensorInfoIKT_T0_EES8_S8_bjS8_NS5_IS6_S8_EES8_NS5_IlS8_EES8_jjPS6_PjSD_j,comdat
.Lfunc_end29:
	.size	_ZN2at6native6mbtopk10gatherTopKIijLi1EEEvNS_4cuda6detail10TensorInfoIKT_T0_EES8_S8_bjS8_NS5_IS6_S8_EES8_NS5_IlS8_EES8_jjPS6_PjSD_j, .Lfunc_end29-_ZN2at6native6mbtopk10gatherTopKIijLi1EEEvNS_4cuda6detail10TensorInfoIKT_T0_EES8_S8_bjS8_NS5_IS6_S8_EES8_NS5_IlS8_EES8_jjPS6_PjSD_j
                                        ; -- End function
	.set _ZN2at6native6mbtopk10gatherTopKIijLi1EEEvNS_4cuda6detail10TensorInfoIKT_T0_EES8_S8_bjS8_NS5_IS6_S8_EES8_NS5_IlS8_EES8_jjPS6_PjSD_j.num_vgpr, 19
	.set _ZN2at6native6mbtopk10gatherTopKIijLi1EEEvNS_4cuda6detail10TensorInfoIKT_T0_EES8_S8_bjS8_NS5_IS6_S8_EES8_NS5_IlS8_EES8_jjPS6_PjSD_j.num_agpr, 0
	.set _ZN2at6native6mbtopk10gatherTopKIijLi1EEEvNS_4cuda6detail10TensorInfoIKT_T0_EES8_S8_bjS8_NS5_IS6_S8_EES8_NS5_IlS8_EES8_jjPS6_PjSD_j.numbered_sgpr, 39
	.set _ZN2at6native6mbtopk10gatherTopKIijLi1EEEvNS_4cuda6detail10TensorInfoIKT_T0_EES8_S8_bjS8_NS5_IS6_S8_EES8_NS5_IlS8_EES8_jjPS6_PjSD_j.num_named_barrier, 0
	.set _ZN2at6native6mbtopk10gatherTopKIijLi1EEEvNS_4cuda6detail10TensorInfoIKT_T0_EES8_S8_bjS8_NS5_IS6_S8_EES8_NS5_IlS8_EES8_jjPS6_PjSD_j.private_seg_size, 0
	.set _ZN2at6native6mbtopk10gatherTopKIijLi1EEEvNS_4cuda6detail10TensorInfoIKT_T0_EES8_S8_bjS8_NS5_IS6_S8_EES8_NS5_IlS8_EES8_jjPS6_PjSD_j.uses_vcc, 1
	.set _ZN2at6native6mbtopk10gatherTopKIijLi1EEEvNS_4cuda6detail10TensorInfoIKT_T0_EES8_S8_bjS8_NS5_IS6_S8_EES8_NS5_IlS8_EES8_jjPS6_PjSD_j.uses_flat_scratch, 0
	.set _ZN2at6native6mbtopk10gatherTopKIijLi1EEEvNS_4cuda6detail10TensorInfoIKT_T0_EES8_S8_bjS8_NS5_IS6_S8_EES8_NS5_IlS8_EES8_jjPS6_PjSD_j.has_dyn_sized_stack, 0
	.set _ZN2at6native6mbtopk10gatherTopKIijLi1EEEvNS_4cuda6detail10TensorInfoIKT_T0_EES8_S8_bjS8_NS5_IS6_S8_EES8_NS5_IlS8_EES8_jjPS6_PjSD_j.has_recursion, 0
	.set _ZN2at6native6mbtopk10gatherTopKIijLi1EEEvNS_4cuda6detail10TensorInfoIKT_T0_EES8_S8_bjS8_NS5_IS6_S8_EES8_NS5_IlS8_EES8_jjPS6_PjSD_j.has_indirect_call, 0
	.section	.AMDGPU.csdata,"",@progbits
; Kernel info:
; codeLenInByte = 2100
; TotalNumSgprs: 43
; NumVgprs: 19
; ScratchSize: 0
; MemoryBound: 0
; FloatMode: 240
; IeeeMode: 1
; LDSByteSize: 1068 bytes/workgroup (compile time only)
; SGPRBlocks: 5
; VGPRBlocks: 4
; NumSGPRsForWavesPerEU: 43
; NumVGPRsForWavesPerEU: 19
; Occupancy: 10
; WaveLimiterHint : 1
; COMPUTE_PGM_RSRC2:SCRATCH_EN: 0
; COMPUTE_PGM_RSRC2:USER_SGPR: 6
; COMPUTE_PGM_RSRC2:TRAP_HANDLER: 0
; COMPUTE_PGM_RSRC2:TGID_X_EN: 1
; COMPUTE_PGM_RSRC2:TGID_Y_EN: 1
; COMPUTE_PGM_RSRC2:TGID_Z_EN: 1
; COMPUTE_PGM_RSRC2:TIDIG_COMP_CNT: 0
	.section	.text._ZN2at6native6sbtopk10gatherTopKIijLi1ELb0EEEvNS_4cuda6detail10TensorInfoIKT_T0_EES8_S8_bS8_S8_NS5_IS6_S8_EES8_NS5_IlS8_EES8_PS6_,"axG",@progbits,_ZN2at6native6sbtopk10gatherTopKIijLi1ELb0EEEvNS_4cuda6detail10TensorInfoIKT_T0_EES8_S8_bS8_S8_NS5_IS6_S8_EES8_NS5_IlS8_EES8_PS6_,comdat
	.protected	_ZN2at6native6sbtopk10gatherTopKIijLi1ELb0EEEvNS_4cuda6detail10TensorInfoIKT_T0_EES8_S8_bS8_S8_NS5_IS6_S8_EES8_NS5_IlS8_EES8_PS6_ ; -- Begin function _ZN2at6native6sbtopk10gatherTopKIijLi1ELb0EEEvNS_4cuda6detail10TensorInfoIKT_T0_EES8_S8_bS8_S8_NS5_IS6_S8_EES8_NS5_IlS8_EES8_PS6_
	.globl	_ZN2at6native6sbtopk10gatherTopKIijLi1ELb0EEEvNS_4cuda6detail10TensorInfoIKT_T0_EES8_S8_bS8_S8_NS5_IS6_S8_EES8_NS5_IlS8_EES8_PS6_
	.p2align	8
	.type	_ZN2at6native6sbtopk10gatherTopKIijLi1ELb0EEEvNS_4cuda6detail10TensorInfoIKT_T0_EES8_S8_bS8_S8_NS5_IS6_S8_EES8_NS5_IlS8_EES8_PS6_,@function
_ZN2at6native6sbtopk10gatherTopKIijLi1ELb0EEEvNS_4cuda6detail10TensorInfoIKT_T0_EES8_S8_bS8_S8_NS5_IS6_S8_EES8_NS5_IlS8_EES8_PS6_: ; @_ZN2at6native6sbtopk10gatherTopKIijLi1ELb0EEEvNS_4cuda6detail10TensorInfoIKT_T0_EES8_S8_bS8_S8_NS5_IS6_S8_EES8_NS5_IlS8_EES8_PS6_
; %bb.0:
	s_load_dwordx2 s[14:15], s[4:5], 0x2b8
	s_load_dwordx4 s[60:63], s[4:5], 0xd8
	s_add_u32 s12, s4, 0x2b8
	s_addc_u32 s13, s5, 0
	s_waitcnt lgkmcnt(0)
	s_mul_i32 s0, s15, s8
	s_add_i32 s0, s0, s7
	s_mul_i32 s0, s0, s14
	s_add_i32 s7, s0, s6
	s_cmp_ge_u32 s7, s63
	s_cbranch_scc1 .LBB30_398
; %bb.1:
	s_load_dwordx2 s[0:1], s[4:5], 0x1d0
                                        ; implicit-def: $vgpr46 : SGPR spill to VGPR lane
	s_mov_b32 s3, 0
	v_cmp_eq_u32_e64 s[8:9], 0, v0
	s_waitcnt lgkmcnt(0)
	v_writelane_b32 v46, s0, 0
	v_writelane_b32 v46, s1, 1
	s_load_dword s0, s[4:5], 0xe8
	s_waitcnt lgkmcnt(0)
	v_writelane_b32 v46, s0, 2
	s_load_dwordx2 s[0:1], s[4:5], 0xf0
	s_waitcnt lgkmcnt(0)
	v_writelane_b32 v46, s0, 3
	v_writelane_b32 v46, s1, 4
	s_load_dword s2, s[4:5], 0x6c
	s_load_dwordx2 s[0:1], s[4:5], 0x0
	s_mov_b64 s[10:11], exec
	v_writelane_b32 v46, s8, 5
	v_writelane_b32 v46, s9, 6
	s_and_b64 s[8:9], s[10:11], s[8:9]
	s_mov_b64 exec, s[8:9]
; %bb.2:
	v_mov_b32_e32 v1, 0
	v_mov_b32_e32 v2, s60
	;; [unrolled: 1-line block ×3, first 2 shown]
	ds_write_b96 v1, v[1:3] offset:4096
; %bb.3:
	s_or_b64 exec, exec, s[10:11]
	s_waitcnt lgkmcnt(0)
	s_mul_i32 s2, s2, s7
	s_lshl_b64 s[2:3], s[2:3], 2
	s_add_u32 s33, s0, s2
	s_addc_u32 s8, s1, s3
	s_bitcmp1_b32 s62, 0
	v_writelane_b32 v46, s7, 7
	s_cselect_b64 s[2:3], -1, 0
	v_writelane_b32 v46, s2, 8
	v_writelane_b32 v46, s3, 9
	s_xor_b64 s[2:3], s[2:3], -1
	v_writelane_b32 v46, s2, 10
	v_writelane_b32 v46, s3, 11
	s_barrier
	s_load_dword s0, s[12:13], 0xc
	v_writelane_b32 v46, s4, 12
	s_load_dword s7, s[4:5], 0xe8
	v_mbcnt_lo_u32_b32 v1, -1, 0
	v_mbcnt_hi_u32_b32 v20, -1, v1
	s_waitcnt lgkmcnt(0)
	s_and_b32 s9, s0, 0xffff
	v_cmp_gt_u32_e32 vcc, 64, v0
	v_cmp_gt_i32_e64 s[2:3], 4, v20
	v_mul_lo_u32 v9, s7, v0
	s_lshl_b32 s16, s9, 2
	s_bfe_u32 s10, s0, 0xa0006
	s_and_b64 s[68:69], vcc, s[2:3]
	v_mov_b32_e32 v8, 0
	s_cmpk_gt_u32 s60, 0x300
	v_writelane_b32 v46, s5, 13
	s_cselect_b64 s[2:3], -1, 0
	v_mov_b32_e32 v10, v8
	v_writelane_b32 v46, s2, 14
	v_lshlrev_b64 v[1:2], 2, v[9:10]
	v_writelane_b32 v46, s3, 15
	v_cmp_gt_u32_e64 s[2:3], s60, v0
	v_writelane_b32 v46, s2, 16
	v_mov_b32_e32 v21, s8
	v_add_co_u32_e32 v5, vcc, s33, v1
	s_cmp_gt_u32 s9, 63
	v_writelane_b32 v46, s3, 17
	v_addc_co_u32_e32 v6, vcc, v21, v2, vcc
	s_cselect_b64 s[2:3], -1, 0
	v_lshlrev_b64 v[2:3], v20, -1
	v_writelane_b32 v46, s2, 18
	v_writelane_b32 v46, s3, 19
	v_cmp_gt_u32_e64 s[2:3], 2, v0
	v_not_b32_e32 v18, v2
	v_lshrrev_b32_e32 v2, 2, v0
	v_writelane_b32 v46, s2, 20
	s_add_i32 s63, s9, -1
	v_and_b32_e32 v2, 0xf0, v2
	v_writelane_b32 v46, s3, 21
	s_add_i32 s2, s63, s60
	v_or_b32_e32 v23, 0xc00, v2
	v_cvt_f32_u32_e32 v2, s16
	s_cmp_lt_u32 s6, s14
	s_cselect_b32 s3, 12, 18
	s_add_u32 s4, s12, s3
	s_addc_u32 s5, s13, 0
	v_rcp_iflag_f32_e32 v2, v2
	v_writelane_b32 v46, s4, 22
	s_add_i32 s3, s10, -1
	v_writelane_b32 v46, s5, 23
	s_bfe_u32 s4, s9, 0x30006
	s_and_b32 s3, s3, 0xffff
	s_cmp_gt_u32 s3, 6
	s_cselect_b64 s[12:13], -1, 0
	v_mul_f32_e32 v2, 0x4f7ffffe, v2
	v_writelane_b32 v46, s12, 24
	s_and_b32 s71, s10, 0x3f8
	v_cvt_u32_f32_e32 v2, v2
	v_writelane_b32 v46, s13, 25
	s_cmp_lg_u32 s4, 0
	v_writelane_b32 v46, s4, 26
	s_cselect_b64 s[4:5], -1, 0
	v_writelane_b32 v46, s4, 27
	v_writelane_b32 v46, s5, 28
	s_sub_i32 s3, 0, s16
	v_readfirstlane_b32 s4, v2
	s_mul_i32 s3, s3, s4
	s_mul_hi_u32 s3, s4, s3
	v_cvt_f32_u32_e32 v2, s9
	s_add_i32 s3, s4, s3
	v_writelane_b32 v46, s3, 29
	s_mul_hi_u32 s3, s60, s3
	s_mul_i32 s3, s3, s16
	s_sub_i32 s3, s60, s3
	v_rcp_iflag_f32_e32 v4, v2
	s_sub_i32 s4, s3, s16
	s_cmp_ge_u32 s3, s16
	s_cselect_b32 s3, s4, s3
	s_sub_i32 s4, s3, s16
	v_mul_f32_e32 v4, 0x4f7ffffe, v4
	s_cmp_ge_u32 s3, s16
	v_cvt_u32_f32_e32 v4, v4
	s_cselect_b32 s3, s4, s3
	v_lshlrev_b32_e32 v19, 2, v0
	s_sub_i32 s5, s60, s3
	v_cmp_gt_u32_e64 s[10:11], s5, v19
	v_add_u32_e32 v24, s5, v0
	v_writelane_b32 v46, s10, 30
	s_sub_i32 s4, 0, s9
	v_readfirstlane_b32 s6, v4
	v_writelane_b32 v46, s11, 31
	v_cmp_gt_u32_e64 s[10:11], s60, v24
	s_mul_i32 s4, s4, s6
	v_mul_lo_u32 v7, v24, s7
	v_writelane_b32 v46, s10, 32
	s_mul_hi_u32 s4, s6, s4
	v_writelane_b32 v46, s11, 33
	s_add_i32 s4, s6, s4
	v_writelane_b32 v46, s4, 34
	s_mul_hi_u32 s4, s2, s4
	s_mul_i32 s4, s4, s9
	v_not_b32_e32 v17, v3
	v_lshlrev_b64 v[2:3], 2, v[7:8]
	s_sub_i32 s4, s2, s4
	s_sub_i32 s6, s4, s9
	v_add_co_u32_e32 v10, vcc, s33, v2
	s_cmp_ge_u32 s4, s9
	v_mul_lo_u32 v2, s7, v19
	s_cselect_b32 s4, s6, s4
	s_sub_i32 s6, s4, s9
	s_cmp_ge_u32 s4, s9
	s_cselect_b32 s4, s6, s4
	v_add_u32_e32 v26, s7, v2
	v_or_b32_e32 v2, 2, v19
	s_sub_i32 s4, s2, s4
	v_mul_lo_u32 v27, s7, v2
	v_or_b32_e32 v2, 3, v19
	s_add_i32 s2, s9, s60
	v_mul_lo_u32 v28, s7, v2
	v_add_u32_e32 v2, s2, v0
	v_subrev_u32_e32 v2, s3, v2
	v_mul_lo_u32 v30, s7, v2
	v_lshlrev_b32_e32 v1, 2, v20
	v_mov_b32_e32 v7, s8
	v_cmp_gt_u32_e64 s[10:11], s4, v0
	s_mul_i32 s70, s7, s9
	v_cmp_eq_u32_e64 s[0:1], 0, v20
	v_add_u32_e32 v22, 0xc00, v19
	v_and_b32_e32 v16, 0x100, v1
	v_addc_co_u32_e32 v11, vcc, v7, v3, vcc
	v_writelane_b32 v46, s10, 35
	s_lshl_b32 s72, s70, 2
	v_lshlrev_b32_e32 v29, 2, v9
	v_lshlrev_b32_e32 v31, 4, v0
	s_lshl_b32 s73, s9, 4
	v_or_b32_e32 v32, 0xc00, v1
	s_mov_b32 s13, 30
	s_mov_b64 s[80:81], 0
	v_readfirstlane_b32 s12, v8
	v_mov_b32_e32 v34, s61
	v_mov_b32_e32 v25, 0
	;; [unrolled: 1-line block ×5, first 2 shown]
	v_writelane_b32 v46, s11, 36
                                        ; implicit-def: $sgpr82_sgpr83
                                        ; implicit-def: $sgpr84_sgpr85
                                        ; implicit-def: $sgpr88_sgpr89
                                        ; implicit-def: $sgpr90_sgpr91
                                        ; implicit-def: $sgpr86_sgpr87
                                        ; implicit-def: $sgpr92_sgpr93
                                        ; implicit-def: $sgpr94_sgpr95
                                        ; implicit-def: $sgpr64_sgpr65
                                        ; implicit-def: $sgpr66_sgpr67
                                        ; implicit-def: $sgpr20_sgpr21
	s_branch .LBB30_6
.LBB30_4:                               ;   in Loop: Header=BB30_6 Depth=1
	s_or_b64 exec, exec, s[2:3]
	s_andn2_b64 s[2:3], s[20:21], exec
	s_and_b64 s[10:11], s[22:23], exec
	s_or_b64 s[20:21], s[2:3], s[10:11]
	s_andn2_b64 s[66:67], s[66:67], exec
	s_andn2_b64 s[64:65], s[64:65], exec
	;; [unrolled: 1-line block ×4, first 2 shown]
	s_orn2_b64 s[26:27], s[18:19], exec
	v_mov_b32_e32 v34, v35
.LBB30_5:                               ;   in Loop: Header=BB30_6 Depth=1
	s_or_b64 exec, exec, s[6:7]
	s_and_b64 s[2:3], exec, s[26:27]
	s_or_b64 s[80:81], s[2:3], s[80:81]
	s_andn2_b64 s[2:3], s[86:87], exec
	s_and_b64 s[6:7], s[20:21], exec
	s_or_b64 s[86:87], s[2:3], s[6:7]
	s_andn2_b64 s[2:3], s[90:91], exec
	s_and_b64 s[6:7], s[66:67], exec
	;; [unrolled: 3-line block ×5, first 2 shown]
	s_or_b64 s[82:83], s[2:3], s[6:7]
	s_andn2_b64 exec, exec, s[80:81]
	s_cbranch_execz .LBB30_394
.LBB30_6:                               ; =>This Loop Header: Depth=1
                                        ;     Child Loop BB30_12 Depth 2
                                        ;     Child Loop BB30_25 Depth 2
                                        ;     Child Loop BB30_56 Depth 2
                                        ;     Child Loop BB30_60 Depth 2
                                        ;     Child Loop BB30_45 Depth 2
                                        ;     Child Loop BB30_50 Depth 2
                                        ;     Child Loop BB30_41 Depth 2
                                        ;     Child Loop BB30_66 Depth 2
                                        ;     Child Loop BB30_77 Depth 2
                                        ;     Child Loop BB30_91 Depth 2
                                        ;     Child Loop BB30_117 Depth 2
                                        ;     Child Loop BB30_128 Depth 2
                                        ;     Child Loop BB30_154 Depth 2
                                        ;     Child Loop BB30_165 Depth 2
                                        ;     Child Loop BB30_192 Depth 2
                                        ;     Child Loop BB30_203 Depth 2
                                        ;     Child Loop BB30_240 Depth 2
                                        ;     Child Loop BB30_252 Depth 2
                                        ;     Child Loop BB30_278 Depth 2
                                        ;     Child Loop BB30_289 Depth 2
                                        ;     Child Loop BB30_315 Depth 2
                                        ;     Child Loop BB30_326 Depth 2
                                        ;     Child Loop BB30_352 Depth 2
                                        ;     Child Loop BB30_363 Depth 2
	ds_read_b64 v[1:2], v8 offset:4096
	s_waitcnt lgkmcnt(0)
	v_readfirstlane_b32 s10, v1
	s_cmp_lg_u32 s10, 0
	s_cbranch_scc1 .LBB30_33
; %bb.7:                                ;   in Loop: Header=BB30_6 Depth=1
	v_readlane_b32 s2, v46, 14
	v_readlane_b32 s3, v46, 15
	s_and_b64 vcc, exec, s[2:3]
	s_cbranch_vccz .LBB30_20
; %bb.8:                                ;   in Loop: Header=BB30_6 Depth=1
	s_movk_i32 s2, 0x301
	v_cmp_gt_u32_e32 vcc, s2, v2
	s_mov_b64 s[22:23], 0
	s_mov_b64 s[6:7], 0
	s_cbranch_vccz .LBB30_21
; %bb.9:                                ;   in Loop: Header=BB30_6 Depth=1
	s_mov_b64 s[24:25], exec
	v_readlane_b32 s2, v46, 16
	v_readlane_b32 s3, v46, 17
	s_and_b64 s[2:3], s[24:25], s[2:3]
	s_mov_b64 exec, s[2:3]
	s_cbranch_execz .LBB30_81
; %bb.10:                               ;   in Loop: Header=BB30_6 Depth=1
	v_readlane_b32 s2, v46, 22
	v_readlane_b32 s3, v46, 23
	s_nop 4
	global_load_ushort v1, v8, s[2:3]
	global_load_dword v2, v[5:6], off
	v_readlane_b32 s2, v46, 12
	v_readlane_b32 s3, v46, 13
	s_load_dword s2, s[2:3], 0xe8
	s_mov_b64 s[26:27], 0
	v_mov_b32_e32 v4, v0
	s_waitcnt vmcnt(1)
	v_add_u32_e32 v3, v0, v1
	s_waitcnt lgkmcnt(0)
	v_mul_lo_u32 v7, s2, v3
	v_mul_lo_u32 v3, s2, v1
	s_branch .LBB30_12
.LBB30_11:                              ;   in Loop: Header=BB30_12 Depth=2
	s_or_b64 exec, exec, s[2:3]
	v_add_u32_e32 v7, v7, v3
	v_mov_b32_e32 v2, v12
	s_andn2_b64 exec, exec, s[26:27]
	s_cbranch_execz .LBB30_81
.LBB30_12:                              ;   Parent Loop BB30_6 Depth=1
                                        ; =>  This Inner Loop Header: Depth=2
	v_add_u32_e32 v4, v4, v1
	v_cmp_gt_u32_e64 s[6:7], s60, v4
	v_cmp_le_u32_e32 vcc, s60, v4
	s_waitcnt lgkmcnt(0)
	v_mov_b32_e32 v15, 0
	v_mov_b32_e32 v12, 0
	s_and_saveexec_b64 s[2:3], s[6:7]
	s_cbranch_execz .LBB30_14
; %bb.13:                               ;   in Loop: Header=BB30_12 Depth=2
	v_lshlrev_b64 v[35:36], 2, v[7:8]
	v_add_co_u32_e64 v35, s[6:7], s33, v35
	v_addc_co_u32_e64 v36, s[6:7], v21, v36, s[6:7]
	global_load_dword v12, v[35:36], off
.LBB30_14:                              ;   in Loop: Header=BB30_12 Depth=2
	s_or_b64 exec, exec, s[2:3]
	s_waitcnt vmcnt(0)
	v_xor_b32_e32 v35, 0x80000000, v2
	v_and_b32_e32 v35, v35, v33
	v_cmp_eq_u32_e64 s[18:19], v35, v25
	s_cmp_lg_u64 s[18:19], 0
	s_cselect_b64 s[2:3], -1, 0
	s_and_b64 s[2:3], s[0:1], s[2:3]
	s_and_saveexec_b64 s[28:29], s[2:3]
	s_cbranch_execz .LBB30_18
; %bb.15:                               ;   in Loop: Header=BB30_12 Depth=2
	s_mov_b64 s[30:31], exec
	v_mbcnt_lo_u32_b32 v15, s30, 0
	v_mbcnt_hi_u32_b32 v15, s31, v15
	s_bcnt1_i32_b64 s10, s[18:19]
	v_cmp_eq_u32_e64 s[6:7], 0, v15
                                        ; implicit-def: $vgpr35
	s_and_saveexec_b64 s[2:3], s[6:7]
; %bb.16:                               ;   in Loop: Header=BB30_12 Depth=2
	s_bcnt1_i32_b64 s6, s[30:31]
	s_mul_i32 s6, s10, s6
	v_mov_b32_e32 v35, s6
	ds_add_rtn_u32 v35, v8, v35 offset:4104
; %bb.17:                               ;   in Loop: Header=BB30_12 Depth=2
	s_or_b64 exec, exec, s[2:3]
	s_waitcnt lgkmcnt(0)
	v_readfirstlane_b32 s2, v35
	v_mov_b32_e32 v35, s2
	v_mad_u32_u24 v15, s10, v15, v35
.LBB30_18:                              ;   in Loop: Header=BB30_12 Depth=2
	s_or_b64 exec, exec, s[28:29]
	ds_bpermute_b32 v15, v16, v15
	s_and_b64 s[2:3], exec, vcc
	s_or_b64 s[26:27], s[2:3], s[26:27]
	s_and_saveexec_b64 s[2:3], s[18:19]
	s_cbranch_execz .LBB30_11
; %bb.19:                               ;   in Loop: Header=BB30_12 Depth=2
	v_and_b32_e32 v36, s18, v18
	v_and_b32_e32 v35, s19, v17
	v_bcnt_u32_b32 v36, v36, 0
	v_bcnt_u32_b32 v35, v35, v36
	v_lshlrev_b32_e32 v35, 2, v35
	s_waitcnt lgkmcnt(0)
	v_lshl_add_u32 v15, v15, 2, v35
	ds_write_b32 v15, v2
	s_branch .LBB30_11
.LBB30_20:                              ;   in Loop: Header=BB30_6 Depth=1
	s_mov_b64 s[22:23], -1
	s_mov_b64 s[6:7], 0
.LBB30_21:                              ;   in Loop: Header=BB30_6 Depth=1
	s_and_b64 vcc, exec, s[22:23]
	s_cbranch_vccz .LBB30_31
.LBB30_22:                              ;   in Loop: Header=BB30_6 Depth=1
	s_mov_b64 s[6:7], exec
	v_readlane_b32 s2, v46, 16
	v_readlane_b32 s3, v46, 17
	s_and_b64 s[2:3], s[6:7], s[2:3]
	s_mov_b64 exec, s[2:3]
	s_cbranch_execz .LBB30_28
; %bb.23:                               ;   in Loop: Header=BB30_6 Depth=1
	v_readlane_b32 s2, v46, 22
	v_readlane_b32 s3, v46, 23
	s_nop 4
	global_load_ushort v1, v8, s[2:3]
	global_load_dword v2, v[5:6], off
	v_mov_b32_e32 v3, v0
	s_waitcnt vmcnt(1)
	v_add_u32_e32 v7, v0, v1
	v_cmp_gt_u32_e32 vcc, s60, v7
	s_and_saveexec_b64 s[18:19], vcc
	s_cbranch_execz .LBB30_27
; %bb.24:                               ;   in Loop: Header=BB30_6 Depth=1
	v_readlane_b32 s2, v46, 12
	v_readlane_b32 s3, v46, 13
	s_load_dword s2, s[2:3], 0xe8
	v_lshlrev_b32_e32 v4, 2, v1
	s_mov_b64 s[22:23], 0
	v_mov_b32_e32 v15, v19
	v_mov_b32_e32 v3, v0
	s_waitcnt lgkmcnt(0)
	v_mul_lo_u32 v7, s2, v7
	v_mul_lo_u32 v12, s2, v1
.LBB30_25:                              ;   Parent Loop BB30_6 Depth=1
                                        ; =>  This Inner Loop Header: Depth=2
	v_lshlrev_b64 v[35:36], 2, v[7:8]
	v_mov_b32_e32 v37, s8
	v_add_co_u32_e32 v35, vcc, s33, v35
	v_addc_co_u32_e32 v36, vcc, v37, v36, vcc
	global_load_dword v35, v[35:36], off
	v_add_u32_e32 v3, v3, v1
	s_waitcnt vmcnt(1)
	ds_write_b32 v15, v2
	v_add_u32_e32 v2, v1, v3
	v_cmp_le_u32_e32 vcc, s60, v2
	v_add_u32_e32 v15, v15, v4
	v_add_u32_e32 v7, v7, v12
	s_or_b64 s[22:23], vcc, s[22:23]
	s_waitcnt vmcnt(0)
	v_mov_b32_e32 v2, v35
	s_andn2_b64 exec, exec, s[22:23]
	s_cbranch_execnz .LBB30_25
; %bb.26:                               ;   in Loop: Header=BB30_6 Depth=1
	s_or_b64 exec, exec, s[22:23]
	v_mov_b32_e32 v2, v35
.LBB30_27:                              ;   in Loop: Header=BB30_6 Depth=1
	s_or_b64 exec, exec, s[18:19]
	v_lshlrev_b32_e32 v1, 2, v3
	s_waitcnt vmcnt(0)
	ds_write_b32 v1, v2
.LBB30_28:                              ;   in Loop: Header=BB30_6 Depth=1
	s_or_b64 exec, exec, s[6:7]
	s_waitcnt lgkmcnt(0)
	s_barrier
	s_mov_b64 s[2:3], exec
	v_readlane_b32 s6, v46, 5
	v_readlane_b32 s7, v46, 6
	s_and_b64 s[6:7], s[2:3], s[6:7]
	s_mov_b64 exec, s[6:7]
; %bb.29:                               ;   in Loop: Header=BB30_6 Depth=1
	v_mov_b32_e32 v1, s60
	ds_write_b32 v8, v1 offset:4096
; %bb.30:                               ;   in Loop: Header=BB30_6 Depth=1
	s_or_b64 exec, exec, s[2:3]
	s_mov_b64 s[6:7], -1
	s_waitcnt lgkmcnt(0)
	s_barrier
.LBB30_31:                              ;   in Loop: Header=BB30_6 Depth=1
	s_mov_b32 s10, 0
	s_and_b64 vcc, exec, s[6:7]
	s_cbranch_vccz .LBB30_33
; %bb.32:                               ;   in Loop: Header=BB30_6 Depth=1
	ds_read_b32 v1, v8 offset:4096
	s_waitcnt lgkmcnt(0)
	v_readfirstlane_b32 s10, v1
.LBB30_33:                              ;   in Loop: Header=BB30_6 Depth=1
	s_cmp_lt_i32 s10, 1
	s_mov_b64 s[6:7], -1
                                        ; implicit-def: $vgpr4
	s_cbranch_scc1 .LBB30_43
; %bb.34:                               ;   in Loop: Header=BB30_6 Depth=1
	s_and_b64 vcc, exec, s[6:7]
	s_cbranch_vccnz .LBB30_54
.LBB30_35:                              ;   in Loop: Header=BB30_6 Depth=1
	s_lshl_b32 s10, s12, 6
	s_and_saveexec_b64 s[2:3], s[0:1]
.LBB30_36:                              ;   in Loop: Header=BB30_6 Depth=1
	v_lshl_add_u32 v7, s10, 2, v23
	ds_write_b128 v7, v[1:4]
.LBB30_37:                              ;   in Loop: Header=BB30_6 Depth=1
	s_or_b64 exec, exec, s[2:3]
	s_waitcnt lgkmcnt(0)
	s_barrier
	s_and_saveexec_b64 s[6:7], s[68:69]
	s_cbranch_execz .LBB30_68
; %bb.38:                               ;   in Loop: Header=BB30_6 Depth=1
	v_readlane_b32 s2, v46, 18
	v_readlane_b32 s3, v46, 19
	s_andn2_b64 vcc, exec, s[2:3]
	v_mov_b32_e32 v1, 0
	s_cbranch_vccnz .LBB30_67
; %bb.39:                               ;   in Loop: Header=BB30_6 Depth=1
	v_readlane_b32 s2, v46, 24
	v_readlane_b32 s3, v46, 25
	s_andn2_b64 vcc, exec, s[2:3]
	s_cbranch_vccnz .LBB30_63
; %bb.40:                               ;   in Loop: Header=BB30_6 Depth=1
	v_lshl_add_u32 v2, s12, 8, v32
	s_mov_b32 s2, 0
	v_mov_b32_e32 v1, 0
.LBB30_41:                              ;   Parent Loop BB30_6 Depth=1
                                        ; =>  This Inner Loop Header: Depth=2
	ds_read2_b32 v[3:4], v2 offset1:4
	ds_read2_b32 v[35:36], v2 offset0:8 offset1:12
	ds_read2_b32 v[37:38], v2 offset0:16 offset1:20
	;; [unrolled: 1-line block ×3, first 2 shown]
	s_add_i32 s2, s2, 8
	s_waitcnt lgkmcnt(3)
	v_add3_u32 v1, v3, v1, v4
	s_waitcnt lgkmcnt(2)
	v_add3_u32 v1, v35, v1, v36
	;; [unrolled: 2-line block ×3, first 2 shown]
	v_add_u32_e32 v2, 0x80, v2
	s_cmp_eq_u32 s71, s2
	s_waitcnt lgkmcnt(0)
	v_add3_u32 v1, v39, v1, v40
	s_cbranch_scc0 .LBB30_41
; %bb.42:                               ;   in Loop: Header=BB30_6 Depth=1
	s_mov_b32 s2, s71
	s_branch .LBB30_64
.LBB30_43:                              ;   in Loop: Header=BB30_6 Depth=1
	v_mov_b32_e32 v1, 0
	v_mov_b32_e32 v2, 0
	;; [unrolled: 1-line block ×4, first 2 shown]
	s_mov_b64 s[48:49], exec
	v_readlane_b32 s2, v46, 30
	v_readlane_b32 s3, v46, 31
	s_and_b64 s[2:3], s[48:49], s[2:3]
	s_mov_b64 exec, s[2:3]
	s_cbranch_execz .LBB30_47
; %bb.44:                               ;   in Loop: Header=BB30_6 Depth=1
	s_mov_b32 s2, 0
	s_mov_b64 s[50:51], 0
	s_mov_b32 s3, 0
	s_mov_b32 s11, 0
	;; [unrolled: 1-line block ×4, first 2 shown]
	v_mov_b32_e32 v12, v19
.LBB30_45:                              ;   Parent Loop BB30_6 Depth=1
                                        ; =>  This Inner Loop Header: Depth=2
	v_add_u32_e32 v7, s2, v29
	v_lshlrev_b64 v[2:3], 2, v[7:8]
	v_add_u32_e32 v7, s2, v26
	v_mov_b32_e32 v1, s8
	v_lshlrev_b64 v[35:36], 2, v[7:8]
	v_add_co_u32_e64 v2, s[6:7], s33, v2
	v_add_u32_e32 v7, s2, v27
	v_addc_co_u32_e64 v3, s[6:7], v1, v3, s[6:7]
	v_lshlrev_b64 v[37:38], 2, v[7:8]
	v_add_co_u32_e64 v35, s[6:7], s33, v35
	v_add_u32_e32 v7, s2, v28
	v_addc_co_u32_e64 v36, s[6:7], v1, v36, s[6:7]
	v_lshlrev_b64 v[39:40], 2, v[7:8]
	global_load_dword v4, v[2:3], off
	global_load_dword v7, v[35:36], off
	v_add_co_u32_e64 v2, s[6:7], s33, v37
	v_addc_co_u32_e64 v3, s[6:7], v1, v38, s[6:7]
	global_load_dword v15, v[2:3], off
	v_add_co_u32_e64 v2, s[6:7], s33, v39
	v_addc_co_u32_e64 v3, s[6:7], v1, v40, s[6:7]
	global_load_dword v1, v[2:3], off
	v_add_u32_e32 v12, s16, v12
	v_cmp_le_u32_e32 vcc, s5, v12
	s_add_i32 s2, s2, s72
	s_waitcnt vmcnt(3)
	v_xor_b32_e32 v2, 0x80000000, v4
	v_and_b32_e32 v4, v2, v33
	v_bfe_u32 v2, v2, s13, 2
	s_waitcnt vmcnt(2)
	v_xor_b32_e32 v3, 0x80000000, v7
	v_cmp_eq_u32_e64 s[6:7], v4, v25
	v_cmp_eq_u32_e64 s[18:19], 0, v2
	v_and_b32_e32 v4, v3, v33
	v_bfe_u32 v3, v3, s13, 2
	v_cmp_eq_u32_e64 s[22:23], 1, v2
	s_and_b64 s[18:19], s[6:7], s[18:19]
	s_waitcnt vmcnt(1)
	v_xor_b32_e32 v7, 0x80000000, v15
	v_cmp_eq_u32_e64 s[24:25], 2, v2
	v_cmp_eq_u32_e64 s[26:27], 3, v2
	;; [unrolled: 1-line block ×6, first 2 shown]
	v_cndmask_b32_e64 v3, 0, 1, s[18:19]
	s_and_b64 s[18:19], s[6:7], s[22:23]
	s_waitcnt vmcnt(0)
	v_xor_b32_e32 v1, 0x80000000, v1
	v_cmp_eq_u32_e64 s[28:29], v4, v25
	v_and_b32_e32 v2, v7, v33
	v_bfe_u32 v4, v7, s13, 2
	v_cndmask_b32_e64 v7, 0, 1, s[18:19]
	s_and_b64 s[18:19], s[6:7], s[24:25]
	s_and_b64 s[6:7], s[6:7], s[26:27]
	v_cndmask_b32_e64 v15, 0, 1, s[18:19]
	v_cndmask_b32_e64 v35, 0, 1, s[6:7]
	v_cmp_eq_u32_e64 s[6:7], v2, v25
	v_and_b32_e32 v2, v1, v33
	v_bfe_u32 v1, v1, s13, 2
	v_cmp_eq_u32_e64 s[18:19], 0, v4
	s_and_b64 s[30:31], s[28:29], s[30:31]
	s_and_b64 s[34:35], s[28:29], s[34:35]
	;; [unrolled: 1-line block ×4, first 2 shown]
	v_cmp_eq_u32_e64 s[22:23], 1, v4
	v_cmp_eq_u32_e64 s[24:25], 2, v4
	;; [unrolled: 1-line block ×3, first 2 shown]
	v_cndmask_b32_e64 v4, 0, 1, s[34:35]
	v_cmp_ne_u32_e64 s[34:35], 0, v15
	v_cndmask_b32_e64 v15, 0, 1, s[28:29]
	v_cmp_eq_u32_e64 s[28:29], v2, v25
	v_cmp_eq_u32_e64 s[38:39], 0, v1
	s_and_b64 s[18:19], s[6:7], s[18:19]
	v_cmp_ne_u32_e64 s[40:41], 0, v3
	v_cndmask_b32_e64 v3, 0, 1, s[30:31]
	v_cmp_ne_u32_e64 s[30:31], 0, v7
	v_cmp_eq_u32_e64 s[42:43], 1, v1
	v_cmp_eq_u32_e64 s[44:45], 2, v1
	;; [unrolled: 1-line block ×3, first 2 shown]
	v_cndmask_b32_e64 v1, 0, 1, s[18:19]
	s_and_b64 s[22:23], s[6:7], s[22:23]
	s_and_b64 s[24:25], s[6:7], s[24:25]
	;; [unrolled: 1-line block ×4, first 2 shown]
	v_cndmask_b32_e64 v7, 0, 1, s[36:37]
	v_cmp_ne_u32_e64 s[36:37], 0, v35
	s_bcnt1_i32_b64 s17, s[40:41]
	s_bcnt1_i32_b64 s30, s[30:31]
	v_cmp_ne_u32_e64 s[18:19], 0, v4
	v_cndmask_b32_e64 v2, 0, 1, s[22:23]
	v_cndmask_b32_e64 v4, 0, 1, s[6:7]
	v_cmp_ne_u32_e64 s[6:7], 0, v1
	v_cndmask_b32_e64 v1, 0, 1, s[26:27]
	s_and_b64 s[26:27], s[28:29], s[42:43]
	v_cmp_ne_u32_e64 s[40:41], 0, v3
	s_bcnt1_i32_b64 s31, s[34:35]
	v_cmp_ne_u32_e64 s[22:23], 0, v7
	v_cndmask_b32_e64 v3, 0, 1, s[24:25]
	s_bcnt1_i32_b64 s34, s[36:37]
	s_add_i32 s17, s15, s17
	s_bcnt1_i32_b64 s36, s[18:19]
	v_cmp_ne_u32_e64 s[18:19], 0, v2
	v_cndmask_b32_e64 v2, 0, 1, s[26:27]
	s_add_i32 s26, s14, s30
	s_and_b64 s[14:15], s[28:29], s[44:45]
	v_cmp_ne_u32_e64 s[24:25], 0, v15
	s_bcnt1_i32_b64 s27, s[22:23]
	v_cmp_ne_u32_e64 s[22:23], 0, v3
	v_cndmask_b32_e64 v3, 0, 1, s[14:15]
	s_and_b64 s[14:15], s[28:29], s[46:47]
	s_bcnt1_i32_b64 s35, s[40:41]
	s_add_i32 s11, s11, s31
	s_bcnt1_i32_b64 s30, s[24:25]
	v_cmp_ne_u32_e64 s[24:25], 0, v4
	v_cndmask_b32_e64 v4, 0, 1, s[14:15]
	s_add_i32 s3, s3, s34
	s_bcnt1_i32_b64 s14, s[6:7]
	v_cmp_ne_u32_e64 s[6:7], 0, v1
	s_add_i32 s15, s17, s35
	s_bcnt1_i32_b64 s17, s[18:19]
	v_cmp_ne_u32_e64 s[18:19], 0, v2
	;; [unrolled: 3-line block ×4, first 2 shown]
	s_add_i32 s3, s3, s30
	s_bcnt1_i32_b64 s6, s[6:7]
	s_add_i32 s7, s15, s14
	s_bcnt1_i32_b64 s14, s[18:19]
	s_add_i32 s17, s26, s17
	s_bcnt1_i32_b64 s18, s[22:23]
	s_add_i32 s11, s11, s28
	s_bcnt1_i32_b64 s19, s[24:25]
	s_add_i32 s3, s3, s27
	s_add_i32 s15, s7, s6
	;; [unrolled: 1-line block ×5, first 2 shown]
	s_or_b64 s[50:51], vcc, s[50:51]
	v_mov_b32_e32 v1, s15
	v_mov_b32_e32 v2, s14
	;; [unrolled: 1-line block ×4, first 2 shown]
	s_andn2_b64 exec, exec, s[50:51]
	s_cbranch_execnz .LBB30_45
; %bb.46:                               ;   in Loop: Header=BB30_6 Depth=1
	s_or_b64 exec, exec, s[50:51]
.LBB30_47:                              ;   in Loop: Header=BB30_6 Depth=1
	s_or_b64 exec, exec, s[48:49]
	s_mov_b64 s[18:19], exec
	v_readlane_b32 s2, v46, 32
	v_readlane_b32 s3, v46, 33
	s_and_b64 s[2:3], s[18:19], s[2:3]
	s_mov_b64 exec, s[2:3]
	s_cbranch_execz .LBB30_53
; %bb.48:                               ;   in Loop: Header=BB30_6 Depth=1
	global_load_dword v15, v[10:11], off
	s_mov_b64 s[22:23], 0
	v_mov_b32_e32 v7, v30
	v_mov_b32_e32 v12, v24
	s_branch .LBB30_50
.LBB30_49:                              ;   in Loop: Header=BB30_50 Depth=2
	s_or_b64 exec, exec, s[2:3]
	s_waitcnt vmcnt(0)
	v_xor_b32_e32 v15, 0x80000000, v15
	s_and_b64 s[2:3], exec, vcc
	v_and_b32_e32 v36, v15, v33
	v_bfe_u32 v15, v15, s13, 2
	s_or_b64 s[22:23], s[2:3], s[22:23]
	v_cmp_eq_u32_e32 vcc, v36, v25
	v_cmp_eq_u32_e64 s[6:7], 0, v15
	s_and_b64 s[2:3], vcc, s[6:7]
	v_cndmask_b32_e64 v36, 0, 1, s[2:3]
	v_cmp_ne_u32_e64 s[6:7], 0, v36
	s_bcnt1_i32_b64 s2, s[6:7]
	v_cmp_eq_u32_e64 s[6:7], 1, v15
	v_add_u32_e32 v1, s2, v1
	s_and_b64 s[2:3], vcc, s[6:7]
	v_cndmask_b32_e64 v36, 0, 1, s[2:3]
	v_cmp_ne_u32_e64 s[6:7], 0, v36
	s_bcnt1_i32_b64 s2, s[6:7]
	v_cmp_eq_u32_e64 s[6:7], 2, v15
	v_add_u32_e32 v2, s2, v2
	;; [unrolled: 6-line block ×3, first 2 shown]
	s_and_b64 s[2:3], vcc, s[6:7]
	v_cndmask_b32_e64 v15, 0, 1, s[2:3]
	v_cmp_ne_u32_e32 vcc, 0, v15
	s_bcnt1_i32_b64 s2, vcc
	v_add_u32_e32 v4, s2, v4
	v_add_u32_e32 v7, s70, v7
	v_mov_b32_e32 v15, v35
	s_andn2_b64 exec, exec, s[22:23]
	s_cbranch_execz .LBB30_52
.LBB30_50:                              ;   Parent Loop BB30_6 Depth=1
                                        ; =>  This Inner Loop Header: Depth=2
	v_add_u32_e32 v12, s9, v12
	v_cmp_gt_u32_e64 s[6:7], s60, v12
	v_cmp_le_u32_e32 vcc, s60, v12
	v_mov_b32_e32 v35, 0
	s_and_saveexec_b64 s[2:3], s[6:7]
	s_cbranch_execz .LBB30_49
; %bb.51:                               ;   in Loop: Header=BB30_50 Depth=2
	v_lshlrev_b64 v[35:36], 2, v[7:8]
	v_mov_b32_e32 v37, s8
	v_add_co_u32_e64 v35, s[6:7], s33, v35
	v_addc_co_u32_e64 v36, s[6:7], v37, v36, s[6:7]
	global_load_dword v35, v[35:36], off
	s_branch .LBB30_49
.LBB30_52:                              ;   in Loop: Header=BB30_6 Depth=1
	s_or_b64 exec, exec, s[22:23]
.LBB30_53:                              ;   in Loop: Header=BB30_6 Depth=1
	s_or_b64 exec, exec, s[18:19]
	s_branch .LBB30_35
.LBB30_54:                              ;   in Loop: Header=BB30_6 Depth=1
	v_readlane_b32 s2, v46, 29
	s_mul_hi_u32 s2, s10, s2
	s_mul_i32 s2, s2, s16
	s_sub_i32 s2, s10, s2
	s_sub_i32 s3, s2, s16
	s_cmp_ge_u32 s2, s16
	s_cselect_b32 s2, s3, s2
	s_sub_i32 s3, s2, s16
	s_cmp_ge_u32 s2, s16
	s_cselect_b32 s2, s3, s2
	s_sub_i32 s2, s10, s2
	v_cmp_gt_u32_e32 vcc, s2, v19
	v_mov_b32_e32 v1, 0
	v_mov_b32_e32 v2, 0
	;; [unrolled: 1-line block ×4, first 2 shown]
	s_and_saveexec_b64 s[74:75], vcc
	s_cbranch_execz .LBB30_58
; %bb.55:                               ;   in Loop: Header=BB30_6 Depth=1
	s_mov_b32 s3, 0
	s_mov_b64 s[76:77], 0
	v_mov_b32_e32 v7, v31
	s_mov_b32 s11, 0
	s_mov_b32 s14, 0
	;; [unrolled: 1-line block ×3, first 2 shown]
	v_mov_b32_e32 v12, v19
.LBB30_56:                              ;   Parent Loop BB30_6 Depth=1
                                        ; =>  This Inner Loop Header: Depth=2
	ds_read_b128 v[1:4], v7
	v_add_u32_e32 v12, s16, v12
	v_cmp_le_u32_e32 vcc, s2, v12
	v_add_u32_e32 v7, s73, v7
	s_waitcnt lgkmcnt(0)
	v_xor_b32_e32 v1, 0x80000000, v1
	v_xor_b32_e32 v2, 0x80000000, v2
	v_and_b32_e32 v15, v1, v33
	v_bfe_u32 v1, v1, s13, 2
	v_xor_b32_e32 v3, 0x80000000, v3
	v_and_b32_e32 v35, v2, v33
	v_bfe_u32 v2, v2, s13, 2
	v_cmp_eq_u32_e64 s[6:7], v15, v25
	v_cmp_eq_u32_e64 s[26:27], 0, v1
	v_xor_b32_e32 v4, 0x80000000, v4
	v_and_b32_e32 v36, v3, v33
	v_bfe_u32 v3, v3, s13, 2
	v_cmp_eq_u32_e64 s[18:19], v35, v25
	v_cmp_eq_u32_e64 s[28:29], 0, v2
	s_and_b64 s[26:27], s[6:7], s[26:27]
	v_and_b32_e32 v37, v4, v33
	v_bfe_u32 v4, v4, s13, 2
	v_cmp_eq_u32_e64 s[22:23], v36, v25
	v_cmp_eq_u32_e64 s[30:31], 0, v3
	;; [unrolled: 1-line block ×5, first 2 shown]
	v_cndmask_b32_e64 v1, 0, 1, s[26:27]
	s_and_b64 s[26:27], s[18:19], s[28:29]
	v_cmp_eq_u32_e64 s[24:25], v37, v25
	v_cmp_eq_u32_e64 s[34:35], 0, v4
	;; [unrolled: 1-line block ×5, first 2 shown]
	v_cndmask_b32_e64 v2, 0, 1, s[26:27]
	s_and_b64 s[26:27], s[22:23], s[30:31]
	v_cmp_eq_u32_e64 s[40:41], 1, v3
	v_cmp_eq_u32_e64 s[48:49], 2, v3
	;; [unrolled: 1-line block ×3, first 2 shown]
	v_cndmask_b32_e64 v3, 0, 1, s[26:27]
	s_and_b64 s[26:27], s[24:25], s[34:35]
	v_cmp_eq_u32_e64 s[42:43], 1, v4
	v_cmp_eq_u32_e64 s[50:51], 2, v4
	;; [unrolled: 1-line block ×3, first 2 shown]
	v_cndmask_b32_e64 v4, 0, 1, s[26:27]
	s_and_b64 s[26:27], s[6:7], s[36:37]
	v_cndmask_b32_e64 v15, 0, 1, s[26:27]
	s_and_b64 s[26:27], s[18:19], s[38:39]
	;; [unrolled: 2-line block ×5, first 2 shown]
	s_and_b64 s[6:7], s[6:7], s[52:53]
	v_cndmask_b32_e64 v38, 0, 1, s[26:27]
	s_and_b64 s[26:27], s[18:19], s[46:47]
	v_cndmask_b32_e64 v42, 0, 1, s[6:7]
	;; [unrolled: 2-line block ×7, first 2 shown]
	v_cndmask_b32_e64 v45, 0, 1, s[6:7]
	v_cmp_ne_u32_e64 s[6:7], 0, v1
	v_cmp_ne_u32_e64 s[18:19], 0, v2
	;; [unrolled: 1-line block ×11, first 2 shown]
	s_bcnt1_i32_b64 s6, s[6:7]
	s_bcnt1_i32_b64 s7, s[18:19]
	;; [unrolled: 1-line block ×8, first 2 shown]
	v_cmp_ne_u32_e64 s[40:41], 0, v40
	v_cmp_ne_u32_e64 s[48:49], 0, v44
	s_bcnt1_i32_b64 s23, s[30:31]
	s_bcnt1_i32_b64 s26, s[38:39]
	;; [unrolled: 1-line block ×3, first 2 shown]
	s_add_i32 s6, s15, s6
	s_add_i32 s14, s14, s19
	;; [unrolled: 1-line block ×4, first 2 shown]
	v_cmp_ne_u32_e64 s[34:35], 0, v37
	v_cmp_ne_u32_e64 s[42:43], 0, v41
	;; [unrolled: 1-line block ×3, first 2 shown]
	s_bcnt1_i32_b64 s27, s[40:41]
	s_bcnt1_i32_b64 s31, s[48:49]
	s_add_i32 s6, s6, s7
	s_add_i32 s7, s14, s22
	;; [unrolled: 1-line block ×4, first 2 shown]
	s_bcnt1_i32_b64 s24, s[34:35]
	s_bcnt1_i32_b64 s28, s[42:43]
	;; [unrolled: 1-line block ×3, first 2 shown]
	s_add_i32 s6, s6, s17
	s_add_i32 s7, s7, s23
	;; [unrolled: 1-line block ×8, first 2 shown]
	s_or_b64 s[76:77], vcc, s[76:77]
	v_mov_b32_e32 v1, s15
	v_mov_b32_e32 v2, s14
	;; [unrolled: 1-line block ×4, first 2 shown]
	s_andn2_b64 exec, exec, s[76:77]
	s_cbranch_execnz .LBB30_56
; %bb.57:                               ;   in Loop: Header=BB30_6 Depth=1
	s_or_b64 exec, exec, s[76:77]
.LBB30_58:                              ;   in Loop: Header=BB30_6 Depth=1
	s_or_b64 exec, exec, s[74:75]
	v_add_u32_e32 v7, s2, v0
	v_cmp_gt_u32_e32 vcc, s10, v7
	s_and_saveexec_b64 s[28:29], vcc
	s_cbranch_execz .LBB30_62
; %bb.59:                               ;   in Loop: Header=BB30_6 Depth=1
	v_lshlrev_b32_e32 v12, 2, v7
	s_mov_b64 s[30:31], 0
.LBB30_60:                              ;   Parent Loop BB30_6 Depth=1
                                        ; =>  This Inner Loop Header: Depth=2
	ds_read_b32 v15, v12
	v_add_u32_e32 v7, s9, v7
	v_cmp_le_u32_e32 vcc, s10, v7
	v_add_u32_e32 v12, s16, v12
	s_waitcnt lgkmcnt(0)
	v_xor_b32_e32 v15, 0x80000000, v15
	v_and_b32_e32 v35, v15, v33
	v_bfe_u32 v15, v15, s13, 2
	v_cmp_eq_u32_e64 s[6:7], v35, v25
	v_cmp_eq_u32_e64 s[18:19], 0, v15
	;; [unrolled: 1-line block ×3, first 2 shown]
	s_and_b64 s[2:3], s[6:7], s[18:19]
	v_cmp_eq_u32_e64 s[24:25], 2, v15
	v_cmp_eq_u32_e64 s[26:27], 3, v15
	v_cndmask_b32_e64 v15, 0, 1, s[2:3]
	s_and_b64 s[2:3], s[6:7], s[22:23]
	v_cndmask_b32_e64 v35, 0, 1, s[2:3]
	s_and_b64 s[2:3], s[6:7], s[24:25]
	v_cndmask_b32_e64 v36, 0, 1, s[2:3]
	s_and_b64 s[2:3], s[6:7], s[26:27]
	v_cndmask_b32_e64 v37, 0, 1, s[2:3]
	v_cmp_ne_u32_e64 s[6:7], 0, v15
	v_cmp_ne_u32_e64 s[18:19], 0, v35
	;; [unrolled: 1-line block ×4, first 2 shown]
	s_bcnt1_i32_b64 s2, s[6:7]
	s_bcnt1_i32_b64 s3, s[18:19]
	;; [unrolled: 1-line block ×4, first 2 shown]
	v_add_u32_e32 v1, s2, v1
	v_add_u32_e32 v2, s3, v2
	;; [unrolled: 1-line block ×3, first 2 shown]
	s_or_b64 s[30:31], vcc, s[30:31]
	v_add_u32_e32 v4, s7, v4
	s_andn2_b64 exec, exec, s[30:31]
	s_cbranch_execnz .LBB30_60
; %bb.61:                               ;   in Loop: Header=BB30_6 Depth=1
	s_or_b64 exec, exec, s[30:31]
.LBB30_62:                              ;   in Loop: Header=BB30_6 Depth=1
	s_or_b64 exec, exec, s[28:29]
	s_lshl_b32 s10, s12, 6
	s_and_saveexec_b64 s[2:3], s[0:1]
	s_cbranch_execnz .LBB30_36
	s_branch .LBB30_37
.LBB30_63:                              ;   in Loop: Header=BB30_6 Depth=1
	v_mov_b32_e32 v1, 0
	s_mov_b32 s2, 0
.LBB30_64:                              ;   in Loop: Header=BB30_6 Depth=1
	v_readlane_b32 s14, v46, 27
	v_readlane_b32 s15, v46, 28
	s_andn2_b64 vcc, exec, s[14:15]
	s_cbranch_vccnz .LBB30_67
; %bb.65:                               ;   in Loop: Header=BB30_6 Depth=1
	s_lshl_b32 s3, s12, 8
	s_lshl_b32 s2, s2, 4
	s_add_i32 s3, s3, s2
	v_add_u32_e32 v2, s3, v32
	v_readlane_b32 s2, v46, 26
.LBB30_66:                              ;   Parent Loop BB30_6 Depth=1
                                        ; =>  This Inner Loop Header: Depth=2
	ds_read_b32 v3, v2
	s_add_i32 s2, s2, -1
	v_add_u32_e32 v2, 16, v2
	s_cmp_lg_u32 s2, 0
	s_waitcnt lgkmcnt(0)
	v_add_u32_e32 v1, v3, v1
	s_cbranch_scc1 .LBB30_66
.LBB30_67:                              ;   in Loop: Header=BB30_6 Depth=1
	v_add_lshl_u32 v2, s10, v20, 2
	ds_write_b32 v2, v1 offset:3072
.LBB30_68:                              ;   in Loop: Header=BB30_6 Depth=1
	s_or_b64 exec, exec, s[6:7]
	s_lshl_b32 s2, s10, 2
	v_mov_b32_e32 v1, s2
	s_waitcnt lgkmcnt(0)
	s_barrier
	ds_read_b128 v[1:4], v1 offset:3072
	v_readlane_b32 s2, v46, 10
	s_lshl_b32 s15, 3, s13
	v_readlane_b32 s3, v46, 11
	s_not_b32 s17, s15
	s_waitcnt lgkmcnt(0)
	v_readfirstlane_b32 s14, v1
	v_readfirstlane_b32 s10, v2
	;; [unrolled: 1-line block ×4, first 2 shown]
	v_cmp_eq_u32_e64 s[18:19], 1, v34
	s_mov_b64 s[34:35], -1
	s_mov_b64 s[22:23], 0
	s_andn2_b64 vcc, exec, s[2:3]
	s_mov_b64 s[26:27], 0
	s_mov_b64 s[24:25], 0
                                        ; implicit-def: $sgpr28_sgpr29
                                        ; implicit-def: $sgpr30_sgpr31
                                        ; implicit-def: $vgpr35
                                        ; implicit-def: $vgpr3
                                        ; implicit-def: $vgpr12
                                        ; implicit-def: $vgpr4
                                        ; implicit-def: $vgpr2
	s_cbranch_vccnz .LBB30_231
; %bb.69:                               ;   in Loop: Header=BB30_6 Depth=1
	s_cmp_eq_u32 s14, 1
	s_cselect_b64 s[2:3], -1, 0
	s_and_b64 s[6:7], s[2:3], s[18:19]
	s_mov_b64 s[38:39], -1
	v_mov_b32_e32 v12, v25
	v_mov_b32_e32 v4, v33
	;; [unrolled: 1-line block ×3, first 2 shown]
                                        ; implicit-def: $sgpr30_sgpr31
                                        ; implicit-def: $sgpr28_sgpr29
	s_and_saveexec_b64 s[24:25], s[6:7]
	s_cbranch_execz .LBB30_98
; %bb.70:                               ;   in Loop: Header=BB30_6 Depth=1
	ds_read_b32 v1, v8 offset:4096
	s_waitcnt lgkmcnt(0)
	s_barrier
	v_readfirstlane_b32 s42, v1
	s_mov_b64 s[2:3], exec
	v_readlane_b32 s26, v46, 20
	v_readlane_b32 s27, v46, 21
	s_and_b64 s[26:27], s[2:3], s[26:27]
	s_mov_b64 exec, s[26:27]
; %bb.71:                               ;   in Loop: Header=BB30_6 Depth=1
	ds_write_b32 v22, v8
; %bb.72:                               ;   in Loop: Header=BB30_6 Depth=1
	s_or_b64 exec, exec, s[2:3]
	v_and_b32_e32 v12, s17, v25
	v_or_b32_e32 v4, s15, v33
	s_mov_b64 s[28:29], -1
	s_mov_b64 s[30:31], 0
	s_cmp_eq_u32 s42, 0
	s_mov_b64 s[26:27], 0
	s_waitcnt lgkmcnt(0)
	s_barrier
                                        ; implicit-def: $vgpr2
	s_cbranch_scc1 .LBB30_86
; %bb.73:                               ;   in Loop: Header=BB30_6 Depth=1
	s_add_i32 s2, s42, s63
	v_readlane_b32 s3, v46, 34
	s_mul_hi_u32 s3, s2, s3
	s_mul_i32 s3, s3, s9
	s_sub_i32 s3, s2, s3
	s_sub_i32 s26, s3, s9
	s_cmp_ge_u32 s3, s9
	s_cselect_b32 s3, s26, s3
	s_sub_i32 s26, s3, s9
	s_cmp_ge_u32 s3, s9
	s_cselect_b32 s3, s26, s3
	s_sub_i32 s43, s2, s3
	v_cmp_gt_u32_e32 vcc, s43, v0
	s_mov_b64 s[34:35], 0
	s_mov_b64 s[26:27], 0
                                        ; implicit-def: $vgpr2
	s_and_saveexec_b64 s[36:37], vcc
	s_cbranch_execz .LBB30_85
; %bb.74:                               ;   in Loop: Header=BB30_6 Depth=1
	v_mov_b32_e32 v3, v19
	v_mov_b32_e32 v7, v0
                                        ; implicit-def: $sgpr38_sgpr39
	s_branch .LBB30_77
.LBB30_75:                              ;   in Loop: Header=BB30_77 Depth=2
	s_or_b64 exec, exec, s[2:3]
	s_waitcnt lgkmcnt(0)
	s_barrier
	ds_read_b64 v[1:2], v8 offset:3072
	s_mov_b64 s[2:3], -1
	s_mov_b64 s[40:41], -1
	s_waitcnt lgkmcnt(0)
	s_barrier
	v_cmp_ne_u32_e32 vcc, 0, v1
	s_cbranch_vccz .LBB30_80
.LBB30_76:                              ;   in Loop: Header=BB30_77 Depth=2
	s_and_b64 s[2:3], exec, s[2:3]
	s_or_b64 s[26:27], s[2:3], s[26:27]
	s_andn2_b64 s[2:3], s[38:39], exec
	s_and_b64 s[38:39], s[40:41], exec
	s_or_b64 s[38:39], s[2:3], s[38:39]
	s_andn2_b64 exec, exec, s[26:27]
	s_cbranch_execz .LBB30_84
.LBB30_77:                              ;   Parent Loop BB30_6 Depth=1
                                        ; =>  This Inner Loop Header: Depth=2
	v_cmp_gt_u32_e32 vcc, s42, v7
	s_and_saveexec_b64 s[2:3], vcc
	s_cbranch_execz .LBB30_75
; %bb.78:                               ;   in Loop: Header=BB30_77 Depth=2
	ds_read_b32 v15, v3
	s_waitcnt lgkmcnt(0)
	v_xor_b32_e32 v1, 0x80000000, v15
	v_and_b32_e32 v1, v1, v4
	v_cmp_eq_u32_e32 vcc, v1, v12
	s_and_b64 exec, exec, vcc
	s_cbranch_execz .LBB30_75
; %bb.79:                               ;   in Loop: Header=BB30_77 Depth=2
	ds_write_b64 v8, v[14:15] offset:3072
	s_branch .LBB30_75
.LBB30_80:                              ;   in Loop: Header=BB30_77 Depth=2
	v_add_u32_e32 v7, s9, v7
	v_cmp_le_u32_e32 vcc, s43, v7
	v_add_u32_e32 v3, s16, v3
	s_mov_b64 s[40:41], 0
	s_orn2_b64 s[2:3], vcc, exec
	s_branch .LBB30_76
.LBB30_81:                              ;   in Loop: Header=BB30_6 Depth=1
	s_or_b64 exec, exec, s[24:25]
	s_waitcnt lgkmcnt(0)
	s_barrier
	s_mov_b64 s[2:3], exec
	v_readlane_b32 s6, v46, 5
	v_readlane_b32 s7, v46, 6
	s_and_b64 s[6:7], s[2:3], s[6:7]
	s_mov_b64 exec, s[6:7]
	s_cbranch_execz .LBB30_83
; %bb.82:                               ;   in Loop: Header=BB30_6 Depth=1
	ds_read_b32 v1, v8 offset:4104
	s_waitcnt lgkmcnt(0)
	ds_write_b32 v8, v1 offset:4096
.LBB30_83:                              ;   in Loop: Header=BB30_6 Depth=1
	s_or_b64 exec, exec, s[2:3]
	s_waitcnt lgkmcnt(0)
	s_barrier
	s_mov_b64 s[6:7], -1
	s_and_b64 vcc, exec, s[22:23]
	s_cbranch_vccnz .LBB30_22
	s_branch .LBB30_31
.LBB30_84:                              ;   in Loop: Header=BB30_6 Depth=1
	s_or_b64 exec, exec, s[26:27]
	s_and_b64 s[26:27], s[38:39], exec
.LBB30_85:                              ;   in Loop: Header=BB30_6 Depth=1
	s_or_b64 exec, exec, s[36:37]
.LBB30_86:                              ;   in Loop: Header=BB30_6 Depth=1
	s_and_b64 vcc, exec, s[34:35]
	s_cbranch_vccz .LBB30_97
; %bb.87:                               ;   in Loop: Header=BB30_6 Depth=1
                                        ; implicit-def: $vgpr2
	s_mov_b64 s[28:29], exec
	v_readlane_b32 s2, v46, 35
	v_readlane_b32 s3, v46, 36
	s_and_b64 s[2:3], s[28:29], s[2:3]
	s_mov_b64 exec, s[2:3]
	s_cbranch_execz .LBB30_96
; %bb.88:                               ;   in Loop: Header=BB30_6 Depth=1
	s_mov_b64 s[30:31], 0
	v_mov_b32_e32 v7, v9
	v_mov_b32_e32 v3, v0
                                        ; implicit-def: $sgpr34_sgpr35
	s_branch .LBB30_91
.LBB30_89:                              ;   in Loop: Header=BB30_91 Depth=2
	s_or_b64 exec, exec, s[36:37]
	s_waitcnt lgkmcnt(0)
	s_barrier
	ds_read_b64 v[1:2], v8 offset:3072
	s_mov_b64 s[2:3], -1
	s_mov_b64 s[36:37], -1
	s_waitcnt lgkmcnt(0)
	s_barrier
	v_cmp_ne_u32_e32 vcc, 0, v1
	s_cbranch_vccz .LBB30_94
.LBB30_90:                              ;   in Loop: Header=BB30_91 Depth=2
	s_and_b64 s[2:3], exec, s[2:3]
	s_or_b64 s[30:31], s[2:3], s[30:31]
	s_andn2_b64 s[2:3], s[34:35], exec
	s_and_b64 s[34:35], s[36:37], exec
	s_or_b64 s[34:35], s[2:3], s[34:35]
	s_andn2_b64 exec, exec, s[30:31]
	s_cbranch_execz .LBB30_95
.LBB30_91:                              ;   Parent Loop BB30_6 Depth=1
                                        ; =>  This Inner Loop Header: Depth=2
	v_cmp_gt_u32_e32 vcc, s60, v3
	s_and_saveexec_b64 s[36:37], vcc
	s_cbranch_execz .LBB30_89
; %bb.92:                               ;   in Loop: Header=BB30_91 Depth=2
	v_lshlrev_b64 v[1:2], 2, v[7:8]
	v_mov_b32_e32 v15, s8
	v_add_co_u32_e32 v1, vcc, s33, v1
	v_addc_co_u32_e32 v2, vcc, v15, v2, vcc
	global_load_dword v15, v[1:2], off
	s_waitcnt vmcnt(0)
	v_xor_b32_e32 v1, 0x80000000, v15
	v_and_b32_e32 v1, v1, v4
	v_cmp_eq_u32_e32 vcc, v1, v12
	s_and_b64 exec, exec, vcc
	s_cbranch_execz .LBB30_89
; %bb.93:                               ;   in Loop: Header=BB30_91 Depth=2
	ds_write_b64 v8, v[14:15] offset:3072
	s_branch .LBB30_89
.LBB30_94:                              ;   in Loop: Header=BB30_91 Depth=2
	v_add_u32_e32 v3, s9, v3
	v_cmp_le_u32_e32 vcc, s4, v3
	v_add_u32_e32 v7, s70, v7
	s_mov_b64 s[36:37], 0
	s_orn2_b64 s[2:3], vcc, exec
	s_branch .LBB30_90
.LBB30_95:                              ;   in Loop: Header=BB30_6 Depth=1
	s_or_b64 exec, exec, s[30:31]
	s_andn2_b64 s[2:3], s[26:27], exec
	s_and_b64 s[26:27], s[34:35], exec
	s_or_b64 s[26:27], s[2:3], s[26:27]
.LBB30_96:                              ;   in Loop: Header=BB30_6 Depth=1
	s_or_b64 exec, exec, s[28:29]
	s_mov_b64 s[28:29], 0
	s_mov_b64 s[30:31], -1
.LBB30_97:                              ;   in Loop: Header=BB30_6 Depth=1
	s_orn2_b64 s[38:39], s[26:27], exec
.LBB30_98:                              ;   in Loop: Header=BB30_6 Depth=1
	s_or_b64 exec, exec, s[24:25]
	s_mov_b64 s[34:35], 0
	s_mov_b64 s[26:27], 0
	;; [unrolled: 1-line block ×3, first 2 shown]
                                        ; implicit-def: $vgpr35
                                        ; implicit-def: $vgpr3
	s_and_saveexec_b64 s[36:37], s[38:39]
	s_cbranch_execz .LBB30_230
; %bb.99:                               ;   in Loop: Header=BB30_6 Depth=1
	s_xor_b64 s[2:3], s[6:7], -1
	s_mov_b64 s[40:41], 0
	v_mov_b32_e32 v35, 1
	v_mov_b32_e32 v3, 1
	s_and_saveexec_b64 s[6:7], s[2:3]
	s_cbranch_execz .LBB30_108
; %bb.100:                              ;   in Loop: Header=BB30_6 Depth=1
	v_cmp_ge_u32_e32 vcc, s14, v34
	s_and_saveexec_b64 s[2:3], vcc
	s_xor_b64 s[24:25], exec, s[2:3]
	s_cbranch_execz .LBB30_105
; %bb.101:                              ;   in Loop: Header=BB30_6 Depth=1
	ds_read_b32 v1, v8 offset:4096
	v_and_b32_e32 v12, s17, v12
	v_or_b32_e32 v4, s15, v4
	s_waitcnt lgkmcnt(0)
	v_cmp_ne_u32_e32 vcc, 0, v1
	s_cbranch_vccnz .LBB30_105
; %bb.102:                              ;   in Loop: Header=BB30_6 Depth=1
	s_mov_b64 s[2:3], exec
	v_readlane_b32 s26, v46, 5
	v_readlane_b32 s27, v46, 6
	s_and_b64 s[26:27], s[2:3], s[26:27]
	s_mov_b64 exec, s[26:27]
; %bb.103:                              ;   in Loop: Header=BB30_6 Depth=1
	v_mov_b32_e32 v1, s14
	ds_write_b32 v8, v1 offset:4100
; %bb.104:                              ;   in Loop: Header=BB30_6 Depth=1
	s_or_b64 exec, exec, s[2:3]
	s_waitcnt lgkmcnt(0)
	s_barrier
.LBB30_105:                             ;   in Loop: Header=BB30_6 Depth=1
	s_or_saveexec_b64 s[24:25], s[24:25]
	s_mov_b64 s[26:27], 0
	v_mov_b32_e32 v3, 8
	v_mov_b32_e32 v35, v34
	s_xor_b64 exec, exec, s[24:25]
; %bb.106:                              ;   in Loop: Header=BB30_6 Depth=1
	s_mov_b64 s[26:27], exec
	v_subrev_u32_e32 v35, s14, v34
	v_mov_b32_e32 v3, 0
; %bb.107:                              ;   in Loop: Header=BB30_6 Depth=1
	s_or_b64 exec, exec, s[24:25]
	s_and_b64 s[40:41], s[26:27], exec
.LBB30_108:                             ;   in Loop: Header=BB30_6 Depth=1
	s_or_b64 exec, exec, s[6:7]
	s_mov_b64 s[38:39], -1
                                        ; implicit-def: $sgpr24_sgpr25
                                        ; implicit-def: $sgpr26_sgpr27
	s_and_saveexec_b64 s[2:3], s[40:41]
	s_xor_b64 s[6:7], exec, s[2:3]
	s_cbranch_execz .LBB30_227
; %bb.109:                              ;   in Loop: Header=BB30_6 Depth=1
	s_cmp_eq_u32 s10, 1
	s_cselect_b64 s[2:3], -1, 0
	v_cmp_eq_u32_e32 vcc, 1, v35
	s_and_b64 s[40:41], s[2:3], vcc
	s_mov_b64 s[42:43], -1
                                        ; implicit-def: $sgpr26_sgpr27
                                        ; implicit-def: $sgpr24_sgpr25
	s_and_saveexec_b64 s[38:39], s[40:41]
	s_cbranch_execz .LBB30_135
; %bb.110:                              ;   in Loop: Header=BB30_6 Depth=1
	ds_read_b32 v1, v8 offset:4096
	s_waitcnt lgkmcnt(0)
	s_barrier
	v_readfirstlane_b32 s52, v1
	s_mov_b64 s[2:3], exec
	v_readlane_b32 s24, v46, 20
	v_readlane_b32 s25, v46, 21
	s_and_b64 s[24:25], s[2:3], s[24:25]
	s_mov_b64 exec, s[24:25]
; %bb.111:                              ;   in Loop: Header=BB30_6 Depth=1
	ds_write_b32 v22, v8
; %bb.112:                              ;   in Loop: Header=BB30_6 Depth=1
	s_or_b64 exec, exec, s[2:3]
	v_and_b32_e32 v1, s17, v12
	v_lshl_or_b32 v12, 1, s13, v1
	v_or_b32_e32 v4, s15, v4
	s_mov_b64 s[24:25], -1
	s_mov_b64 s[26:27], 0
	s_cmp_eq_u32 s52, 0
	s_mov_b64 s[42:43], 0
	s_mov_b64 s[44:45], -1
	s_waitcnt lgkmcnt(0)
	s_barrier
                                        ; implicit-def: $vgpr2
	s_cbranch_scc1 .LBB30_123
; %bb.113:                              ;   in Loop: Header=BB30_6 Depth=1
	s_add_i32 s2, s52, s63
	v_readlane_b32 s3, v46, 34
	s_mul_hi_u32 s3, s2, s3
	s_mul_i32 s3, s3, s9
	s_sub_i32 s3, s2, s3
	s_sub_i32 s42, s3, s9
	s_cmp_ge_u32 s3, s9
	s_cselect_b32 s3, s42, s3
	s_sub_i32 s42, s3, s9
	s_cmp_ge_u32 s3, s9
	s_cselect_b32 s3, s42, s3
	s_sub_i32 s53, s2, s3
	v_cmp_gt_u32_e32 vcc, s53, v0
	s_mov_b64 s[44:45], 0
	s_mov_b64 s[42:43], 0
                                        ; implicit-def: $vgpr2
	s_and_saveexec_b64 s[46:47], vcc
	s_cbranch_execz .LBB30_122
; %bb.114:                              ;   in Loop: Header=BB30_6 Depth=1
	v_mov_b32_e32 v7, v19
	v_mov_b32_e32 v36, v0
                                        ; implicit-def: $sgpr48_sgpr49
	s_branch .LBB30_117
.LBB30_115:                             ;   in Loop: Header=BB30_117 Depth=2
	s_or_b64 exec, exec, s[50:51]
	s_waitcnt lgkmcnt(0)
	s_barrier
	ds_read_b64 v[1:2], v8 offset:3072
	s_mov_b64 s[2:3], -1
	s_mov_b64 s[50:51], -1
	s_waitcnt lgkmcnt(0)
	s_barrier
	v_cmp_ne_u32_e32 vcc, 0, v1
	s_cbranch_vccz .LBB30_120
.LBB30_116:                             ;   in Loop: Header=BB30_117 Depth=2
	s_and_b64 s[2:3], exec, s[2:3]
	s_or_b64 s[42:43], s[2:3], s[42:43]
	s_andn2_b64 s[2:3], s[48:49], exec
	s_and_b64 s[48:49], s[50:51], exec
	s_or_b64 s[48:49], s[2:3], s[48:49]
	s_andn2_b64 exec, exec, s[42:43]
	s_cbranch_execz .LBB30_121
.LBB30_117:                             ;   Parent Loop BB30_6 Depth=1
                                        ; =>  This Inner Loop Header: Depth=2
	v_cmp_gt_u32_e32 vcc, s52, v36
	s_and_saveexec_b64 s[50:51], vcc
	s_cbranch_execz .LBB30_115
; %bb.118:                              ;   in Loop: Header=BB30_117 Depth=2
	ds_read_b32 v15, v7
	s_waitcnt lgkmcnt(0)
	v_xor_b32_e32 v1, 0x80000000, v15
	v_and_b32_e32 v1, v1, v4
	v_cmp_eq_u32_e32 vcc, v1, v12
	s_and_b64 exec, exec, vcc
	s_cbranch_execz .LBB30_115
; %bb.119:                              ;   in Loop: Header=BB30_117 Depth=2
	ds_write_b64 v8, v[14:15] offset:3072
	s_branch .LBB30_115
.LBB30_120:                             ;   in Loop: Header=BB30_117 Depth=2
	v_add_u32_e32 v36, s9, v36
	v_cmp_le_u32_e32 vcc, s53, v36
	v_add_u32_e32 v7, s16, v7
	s_mov_b64 s[50:51], 0
	s_orn2_b64 s[2:3], vcc, exec
	s_branch .LBB30_116
.LBB30_121:                             ;   in Loop: Header=BB30_6 Depth=1
	s_or_b64 exec, exec, s[42:43]
	s_and_b64 s[42:43], s[48:49], exec
.LBB30_122:                             ;   in Loop: Header=BB30_6 Depth=1
	s_or_b64 exec, exec, s[46:47]
.LBB30_123:                             ;   in Loop: Header=BB30_6 Depth=1
	s_and_b64 vcc, exec, s[44:45]
	s_cbranch_vccz .LBB30_134
; %bb.124:                              ;   in Loop: Header=BB30_6 Depth=1
                                        ; implicit-def: $vgpr2
	s_mov_b64 s[24:25], exec
	v_readlane_b32 s2, v46, 35
	v_readlane_b32 s3, v46, 36
	s_and_b64 s[2:3], s[24:25], s[2:3]
	s_mov_b64 exec, s[2:3]
	s_cbranch_execz .LBB30_133
; %bb.125:                              ;   in Loop: Header=BB30_6 Depth=1
	s_mov_b64 s[26:27], 0
	v_mov_b32_e32 v7, v9
	v_mov_b32_e32 v36, v0
                                        ; implicit-def: $sgpr44_sgpr45
	s_branch .LBB30_128
.LBB30_126:                             ;   in Loop: Header=BB30_128 Depth=2
	s_or_b64 exec, exec, s[46:47]
	s_waitcnt lgkmcnt(0)
	s_barrier
	ds_read_b64 v[1:2], v8 offset:3072
	s_mov_b64 s[2:3], -1
	s_mov_b64 s[46:47], -1
	s_waitcnt lgkmcnt(0)
	s_barrier
	v_cmp_eq_u32_e32 vcc, 0, v1
	s_cbranch_vccnz .LBB30_131
.LBB30_127:                             ;   in Loop: Header=BB30_128 Depth=2
	s_and_b64 s[2:3], exec, s[2:3]
	s_or_b64 s[26:27], s[2:3], s[26:27]
	s_andn2_b64 s[2:3], s[44:45], exec
	s_and_b64 s[44:45], s[46:47], exec
	s_or_b64 s[44:45], s[2:3], s[44:45]
	s_andn2_b64 exec, exec, s[26:27]
	s_cbranch_execz .LBB30_132
.LBB30_128:                             ;   Parent Loop BB30_6 Depth=1
                                        ; =>  This Inner Loop Header: Depth=2
	v_cmp_gt_u32_e32 vcc, s60, v36
	s_and_saveexec_b64 s[46:47], vcc
	s_cbranch_execz .LBB30_126
; %bb.129:                              ;   in Loop: Header=BB30_128 Depth=2
	v_lshlrev_b64 v[1:2], 2, v[7:8]
	v_mov_b32_e32 v15, s8
	v_add_co_u32_e32 v1, vcc, s33, v1
	v_addc_co_u32_e32 v2, vcc, v15, v2, vcc
	global_load_dword v15, v[1:2], off
	s_waitcnt vmcnt(0)
	v_xor_b32_e32 v1, 0x80000000, v15
	v_and_b32_e32 v1, v1, v4
	v_cmp_eq_u32_e32 vcc, v1, v12
	s_and_b64 exec, exec, vcc
	s_cbranch_execz .LBB30_126
; %bb.130:                              ;   in Loop: Header=BB30_128 Depth=2
	ds_write_b64 v8, v[14:15] offset:3072
	s_branch .LBB30_126
.LBB30_131:                             ;   in Loop: Header=BB30_128 Depth=2
	v_add_u32_e32 v36, s9, v36
	v_cmp_le_u32_e32 vcc, s4, v36
	v_add_u32_e32 v7, s70, v7
	s_mov_b64 s[46:47], 0
	s_orn2_b64 s[2:3], vcc, exec
	s_branch .LBB30_127
.LBB30_132:                             ;   in Loop: Header=BB30_6 Depth=1
	s_or_b64 exec, exec, s[26:27]
	s_andn2_b64 s[2:3], s[42:43], exec
	s_and_b64 s[26:27], s[44:45], exec
	s_or_b64 s[42:43], s[2:3], s[26:27]
.LBB30_133:                             ;   in Loop: Header=BB30_6 Depth=1
	s_or_b64 exec, exec, s[24:25]
	s_mov_b64 s[24:25], 0
	s_mov_b64 s[26:27], -1
.LBB30_134:                             ;   in Loop: Header=BB30_6 Depth=1
	s_orn2_b64 s[42:43], s[42:43], exec
.LBB30_135:                             ;   in Loop: Header=BB30_6 Depth=1
	s_or_b64 exec, exec, s[38:39]
	s_mov_b64 s[44:45], 0
	s_and_saveexec_b64 s[38:39], s[42:43]
	s_cbranch_execz .LBB30_226
; %bb.136:                              ;   in Loop: Header=BB30_6 Depth=1
	s_xor_b64 s[2:3], s[40:41], -1
	s_mov_b64 s[48:49], 0
	v_mov_b32_e32 v36, 1
	v_mov_b32_e32 v3, 1
	s_and_saveexec_b64 s[40:41], s[2:3]
	s_cbranch_execz .LBB30_145
; %bb.137:                              ;   in Loop: Header=BB30_6 Depth=1
	v_cmp_ge_u32_e32 vcc, s10, v35
	s_and_saveexec_b64 s[2:3], vcc
	s_xor_b64 s[42:43], exec, s[2:3]
	s_cbranch_execz .LBB30_142
; %bb.138:                              ;   in Loop: Header=BB30_6 Depth=1
	ds_read_b32 v1, v8 offset:4096
	v_and_b32_e32 v3, s17, v12
	v_lshl_or_b32 v12, 1, s13, v3
	v_or_b32_e32 v4, s15, v4
	s_waitcnt lgkmcnt(0)
	v_cmp_ne_u32_e32 vcc, 0, v1
	s_cbranch_vccnz .LBB30_142
; %bb.139:                              ;   in Loop: Header=BB30_6 Depth=1
	s_mov_b64 s[2:3], exec
	v_readlane_b32 s44, v46, 5
	v_readlane_b32 s45, v46, 6
	s_and_b64 s[44:45], s[2:3], s[44:45]
	s_mov_b64 exec, s[44:45]
; %bb.140:                              ;   in Loop: Header=BB30_6 Depth=1
	v_mov_b32_e32 v1, s10
	ds_write_b32 v8, v1 offset:4100
; %bb.141:                              ;   in Loop: Header=BB30_6 Depth=1
	s_or_b64 exec, exec, s[2:3]
	s_waitcnt lgkmcnt(0)
	s_barrier
.LBB30_142:                             ;   in Loop: Header=BB30_6 Depth=1
	s_or_saveexec_b64 s[42:43], s[42:43]
	s_mov_b64 s[44:45], 0
	v_mov_b32_e32 v3, 8
	s_xor_b64 exec, exec, s[42:43]
; %bb.143:                              ;   in Loop: Header=BB30_6 Depth=1
	s_mov_b64 s[44:45], exec
	v_subrev_u32_e32 v35, s10, v35
	v_mov_b32_e32 v3, 0
; %bb.144:                              ;   in Loop: Header=BB30_6 Depth=1
	s_or_b64 exec, exec, s[42:43]
	s_and_b64 s[48:49], s[44:45], exec
	v_mov_b32_e32 v36, v35
.LBB30_145:                             ;   in Loop: Header=BB30_6 Depth=1
	s_or_b64 exec, exec, s[40:41]
	s_mov_b64 s[46:47], -1
                                        ; implicit-def: $sgpr42_sgpr43
                                        ; implicit-def: $sgpr44_sgpr45
	s_and_saveexec_b64 s[40:41], s[48:49]
	s_cbranch_execz .LBB30_225
; %bb.146:                              ;   in Loop: Header=BB30_6 Depth=1
	s_cmp_eq_u32 s11, 1
	s_cselect_b64 s[2:3], -1, 0
	v_cmp_eq_u32_e32 vcc, 1, v36
	s_and_b64 s[48:49], s[2:3], vcc
	s_mov_b64 s[50:51], -1
                                        ; implicit-def: $sgpr44_sgpr45
                                        ; implicit-def: $sgpr42_sgpr43
	s_and_saveexec_b64 s[46:47], s[48:49]
	s_cbranch_execz .LBB30_173
; %bb.147:                              ;   in Loop: Header=BB30_6 Depth=1
	ds_read_b32 v1, v8 offset:4096
	s_mov_b32 s75, s63
	s_waitcnt lgkmcnt(0)
	s_barrier
	v_readfirstlane_b32 s63, v1
	s_mov_b64 s[2:3], exec
	v_readlane_b32 s42, v46, 20
	v_readlane_b32 s43, v46, 21
	s_and_b64 s[42:43], s[2:3], s[42:43]
	s_mov_b64 exec, s[42:43]
; %bb.148:                              ;   in Loop: Header=BB30_6 Depth=1
	ds_write_b32 v22, v8
; %bb.149:                              ;   in Loop: Header=BB30_6 Depth=1
	s_or_b64 exec, exec, s[2:3]
	v_and_b32_e32 v1, s17, v12
	v_lshl_or_b32 v12, 2, s13, v1
	v_or_b32_e32 v4, s15, v4
	s_mov_b64 s[42:43], -1
	s_mov_b64 s[44:45], 0
	s_cmp_eq_u32 s63, 0
	s_mov_b64 s[50:51], 0
	s_mov_b64 s[52:53], -1
	s_waitcnt lgkmcnt(0)
	s_barrier
                                        ; implicit-def: $vgpr2
	s_cbranch_scc1 .LBB30_160
; %bb.150:                              ;   in Loop: Header=BB30_6 Depth=1
	s_add_i32 s2, s63, s75
	v_readlane_b32 s3, v46, 34
	s_mul_hi_u32 s3, s2, s3
	s_mul_i32 s3, s3, s9
	s_sub_i32 s3, s2, s3
	s_sub_i32 s50, s3, s9
	s_cmp_ge_u32 s3, s9
	s_cselect_b32 s3, s50, s3
	s_sub_i32 s50, s3, s9
	s_cmp_ge_u32 s3, s9
	s_cselect_b32 s3, s50, s3
	s_sub_i32 s74, s2, s3
	v_cmp_gt_u32_e32 vcc, s74, v0
	s_mov_b64 s[52:53], 0
	s_mov_b64 s[50:51], 0
                                        ; implicit-def: $vgpr2
	s_and_saveexec_b64 s[54:55], vcc
	s_cbranch_execz .LBB30_159
; %bb.151:                              ;   in Loop: Header=BB30_6 Depth=1
	v_mov_b32_e32 v7, v19
	v_mov_b32_e32 v35, v0
                                        ; implicit-def: $sgpr56_sgpr57
	s_branch .LBB30_154
.LBB30_152:                             ;   in Loop: Header=BB30_154 Depth=2
	s_or_b64 exec, exec, s[58:59]
	s_waitcnt lgkmcnt(0)
	s_barrier
	ds_read_b64 v[1:2], v8 offset:3072
	s_mov_b64 s[2:3], -1
	s_mov_b64 s[58:59], -1
	s_waitcnt lgkmcnt(0)
	s_barrier
	v_cmp_ne_u32_e32 vcc, 0, v1
	s_cbranch_vccz .LBB30_157
.LBB30_153:                             ;   in Loop: Header=BB30_154 Depth=2
	s_and_b64 s[2:3], exec, s[2:3]
	s_or_b64 s[50:51], s[2:3], s[50:51]
	s_andn2_b64 s[2:3], s[56:57], exec
	s_and_b64 s[56:57], s[58:59], exec
	s_or_b64 s[56:57], s[2:3], s[56:57]
	s_andn2_b64 exec, exec, s[50:51]
	s_cbranch_execz .LBB30_158
.LBB30_154:                             ;   Parent Loop BB30_6 Depth=1
                                        ; =>  This Inner Loop Header: Depth=2
	v_cmp_gt_u32_e32 vcc, s63, v35
	s_and_saveexec_b64 s[58:59], vcc
	s_cbranch_execz .LBB30_152
; %bb.155:                              ;   in Loop: Header=BB30_154 Depth=2
	ds_read_b32 v15, v7
	s_waitcnt lgkmcnt(0)
	v_xor_b32_e32 v1, 0x80000000, v15
	v_and_b32_e32 v1, v1, v4
	v_cmp_eq_u32_e32 vcc, v1, v12
	s_and_b64 exec, exec, vcc
	s_cbranch_execz .LBB30_152
; %bb.156:                              ;   in Loop: Header=BB30_154 Depth=2
	ds_write_b64 v8, v[14:15] offset:3072
	s_branch .LBB30_152
.LBB30_157:                             ;   in Loop: Header=BB30_154 Depth=2
	v_add_u32_e32 v35, s9, v35
	v_cmp_le_u32_e32 vcc, s74, v35
	v_add_u32_e32 v7, s16, v7
	s_mov_b64 s[58:59], 0
	s_orn2_b64 s[2:3], vcc, exec
	s_branch .LBB30_153
.LBB30_158:                             ;   in Loop: Header=BB30_6 Depth=1
	s_or_b64 exec, exec, s[50:51]
	s_and_b64 s[50:51], s[56:57], exec
.LBB30_159:                             ;   in Loop: Header=BB30_6 Depth=1
	s_or_b64 exec, exec, s[54:55]
.LBB30_160:                             ;   in Loop: Header=BB30_6 Depth=1
	s_and_b64 vcc, exec, s[52:53]
	s_cbranch_vccz .LBB30_169
; %bb.161:                              ;   in Loop: Header=BB30_6 Depth=1
                                        ; implicit-def: $vgpr2
	s_mov_b64 s[42:43], exec
	v_readlane_b32 s2, v46, 35
	v_readlane_b32 s3, v46, 36
	s_and_b64 s[2:3], s[42:43], s[2:3]
	s_mov_b32 s63, s75
	s_mov_b64 exec, s[2:3]
	s_cbranch_execz .LBB30_171
; %bb.162:                              ;   in Loop: Header=BB30_6 Depth=1
	s_mov_b64 s[44:45], 0
	v_mov_b32_e32 v7, v9
	v_mov_b32_e32 v35, v0
                                        ; implicit-def: $sgpr52_sgpr53
	s_branch .LBB30_165
.LBB30_163:                             ;   in Loop: Header=BB30_165 Depth=2
	s_or_b64 exec, exec, s[54:55]
	s_waitcnt lgkmcnt(0)
	s_barrier
	ds_read_b64 v[1:2], v8 offset:3072
	s_mov_b64 s[2:3], -1
	s_mov_b64 s[54:55], -1
	s_waitcnt lgkmcnt(0)
	s_barrier
	v_cmp_eq_u32_e32 vcc, 0, v1
	s_cbranch_vccnz .LBB30_168
.LBB30_164:                             ;   in Loop: Header=BB30_165 Depth=2
	s_and_b64 s[2:3], exec, s[2:3]
	s_or_b64 s[44:45], s[2:3], s[44:45]
	s_andn2_b64 s[2:3], s[52:53], exec
	s_and_b64 s[52:53], s[54:55], exec
	s_or_b64 s[52:53], s[2:3], s[52:53]
	s_andn2_b64 exec, exec, s[44:45]
	s_cbranch_execz .LBB30_170
.LBB30_165:                             ;   Parent Loop BB30_6 Depth=1
                                        ; =>  This Inner Loop Header: Depth=2
	v_cmp_gt_u32_e32 vcc, s60, v35
	s_and_saveexec_b64 s[54:55], vcc
	s_cbranch_execz .LBB30_163
; %bb.166:                              ;   in Loop: Header=BB30_165 Depth=2
	v_lshlrev_b64 v[1:2], 2, v[7:8]
	v_mov_b32_e32 v15, s8
	v_add_co_u32_e32 v1, vcc, s33, v1
	v_addc_co_u32_e32 v2, vcc, v15, v2, vcc
	global_load_dword v15, v[1:2], off
	s_waitcnt vmcnt(0)
	v_xor_b32_e32 v1, 0x80000000, v15
	v_and_b32_e32 v1, v1, v4
	v_cmp_eq_u32_e32 vcc, v1, v12
	s_and_b64 exec, exec, vcc
	s_cbranch_execz .LBB30_163
; %bb.167:                              ;   in Loop: Header=BB30_165 Depth=2
	ds_write_b64 v8, v[14:15] offset:3072
	s_branch .LBB30_163
.LBB30_168:                             ;   in Loop: Header=BB30_165 Depth=2
	v_add_u32_e32 v35, s9, v35
	v_cmp_le_u32_e32 vcc, s4, v35
	v_add_u32_e32 v7, s70, v7
	s_mov_b64 s[54:55], 0
	s_orn2_b64 s[2:3], vcc, exec
	s_branch .LBB30_164
.LBB30_169:                             ;   in Loop: Header=BB30_6 Depth=1
	s_mov_b32 s63, s75
	s_branch .LBB30_172
.LBB30_170:                             ;   in Loop: Header=BB30_6 Depth=1
	s_or_b64 exec, exec, s[44:45]
	s_andn2_b64 s[2:3], s[50:51], exec
	s_and_b64 s[44:45], s[52:53], exec
	s_or_b64 s[50:51], s[2:3], s[44:45]
.LBB30_171:                             ;   in Loop: Header=BB30_6 Depth=1
	s_or_b64 exec, exec, s[42:43]
	s_mov_b64 s[42:43], 0
	s_mov_b64 s[44:45], -1
.LBB30_172:                             ;   in Loop: Header=BB30_6 Depth=1
	s_orn2_b64 s[50:51], s[50:51], exec
.LBB30_173:                             ;   in Loop: Header=BB30_6 Depth=1
	s_or_b64 exec, exec, s[46:47]
	s_mov_b64 s[52:53], 0
	s_and_saveexec_b64 s[46:47], s[50:51]
	s_cbranch_execz .LBB30_224
; %bb.174:                              ;   in Loop: Header=BB30_6 Depth=1
	s_xor_b64 s[2:3], s[48:49], -1
	s_mov_b64 s[56:57], 0
	v_mov_b32_e32 v35, 1
	v_mov_b32_e32 v3, 1
	s_and_saveexec_b64 s[48:49], s[2:3]
	s_cbranch_execz .LBB30_183
; %bb.175:                              ;   in Loop: Header=BB30_6 Depth=1
	v_cmp_ge_u32_e32 vcc, s11, v36
	s_and_saveexec_b64 s[2:3], vcc
	s_xor_b64 s[50:51], exec, s[2:3]
	s_cbranch_execz .LBB30_180
; %bb.176:                              ;   in Loop: Header=BB30_6 Depth=1
	ds_read_b32 v1, v8 offset:4096
	v_and_b32_e32 v3, s17, v12
	v_lshl_or_b32 v12, 2, s13, v3
	v_or_b32_e32 v4, s15, v4
	s_waitcnt lgkmcnt(0)
	v_cmp_ne_u32_e32 vcc, 0, v1
	s_cbranch_vccnz .LBB30_180
; %bb.177:                              ;   in Loop: Header=BB30_6 Depth=1
	s_mov_b64 s[2:3], exec
	v_readlane_b32 s52, v46, 5
	v_readlane_b32 s53, v46, 6
	s_and_b64 s[52:53], s[2:3], s[52:53]
	s_mov_b64 exec, s[52:53]
; %bb.178:                              ;   in Loop: Header=BB30_6 Depth=1
	v_mov_b32_e32 v1, s11
	ds_write_b32 v8, v1 offset:4100
; %bb.179:                              ;   in Loop: Header=BB30_6 Depth=1
	s_or_b64 exec, exec, s[2:3]
	s_waitcnt lgkmcnt(0)
	s_barrier
.LBB30_180:                             ;   in Loop: Header=BB30_6 Depth=1
	s_or_saveexec_b64 s[50:51], s[50:51]
	s_mov_b64 s[52:53], 0
	v_mov_b32_e32 v3, 8
	s_xor_b64 exec, exec, s[50:51]
; %bb.181:                              ;   in Loop: Header=BB30_6 Depth=1
	s_mov_b64 s[52:53], exec
	v_subrev_u32_e32 v36, s11, v36
	v_mov_b32_e32 v3, 0
; %bb.182:                              ;   in Loop: Header=BB30_6 Depth=1
	s_or_b64 exec, exec, s[50:51]
	s_and_b64 s[56:57], s[52:53], exec
	v_mov_b32_e32 v35, v36
.LBB30_183:                             ;   in Loop: Header=BB30_6 Depth=1
	s_or_b64 exec, exec, s[48:49]
	s_mov_b64 s[54:55], -1
                                        ; implicit-def: $sgpr52_sgpr53
                                        ; implicit-def: $sgpr2_sgpr3
                                        ; kill: killed $sgpr2_sgpr3
	s_and_saveexec_b64 s[48:49], s[56:57]
	s_cbranch_execz .LBB30_223
; %bb.184:                              ;   in Loop: Header=BB30_6 Depth=1
	s_cmp_eq_u32 s62, 1
	s_cselect_b64 s[2:3], -1, 0
	v_cmp_eq_u32_e32 vcc, 1, v35
	s_and_b64 s[50:51], s[2:3], vcc
	s_mov_b64 s[58:59], -1
	v_writelane_b32 v46, s50, 39
                                        ; implicit-def: $sgpr52_sgpr53
                                        ; implicit-def: $sgpr2_sgpr3
                                        ; kill: killed $sgpr2_sgpr3
	v_writelane_b32 v46, s51, 40
	s_and_saveexec_b64 s[56:57], s[50:51]
	s_cbranch_execz .LBB30_211
; %bb.185:                              ;   in Loop: Header=BB30_6 Depth=1
	ds_read_b32 v1, v8 offset:4096
	v_writelane_b32 v46, s63, 41
	s_waitcnt lgkmcnt(0)
	s_barrier
	v_readfirstlane_b32 s63, v1
	s_mov_b64 s[2:3], exec
	v_readlane_b32 s50, v46, 20
	v_readlane_b32 s51, v46, 21
	s_and_b64 s[50:51], s[2:3], s[50:51]
	s_mov_b64 exec, s[50:51]
; %bb.186:                              ;   in Loop: Header=BB30_6 Depth=1
	ds_write_b32 v22, v8
; %bb.187:                              ;   in Loop: Header=BB30_6 Depth=1
	s_or_b64 exec, exec, s[2:3]
	s_mov_b64 s[2:3], -1
	v_or_b32_e32 v12, s15, v12
	v_or_b32_e32 v4, s15, v4
	v_writelane_b32 v46, s2, 37
	s_mov_b64 s[52:53], 0
	s_cmp_eq_u32 s63, 0
	s_mov_b64 s[58:59], 0
	s_mov_b64 s[74:75], -1
	s_waitcnt lgkmcnt(0)
	s_barrier
	v_writelane_b32 v46, s3, 38
                                        ; implicit-def: $vgpr2
	s_cbranch_scc1 .LBB30_198
; %bb.188:                              ;   in Loop: Header=BB30_6 Depth=1
	v_readlane_b32 s2, v46, 41
	s_add_i32 s2, s63, s2
	v_readlane_b32 s3, v46, 34
	s_mul_hi_u32 s3, s2, s3
	s_mul_i32 s3, s3, s9
	s_sub_i32 s3, s2, s3
	s_sub_i32 s50, s3, s9
	s_cmp_ge_u32 s3, s9
	s_cselect_b32 s3, s50, s3
	s_sub_i32 s50, s3, s9
	s_cmp_ge_u32 s3, s9
	s_cselect_b32 s3, s50, s3
	s_sub_i32 s50, s2, s3
	v_cmp_gt_u32_e32 vcc, s50, v0
	s_mov_b64 s[74:75], 0
                                        ; implicit-def: $vgpr2
	s_and_saveexec_b64 s[76:77], vcc
	s_cbranch_execz .LBB30_197
; %bb.189:                              ;   in Loop: Header=BB30_6 Depth=1
	v_mov_b32_e32 v7, v19
	v_mov_b32_e32 v36, v0
                                        ; implicit-def: $sgpr78_sgpr79
	s_branch .LBB30_192
.LBB30_190:                             ;   in Loop: Header=BB30_192 Depth=2
	s_or_b64 exec, exec, s[2:3]
	s_waitcnt lgkmcnt(0)
	s_barrier
	ds_read_b64 v[1:2], v8 offset:3072
	s_mov_b64 s[2:3], -1
	s_mov_b64 s[54:55], -1
	s_waitcnt lgkmcnt(0)
	s_barrier
	v_cmp_ne_u32_e32 vcc, 0, v1
	s_cbranch_vccz .LBB30_195
.LBB30_191:                             ;   in Loop: Header=BB30_192 Depth=2
	s_and_b64 s[2:3], exec, s[2:3]
	s_or_b64 s[58:59], s[2:3], s[58:59]
	s_andn2_b64 s[2:3], s[78:79], exec
	s_and_b64 s[54:55], s[54:55], exec
	s_or_b64 s[78:79], s[2:3], s[54:55]
	s_andn2_b64 exec, exec, s[58:59]
	s_cbranch_execz .LBB30_196
.LBB30_192:                             ;   Parent Loop BB30_6 Depth=1
                                        ; =>  This Inner Loop Header: Depth=2
	v_cmp_gt_u32_e32 vcc, s63, v36
	s_and_saveexec_b64 s[2:3], vcc
	s_cbranch_execz .LBB30_190
; %bb.193:                              ;   in Loop: Header=BB30_192 Depth=2
	ds_read_b32 v15, v7
	s_waitcnt lgkmcnt(0)
	v_xor_b32_e32 v1, 0x80000000, v15
	v_and_b32_e32 v1, v1, v4
	v_cmp_eq_u32_e32 vcc, v1, v12
	s_and_b64 exec, exec, vcc
	s_cbranch_execz .LBB30_190
; %bb.194:                              ;   in Loop: Header=BB30_192 Depth=2
	ds_write_b64 v8, v[14:15] offset:3072
	s_branch .LBB30_190
.LBB30_195:                             ;   in Loop: Header=BB30_192 Depth=2
	v_add_u32_e32 v36, s9, v36
	v_cmp_le_u32_e32 vcc, s50, v36
	v_add_u32_e32 v7, s16, v7
	s_mov_b64 s[54:55], 0
	s_orn2_b64 s[2:3], vcc, exec
	s_branch .LBB30_191
.LBB30_196:                             ;   in Loop: Header=BB30_6 Depth=1
	s_or_b64 exec, exec, s[58:59]
	s_and_b64 s[58:59], s[78:79], exec
.LBB30_197:                             ;   in Loop: Header=BB30_6 Depth=1
	s_or_b64 exec, exec, s[76:77]
.LBB30_198:                             ;   in Loop: Header=BB30_6 Depth=1
	s_and_b64 vcc, exec, s[74:75]
	s_cbranch_vccz .LBB30_207
; %bb.199:                              ;   in Loop: Header=BB30_6 Depth=1
                                        ; implicit-def: $vgpr2
	s_mov_b64 s[50:51], exec
	v_readlane_b32 s2, v46, 35
	v_readlane_b32 s3, v46, 36
	s_and_b64 s[2:3], s[50:51], s[2:3]
	v_readlane_b32 s63, v46, 41
	s_mov_b64 exec, s[2:3]
	s_cbranch_execz .LBB30_209
; %bb.200:                              ;   in Loop: Header=BB30_6 Depth=1
	s_mov_b64 s[52:53], 0
	v_mov_b32_e32 v7, v9
	v_mov_b32_e32 v36, v0
                                        ; implicit-def: $sgpr74_sgpr75
	s_branch .LBB30_203
.LBB30_201:                             ;   in Loop: Header=BB30_203 Depth=2
	s_or_b64 exec, exec, s[76:77]
	s_waitcnt lgkmcnt(0)
	s_barrier
	ds_read_b64 v[1:2], v8 offset:3072
	s_mov_b64 s[2:3], -1
	s_mov_b64 s[54:55], -1
	s_waitcnt lgkmcnt(0)
	s_barrier
	v_cmp_eq_u32_e32 vcc, 0, v1
	s_cbranch_vccnz .LBB30_206
.LBB30_202:                             ;   in Loop: Header=BB30_203 Depth=2
	s_and_b64 s[2:3], exec, s[2:3]
	s_or_b64 s[52:53], s[2:3], s[52:53]
	s_andn2_b64 s[2:3], s[74:75], exec
	s_and_b64 s[54:55], s[54:55], exec
	s_or_b64 s[74:75], s[2:3], s[54:55]
	s_andn2_b64 exec, exec, s[52:53]
	s_cbranch_execz .LBB30_208
.LBB30_203:                             ;   Parent Loop BB30_6 Depth=1
                                        ; =>  This Inner Loop Header: Depth=2
	v_cmp_gt_u32_e32 vcc, s60, v36
	s_and_saveexec_b64 s[76:77], vcc
	s_cbranch_execz .LBB30_201
; %bb.204:                              ;   in Loop: Header=BB30_203 Depth=2
	v_lshlrev_b64 v[1:2], 2, v[7:8]
	v_mov_b32_e32 v15, s8
	v_add_co_u32_e32 v1, vcc, s33, v1
	v_addc_co_u32_e32 v2, vcc, v15, v2, vcc
	global_load_dword v15, v[1:2], off
	s_waitcnt vmcnt(0)
	v_xor_b32_e32 v1, 0x80000000, v15
	v_and_b32_e32 v1, v1, v4
	v_cmp_eq_u32_e32 vcc, v1, v12
	s_and_b64 exec, exec, vcc
	s_cbranch_execz .LBB30_201
; %bb.205:                              ;   in Loop: Header=BB30_203 Depth=2
	ds_write_b64 v8, v[14:15] offset:3072
	s_branch .LBB30_201
.LBB30_206:                             ;   in Loop: Header=BB30_203 Depth=2
	v_add_u32_e32 v36, s9, v36
	v_cmp_le_u32_e32 vcc, s4, v36
	v_add_u32_e32 v7, s70, v7
	s_mov_b64 s[54:55], 0
	s_orn2_b64 s[2:3], vcc, exec
	s_branch .LBB30_202
.LBB30_207:                             ;   in Loop: Header=BB30_6 Depth=1
	v_readlane_b32 s63, v46, 41
	s_branch .LBB30_210
.LBB30_208:                             ;   in Loop: Header=BB30_6 Depth=1
	s_or_b64 exec, exec, s[52:53]
	s_andn2_b64 s[2:3], s[58:59], exec
	s_and_b64 s[52:53], s[74:75], exec
	s_or_b64 s[58:59], s[2:3], s[52:53]
.LBB30_209:                             ;   in Loop: Header=BB30_6 Depth=1
	s_or_b64 exec, exec, s[50:51]
	s_mov_b64 s[2:3], 0
	v_writelane_b32 v46, s2, 37
	v_writelane_b32 v46, s3, 38
	s_mov_b64 s[52:53], -1
.LBB30_210:                             ;   in Loop: Header=BB30_6 Depth=1
	s_orn2_b64 s[58:59], s[58:59], exec
.LBB30_211:                             ;   in Loop: Header=BB30_6 Depth=1
	s_or_b64 exec, exec, s[56:57]
	s_mov_b64 s[74:75], 0
	s_and_saveexec_b64 s[56:57], s[58:59]
	s_cbranch_execz .LBB30_222
; %bb.212:                              ;   in Loop: Header=BB30_6 Depth=1
	v_readlane_b32 s2, v46, 39
	v_readlane_b32 s3, v46, 40
	s_xor_b64 s[2:3], s[2:3], -1
	v_mov_b32_e32 v3, 1
	v_mov_b32_e32 v1, 1
	s_and_saveexec_b64 s[54:55], s[2:3]
	s_cbranch_execz .LBB30_221
; %bb.213:                              ;   in Loop: Header=BB30_6 Depth=1
	v_cmp_ge_u32_e32 vcc, s62, v35
	s_and_saveexec_b64 s[2:3], vcc
	s_xor_b64 s[58:59], exec, s[2:3]
	s_cbranch_execz .LBB30_218
; %bb.214:                              ;   in Loop: Header=BB30_6 Depth=1
	ds_read_b32 v1, v8 offset:4096
	v_or_b32_e32 v12, s15, v12
	v_or_b32_e32 v4, s15, v4
	s_waitcnt lgkmcnt(0)
	v_cmp_ne_u32_e32 vcc, 0, v1
	s_cbranch_vccnz .LBB30_218
; %bb.215:                              ;   in Loop: Header=BB30_6 Depth=1
	s_mov_b64 s[2:3], exec
	v_readlane_b32 s50, v46, 5
	v_readlane_b32 s51, v46, 6
	s_and_b64 s[50:51], s[2:3], s[50:51]
	s_mov_b64 exec, s[50:51]
; %bb.216:                              ;   in Loop: Header=BB30_6 Depth=1
	v_mov_b32_e32 v1, s62
	ds_write_b32 v8, v1 offset:4100
; %bb.217:                              ;   in Loop: Header=BB30_6 Depth=1
	s_or_b64 exec, exec, s[2:3]
	s_waitcnt lgkmcnt(0)
	s_barrier
.LBB30_218:                             ;   in Loop: Header=BB30_6 Depth=1
	s_andn2_saveexec_b64 s[2:3], s[58:59]
; %bb.219:                              ;   in Loop: Header=BB30_6 Depth=1
	v_subrev_u32_e32 v35, s62, v35
; %bb.220:                              ;   in Loop: Header=BB30_6 Depth=1
	s_or_b64 exec, exec, s[2:3]
	v_mov_b32_e32 v3, 8
	v_mov_b32_e32 v1, v35
.LBB30_221:                             ;   in Loop: Header=BB30_6 Depth=1
	s_or_b64 exec, exec, s[54:55]
	s_mov_b64 s[74:75], exec
	v_mov_b32_e32 v35, v1
.LBB30_222:                             ;   in Loop: Header=BB30_6 Depth=1
	s_or_b64 exec, exec, s[56:57]
	s_orn2_b64 s[54:55], s[74:75], exec
.LBB30_223:                             ;   in Loop: Header=BB30_6 Depth=1
	s_or_b64 exec, exec, s[48:49]
	s_andn2_b64 s[2:3], s[44:45], exec
	s_and_b64 s[44:45], s[52:53], exec
	s_or_b64 s[44:45], s[2:3], s[44:45]
	s_andn2_b64 s[2:3], s[42:43], exec
	v_readlane_b32 s42, v46, 37
	v_readlane_b32 s43, v46, 38
	s_and_b64 s[42:43], s[42:43], exec
	s_or_b64 s[42:43], s[2:3], s[42:43]
	s_and_b64 s[52:53], s[54:55], exec
	v_mov_b32_e32 v36, v35
.LBB30_224:                             ;   in Loop: Header=BB30_6 Depth=1
	s_or_b64 exec, exec, s[46:47]
	s_orn2_b64 s[46:47], s[52:53], exec
.LBB30_225:                             ;   in Loop: Header=BB30_6 Depth=1
	s_or_b64 exec, exec, s[40:41]
	s_andn2_b64 s[2:3], s[26:27], exec
	s_and_b64 s[26:27], s[44:45], exec
	s_or_b64 s[26:27], s[2:3], s[26:27]
	s_andn2_b64 s[2:3], s[24:25], exec
	s_and_b64 s[24:25], s[42:43], exec
	s_or_b64 s[24:25], s[2:3], s[24:25]
	s_and_b64 s[44:45], s[46:47], exec
	v_mov_b32_e32 v35, v36
.LBB30_226:                             ;   in Loop: Header=BB30_6 Depth=1
	s_or_b64 exec, exec, s[38:39]
	s_orn2_b64 s[38:39], s[44:45], exec
.LBB30_227:                             ;   in Loop: Header=BB30_6 Depth=1
	s_or_b64 exec, exec, s[6:7]
	s_mov_b64 s[6:7], 0
	s_mov_b64 s[40:41], 0
	s_and_saveexec_b64 s[2:3], s[38:39]
	s_xor_b64 s[2:3], exec, s[2:3]
; %bb.228:                              ;   in Loop: Header=BB30_6 Depth=1
	v_cmp_eq_u32_e32 vcc, 8, v3
	v_cmp_ne_u32_e64 s[6:7], 8, v3
	s_and_b64 s[40:41], s[6:7], exec
	s_and_b64 s[6:7], vcc, exec
; %bb.229:                              ;   in Loop: Header=BB30_6 Depth=1
	s_or_b64 exec, exec, s[2:3]
	s_andn2_b64 s[2:3], s[30:31], exec
	s_and_b64 s[26:27], s[26:27], exec
	s_or_b64 s[30:31], s[2:3], s[26:27]
	s_andn2_b64 s[2:3], s[28:29], exec
	s_and_b64 s[24:25], s[24:25], exec
	s_or_b64 s[28:29], s[2:3], s[24:25]
	s_and_b64 s[24:25], s[40:41], exec
	s_and_b64 s[26:27], s[6:7], exec
.LBB30_230:                             ;   in Loop: Header=BB30_6 Depth=1
	s_or_b64 exec, exec, s[36:37]
.LBB30_231:                             ;   in Loop: Header=BB30_6 Depth=1
	s_and_b64 vcc, exec, s[34:35]
	s_cbranch_vccz .LBB30_244
; %bb.232:                              ;   in Loop: Header=BB30_6 Depth=1
	s_cmp_eq_u32 s62, 1
	s_cselect_b64 s[2:3], -1, 0
	s_and_b64 s[6:7], s[2:3], s[18:19]
	s_mov_b64 s[30:31], -1
                                        ; implicit-def: $sgpr18_sgpr19
                                        ; implicit-def: $sgpr22_sgpr23
	s_and_saveexec_b64 s[28:29], s[6:7]
	s_cbranch_execz .LBB30_259
; %bb.233:                              ;   in Loop: Header=BB30_6 Depth=1
	ds_read_b32 v1, v8 offset:4096
	s_waitcnt lgkmcnt(0)
	s_barrier
	v_readfirstlane_b32 s42, v1
	s_mov_b64 s[2:3], exec
	v_readlane_b32 s18, v46, 20
	v_readlane_b32 s19, v46, 21
	s_and_b64 s[18:19], s[2:3], s[18:19]
	s_mov_b64 exec, s[18:19]
; %bb.234:                              ;   in Loop: Header=BB30_6 Depth=1
	ds_write_b32 v22, v8
; %bb.235:                              ;   in Loop: Header=BB30_6 Depth=1
	s_or_b64 exec, exec, s[2:3]
	v_or_b32_e32 v25, s15, v25
	v_or_b32_e32 v33, s15, v33
	s_mov_b64 s[22:23], -1
	s_mov_b64 s[18:19], 0
	s_cmp_eq_u32 s42, 0
	s_mov_b64 s[30:31], 0
	s_mov_b64 s[34:35], -1
	s_waitcnt lgkmcnt(0)
	s_barrier
                                        ; implicit-def: $vgpr13
	s_cbranch_scc1 .LBB30_247
; %bb.236:                              ;   in Loop: Header=BB30_6 Depth=1
	s_add_i32 s2, s42, s63
	v_readlane_b32 s3, v46, 34
	s_mul_hi_u32 s3, s2, s3
	s_mul_i32 s3, s3, s9
	s_sub_i32 s3, s2, s3
	s_sub_i32 s30, s3, s9
	s_cmp_ge_u32 s3, s9
	s_cselect_b32 s3, s30, s3
	s_sub_i32 s30, s3, s9
	s_cmp_ge_u32 s3, s9
	s_cselect_b32 s3, s30, s3
	s_sub_i32 s43, s2, s3
	v_cmp_gt_u32_e32 vcc, s43, v0
	s_mov_b64 s[34:35], 0
	s_mov_b64 s[30:31], 0
                                        ; implicit-def: $vgpr13
	s_and_saveexec_b64 s[36:37], vcc
	s_cbranch_execz .LBB30_246
; %bb.237:                              ;   in Loop: Header=BB30_6 Depth=1
	v_mov_b32_e32 v1, v19
	v_mov_b32_e32 v2, v0
                                        ; implicit-def: $sgpr38_sgpr39
	s_branch .LBB30_240
.LBB30_238:                             ;   in Loop: Header=BB30_240 Depth=2
	s_or_b64 exec, exec, s[40:41]
	s_waitcnt lgkmcnt(0)
	s_barrier
	ds_read_b64 v[12:13], v8 offset:3072
	s_mov_b64 s[2:3], -1
	s_mov_b64 s[40:41], -1
	s_waitcnt lgkmcnt(0)
	s_barrier
	v_cmp_ne_u32_e32 vcc, 0, v12
	s_cbranch_vccz .LBB30_243
.LBB30_239:                             ;   in Loop: Header=BB30_240 Depth=2
	s_and_b64 s[2:3], exec, s[2:3]
	s_or_b64 s[30:31], s[2:3], s[30:31]
	s_andn2_b64 s[2:3], s[38:39], exec
	s_and_b64 s[38:39], s[40:41], exec
	s_or_b64 s[38:39], s[2:3], s[38:39]
	s_andn2_b64 exec, exec, s[30:31]
	s_cbranch_execz .LBB30_245
.LBB30_240:                             ;   Parent Loop BB30_6 Depth=1
                                        ; =>  This Inner Loop Header: Depth=2
	v_cmp_gt_u32_e32 vcc, s42, v2
	s_and_saveexec_b64 s[40:41], vcc
	s_cbranch_execz .LBB30_238
; %bb.241:                              ;   in Loop: Header=BB30_240 Depth=2
	ds_read_b32 v15, v1
	s_waitcnt lgkmcnt(0)
	v_xor_b32_e32 v3, 0x80000000, v15
	v_and_b32_e32 v3, v3, v33
	v_cmp_eq_u32_e32 vcc, v3, v25
	s_and_b64 exec, exec, vcc
	s_cbranch_execz .LBB30_238
; %bb.242:                              ;   in Loop: Header=BB30_240 Depth=2
	ds_write_b64 v8, v[14:15] offset:3072
	s_branch .LBB30_238
.LBB30_243:                             ;   in Loop: Header=BB30_240 Depth=2
	v_add_u32_e32 v2, s9, v2
	v_cmp_le_u32_e32 vcc, s43, v2
	v_add_u32_e32 v1, s16, v1
	s_mov_b64 s[40:41], 0
	s_orn2_b64 s[2:3], vcc, exec
	s_branch .LBB30_239
.LBB30_244:                             ;   in Loop: Header=BB30_6 Depth=1
	s_mov_b64 s[18:19], 0
	v_mov_b32_e32 v25, v12
	v_mov_b32_e32 v33, v4
	;; [unrolled: 1-line block ×3, first 2 shown]
	s_and_saveexec_b64 s[2:3], s[26:27]
	s_cbranch_execnz .LBB30_390
	s_branch .LBB30_391
.LBB30_245:                             ;   in Loop: Header=BB30_6 Depth=1
	s_or_b64 exec, exec, s[30:31]
	s_and_b64 s[30:31], s[38:39], exec
.LBB30_246:                             ;   in Loop: Header=BB30_6 Depth=1
	s_or_b64 exec, exec, s[36:37]
.LBB30_247:                             ;   in Loop: Header=BB30_6 Depth=1
	s_and_b64 vcc, exec, s[34:35]
	s_cbranch_vccz .LBB30_258
; %bb.248:                              ;   in Loop: Header=BB30_6 Depth=1
                                        ; implicit-def: $vgpr13
	s_mov_b64 s[18:19], exec
	v_readlane_b32 s2, v46, 35
	v_readlane_b32 s3, v46, 36
	s_and_b64 s[2:3], s[18:19], s[2:3]
	s_mov_b64 exec, s[2:3]
	s_cbranch_execz .LBB30_257
; %bb.249:                              ;   in Loop: Header=BB30_6 Depth=1
	s_mov_b64 s[22:23], 0
	v_mov_b32_e32 v7, v9
	v_mov_b32_e32 v1, v0
                                        ; implicit-def: $sgpr34_sgpr35
	s_branch .LBB30_252
.LBB30_250:                             ;   in Loop: Header=BB30_252 Depth=2
	s_or_b64 exec, exec, s[36:37]
	s_waitcnt lgkmcnt(0)
	s_barrier
	ds_read_b64 v[12:13], v8 offset:3072
	s_mov_b64 s[2:3], -1
	s_mov_b64 s[36:37], -1
	s_waitcnt lgkmcnt(0)
	s_barrier
	v_cmp_ne_u32_e32 vcc, 0, v12
	s_cbranch_vccz .LBB30_255
.LBB30_251:                             ;   in Loop: Header=BB30_252 Depth=2
	s_and_b64 s[2:3], exec, s[2:3]
	s_or_b64 s[22:23], s[2:3], s[22:23]
	s_andn2_b64 s[2:3], s[34:35], exec
	s_and_b64 s[34:35], s[36:37], exec
	s_or_b64 s[34:35], s[2:3], s[34:35]
	s_andn2_b64 exec, exec, s[22:23]
	s_cbranch_execz .LBB30_256
.LBB30_252:                             ;   Parent Loop BB30_6 Depth=1
                                        ; =>  This Inner Loop Header: Depth=2
	v_cmp_gt_u32_e32 vcc, s60, v1
	s_and_saveexec_b64 s[36:37], vcc
	s_cbranch_execz .LBB30_250
; %bb.253:                              ;   in Loop: Header=BB30_252 Depth=2
	v_lshlrev_b64 v[2:3], 2, v[7:8]
	v_mov_b32_e32 v4, s8
	v_add_co_u32_e32 v2, vcc, s33, v2
	v_addc_co_u32_e32 v3, vcc, v4, v3, vcc
	global_load_dword v15, v[2:3], off
	s_waitcnt vmcnt(0)
	v_xor_b32_e32 v2, 0x80000000, v15
	v_and_b32_e32 v2, v2, v33
	v_cmp_eq_u32_e32 vcc, v2, v25
	s_and_b64 exec, exec, vcc
	s_cbranch_execz .LBB30_250
; %bb.254:                              ;   in Loop: Header=BB30_252 Depth=2
	ds_write_b64 v8, v[14:15] offset:3072
	s_branch .LBB30_250
.LBB30_255:                             ;   in Loop: Header=BB30_252 Depth=2
	v_add_u32_e32 v1, s9, v1
	v_cmp_le_u32_e32 vcc, s4, v1
	v_add_u32_e32 v7, s70, v7
	s_mov_b64 s[36:37], 0
	s_orn2_b64 s[2:3], vcc, exec
	s_branch .LBB30_251
.LBB30_256:                             ;   in Loop: Header=BB30_6 Depth=1
	s_or_b64 exec, exec, s[22:23]
	s_andn2_b64 s[2:3], s[30:31], exec
	s_and_b64 s[22:23], s[34:35], exec
	s_or_b64 s[30:31], s[2:3], s[22:23]
.LBB30_257:                             ;   in Loop: Header=BB30_6 Depth=1
	s_or_b64 exec, exec, s[18:19]
	s_mov_b64 s[22:23], 0
	s_mov_b64 s[18:19], -1
.LBB30_258:                             ;   in Loop: Header=BB30_6 Depth=1
	s_orn2_b64 s[30:31], s[30:31], exec
.LBB30_259:                             ;   in Loop: Header=BB30_6 Depth=1
	s_or_b64 exec, exec, s[28:29]
                                        ; implicit-def: $vgpr35
                                        ; implicit-def: $vgpr3
	s_and_saveexec_b64 s[28:29], s[30:31]
	s_cbranch_execz .LBB30_389
; %bb.260:                              ;   in Loop: Header=BB30_6 Depth=1
	s_xor_b64 s[2:3], s[6:7], -1
	s_mov_b64 s[38:39], 0
	v_mov_b32_e32 v35, 1
	v_mov_b32_e32 v3, 1
	s_and_saveexec_b64 s[6:7], s[2:3]
	s_cbranch_execz .LBB30_269
; %bb.261:                              ;   in Loop: Header=BB30_6 Depth=1
	v_cmp_ge_u32_e32 vcc, s62, v34
	s_and_saveexec_b64 s[2:3], vcc
	s_xor_b64 s[30:31], exec, s[2:3]
	s_cbranch_execz .LBB30_266
; %bb.262:                              ;   in Loop: Header=BB30_6 Depth=1
	ds_read_b32 v1, v8 offset:4096
	v_or_b32_e32 v25, s15, v25
	v_or_b32_e32 v33, s15, v33
	s_waitcnt lgkmcnt(0)
	v_cmp_ne_u32_e32 vcc, 0, v1
	s_cbranch_vccnz .LBB30_266
; %bb.263:                              ;   in Loop: Header=BB30_6 Depth=1
	s_mov_b64 s[2:3], exec
	v_readlane_b32 s34, v46, 5
	v_readlane_b32 s35, v46, 6
	s_and_b64 s[34:35], s[2:3], s[34:35]
	s_mov_b64 exec, s[34:35]
; %bb.264:                              ;   in Loop: Header=BB30_6 Depth=1
	v_mov_b32_e32 v1, s62
	ds_write_b32 v8, v1 offset:4100
; %bb.265:                              ;   in Loop: Header=BB30_6 Depth=1
	s_or_b64 exec, exec, s[2:3]
	s_waitcnt lgkmcnt(0)
	s_barrier
.LBB30_266:                             ;   in Loop: Header=BB30_6 Depth=1
	s_or_saveexec_b64 s[30:31], s[30:31]
	s_mov_b64 s[34:35], 0
	v_mov_b32_e32 v3, 5
	s_xor_b64 exec, exec, s[30:31]
; %bb.267:                              ;   in Loop: Header=BB30_6 Depth=1
	s_mov_b64 s[34:35], exec
	v_subrev_u32_e32 v34, s62, v34
	v_mov_b32_e32 v3, 0
; %bb.268:                              ;   in Loop: Header=BB30_6 Depth=1
	s_or_b64 exec, exec, s[30:31]
	s_and_b64 s[38:39], s[34:35], exec
	v_mov_b32_e32 v35, v34
.LBB30_269:                             ;   in Loop: Header=BB30_6 Depth=1
	s_or_b64 exec, exec, s[6:7]
	s_mov_b64 s[36:37], -1
                                        ; implicit-def: $sgpr30_sgpr31
                                        ; implicit-def: $sgpr34_sgpr35
	s_and_saveexec_b64 s[2:3], s[38:39]
	s_xor_b64 s[6:7], exec, s[2:3]
	s_cbranch_execz .LBB30_386
; %bb.270:                              ;   in Loop: Header=BB30_6 Depth=1
	s_cmp_eq_u32 s11, 1
	s_cselect_b64 s[2:3], -1, 0
	v_cmp_eq_u32_e32 vcc, 1, v35
	s_and_b64 s[38:39], s[2:3], vcc
	s_mov_b64 s[40:41], -1
                                        ; implicit-def: $sgpr34_sgpr35
                                        ; implicit-def: $sgpr30_sgpr31
	s_and_saveexec_b64 s[36:37], s[38:39]
	s_cbranch_execz .LBB30_296
; %bb.271:                              ;   in Loop: Header=BB30_6 Depth=1
	ds_read_b32 v1, v8 offset:4096
	s_waitcnt lgkmcnt(0)
	s_barrier
	v_readfirstlane_b32 s50, v1
	s_mov_b64 s[2:3], exec
	v_readlane_b32 s30, v46, 20
	v_readlane_b32 s31, v46, 21
	s_and_b64 s[30:31], s[2:3], s[30:31]
	s_mov_b64 exec, s[30:31]
; %bb.272:                              ;   in Loop: Header=BB30_6 Depth=1
	ds_write_b32 v22, v8
; %bb.273:                              ;   in Loop: Header=BB30_6 Depth=1
	s_or_b64 exec, exec, s[2:3]
	v_and_b32_e32 v1, s17, v25
	v_lshl_or_b32 v25, 2, s13, v1
	v_or_b32_e32 v33, s15, v33
	s_mov_b64 s[30:31], -1
	s_mov_b64 s[34:35], 0
	s_cmp_eq_u32 s50, 0
	s_mov_b64 s[40:41], 0
	s_mov_b64 s[42:43], -1
	s_waitcnt lgkmcnt(0)
	s_barrier
                                        ; implicit-def: $vgpr13
	s_cbranch_scc1 .LBB30_284
; %bb.274:                              ;   in Loop: Header=BB30_6 Depth=1
	s_add_i32 s2, s50, s63
	v_readlane_b32 s3, v46, 34
	s_mul_hi_u32 s3, s2, s3
	s_mul_i32 s3, s3, s9
	s_sub_i32 s3, s2, s3
	s_sub_i32 s40, s3, s9
	s_cmp_ge_u32 s3, s9
	s_cselect_b32 s3, s40, s3
	s_sub_i32 s40, s3, s9
	s_cmp_ge_u32 s3, s9
	s_cselect_b32 s3, s40, s3
	s_sub_i32 s51, s2, s3
	v_cmp_gt_u32_e32 vcc, s51, v0
	s_mov_b64 s[42:43], 0
	s_mov_b64 s[40:41], 0
                                        ; implicit-def: $vgpr13
	s_and_saveexec_b64 s[44:45], vcc
	s_cbranch_execz .LBB30_283
; %bb.275:                              ;   in Loop: Header=BB30_6 Depth=1
	v_mov_b32_e32 v1, v19
	v_mov_b32_e32 v2, v0
                                        ; implicit-def: $sgpr46_sgpr47
	s_branch .LBB30_278
.LBB30_276:                             ;   in Loop: Header=BB30_278 Depth=2
	s_or_b64 exec, exec, s[48:49]
	s_waitcnt lgkmcnt(0)
	s_barrier
	ds_read_b64 v[12:13], v8 offset:3072
	s_mov_b64 s[2:3], -1
	s_mov_b64 s[48:49], -1
	s_waitcnt lgkmcnt(0)
	s_barrier
	v_cmp_ne_u32_e32 vcc, 0, v12
	s_cbranch_vccz .LBB30_281
.LBB30_277:                             ;   in Loop: Header=BB30_278 Depth=2
	s_and_b64 s[2:3], exec, s[2:3]
	s_or_b64 s[40:41], s[2:3], s[40:41]
	s_andn2_b64 s[2:3], s[46:47], exec
	s_and_b64 s[46:47], s[48:49], exec
	s_or_b64 s[46:47], s[2:3], s[46:47]
	s_andn2_b64 exec, exec, s[40:41]
	s_cbranch_execz .LBB30_282
.LBB30_278:                             ;   Parent Loop BB30_6 Depth=1
                                        ; =>  This Inner Loop Header: Depth=2
	v_cmp_gt_u32_e32 vcc, s50, v2
	s_and_saveexec_b64 s[48:49], vcc
	s_cbranch_execz .LBB30_276
; %bb.279:                              ;   in Loop: Header=BB30_278 Depth=2
	ds_read_b32 v15, v1
	s_waitcnt lgkmcnt(0)
	v_xor_b32_e32 v4, 0x80000000, v15
	v_and_b32_e32 v4, v4, v33
	v_cmp_eq_u32_e32 vcc, v4, v25
	s_and_b64 exec, exec, vcc
	s_cbranch_execz .LBB30_276
; %bb.280:                              ;   in Loop: Header=BB30_278 Depth=2
	ds_write_b64 v8, v[14:15] offset:3072
	s_branch .LBB30_276
.LBB30_281:                             ;   in Loop: Header=BB30_278 Depth=2
	v_add_u32_e32 v2, s9, v2
	v_cmp_le_u32_e32 vcc, s51, v2
	v_add_u32_e32 v1, s16, v1
	s_mov_b64 s[48:49], 0
	s_orn2_b64 s[2:3], vcc, exec
	s_branch .LBB30_277
.LBB30_282:                             ;   in Loop: Header=BB30_6 Depth=1
	s_or_b64 exec, exec, s[40:41]
	s_and_b64 s[40:41], s[46:47], exec
.LBB30_283:                             ;   in Loop: Header=BB30_6 Depth=1
	s_or_b64 exec, exec, s[44:45]
.LBB30_284:                             ;   in Loop: Header=BB30_6 Depth=1
	s_and_b64 vcc, exec, s[42:43]
	s_cbranch_vccz .LBB30_295
; %bb.285:                              ;   in Loop: Header=BB30_6 Depth=1
                                        ; implicit-def: $vgpr13
	s_mov_b64 s[30:31], exec
	v_readlane_b32 s2, v46, 35
	v_readlane_b32 s3, v46, 36
	s_and_b64 s[2:3], s[30:31], s[2:3]
	s_mov_b64 exec, s[2:3]
	s_cbranch_execz .LBB30_294
; %bb.286:                              ;   in Loop: Header=BB30_6 Depth=1
	s_mov_b64 s[34:35], 0
	v_mov_b32_e32 v7, v9
	v_mov_b32_e32 v1, v0
                                        ; implicit-def: $sgpr42_sgpr43
	s_branch .LBB30_289
.LBB30_287:                             ;   in Loop: Header=BB30_289 Depth=2
	s_or_b64 exec, exec, s[44:45]
	s_waitcnt lgkmcnt(0)
	s_barrier
	ds_read_b64 v[12:13], v8 offset:3072
	s_mov_b64 s[2:3], -1
	s_mov_b64 s[44:45], -1
	s_waitcnt lgkmcnt(0)
	s_barrier
	v_cmp_eq_u32_e32 vcc, 0, v12
	s_cbranch_vccnz .LBB30_292
.LBB30_288:                             ;   in Loop: Header=BB30_289 Depth=2
	s_and_b64 s[2:3], exec, s[2:3]
	s_or_b64 s[34:35], s[2:3], s[34:35]
	s_andn2_b64 s[2:3], s[42:43], exec
	s_and_b64 s[42:43], s[44:45], exec
	s_or_b64 s[42:43], s[2:3], s[42:43]
	s_andn2_b64 exec, exec, s[34:35]
	s_cbranch_execz .LBB30_293
.LBB30_289:                             ;   Parent Loop BB30_6 Depth=1
                                        ; =>  This Inner Loop Header: Depth=2
	v_cmp_gt_u32_e32 vcc, s60, v1
	s_and_saveexec_b64 s[44:45], vcc
	s_cbranch_execz .LBB30_287
; %bb.290:                              ;   in Loop: Header=BB30_289 Depth=2
	v_lshlrev_b64 v[12:13], 2, v[7:8]
	v_mov_b32_e32 v2, s8
	v_add_co_u32_e32 v12, vcc, s33, v12
	v_addc_co_u32_e32 v13, vcc, v2, v13, vcc
	global_load_dword v15, v[12:13], off
	s_waitcnt vmcnt(0)
	v_xor_b32_e32 v2, 0x80000000, v15
	v_and_b32_e32 v2, v2, v33
	v_cmp_eq_u32_e32 vcc, v2, v25
	s_and_b64 exec, exec, vcc
	s_cbranch_execz .LBB30_287
; %bb.291:                              ;   in Loop: Header=BB30_289 Depth=2
	ds_write_b64 v8, v[14:15] offset:3072
	s_branch .LBB30_287
.LBB30_292:                             ;   in Loop: Header=BB30_289 Depth=2
	v_add_u32_e32 v1, s9, v1
	v_cmp_le_u32_e32 vcc, s4, v1
	v_add_u32_e32 v7, s70, v7
	s_mov_b64 s[44:45], 0
	s_orn2_b64 s[2:3], vcc, exec
	s_branch .LBB30_288
.LBB30_293:                             ;   in Loop: Header=BB30_6 Depth=1
	s_or_b64 exec, exec, s[34:35]
	s_andn2_b64 s[2:3], s[40:41], exec
	s_and_b64 s[34:35], s[42:43], exec
	s_or_b64 s[40:41], s[2:3], s[34:35]
.LBB30_294:                             ;   in Loop: Header=BB30_6 Depth=1
	s_or_b64 exec, exec, s[30:31]
	s_mov_b64 s[30:31], 0
	s_mov_b64 s[34:35], -1
.LBB30_295:                             ;   in Loop: Header=BB30_6 Depth=1
	s_orn2_b64 s[40:41], s[40:41], exec
.LBB30_296:                             ;   in Loop: Header=BB30_6 Depth=1
	s_or_b64 exec, exec, s[36:37]
	s_mov_b64 s[42:43], 0
	s_and_saveexec_b64 s[36:37], s[40:41]
	s_cbranch_execz .LBB30_385
; %bb.297:                              ;   in Loop: Header=BB30_6 Depth=1
	s_xor_b64 s[2:3], s[38:39], -1
	s_mov_b64 s[46:47], 0
	v_mov_b32_e32 v1, 1
	v_mov_b32_e32 v3, 1
	s_and_saveexec_b64 s[38:39], s[2:3]
	s_cbranch_execz .LBB30_306
; %bb.298:                              ;   in Loop: Header=BB30_6 Depth=1
	v_cmp_ge_u32_e32 vcc, s11, v35
	s_and_saveexec_b64 s[2:3], vcc
	s_xor_b64 s[40:41], exec, s[2:3]
	s_cbranch_execz .LBB30_303
; %bb.299:                              ;   in Loop: Header=BB30_6 Depth=1
	ds_read_b32 v1, v8 offset:4096
	v_and_b32_e32 v2, s17, v25
	v_lshl_or_b32 v25, 2, s13, v2
	v_or_b32_e32 v33, s15, v33
	s_waitcnt lgkmcnt(0)
	v_cmp_ne_u32_e32 vcc, 0, v1
	s_cbranch_vccnz .LBB30_303
; %bb.300:                              ;   in Loop: Header=BB30_6 Depth=1
	s_mov_b64 s[2:3], exec
	v_readlane_b32 s42, v46, 5
	v_readlane_b32 s43, v46, 6
	s_and_b64 s[42:43], s[2:3], s[42:43]
	s_mov_b64 exec, s[42:43]
; %bb.301:                              ;   in Loop: Header=BB30_6 Depth=1
	v_mov_b32_e32 v1, s11
	ds_write_b32 v8, v1 offset:4100
; %bb.302:                              ;   in Loop: Header=BB30_6 Depth=1
	s_or_b64 exec, exec, s[2:3]
	s_waitcnt lgkmcnt(0)
	s_barrier
.LBB30_303:                             ;   in Loop: Header=BB30_6 Depth=1
	s_or_saveexec_b64 s[40:41], s[40:41]
	s_mov_b64 s[42:43], 0
	v_mov_b32_e32 v3, 5
	s_xor_b64 exec, exec, s[40:41]
; %bb.304:                              ;   in Loop: Header=BB30_6 Depth=1
	s_mov_b64 s[42:43], exec
	v_subrev_u32_e32 v35, s11, v35
	v_mov_b32_e32 v3, 0
; %bb.305:                              ;   in Loop: Header=BB30_6 Depth=1
	s_or_b64 exec, exec, s[40:41]
	s_and_b64 s[46:47], s[42:43], exec
	v_mov_b32_e32 v1, v35
.LBB30_306:                             ;   in Loop: Header=BB30_6 Depth=1
	s_or_b64 exec, exec, s[38:39]
	s_mov_b64 s[44:45], -1
                                        ; implicit-def: $sgpr40_sgpr41
                                        ; implicit-def: $sgpr42_sgpr43
	s_and_saveexec_b64 s[38:39], s[46:47]
	s_cbranch_execz .LBB30_384
; %bb.307:                              ;   in Loop: Header=BB30_6 Depth=1
	s_cmp_eq_u32 s10, 1
	s_cselect_b64 s[2:3], -1, 0
	v_cmp_eq_u32_e32 vcc, 1, v1
	s_and_b64 s[46:47], s[2:3], vcc
	s_mov_b64 s[48:49], -1
                                        ; implicit-def: $sgpr42_sgpr43
                                        ; implicit-def: $sgpr40_sgpr41
	s_and_saveexec_b64 s[44:45], s[46:47]
	s_cbranch_execz .LBB30_333
; %bb.308:                              ;   in Loop: Header=BB30_6 Depth=1
	ds_read_b32 v2, v8 offset:4096
	s_waitcnt lgkmcnt(0)
	s_barrier
	v_readfirstlane_b32 s11, v2
	s_mov_b64 s[2:3], exec
	v_readlane_b32 s40, v46, 20
	v_readlane_b32 s41, v46, 21
	s_and_b64 s[40:41], s[2:3], s[40:41]
	s_mov_b64 exec, s[40:41]
; %bb.309:                              ;   in Loop: Header=BB30_6 Depth=1
	ds_write_b32 v22, v8
; %bb.310:                              ;   in Loop: Header=BB30_6 Depth=1
	s_or_b64 exec, exec, s[2:3]
	v_and_b32_e32 v2, s17, v25
	v_lshl_or_b32 v25, 1, s13, v2
	v_or_b32_e32 v33, s15, v33
	s_mov_b64 s[40:41], -1
	s_mov_b64 s[42:43], 0
	s_cmp_eq_u32 s11, 0
	s_mov_b64 s[48:49], 0
	s_mov_b64 s[50:51], -1
	s_waitcnt lgkmcnt(0)
	s_barrier
                                        ; implicit-def: $vgpr13
	s_cbranch_scc1 .LBB30_321
; %bb.311:                              ;   in Loop: Header=BB30_6 Depth=1
	s_add_i32 s2, s11, s63
	v_readlane_b32 s3, v46, 34
	s_mul_hi_u32 s3, s2, s3
	s_mul_i32 s3, s3, s9
	s_sub_i32 s3, s2, s3
	s_sub_i32 s48, s3, s9
	s_cmp_ge_u32 s3, s9
	s_cselect_b32 s3, s48, s3
	s_sub_i32 s48, s3, s9
	s_cmp_ge_u32 s3, s9
	s_cselect_b32 s3, s48, s3
	s_sub_i32 s58, s2, s3
	v_cmp_gt_u32_e32 vcc, s58, v0
	s_mov_b64 s[50:51], 0
	s_mov_b64 s[48:49], 0
                                        ; implicit-def: $vgpr13
	s_and_saveexec_b64 s[52:53], vcc
	s_cbranch_execz .LBB30_320
; %bb.312:                              ;   in Loop: Header=BB30_6 Depth=1
	v_mov_b32_e32 v2, v19
	v_mov_b32_e32 v4, v0
                                        ; implicit-def: $sgpr54_sgpr55
	s_branch .LBB30_315
.LBB30_313:                             ;   in Loop: Header=BB30_315 Depth=2
	s_or_b64 exec, exec, s[56:57]
	s_waitcnt lgkmcnt(0)
	s_barrier
	ds_read_b64 v[12:13], v8 offset:3072
	s_mov_b64 s[2:3], -1
	s_mov_b64 s[56:57], -1
	s_waitcnt lgkmcnt(0)
	s_barrier
	v_cmp_ne_u32_e32 vcc, 0, v12
	s_cbranch_vccz .LBB30_318
.LBB30_314:                             ;   in Loop: Header=BB30_315 Depth=2
	s_and_b64 s[2:3], exec, s[2:3]
	s_or_b64 s[48:49], s[2:3], s[48:49]
	s_andn2_b64 s[2:3], s[54:55], exec
	s_and_b64 s[54:55], s[56:57], exec
	s_or_b64 s[54:55], s[2:3], s[54:55]
	s_andn2_b64 exec, exec, s[48:49]
	s_cbranch_execz .LBB30_319
.LBB30_315:                             ;   Parent Loop BB30_6 Depth=1
                                        ; =>  This Inner Loop Header: Depth=2
	v_cmp_gt_u32_e32 vcc, s11, v4
	s_and_saveexec_b64 s[56:57], vcc
	s_cbranch_execz .LBB30_313
; %bb.316:                              ;   in Loop: Header=BB30_315 Depth=2
	ds_read_b32 v15, v2
	s_waitcnt lgkmcnt(0)
	v_xor_b32_e32 v7, 0x80000000, v15
	v_and_b32_e32 v7, v7, v33
	v_cmp_eq_u32_e32 vcc, v7, v25
	s_and_b64 exec, exec, vcc
	s_cbranch_execz .LBB30_313
; %bb.317:                              ;   in Loop: Header=BB30_315 Depth=2
	ds_write_b64 v8, v[14:15] offset:3072
	s_branch .LBB30_313
.LBB30_318:                             ;   in Loop: Header=BB30_315 Depth=2
	v_add_u32_e32 v4, s9, v4
	v_cmp_le_u32_e32 vcc, s58, v4
	v_add_u32_e32 v2, s16, v2
	s_mov_b64 s[56:57], 0
	s_orn2_b64 s[2:3], vcc, exec
	s_branch .LBB30_314
.LBB30_319:                             ;   in Loop: Header=BB30_6 Depth=1
	s_or_b64 exec, exec, s[48:49]
	s_and_b64 s[48:49], s[54:55], exec
.LBB30_320:                             ;   in Loop: Header=BB30_6 Depth=1
	s_or_b64 exec, exec, s[52:53]
.LBB30_321:                             ;   in Loop: Header=BB30_6 Depth=1
	s_and_b64 vcc, exec, s[50:51]
	s_cbranch_vccz .LBB30_332
; %bb.322:                              ;   in Loop: Header=BB30_6 Depth=1
                                        ; implicit-def: $vgpr13
	s_mov_b64 s[40:41], exec
	v_readlane_b32 s2, v46, 35
	v_readlane_b32 s3, v46, 36
	s_and_b64 s[2:3], s[40:41], s[2:3]
	s_mov_b64 exec, s[2:3]
	s_cbranch_execz .LBB30_331
; %bb.323:                              ;   in Loop: Header=BB30_6 Depth=1
	s_mov_b64 s[42:43], 0
	v_mov_b32_e32 v7, v9
	v_mov_b32_e32 v2, v0
                                        ; implicit-def: $sgpr50_sgpr51
	s_branch .LBB30_326
.LBB30_324:                             ;   in Loop: Header=BB30_326 Depth=2
	s_or_b64 exec, exec, s[52:53]
	s_waitcnt lgkmcnt(0)
	s_barrier
	ds_read_b64 v[12:13], v8 offset:3072
	s_mov_b64 s[2:3], -1
	s_mov_b64 s[52:53], -1
	s_waitcnt lgkmcnt(0)
	s_barrier
	v_cmp_eq_u32_e32 vcc, 0, v12
	s_cbranch_vccnz .LBB30_329
.LBB30_325:                             ;   in Loop: Header=BB30_326 Depth=2
	s_and_b64 s[2:3], exec, s[2:3]
	s_or_b64 s[42:43], s[2:3], s[42:43]
	s_andn2_b64 s[2:3], s[50:51], exec
	s_and_b64 s[50:51], s[52:53], exec
	s_or_b64 s[50:51], s[2:3], s[50:51]
	s_andn2_b64 exec, exec, s[42:43]
	s_cbranch_execz .LBB30_330
.LBB30_326:                             ;   Parent Loop BB30_6 Depth=1
                                        ; =>  This Inner Loop Header: Depth=2
	v_cmp_gt_u32_e32 vcc, s60, v2
	s_and_saveexec_b64 s[52:53], vcc
	s_cbranch_execz .LBB30_324
; %bb.327:                              ;   in Loop: Header=BB30_326 Depth=2
	v_lshlrev_b64 v[12:13], 2, v[7:8]
	v_mov_b32_e32 v4, s8
	v_add_co_u32_e32 v12, vcc, s33, v12
	v_addc_co_u32_e32 v13, vcc, v4, v13, vcc
	global_load_dword v15, v[12:13], off
	s_waitcnt vmcnt(0)
	v_xor_b32_e32 v4, 0x80000000, v15
	v_and_b32_e32 v4, v4, v33
	v_cmp_eq_u32_e32 vcc, v4, v25
	s_and_b64 exec, exec, vcc
	s_cbranch_execz .LBB30_324
; %bb.328:                              ;   in Loop: Header=BB30_326 Depth=2
	ds_write_b64 v8, v[14:15] offset:3072
	s_branch .LBB30_324
.LBB30_329:                             ;   in Loop: Header=BB30_326 Depth=2
	v_add_u32_e32 v2, s9, v2
	v_cmp_le_u32_e32 vcc, s4, v2
	v_add_u32_e32 v7, s70, v7
	s_mov_b64 s[52:53], 0
	s_orn2_b64 s[2:3], vcc, exec
	s_branch .LBB30_325
.LBB30_330:                             ;   in Loop: Header=BB30_6 Depth=1
	s_or_b64 exec, exec, s[42:43]
	s_andn2_b64 s[2:3], s[48:49], exec
	s_and_b64 s[42:43], s[50:51], exec
	s_or_b64 s[48:49], s[2:3], s[42:43]
.LBB30_331:                             ;   in Loop: Header=BB30_6 Depth=1
	s_or_b64 exec, exec, s[40:41]
	s_mov_b64 s[40:41], 0
	s_mov_b64 s[42:43], -1
.LBB30_332:                             ;   in Loop: Header=BB30_6 Depth=1
	s_orn2_b64 s[48:49], s[48:49], exec
.LBB30_333:                             ;   in Loop: Header=BB30_6 Depth=1
	s_or_b64 exec, exec, s[44:45]
	s_mov_b64 s[50:51], 0
	s_and_saveexec_b64 s[44:45], s[48:49]
	s_cbranch_execz .LBB30_383
; %bb.334:                              ;   in Loop: Header=BB30_6 Depth=1
	s_xor_b64 s[2:3], s[46:47], -1
	s_mov_b64 s[54:55], 0
	v_mov_b32_e32 v2, 1
	v_mov_b32_e32 v3, 1
	s_and_saveexec_b64 s[46:47], s[2:3]
	s_cbranch_execz .LBB30_343
; %bb.335:                              ;   in Loop: Header=BB30_6 Depth=1
	v_cmp_ge_u32_e32 vcc, s10, v1
	s_and_saveexec_b64 s[2:3], vcc
	s_xor_b64 s[48:49], exec, s[2:3]
	s_cbranch_execz .LBB30_340
; %bb.336:                              ;   in Loop: Header=BB30_6 Depth=1
	ds_read_b32 v2, v8 offset:4096
	v_and_b32_e32 v3, s17, v25
	v_lshl_or_b32 v25, 1, s13, v3
	v_or_b32_e32 v33, s15, v33
	s_waitcnt lgkmcnt(0)
	v_cmp_ne_u32_e32 vcc, 0, v2
	s_cbranch_vccnz .LBB30_340
; %bb.337:                              ;   in Loop: Header=BB30_6 Depth=1
	s_mov_b64 s[2:3], exec
	v_readlane_b32 s50, v46, 5
	v_readlane_b32 s51, v46, 6
	s_and_b64 s[50:51], s[2:3], s[50:51]
	s_mov_b64 exec, s[50:51]
; %bb.338:                              ;   in Loop: Header=BB30_6 Depth=1
	v_mov_b32_e32 v2, s10
	ds_write_b32 v8, v2 offset:4100
; %bb.339:                              ;   in Loop: Header=BB30_6 Depth=1
	s_or_b64 exec, exec, s[2:3]
	s_waitcnt lgkmcnt(0)
	s_barrier
.LBB30_340:                             ;   in Loop: Header=BB30_6 Depth=1
	s_or_saveexec_b64 s[48:49], s[48:49]
	s_mov_b64 s[50:51], 0
	v_mov_b32_e32 v3, 5
	s_xor_b64 exec, exec, s[48:49]
; %bb.341:                              ;   in Loop: Header=BB30_6 Depth=1
	s_mov_b64 s[50:51], exec
	v_subrev_u32_e32 v1, s10, v1
	v_mov_b32_e32 v3, 0
; %bb.342:                              ;   in Loop: Header=BB30_6 Depth=1
	s_or_b64 exec, exec, s[48:49]
	s_and_b64 s[54:55], s[50:51], exec
	v_mov_b32_e32 v2, v1
.LBB30_343:                             ;   in Loop: Header=BB30_6 Depth=1
	s_or_b64 exec, exec, s[46:47]
	s_mov_b64 s[52:53], -1
                                        ; implicit-def: $sgpr50_sgpr51
                                        ; implicit-def: $sgpr48_sgpr49
	s_and_saveexec_b64 s[46:47], s[54:55]
	s_cbranch_execz .LBB30_382
; %bb.344:                              ;   in Loop: Header=BB30_6 Depth=1
	s_cmp_eq_u32 s14, 1
	s_cselect_b64 s[2:3], -1, 0
	v_cmp_eq_u32_e32 vcc, 1, v2
	s_and_b64 s[52:53], s[2:3], vcc
	s_mov_b64 s[56:57], -1
                                        ; implicit-def: $sgpr50_sgpr51
                                        ; implicit-def: $sgpr48_sgpr49
	s_and_saveexec_b64 s[54:55], s[52:53]
	s_cbranch_execz .LBB30_370
; %bb.345:                              ;   in Loop: Header=BB30_6 Depth=1
	ds_read_b32 v1, v8 offset:4096
	s_waitcnt lgkmcnt(0)
	s_barrier
	v_readfirstlane_b32 s10, v1
	s_mov_b64 s[2:3], exec
	v_readlane_b32 s48, v46, 20
	v_readlane_b32 s49, v46, 21
	s_and_b64 s[48:49], s[2:3], s[48:49]
	s_mov_b64 exec, s[48:49]
; %bb.346:                              ;   in Loop: Header=BB30_6 Depth=1
	ds_write_b32 v22, v8
; %bb.347:                              ;   in Loop: Header=BB30_6 Depth=1
	s_or_b64 exec, exec, s[2:3]
	v_and_b32_e32 v25, s17, v25
	v_or_b32_e32 v33, s15, v33
	s_mov_b64 s[48:49], -1
	s_mov_b64 s[50:51], 0
	s_cmp_eq_u32 s10, 0
	s_mov_b64 s[56:57], 0
	s_mov_b64 s[58:59], -1
	s_waitcnt lgkmcnt(0)
	s_barrier
                                        ; implicit-def: $vgpr13
	s_cbranch_scc1 .LBB30_358
; %bb.348:                              ;   in Loop: Header=BB30_6 Depth=1
	s_add_i32 s2, s10, s63
	v_readlane_b32 s3, v46, 34
	s_mul_hi_u32 s3, s2, s3
	s_mul_i32 s3, s3, s9
	s_sub_i32 s3, s2, s3
	s_sub_i32 s11, s3, s9
	s_cmp_ge_u32 s3, s9
	s_cselect_b32 s3, s11, s3
	s_sub_i32 s11, s3, s9
	s_cmp_ge_u32 s3, s9
	s_cselect_b32 s3, s11, s3
	s_sub_i32 s11, s2, s3
	v_cmp_gt_u32_e32 vcc, s11, v0
	s_mov_b64 s[58:59], 0
                                        ; implicit-def: $vgpr13
	s_and_saveexec_b64 s[74:75], vcc
	s_cbranch_execz .LBB30_357
; %bb.349:                              ;   in Loop: Header=BB30_6 Depth=1
	v_writelane_b32 v46, s52, 37
	v_mov_b32_e32 v1, v19
	v_mov_b32_e32 v4, v0
	v_writelane_b32 v46, s53, 38
                                        ; implicit-def: $sgpr76_sgpr77
	s_branch .LBB30_352
.LBB30_350:                             ;   in Loop: Header=BB30_352 Depth=2
	s_mov_b32 s52, s63
	s_or_b64 exec, exec, s[78:79]
	s_waitcnt lgkmcnt(0)
	s_barrier
	ds_read_b64 v[12:13], v8 offset:3072
	s_mov_b64 s[2:3], -1
	s_mov_b64 s[78:79], -1
	s_waitcnt lgkmcnt(0)
	s_barrier
	v_cmp_ne_u32_e32 vcc, 0, v12
	s_cbranch_vccz .LBB30_355
.LBB30_351:                             ;   in Loop: Header=BB30_352 Depth=2
	s_and_b64 s[2:3], exec, s[2:3]
	s_or_b64 s[56:57], s[2:3], s[56:57]
	s_andn2_b64 s[2:3], s[76:77], exec
	s_and_b64 s[62:63], s[78:79], exec
	s_or_b64 s[76:77], s[2:3], s[62:63]
	s_mov_b32 s63, s52
	s_andn2_b64 exec, exec, s[56:57]
	s_cbranch_execz .LBB30_356
.LBB30_352:                             ;   Parent Loop BB30_6 Depth=1
                                        ; =>  This Inner Loop Header: Depth=2
	v_cmp_gt_u32_e32 vcc, s10, v4
	s_and_saveexec_b64 s[78:79], vcc
	s_cbranch_execz .LBB30_350
; %bb.353:                              ;   in Loop: Header=BB30_352 Depth=2
	ds_read_b32 v15, v1
	s_waitcnt lgkmcnt(0)
	v_xor_b32_e32 v7, 0x80000000, v15
	v_and_b32_e32 v7, v7, v33
	v_cmp_eq_u32_e32 vcc, v7, v25
	s_and_b64 exec, exec, vcc
	s_cbranch_execz .LBB30_350
; %bb.354:                              ;   in Loop: Header=BB30_352 Depth=2
	ds_write_b64 v8, v[14:15] offset:3072
	s_branch .LBB30_350
.LBB30_355:                             ;   in Loop: Header=BB30_352 Depth=2
	v_add_u32_e32 v4, s9, v4
	v_cmp_le_u32_e32 vcc, s11, v4
	v_add_u32_e32 v1, s16, v1
	s_mov_b64 s[78:79], 0
	s_orn2_b64 s[2:3], vcc, exec
	s_branch .LBB30_351
.LBB30_356:                             ;   in Loop: Header=BB30_6 Depth=1
	s_or_b64 exec, exec, s[56:57]
	v_readlane_b32 s52, v46, 37
	s_and_b64 s[56:57], s[76:77], exec
	v_readlane_b32 s53, v46, 38
.LBB30_357:                             ;   in Loop: Header=BB30_6 Depth=1
	s_or_b64 exec, exec, s[74:75]
.LBB30_358:                             ;   in Loop: Header=BB30_6 Depth=1
	s_and_b64 vcc, exec, s[58:59]
	s_cbranch_vccz .LBB30_369
; %bb.359:                              ;   in Loop: Header=BB30_6 Depth=1
                                        ; implicit-def: $vgpr13
	s_mov_b64 s[48:49], exec
	v_readlane_b32 s2, v46, 35
	v_readlane_b32 s3, v46, 36
	s_and_b64 s[2:3], s[48:49], s[2:3]
	s_mov_b64 exec, s[2:3]
	s_cbranch_execz .LBB30_368
; %bb.360:                              ;   in Loop: Header=BB30_6 Depth=1
	s_mov_b64 s[50:51], 0
	v_mov_b32_e32 v7, v9
	v_mov_b32_e32 v1, v0
                                        ; implicit-def: $sgpr58_sgpr59
	s_branch .LBB30_363
.LBB30_361:                             ;   in Loop: Header=BB30_363 Depth=2
	s_or_b64 exec, exec, s[74:75]
	s_waitcnt lgkmcnt(0)
	s_barrier
	ds_read_b64 v[12:13], v8 offset:3072
	s_mov_b64 s[2:3], -1
	s_mov_b64 s[74:75], -1
	s_waitcnt lgkmcnt(0)
	s_barrier
	v_cmp_eq_u32_e32 vcc, 0, v12
	s_cbranch_vccnz .LBB30_366
.LBB30_362:                             ;   in Loop: Header=BB30_363 Depth=2
	s_and_b64 s[2:3], exec, s[2:3]
	s_or_b64 s[50:51], s[2:3], s[50:51]
	s_andn2_b64 s[2:3], s[58:59], exec
	s_and_b64 s[10:11], s[74:75], exec
	s_or_b64 s[58:59], s[2:3], s[10:11]
	s_andn2_b64 exec, exec, s[50:51]
	s_cbranch_execz .LBB30_367
.LBB30_363:                             ;   Parent Loop BB30_6 Depth=1
                                        ; =>  This Inner Loop Header: Depth=2
	v_cmp_gt_u32_e32 vcc, s60, v1
	s_and_saveexec_b64 s[74:75], vcc
	s_cbranch_execz .LBB30_361
; %bb.364:                              ;   in Loop: Header=BB30_363 Depth=2
	v_lshlrev_b64 v[12:13], 2, v[7:8]
	v_mov_b32_e32 v4, s8
	v_add_co_u32_e32 v12, vcc, s33, v12
	v_addc_co_u32_e32 v13, vcc, v4, v13, vcc
	global_load_dword v15, v[12:13], off
	s_waitcnt vmcnt(0)
	v_xor_b32_e32 v4, 0x80000000, v15
	v_and_b32_e32 v4, v4, v33
	v_cmp_eq_u32_e32 vcc, v4, v25
	s_and_b64 exec, exec, vcc
	s_cbranch_execz .LBB30_361
; %bb.365:                              ;   in Loop: Header=BB30_363 Depth=2
	ds_write_b64 v8, v[14:15] offset:3072
	s_branch .LBB30_361
.LBB30_366:                             ;   in Loop: Header=BB30_363 Depth=2
	v_add_u32_e32 v1, s9, v1
	v_cmp_le_u32_e32 vcc, s4, v1
	v_add_u32_e32 v7, s70, v7
	s_mov_b64 s[74:75], 0
	s_orn2_b64 s[2:3], vcc, exec
	s_branch .LBB30_362
.LBB30_367:                             ;   in Loop: Header=BB30_6 Depth=1
	s_or_b64 exec, exec, s[50:51]
	s_andn2_b64 s[2:3], s[56:57], exec
	s_and_b64 s[10:11], s[58:59], exec
	s_or_b64 s[56:57], s[2:3], s[10:11]
.LBB30_368:                             ;   in Loop: Header=BB30_6 Depth=1
	s_or_b64 exec, exec, s[48:49]
	s_mov_b64 s[48:49], 0
	s_mov_b64 s[50:51], -1
.LBB30_369:                             ;   in Loop: Header=BB30_6 Depth=1
	s_orn2_b64 s[56:57], s[56:57], exec
.LBB30_370:                             ;   in Loop: Header=BB30_6 Depth=1
	s_or_b64 exec, exec, s[54:55]
	s_mov_b64 s[58:59], 0
	s_and_saveexec_b64 s[54:55], s[56:57]
	s_cbranch_execz .LBB30_381
; %bb.371:                              ;   in Loop: Header=BB30_6 Depth=1
	s_xor_b64 s[2:3], s[52:53], -1
	v_mov_b32_e32 v3, 1
	v_mov_b32_e32 v1, 1
	s_and_saveexec_b64 s[52:53], s[2:3]
	s_cbranch_execz .LBB30_380
; %bb.372:                              ;   in Loop: Header=BB30_6 Depth=1
	v_cmp_ge_u32_e32 vcc, s14, v2
	s_and_saveexec_b64 s[2:3], vcc
	s_xor_b64 s[56:57], exec, s[2:3]
	s_cbranch_execz .LBB30_377
; %bb.373:                              ;   in Loop: Header=BB30_6 Depth=1
	ds_read_b32 v1, v8 offset:4096
	v_and_b32_e32 v25, s17, v25
	v_or_b32_e32 v33, s15, v33
	s_waitcnt lgkmcnt(0)
	v_cmp_ne_u32_e32 vcc, 0, v1
	s_cbranch_vccnz .LBB30_377
; %bb.374:                              ;   in Loop: Header=BB30_6 Depth=1
	s_mov_b64 s[2:3], exec
	v_readlane_b32 s10, v46, 5
	v_readlane_b32 s11, v46, 6
	s_and_b64 s[10:11], s[2:3], s[10:11]
	s_mov_b64 exec, s[10:11]
; %bb.375:                              ;   in Loop: Header=BB30_6 Depth=1
	v_mov_b32_e32 v1, s14
	ds_write_b32 v8, v1 offset:4100
; %bb.376:                              ;   in Loop: Header=BB30_6 Depth=1
	s_or_b64 exec, exec, s[2:3]
	s_waitcnt lgkmcnt(0)
	s_barrier
.LBB30_377:                             ;   in Loop: Header=BB30_6 Depth=1
	s_andn2_saveexec_b64 s[2:3], s[56:57]
; %bb.378:                              ;   in Loop: Header=BB30_6 Depth=1
	v_subrev_u32_e32 v2, s14, v2
; %bb.379:                              ;   in Loop: Header=BB30_6 Depth=1
	s_or_b64 exec, exec, s[2:3]
	v_mov_b32_e32 v3, 5
	v_mov_b32_e32 v1, v2
.LBB30_380:                             ;   in Loop: Header=BB30_6 Depth=1
	s_or_b64 exec, exec, s[52:53]
	s_mov_b64 s[58:59], exec
	v_mov_b32_e32 v2, v1
.LBB30_381:                             ;   in Loop: Header=BB30_6 Depth=1
	s_or_b64 exec, exec, s[54:55]
	s_orn2_b64 s[52:53], s[58:59], exec
.LBB30_382:                             ;   in Loop: Header=BB30_6 Depth=1
	s_or_b64 exec, exec, s[46:47]
	s_andn2_b64 s[2:3], s[42:43], exec
	s_and_b64 s[10:11], s[50:51], exec
	s_or_b64 s[42:43], s[2:3], s[10:11]
	s_andn2_b64 s[2:3], s[40:41], exec
	s_and_b64 s[10:11], s[48:49], exec
	s_or_b64 s[40:41], s[2:3], s[10:11]
	s_and_b64 s[50:51], s[52:53], exec
	v_mov_b32_e32 v1, v2
.LBB30_383:                             ;   in Loop: Header=BB30_6 Depth=1
	s_or_b64 exec, exec, s[44:45]
	s_orn2_b64 s[44:45], s[50:51], exec
.LBB30_384:                             ;   in Loop: Header=BB30_6 Depth=1
	s_or_b64 exec, exec, s[38:39]
	s_andn2_b64 s[2:3], s[34:35], exec
	s_and_b64 s[10:11], s[42:43], exec
	s_or_b64 s[34:35], s[2:3], s[10:11]
	s_andn2_b64 s[2:3], s[30:31], exec
	s_and_b64 s[10:11], s[40:41], exec
	s_or_b64 s[30:31], s[2:3], s[10:11]
	s_and_b64 s[42:43], s[44:45], exec
	v_mov_b32_e32 v35, v1
.LBB30_385:                             ;   in Loop: Header=BB30_6 Depth=1
	s_or_b64 exec, exec, s[36:37]
	s_orn2_b64 s[36:37], s[42:43], exec
.LBB30_386:                             ;   in Loop: Header=BB30_6 Depth=1
	s_or_b64 exec, exec, s[6:7]
	s_mov_b64 s[6:7], s[26:27]
	s_mov_b64 s[38:39], s[24:25]
	s_and_saveexec_b64 s[2:3], s[36:37]
; %bb.387:                              ;   in Loop: Header=BB30_6 Depth=1
	v_cmp_ne_u32_e64 s[6:7], 5, v3
	v_cmp_eq_u32_e32 vcc, 5, v3
	s_andn2_b64 s[10:11], s[24:25], exec
	s_and_b64 s[6:7], s[6:7], exec
	s_or_b64 s[38:39], s[10:11], s[6:7]
	s_andn2_b64 s[6:7], s[26:27], exec
	s_and_b64 s[10:11], vcc, exec
	s_or_b64 s[6:7], s[6:7], s[10:11]
; %bb.388:                              ;   in Loop: Header=BB30_6 Depth=1
	s_or_b64 exec, exec, s[2:3]
	s_andn2_b64 s[2:3], s[18:19], exec
	s_and_b64 s[10:11], s[34:35], exec
	s_or_b64 s[18:19], s[2:3], s[10:11]
	s_andn2_b64 s[2:3], s[22:23], exec
	s_and_b64 s[10:11], s[30:31], exec
	s_or_b64 s[22:23], s[2:3], s[10:11]
	;; [unrolled: 3-line block ×4, first 2 shown]
.LBB30_389:                             ;   in Loop: Header=BB30_6 Depth=1
	s_or_b64 exec, exec, s[28:29]
	s_mov_b64 s[28:29], 0
	s_mov_b64 s[30:31], 0
	s_and_saveexec_b64 s[2:3], s[26:27]
.LBB30_390:                             ;   in Loop: Header=BB30_6 Depth=1
	v_mov_b32_e32 v3, 0
	s_or_b64 s[24:25], s[24:25], exec
.LBB30_391:                             ;   in Loop: Header=BB30_6 Depth=1
	s_or_b64 exec, exec, s[2:3]
	s_andn2_b64 s[2:3], s[66:67], exec
	s_and_b64 s[6:7], s[18:19], exec
	s_or_b64 s[66:67], s[2:3], s[6:7]
	s_andn2_b64 s[2:3], s[64:65], exec
	s_and_b64 s[6:7], s[22:23], exec
	s_or_b64 s[64:65], s[2:3], s[6:7]
	;; [unrolled: 3-line block ×3, first 2 shown]
	s_andn2_b64 s[2:3], s[92:93], exec
	s_and_b64 s[6:7], s[28:29], exec
	s_mov_b64 s[26:27], -1
	s_andn2_b64 s[20:21], s[20:21], exec
	s_or_b64 s[92:93], s[2:3], s[6:7]
	v_mov_b32_e32 v34, v35
	s_and_saveexec_b64 s[2:3], s[24:25]
	s_xor_b64 s[6:7], exec, s[2:3]
	s_cbranch_execz .LBB30_5
; %bb.392:                              ;   in Loop: Header=BB30_6 Depth=1
	v_cmp_eq_u32_e32 vcc, 0, v3
	s_mov_b64 s[18:19], -1
	s_mov_b64 s[22:23], -1
	s_and_saveexec_b64 s[2:3], vcc
	s_cbranch_execz .LBB30_4
; %bb.393:                              ;   in Loop: Header=BB30_6 Depth=1
	s_xor_b32 s12, s12, 1
	s_add_i32 s14, s13, -2
	s_cmp_eq_u32 s13, 0
	s_cselect_b64 s[10:11], -1, 0
	s_xor_b64 s[22:23], exec, -1
	s_orn2_b64 s[18:19], s[10:11], exec
	s_mov_b32 s13, s14
	s_branch .LBB30_4
.LBB30_394:
	s_or_b64 exec, exec, s[80:81]
	s_xor_b64 s[16:17], s[90:91], -1
	s_xor_b64 s[20:21], s[88:89], -1
	;; [unrolled: 1-line block ×5, first 2 shown]
	s_mov_b64 s[12:13], 0
	s_and_saveexec_b64 s[10:11], s[4:5]
	s_xor_b64 s[10:11], exec, s[10:11]
	s_cbranch_execnz .LBB30_399
; %bb.395:
	s_andn2_saveexec_b64 s[0:1], s[10:11]
	s_cbranch_execnz .LBB30_418
.LBB30_396:
	s_or_b64 exec, exec, s[0:1]
	s_and_saveexec_b64 s[0:1], s[12:13]
.LBB30_397:
	; divergent unreachable
.LBB30_398:
	s_endpgm
.LBB30_399:
	s_mov_b64 s[14:15], 0
	s_and_saveexec_b64 s[4:5], s[2:3]
	s_xor_b64 s[12:13], exec, s[4:5]
	s_cbranch_execz .LBB30_416
; %bb.400:
	s_mov_b64 s[18:19], 0
	s_and_saveexec_b64 s[2:3], s[20:21]
	s_xor_b64 s[14:15], exec, s[2:3]
	s_cbranch_execz .LBB30_414
; %bb.401:
	s_and_saveexec_b64 s[2:3], s[16:17]
	s_xor_b64 s[16:17], exec, s[2:3]
	s_cbranch_execz .LBB30_412
; %bb.402:
	s_and_saveexec_b64 s[2:3], s[6:7]
	s_xor_b64 s[2:3], exec, s[2:3]
; %bb.403:
	v_xor_b32_e32 v13, 0x80000000, v25
; %bb.404:
	s_or_b64 exec, exec, s[2:3]
	s_mov_b64 s[2:3], exec
	v_readlane_b32 s4, v46, 5
	v_readlane_b32 s5, v46, 6
	;; [unrolled: 1-line block ×4, first 2 shown]
	s_and_b64 s[4:5], s[2:3], s[4:5]
	v_readlane_b32 s43, v46, 9
	v_readlane_b32 s7, v46, 13
	s_mov_b64 exec, s[4:5]
; %bb.405:
	v_mov_b32_e32 v1, 0
	ds_write_b32 v1, v1 offset:4108
; %bb.406:
	s_or_b64 exec, exec, s[2:3]
	v_mov_b32_e32 v4, 0
	s_waitcnt lgkmcnt(0)
	s_barrier
	s_mov_b64 s[2:3], exec
	v_readlane_b32 s4, v46, 16
	v_readlane_b32 s5, v46, 17
	s_and_b64 s[4:5], s[2:3], s[4:5]
	s_mov_b64 exec, s[4:5]
	s_cbranch_execz .LBB30_408
; %bb.407:
	global_load_dword v4, v[5:6], off
.LBB30_408:
	s_or_b64 exec, exec, s[2:3]
	s_load_dword s2, s[6:7], 0x15c
	s_load_dword s3, s[6:7], 0x23c
	v_readlane_b32 s4, v46, 7
	s_add_i32 s34, s60, 63
	s_andn2_b32 s34, s34, 63
	s_waitcnt lgkmcnt(0)
	s_mul_i32 s2, s2, s4
	s_mul_i32 s4, s3, s4
	s_mov_b32 s3, 0
	s_load_dword s35, s[6:7], 0x2a8
	s_load_dword s36, s[6:7], 0x1c8
	s_lshl_b64 s[6:7], s[2:3], 2
	v_readlane_b32 s18, v46, 3
	v_readlane_b32 s19, v46, 4
	s_add_u32 s37, s18, s6
	s_mov_b32 s5, s3
	s_addc_u32 s38, s19, s7
	s_lshl_b64 s[2:3], s[4:5], 3
	v_readlane_b32 s4, v46, 0
	v_readlane_b32 s5, v46, 1
	s_add_u32 s39, s4, s2
	s_addc_u32 s40, s5, s3
	v_cmp_gt_u32_e32 vcc, s34, v0
	s_mov_b64 s[2:3], -1
	s_mov_b64 s[30:31], 0
	s_mov_b64 s[4:5], 0
	s_and_saveexec_b64 s[18:19], vcc
	s_cbranch_execnz .LBB30_419
; %bb.409:
	s_or_b64 exec, exec, s[18:19]
	s_and_saveexec_b64 s[6:7], s[2:3]
	s_cbranch_execnz .LBB30_434
.LBB30_410:
	s_or_b64 exec, exec, s[6:7]
	s_and_saveexec_b64 s[0:1], s[4:5]
	s_xor_b64 s[0:1], exec, s[0:1]
	s_cbranch_execnz .LBB30_457
.LBB30_411:
	s_or_b64 exec, exec, s[0:1]
	s_and_b64 s[18:19], s[30:31], exec
.LBB30_412:
	s_andn2_saveexec_b64 s[0:1], s[16:17]
	s_cbranch_execnz .LBB30_459
.LBB30_413:
	s_or_b64 exec, exec, s[0:1]
	s_and_b64 s[18:19], s[18:19], exec
.LBB30_414:
	s_andn2_saveexec_b64 s[0:1], s[14:15]
	s_cbranch_execnz .LBB30_458
.LBB30_415:
	s_or_b64 exec, exec, s[0:1]
	s_and_b64 s[14:15], s[18:19], exec
.LBB30_416:
	s_andn2_saveexec_b64 s[0:1], s[12:13]
	s_cbranch_execnz .LBB30_453
.LBB30_417:
	s_or_b64 exec, exec, s[0:1]
	s_and_b64 s[12:13], s[14:15], exec
	s_andn2_saveexec_b64 s[0:1], s[10:11]
	s_cbranch_execz .LBB30_396
.LBB30_418:
	s_or_b64 s[12:13], s[12:13], exec
	s_trap 2
	s_or_b64 exec, exec, s[0:1]
	s_and_saveexec_b64 s[0:1], s[12:13]
	s_cbranch_execnz .LBB30_397
	s_branch .LBB30_398
.LBB30_419:
	v_add_u32_e32 v1, s9, v0
	v_readlane_b32 s2, v46, 2
	v_mul_lo_u32 v1, s2, v1
	v_xor_b32_e32 v7, 0x80000000, v13
	s_mov_b64 s[20:21], 0
	v_mov_b32_e32 v2, 0
	v_mov_b32_e32 v3, v0
                                        ; implicit-def: $sgpr22_sgpr23
                                        ; implicit-def: $vgpr9
	s_branch .LBB30_421
.LBB30_420:                             ;   in Loop: Header=BB30_421 Depth=1
	s_or_b64 exec, exec, s[24:25]
	s_xor_b64 s[2:3], s[2:3], -1
	s_and_b64 s[4:5], exec, s[6:7]
	s_or_b64 s[20:21], s[4:5], s[20:21]
	s_andn2_b64 s[4:5], s[22:23], exec
	s_and_b64 s[2:3], s[2:3], exec
	s_or_b64 s[22:23], s[4:5], s[2:3]
	v_mov_b32_e32 v4, v10
	v_mov_b32_e32 v3, v8
	s_andn2_b64 exec, exec, s[20:21]
	s_cbranch_execz .LBB30_433
.LBB30_421:                             ; =>This Inner Loop Header: Depth=1
	v_add_u32_e32 v8, s9, v3
	v_cmp_gt_u32_e64 s[4:5], s60, v8
	v_mov_b32_e32 v10, 0
	s_and_saveexec_b64 s[2:3], s[4:5]
	s_cbranch_execz .LBB30_423
; %bb.422:                              ;   in Loop: Header=BB30_421 Depth=1
	v_lshlrev_b64 v[10:11], 2, v[1:2]
	v_mov_b32_e32 v12, s8
	v_add_co_u32_e64 v10, s[4:5], s33, v10
	v_addc_co_u32_e64 v11, s[4:5], v12, v11, s[4:5]
	global_load_dword v10, v[10:11], off
.LBB30_423:                             ;   in Loop: Header=BB30_421 Depth=1
	s_or_b64 exec, exec, s[2:3]
	s_waitcnt vmcnt(0)
	v_xor_b32_e32 v11, 0x80000000, v4
	v_cmp_gt_u32_e64 s[6:7], v11, v7
	v_cndmask_b32_e64 v12, 0, 1, s[6:7]
	v_cmp_lt_u32_e64 s[6:7], v11, v7
	v_cndmask_b32_e64 v11, 0, 1, s[6:7]
	v_cndmask_b32_e64 v11, v11, v12, s[42:43]
	v_and_b32_e32 v11, 1, v11
	v_cmp_gt_u32_e64 s[4:5], s60, v3
	v_cmp_eq_u32_e64 s[6:7], 1, v11
	s_and_b64 s[26:27], s[4:5], s[6:7]
	v_cndmask_b32_e64 v11, 0, 1, s[26:27]
	v_cmp_ne_u32_e64 s[4:5], 0, v11
	s_cmp_lg_u64 s[4:5], 0
	s_cselect_b64 s[2:3], -1, 0
	s_and_b64 s[2:3], s[0:1], s[2:3]
	s_and_saveexec_b64 s[24:25], s[2:3]
	s_cbranch_execz .LBB30_427
; %bb.424:                              ;   in Loop: Header=BB30_421 Depth=1
	s_mov_b64 s[28:29], exec
	s_waitcnt lgkmcnt(0)
	v_mbcnt_lo_u32_b32 v9, s28, 0
	v_mbcnt_hi_u32_b32 v9, s29, v9
	s_bcnt1_i32_b64 s41, s[4:5]
	v_cmp_eq_u32_e64 s[6:7], 0, v9
                                        ; implicit-def: $vgpr11
	s_and_saveexec_b64 s[2:3], s[6:7]
; %bb.425:                              ;   in Loop: Header=BB30_421 Depth=1
	s_bcnt1_i32_b64 s6, s[28:29]
	s_mul_i32 s6, s41, s6
	v_mov_b32_e32 v11, s6
	ds_add_rtn_u32 v11, v2, v11 offset:4108
; %bb.426:                              ;   in Loop: Header=BB30_421 Depth=1
	s_or_b64 exec, exec, s[2:3]
	s_waitcnt lgkmcnt(0)
	v_readfirstlane_b32 s2, v11
	v_mov_b32_e32 v11, s2
	v_mad_u32_u24 v9, s41, v9, v11
.LBB30_427:                             ;   in Loop: Header=BB30_421 Depth=1
	s_or_b64 exec, exec, s[24:25]
	s_waitcnt lgkmcnt(0)
	ds_bpermute_b32 v9, v16, v9
	s_mov_b64 s[6:7], -1
	s_mov_b64 s[28:29], -1
	s_and_saveexec_b64 s[24:25], s[26:27]
	s_cbranch_execz .LBB30_431
; %bb.428:                              ;   in Loop: Header=BB30_421 Depth=1
	v_and_b32_e32 v12, s4, v18
	v_and_b32_e32 v11, s5, v17
	v_bcnt_u32_b32 v12, v12, 0
	v_bcnt_u32_b32 v11, v11, v12
	s_waitcnt lgkmcnt(0)
	v_add_u32_e32 v11, v9, v11
	v_cmp_gt_u32_e64 s[4:5], s61, v11
	s_mov_b64 s[26:27], 0
	s_and_saveexec_b64 s[28:29], s[4:5]
; %bb.429:                              ;   in Loop: Header=BB30_421 Depth=1
	v_mul_lo_u32 v14, v11, s36
	v_mov_b32_e32 v15, v2
	v_mul_lo_u32 v11, v11, s35
	v_mov_b32_e32 v12, s38
	v_lshlrev_b64 v[14:15], 2, v[14:15]
	s_mov_b64 s[26:27], exec
	v_add_co_u32_e64 v14, s[4:5], s37, v14
	v_addc_co_u32_e64 v15, s[4:5], v12, v15, s[4:5]
	v_mov_b32_e32 v12, v2
	v_lshlrev_b64 v[11:12], 3, v[11:12]
	global_store_dword v[14:15], v4, off
	v_mov_b32_e32 v14, s40
	v_add_co_u32_e64 v11, s[4:5], s39, v11
	v_mov_b32_e32 v4, v2
	v_addc_co_u32_e64 v12, s[4:5], v14, v12, s[4:5]
	global_store_dwordx2 v[11:12], v[3:4], off
; %bb.430:                              ;   in Loop: Header=BB30_421 Depth=1
	s_or_b64 exec, exec, s[28:29]
	s_orn2_b64 s[28:29], s[26:27], exec
.LBB30_431:                             ;   in Loop: Header=BB30_421 Depth=1
	s_or_b64 exec, exec, s[24:25]
	s_mov_b64 s[2:3], -1
	s_and_saveexec_b64 s[24:25], s[28:29]
	s_cbranch_execz .LBB30_420
; %bb.432:                              ;   in Loop: Header=BB30_421 Depth=1
	v_cmp_le_u32_e64 s[4:5], s34, v8
	v_add_u32_e32 v1, s70, v1
	s_xor_b64 s[2:3], exec, -1
	s_orn2_b64 s[6:7], s[4:5], exec
	s_branch .LBB30_420
.LBB30_433:
	s_or_b64 exec, exec, s[20:21]
	s_mov_b64 s[4:5], exec
	s_orn2_b64 s[2:3], s[22:23], exec
	s_or_b64 exec, exec, s[18:19]
	s_and_saveexec_b64 s[6:7], s[2:3]
	s_cbranch_execz .LBB30_410
.LBB30_434:
	v_mov_b32_e32 v1, 0
	s_waitcnt vmcnt(0) lgkmcnt(0)
	s_barrier
	s_mov_b64 s[2:3], exec
	v_readlane_b32 s18, v46, 16
	v_readlane_b32 s19, v46, 17
	s_and_b64 s[18:19], s[2:3], s[18:19]
	s_mov_b64 exec, s[18:19]
	s_cbranch_execz .LBB30_436
; %bb.435:
	global_load_dword v1, v[5:6], off
.LBB30_436:
	s_or_b64 exec, exec, s[2:3]
	s_mov_b64 s[2:3], 0
	s_and_saveexec_b64 s[30:31], vcc
	s_cbranch_execz .LBB30_456
; %bb.437:
	v_add_u32_e32 v2, s9, v0
	v_readlane_b32 s2, v46, 2
	v_mul_lo_u32 v2, s2, v2
	s_mov_b64 s[18:19], 0
	v_mov_b32_e32 v3, 0
                                        ; implicit-def: $sgpr20_sgpr21
                                        ; implicit-def: $vgpr5
	s_branch .LBB30_440
.LBB30_438:                             ;   in Loop: Header=BB30_440 Depth=1
	s_or_b64 exec, exec, s[24:25]
	s_orn2_b64 s[26:27], s[28:29], exec
	s_orn2_b64 s[24:25], s[22:23], exec
.LBB30_439:                             ;   in Loop: Header=BB30_440 Depth=1
	s_or_b64 exec, exec, s[2:3]
	s_xor_b64 s[2:3], s[26:27], -1
	s_and_b64 s[22:23], exec, s[24:25]
	s_or_b64 s[18:19], s[22:23], s[18:19]
	s_andn2_b64 s[20:21], s[20:21], exec
	s_and_b64 s[2:3], s[2:3], exec
	s_or_b64 s[20:21], s[20:21], s[2:3]
	v_mov_b32_e32 v0, v4
	v_mov_b32_e32 v1, v6
	s_andn2_b64 exec, exec, s[18:19]
	s_cbranch_execz .LBB30_454
.LBB30_440:                             ; =>This Inner Loop Header: Depth=1
	v_add_u32_e32 v4, s9, v0
	v_cmp_gt_u32_e32 vcc, s60, v4
	v_mov_b32_e32 v6, 0
	s_and_saveexec_b64 s[2:3], vcc
	s_cbranch_execz .LBB30_442
; %bb.441:                              ;   in Loop: Header=BB30_440 Depth=1
	v_lshlrev_b64 v[6:7], 2, v[2:3]
	v_mov_b32_e32 v8, s8
	v_add_co_u32_e32 v6, vcc, s33, v6
	v_addc_co_u32_e32 v7, vcc, v8, v7, vcc
	global_load_dword v6, v[6:7], off
.LBB30_442:                             ;   in Loop: Header=BB30_440 Depth=1
	s_or_b64 exec, exec, s[2:3]
	v_cmp_gt_u32_e32 vcc, s60, v0
	s_waitcnt vmcnt(0)
	v_cmp_eq_u32_e64 s[2:3], v1, v13
	s_and_b64 s[22:23], vcc, s[2:3]
	v_cndmask_b32_e64 v1, 0, 1, s[22:23]
	v_cmp_ne_u32_e32 vcc, 0, v1
	s_cmp_lg_u64 vcc, 0
	s_cselect_b64 s[2:3], -1, 0
	s_and_b64 s[2:3], s[0:1], s[2:3]
	s_and_saveexec_b64 s[24:25], s[2:3]
	s_cbranch_execz .LBB30_446
; %bb.443:                              ;   in Loop: Header=BB30_440 Depth=1
	s_mov_b64 s[28:29], exec
	v_mbcnt_lo_u32_b32 v1, s28, 0
	v_mbcnt_hi_u32_b32 v1, s29, v1
	s_bcnt1_i32_b64 s41, vcc
	v_cmp_eq_u32_e64 s[2:3], 0, v1
                                        ; implicit-def: $vgpr5
	s_and_saveexec_b64 s[26:27], s[2:3]
; %bb.444:                              ;   in Loop: Header=BB30_440 Depth=1
	s_bcnt1_i32_b64 s2, s[28:29]
	s_mul_i32 s2, s41, s2
	v_mov_b32_e32 v5, s2
	ds_add_rtn_u32 v5, v3, v5 offset:4108
; %bb.445:                              ;   in Loop: Header=BB30_440 Depth=1
	s_or_b64 exec, exec, s[26:27]
	s_waitcnt lgkmcnt(0)
	v_readfirstlane_b32 s2, v5
	v_mov_b32_e32 v5, s2
	v_mad_u32_u24 v5, s41, v1, v5
.LBB30_446:                             ;   in Loop: Header=BB30_440 Depth=1
	s_or_b64 exec, exec, s[24:25]
	ds_bpermute_b32 v5, v16, v5
	s_cmp_eq_u64 vcc, 0
	s_cselect_b64 s[26:27], -1, 0
	s_mov_b64 s[24:25], -1
	s_waitcnt lgkmcnt(0)
	v_cmp_gt_u32_e64 s[2:3], s61, v5
	s_or_b64 s[28:29], s[26:27], s[2:3]
	s_mov_b64 s[26:27], -1
	s_and_saveexec_b64 s[2:3], s[28:29]
	s_cbranch_execz .LBB30_439
; %bb.447:                              ;   in Loop: Header=BB30_440 Depth=1
	v_and_b32_e32 v7, vcc_lo, v18
	v_and_b32_e32 v1, vcc_hi, v17
	v_bcnt_u32_b32 v7, v7, 0
	v_bcnt_u32_b32 v1, v1, v7
	v_sub_u32_e32 v7, s61, v5
	v_cmp_gt_u32_e32 vcc, v7, v1
	s_and_b64 s[42:43], s[22:23], vcc
	s_mov_b64 s[22:23], -1
	s_mov_b64 s[28:29], -1
	s_and_saveexec_b64 s[24:25], s[42:43]
	s_cbranch_execz .LBB30_451
; %bb.448:                              ;   in Loop: Header=BB30_440 Depth=1
	v_add_u32_e32 v1, v5, v1
	v_cmp_gt_u32_e32 vcc, s61, v1
	s_mov_b64 s[26:27], 0
	s_and_saveexec_b64 s[28:29], vcc
; %bb.449:                              ;   in Loop: Header=BB30_440 Depth=1
	v_mul_lo_u32 v7, v1, s36
	v_mov_b32_e32 v8, v3
	v_mul_lo_u32 v9, v1, s35
	v_mov_b32_e32 v1, s38
	v_lshlrev_b64 v[7:8], 2, v[7:8]
	v_mov_b32_e32 v10, v3
	v_add_co_u32_e32 v7, vcc, s37, v7
	v_addc_co_u32_e32 v8, vcc, v1, v8, vcc
	global_store_dword v[7:8], v13, off
	v_lshlrev_b64 v[7:8], 3, v[9:10]
	v_mov_b32_e32 v9, s40
	v_add_co_u32_e32 v7, vcc, s39, v7
	s_mov_b64 s[26:27], exec
	v_mov_b32_e32 v1, v3
	v_addc_co_u32_e32 v8, vcc, v9, v8, vcc
	global_store_dwordx2 v[7:8], v[0:1], off
; %bb.450:                              ;   in Loop: Header=BB30_440 Depth=1
	s_or_b64 exec, exec, s[28:29]
	s_xor_b64 s[28:29], exec, -1
	s_orn2_b64 s[26:27], s[26:27], exec
.LBB30_451:                             ;   in Loop: Header=BB30_440 Depth=1
	s_or_b64 exec, exec, s[24:25]
	s_and_saveexec_b64 s[24:25], s[26:27]
	s_cbranch_execz .LBB30_438
; %bb.452:                              ;   in Loop: Header=BB30_440 Depth=1
	v_cmp_le_u32_e32 vcc, s34, v4
	v_add_u32_e32 v2, s70, v2
	s_or_b64 s[28:29], s[28:29], exec
	s_orn2_b64 s[22:23], vcc, exec
	s_branch .LBB30_438
.LBB30_453:
	s_or_b64 s[14:15], s[14:15], exec
	s_trap 2
	s_branch .LBB30_417
.LBB30_454:
	s_or_b64 exec, exec, s[18:19]
	s_mov_b64 s[0:1], 0
	s_and_saveexec_b64 s[2:3], s[20:21]
	s_xor_b64 s[2:3], exec, s[2:3]
	s_cbranch_execnz .LBB30_460
.LBB30_455:
	s_or_b64 exec, exec, s[2:3]
	s_and_b64 s[2:3], s[0:1], exec
.LBB30_456:
	s_or_b64 exec, exec, s[30:31]
	s_and_b64 s[30:31], s[2:3], exec
	s_andn2_b64 s[4:5], s[4:5], exec
	s_or_b64 exec, exec, s[6:7]
	s_and_saveexec_b64 s[0:1], s[4:5]
	s_xor_b64 s[0:1], exec, s[0:1]
	s_cbranch_execz .LBB30_411
.LBB30_457:
	s_trap 2
	s_or_b64 s[30:31], s[30:31], exec
	s_branch .LBB30_411
.LBB30_458:
	s_or_b64 s[18:19], s[18:19], exec
	s_trap 2
	s_branch .LBB30_415
.LBB30_459:
	s_trap 2
	s_or_b64 s[18:19], s[18:19], exec
	s_branch .LBB30_413
.LBB30_460:
	s_mov_b64 s[0:1], exec
	s_trap 2
	s_branch .LBB30_455
	.section	.rodata,"a",@progbits
	.p2align	6, 0x0
	.amdhsa_kernel _ZN2at6native6sbtopk10gatherTopKIijLi1ELb0EEEvNS_4cuda6detail10TensorInfoIKT_T0_EES8_S8_bS8_S8_NS5_IS6_S8_EES8_NS5_IlS8_EES8_PS6_
		.amdhsa_group_segment_fixed_size 4112
		.amdhsa_private_segment_fixed_size 0
		.amdhsa_kernarg_size 952
		.amdhsa_user_sgpr_count 6
		.amdhsa_user_sgpr_private_segment_buffer 1
		.amdhsa_user_sgpr_dispatch_ptr 0
		.amdhsa_user_sgpr_queue_ptr 0
		.amdhsa_user_sgpr_kernarg_segment_ptr 1
		.amdhsa_user_sgpr_dispatch_id 0
		.amdhsa_user_sgpr_flat_scratch_init 0
		.amdhsa_user_sgpr_private_segment_size 0
		.amdhsa_uses_dynamic_stack 0
		.amdhsa_system_sgpr_private_segment_wavefront_offset 0
		.amdhsa_system_sgpr_workgroup_id_x 1
		.amdhsa_system_sgpr_workgroup_id_y 1
		.amdhsa_system_sgpr_workgroup_id_z 1
		.amdhsa_system_sgpr_workgroup_info 0
		.amdhsa_system_vgpr_workitem_id 0
		.amdhsa_next_free_vgpr 47
		.amdhsa_next_free_sgpr 96
		.amdhsa_reserve_vcc 1
		.amdhsa_reserve_flat_scratch 0
		.amdhsa_float_round_mode_32 0
		.amdhsa_float_round_mode_16_64 0
		.amdhsa_float_denorm_mode_32 3
		.amdhsa_float_denorm_mode_16_64 3
		.amdhsa_dx10_clamp 1
		.amdhsa_ieee_mode 1
		.amdhsa_fp16_overflow 0
		.amdhsa_exception_fp_ieee_invalid_op 0
		.amdhsa_exception_fp_denorm_src 0
		.amdhsa_exception_fp_ieee_div_zero 0
		.amdhsa_exception_fp_ieee_overflow 0
		.amdhsa_exception_fp_ieee_underflow 0
		.amdhsa_exception_fp_ieee_inexact 0
		.amdhsa_exception_int_div_zero 0
	.end_amdhsa_kernel
	.section	.text._ZN2at6native6sbtopk10gatherTopKIijLi1ELb0EEEvNS_4cuda6detail10TensorInfoIKT_T0_EES8_S8_bS8_S8_NS5_IS6_S8_EES8_NS5_IlS8_EES8_PS6_,"axG",@progbits,_ZN2at6native6sbtopk10gatherTopKIijLi1ELb0EEEvNS_4cuda6detail10TensorInfoIKT_T0_EES8_S8_bS8_S8_NS5_IS6_S8_EES8_NS5_IlS8_EES8_PS6_,comdat
.Lfunc_end30:
	.size	_ZN2at6native6sbtopk10gatherTopKIijLi1ELb0EEEvNS_4cuda6detail10TensorInfoIKT_T0_EES8_S8_bS8_S8_NS5_IS6_S8_EES8_NS5_IlS8_EES8_PS6_, .Lfunc_end30-_ZN2at6native6sbtopk10gatherTopKIijLi1ELb0EEEvNS_4cuda6detail10TensorInfoIKT_T0_EES8_S8_bS8_S8_NS5_IS6_S8_EES8_NS5_IlS8_EES8_PS6_
                                        ; -- End function
	.set _ZN2at6native6sbtopk10gatherTopKIijLi1ELb0EEEvNS_4cuda6detail10TensorInfoIKT_T0_EES8_S8_bS8_S8_NS5_IS6_S8_EES8_NS5_IlS8_EES8_PS6_.num_vgpr, 47
	.set _ZN2at6native6sbtopk10gatherTopKIijLi1ELb0EEEvNS_4cuda6detail10TensorInfoIKT_T0_EES8_S8_bS8_S8_NS5_IS6_S8_EES8_NS5_IlS8_EES8_PS6_.num_agpr, 0
	.set _ZN2at6native6sbtopk10gatherTopKIijLi1ELb0EEEvNS_4cuda6detail10TensorInfoIKT_T0_EES8_S8_bS8_S8_NS5_IS6_S8_EES8_NS5_IlS8_EES8_PS6_.numbered_sgpr, 96
	.set _ZN2at6native6sbtopk10gatherTopKIijLi1ELb0EEEvNS_4cuda6detail10TensorInfoIKT_T0_EES8_S8_bS8_S8_NS5_IS6_S8_EES8_NS5_IlS8_EES8_PS6_.num_named_barrier, 0
	.set _ZN2at6native6sbtopk10gatherTopKIijLi1ELb0EEEvNS_4cuda6detail10TensorInfoIKT_T0_EES8_S8_bS8_S8_NS5_IS6_S8_EES8_NS5_IlS8_EES8_PS6_.private_seg_size, 0
	.set _ZN2at6native6sbtopk10gatherTopKIijLi1ELb0EEEvNS_4cuda6detail10TensorInfoIKT_T0_EES8_S8_bS8_S8_NS5_IS6_S8_EES8_NS5_IlS8_EES8_PS6_.uses_vcc, 1
	.set _ZN2at6native6sbtopk10gatherTopKIijLi1ELb0EEEvNS_4cuda6detail10TensorInfoIKT_T0_EES8_S8_bS8_S8_NS5_IS6_S8_EES8_NS5_IlS8_EES8_PS6_.uses_flat_scratch, 0
	.set _ZN2at6native6sbtopk10gatherTopKIijLi1ELb0EEEvNS_4cuda6detail10TensorInfoIKT_T0_EES8_S8_bS8_S8_NS5_IS6_S8_EES8_NS5_IlS8_EES8_PS6_.has_dyn_sized_stack, 0
	.set _ZN2at6native6sbtopk10gatherTopKIijLi1ELb0EEEvNS_4cuda6detail10TensorInfoIKT_T0_EES8_S8_bS8_S8_NS5_IS6_S8_EES8_NS5_IlS8_EES8_PS6_.has_recursion, 0
	.set _ZN2at6native6sbtopk10gatherTopKIijLi1ELb0EEEvNS_4cuda6detail10TensorInfoIKT_T0_EES8_S8_bS8_S8_NS5_IS6_S8_EES8_NS5_IlS8_EES8_PS6_.has_indirect_call, 0
	.section	.AMDGPU.csdata,"",@progbits
; Kernel info:
; codeLenInByte = 14312
; TotalNumSgprs: 100
; NumVgprs: 47
; ScratchSize: 0
; MemoryBound: 0
; FloatMode: 240
; IeeeMode: 1
; LDSByteSize: 4112 bytes/workgroup (compile time only)
; SGPRBlocks: 12
; VGPRBlocks: 11
; NumSGPRsForWavesPerEU: 100
; NumVGPRsForWavesPerEU: 47
; Occupancy: 5
; WaveLimiterHint : 1
; COMPUTE_PGM_RSRC2:SCRATCH_EN: 0
; COMPUTE_PGM_RSRC2:USER_SGPR: 6
; COMPUTE_PGM_RSRC2:TRAP_HANDLER: 0
; COMPUTE_PGM_RSRC2:TGID_X_EN: 1
; COMPUTE_PGM_RSRC2:TGID_Y_EN: 1
; COMPUTE_PGM_RSRC2:TGID_Z_EN: 1
; COMPUTE_PGM_RSRC2:TIDIG_COMP_CNT: 0
	.section	.text._ZN2at6native6mbtopk23computeBlockDigitCountsIijjLi2EEEvNS_4cuda6detail10TensorInfoIKT_T0_EEjPjjS8_iijT1_PSB_Ps,"axG",@progbits,_ZN2at6native6mbtopk23computeBlockDigitCountsIijjLi2EEEvNS_4cuda6detail10TensorInfoIKT_T0_EEjPjjS8_iijT1_PSB_Ps,comdat
	.protected	_ZN2at6native6mbtopk23computeBlockDigitCountsIijjLi2EEEvNS_4cuda6detail10TensorInfoIKT_T0_EEjPjjS8_iijT1_PSB_Ps ; -- Begin function _ZN2at6native6mbtopk23computeBlockDigitCountsIijjLi2EEEvNS_4cuda6detail10TensorInfoIKT_T0_EEjPjjS8_iijT1_PSB_Ps
	.globl	_ZN2at6native6mbtopk23computeBlockDigitCountsIijjLi2EEEvNS_4cuda6detail10TensorInfoIKT_T0_EEjPjjS8_iijT1_PSB_Ps
	.p2align	8
	.type	_ZN2at6native6mbtopk23computeBlockDigitCountsIijjLi2EEEvNS_4cuda6detail10TensorInfoIKT_T0_EEjPjjS8_iijT1_PSB_Ps,@function
_ZN2at6native6mbtopk23computeBlockDigitCountsIijjLi2EEEvNS_4cuda6detail10TensorInfoIKT_T0_EEjPjjS8_iijT1_PSB_Ps: ; @_ZN2at6native6mbtopk23computeBlockDigitCountsIijjLi2EEEvNS_4cuda6detail10TensorInfoIKT_T0_EEjPjjS8_iijT1_PSB_Ps
; %bb.0:
	s_load_dwordx2 s[10:11], s[4:5], 0xf8
	s_load_dwordx4 s[12:15], s[4:5], 0xe8
	s_load_dwordx2 s[0:1], s[4:5], 0x110
	s_waitcnt lgkmcnt(0)
	v_cvt_f32_u32_e32 v1, s10
	s_sub_i32 s2, 0, s10
	s_mul_i32 s1, s1, s8
	s_add_i32 s1, s1, s7
	v_rcp_iflag_f32_e32 v1, v1
	s_mul_i32 s16, s1, s0
	s_add_i32 s16, s16, s6
	s_mov_b32 s7, 0
	v_mul_f32_e32 v1, 0x4f7ffffe, v1
	v_cvt_u32_f32_e32 v1, v1
	v_readfirstlane_b32 s0, v1
	s_mul_i32 s2, s2, s0
	s_mul_hi_u32 s1, s0, s2
	s_add_i32 s0, s0, s1
	s_mul_hi_u32 s0, s16, s0
	s_mul_i32 s1, s0, s10
	s_sub_i32 s1, s16, s1
	s_add_i32 s2, s0, 1
	s_sub_i32 s3, s1, s10
	s_cmp_ge_u32 s1, s10
	s_cselect_b32 s0, s2, s0
	s_cselect_b32 s1, s3, s1
	s_add_i32 s2, s0, 1
	s_cmp_ge_u32 s1, s10
	s_cselect_b32 s6, s2, s0
	s_cmp_ge_u32 s6, s12
	s_cbranch_scc1 .LBB31_27
; %bb.1:
	s_load_dword s12, s[4:5], 0xc
	s_load_dwordx4 s[0:3], s[4:5], 0x100
	s_lshl_b64 s[8:9], s[6:7], 2
	s_movk_i32 s7, 0x100
	v_cmp_gt_u32_e32 vcc, s7, v0
	s_waitcnt lgkmcnt(0)
	v_cvt_f32_u32_e32 v1, s12
	s_add_u32 s0, s0, s8
	s_addc_u32 s1, s1, s9
	v_lshlrev_b32_e32 v3, 2, v0
	v_rcp_iflag_f32_e32 v1, v1
	v_mul_f32_e32 v1, 0x4f7ffffe, v1
	v_cvt_u32_f32_e32 v1, v1
	v_readfirstlane_b32 s18, v1
	s_and_saveexec_b64 s[8:9], vcc
; %bb.2:
	v_mov_b32_e32 v1, 0
	ds_write_b32 v3, v1
; %bb.3:
	s_or_b64 exec, exec, s[8:9]
	s_load_dword s8, s[4:5], 0xd8
	s_mul_i32 s7, s6, s10
	s_sub_i32 s7, s16, s7
	s_add_i32 s9, s7, 1
	s_mul_i32 s7, s15, s7
	s_lshl_b32 s17, s7, 8
	s_waitcnt lgkmcnt(0)
	s_sub_i32 s7, s8, s17
	s_add_u32 s20, s7, 0xff
	s_addc_u32 s21, 0, 0
	s_lshr_b64 s[20:21], s[20:21], 8
	s_cmp_lt_u32 s9, s10
	s_cselect_b32 s15, s15, s20
	s_cmp_lt_i32 s15, 1
	s_mov_b32 s7, 0
	s_barrier
	s_cbranch_scc1 .LBB31_25
; %bb.4:
	s_sub_i32 s9, 0, s12
	s_mul_i32 s9, s9, s18
	s_mul_hi_u32 s9, s18, s9
	s_add_i32 s9, s18, s9
	s_load_dwordx2 s[18:19], s[4:5], 0x6c
	s_load_dwordx2 s[20:21], s[4:5], 0x0
	s_mul_hi_u32 s4, s6, s9
	s_load_dword s9, s[0:1], 0x0
	s_mul_i32 s0, s4, s12
	s_sub_i32 s0, s6, s0
	s_add_i32 s1, s4, 1
	s_sub_i32 s5, s0, s12
	s_cmp_ge_u32 s0, s12
	s_cselect_b32 s1, s1, s4
	s_cselect_b32 s0, s5, s0
	s_add_i32 s4, s1, 1
	s_cmp_ge_u32 s0, s12
	s_cselect_b32 s0, s4, s1
	s_mul_i32 s1, s0, s12
	s_sub_i32 s1, s6, s1
	s_waitcnt lgkmcnt(0)
	s_mul_i32 s1, s1, s19
	s_mul_i32 s0, s0, s18
	s_add_i32 s6, s0, s1
	s_lshl_b64 s[0:1], s[6:7], 2
	s_add_u32 s6, s20, s0
	s_addc_u32 s10, s21, s1
	s_and_b32 s12, s14, 0xff
	s_cmp_lt_u32 s15, 4
	s_cbranch_scc1 .LBB31_19
; %bb.5:
	v_add_u32_e32 v1, s17, v0
	v_add_u32_e32 v2, 0x200, v1
	;; [unrolled: 1-line block ×3, first 2 shown]
	v_mul_lo_u32 v6, s13, v2
	v_add_u32_e32 v2, 0x100, v1
	v_mul_lo_u32 v5, s13, v4
	v_mul_lo_u32 v7, s13, v2
	;; [unrolled: 1-line block ×3, first 2 shown]
	s_and_b32 s7, s15, 0x7ffffffc
	s_lshl_b32 s14, s13, 10
	s_mov_b32 s18, 0
	v_mov_b32_e32 v2, 0
	v_mov_b32_e32 v9, 1
	s_mov_b32 s19, 0
	s_branch .LBB31_7
.LBB31_6:                               ;   in Loop: Header=BB31_7 Depth=1
	s_or_b64 exec, exec, s[4:5]
	s_add_i32 s19, s19, 4
	s_add_i32 s18, s18, s14
	s_cmp_eq_u32 s7, s19
	v_add_u32_e32 v4, 0x400, v4
	s_cbranch_scc1 .LBB31_19
.LBB31_7:                               ; =>This Inner Loop Header: Depth=1
	v_add_u32_e32 v1, 0xfffffd00, v4
	v_cmp_gt_u32_e64 s[0:1], s8, v1
	s_and_saveexec_b64 s[4:5], s[0:1]
	s_cbranch_execz .LBB31_10
; %bb.8:                                ;   in Loop: Header=BB31_7 Depth=1
	v_add_u32_e32 v1, s18, v8
	v_lshlrev_b64 v[10:11], 2, v[1:2]
	v_mov_b32_e32 v1, s10
	v_add_co_u32_e64 v10, s[0:1], s6, v10
	v_addc_co_u32_e64 v11, s[0:1], v1, v11, s[0:1]
	global_load_dword v1, v[10:11], off
	s_waitcnt vmcnt(0)
	v_xor_b32_e32 v1, 0x80000000, v1
	v_xor_b32_e32 v10, s9, v1
	v_and_b32_e32 v10, s11, v10
	v_cmp_eq_u32_e64 s[0:1], 0, v10
	s_and_b64 exec, exec, s[0:1]
; %bb.9:                                ;   in Loop: Header=BB31_7 Depth=1
	v_bfe_u32 v1, v1, s12, 8
	v_lshlrev_b32_e32 v1, 2, v1
	ds_add_u32 v1, v9
.LBB31_10:                              ;   in Loop: Header=BB31_7 Depth=1
	s_or_b64 exec, exec, s[4:5]
	v_add_u32_e32 v1, 0xfffffe00, v4
	v_cmp_gt_u32_e64 s[0:1], s8, v1
	s_and_saveexec_b64 s[4:5], s[0:1]
	s_cbranch_execz .LBB31_13
; %bb.11:                               ;   in Loop: Header=BB31_7 Depth=1
	v_add_u32_e32 v1, s18, v7
	v_lshlrev_b64 v[10:11], 2, v[1:2]
	v_mov_b32_e32 v1, s10
	v_add_co_u32_e64 v10, s[0:1], s6, v10
	v_addc_co_u32_e64 v11, s[0:1], v1, v11, s[0:1]
	global_load_dword v1, v[10:11], off
	s_waitcnt vmcnt(0)
	v_xor_b32_e32 v1, 0x80000000, v1
	v_xor_b32_e32 v10, s9, v1
	v_and_b32_e32 v10, s11, v10
	v_cmp_eq_u32_e64 s[0:1], 0, v10
	s_and_b64 exec, exec, s[0:1]
; %bb.12:                               ;   in Loop: Header=BB31_7 Depth=1
	v_bfe_u32 v1, v1, s12, 8
	v_lshlrev_b32_e32 v1, 2, v1
	ds_add_u32 v1, v9
.LBB31_13:                              ;   in Loop: Header=BB31_7 Depth=1
	s_or_b64 exec, exec, s[4:5]
	v_add_u32_e32 v1, 0xffffff00, v4
	v_cmp_gt_u32_e64 s[0:1], s8, v1
	s_and_saveexec_b64 s[4:5], s[0:1]
	s_cbranch_execz .LBB31_16
; %bb.14:                               ;   in Loop: Header=BB31_7 Depth=1
	v_add_u32_e32 v1, s18, v6
	v_lshlrev_b64 v[10:11], 2, v[1:2]
	v_mov_b32_e32 v1, s10
	v_add_co_u32_e64 v10, s[0:1], s6, v10
	v_addc_co_u32_e64 v11, s[0:1], v1, v11, s[0:1]
	global_load_dword v1, v[10:11], off
	s_waitcnt vmcnt(0)
	v_xor_b32_e32 v1, 0x80000000, v1
	v_xor_b32_e32 v10, s9, v1
	v_and_b32_e32 v10, s11, v10
	v_cmp_eq_u32_e64 s[0:1], 0, v10
	s_and_b64 exec, exec, s[0:1]
; %bb.15:                               ;   in Loop: Header=BB31_7 Depth=1
	v_bfe_u32 v1, v1, s12, 8
	v_lshlrev_b32_e32 v1, 2, v1
	ds_add_u32 v1, v9
.LBB31_16:                              ;   in Loop: Header=BB31_7 Depth=1
	s_or_b64 exec, exec, s[4:5]
	v_cmp_gt_u32_e64 s[0:1], s8, v4
	s_and_saveexec_b64 s[4:5], s[0:1]
	s_cbranch_execz .LBB31_6
; %bb.17:                               ;   in Loop: Header=BB31_7 Depth=1
	v_add_u32_e32 v1, s18, v5
	v_lshlrev_b64 v[10:11], 2, v[1:2]
	v_mov_b32_e32 v1, s10
	v_add_co_u32_e64 v10, s[0:1], s6, v10
	v_addc_co_u32_e64 v11, s[0:1], v1, v11, s[0:1]
	global_load_dword v1, v[10:11], off
	s_waitcnt vmcnt(0)
	v_xor_b32_e32 v1, 0x80000000, v1
	v_xor_b32_e32 v10, s9, v1
	v_and_b32_e32 v10, s11, v10
	v_cmp_eq_u32_e64 s[0:1], 0, v10
	s_and_b64 exec, exec, s[0:1]
	s_cbranch_execz .LBB31_6
; %bb.18:                               ;   in Loop: Header=BB31_7 Depth=1
	v_bfe_u32 v1, v1, s12, 8
	v_lshlrev_b32_e32 v1, 2, v1
	ds_add_u32 v1, v9
	s_branch .LBB31_6
.LBB31_19:
	s_and_b32 s14, s15, 3
	s_cmp_eq_u32 s14, 0
	s_cbranch_scc1 .LBB31_25
; %bb.20:
	s_lshl_b32 s0, s7, 8
	s_add_i32 s0, s0, s17
	v_add_u32_e32 v4, s0, v0
	v_mul_lo_u32 v1, s13, v4
	s_lshl_b32 s7, s13, 8
	v_mov_b32_e32 v2, 0
	v_mov_b32_e32 v5, 1
	s_branch .LBB31_22
.LBB31_21:                              ;   in Loop: Header=BB31_22 Depth=1
	s_or_b64 exec, exec, s[4:5]
	s_add_i32 s14, s14, -1
	v_add_u32_e32 v1, s7, v1
	s_cmp_lg_u32 s14, 0
	v_add_u32_e32 v4, 0x100, v4
	s_cbranch_scc0 .LBB31_25
.LBB31_22:                              ; =>This Inner Loop Header: Depth=1
	v_cmp_gt_u32_e64 s[0:1], s8, v4
	s_and_saveexec_b64 s[4:5], s[0:1]
	s_cbranch_execz .LBB31_21
; %bb.23:                               ;   in Loop: Header=BB31_22 Depth=1
	v_lshlrev_b64 v[6:7], 2, v[1:2]
	v_mov_b32_e32 v8, s10
	v_add_co_u32_e64 v6, s[0:1], s6, v6
	v_addc_co_u32_e64 v7, s[0:1], v8, v7, s[0:1]
	global_load_dword v6, v[6:7], off
	s_waitcnt vmcnt(0)
	v_xor_b32_e32 v6, 0x80000000, v6
	v_xor_b32_e32 v7, s9, v6
	v_and_b32_e32 v7, s11, v7
	v_cmp_eq_u32_e64 s[0:1], 0, v7
	s_and_b64 exec, exec, s[0:1]
	s_cbranch_execz .LBB31_21
; %bb.24:                               ;   in Loop: Header=BB31_22 Depth=1
	v_bfe_u32 v6, v6, s12, 8
	v_lshlrev_b32_e32 v6, 2, v6
	ds_add_u32 v6, v5
	s_branch .LBB31_21
.LBB31_25:
	s_waitcnt lgkmcnt(0)
	s_barrier
	s_and_saveexec_b64 s[0:1], vcc
	s_cbranch_execz .LBB31_27
; %bb.26:
	v_lshl_or_b32 v0, s16, 8, v0
	v_mov_b32_e32 v1, 0
	ds_read_b32 v3, v3
	v_lshlrev_b64 v[0:1], 1, v[0:1]
	v_mov_b32_e32 v2, s3
	v_add_co_u32_e32 v0, vcc, s2, v0
	v_addc_co_u32_e32 v1, vcc, v2, v1, vcc
	s_waitcnt lgkmcnt(0)
	global_store_short v[0:1], v3, off
.LBB31_27:
	s_endpgm
	.section	.rodata,"a",@progbits
	.p2align	6, 0x0
	.amdhsa_kernel _ZN2at6native6mbtopk23computeBlockDigitCountsIijjLi2EEEvNS_4cuda6detail10TensorInfoIKT_T0_EEjPjjS8_iijT1_PSB_Ps
		.amdhsa_group_segment_fixed_size 1024
		.amdhsa_private_segment_fixed_size 0
		.amdhsa_kernarg_size 528
		.amdhsa_user_sgpr_count 6
		.amdhsa_user_sgpr_private_segment_buffer 1
		.amdhsa_user_sgpr_dispatch_ptr 0
		.amdhsa_user_sgpr_queue_ptr 0
		.amdhsa_user_sgpr_kernarg_segment_ptr 1
		.amdhsa_user_sgpr_dispatch_id 0
		.amdhsa_user_sgpr_flat_scratch_init 0
		.amdhsa_user_sgpr_private_segment_size 0
		.amdhsa_uses_dynamic_stack 0
		.amdhsa_system_sgpr_private_segment_wavefront_offset 0
		.amdhsa_system_sgpr_workgroup_id_x 1
		.amdhsa_system_sgpr_workgroup_id_y 1
		.amdhsa_system_sgpr_workgroup_id_z 1
		.amdhsa_system_sgpr_workgroup_info 0
		.amdhsa_system_vgpr_workitem_id 0
		.amdhsa_next_free_vgpr 12
		.amdhsa_next_free_sgpr 22
		.amdhsa_reserve_vcc 1
		.amdhsa_reserve_flat_scratch 0
		.amdhsa_float_round_mode_32 0
		.amdhsa_float_round_mode_16_64 0
		.amdhsa_float_denorm_mode_32 3
		.amdhsa_float_denorm_mode_16_64 3
		.amdhsa_dx10_clamp 1
		.amdhsa_ieee_mode 1
		.amdhsa_fp16_overflow 0
		.amdhsa_exception_fp_ieee_invalid_op 0
		.amdhsa_exception_fp_denorm_src 0
		.amdhsa_exception_fp_ieee_div_zero 0
		.amdhsa_exception_fp_ieee_overflow 0
		.amdhsa_exception_fp_ieee_underflow 0
		.amdhsa_exception_fp_ieee_inexact 0
		.amdhsa_exception_int_div_zero 0
	.end_amdhsa_kernel
	.section	.text._ZN2at6native6mbtopk23computeBlockDigitCountsIijjLi2EEEvNS_4cuda6detail10TensorInfoIKT_T0_EEjPjjS8_iijT1_PSB_Ps,"axG",@progbits,_ZN2at6native6mbtopk23computeBlockDigitCountsIijjLi2EEEvNS_4cuda6detail10TensorInfoIKT_T0_EEjPjjS8_iijT1_PSB_Ps,comdat
.Lfunc_end31:
	.size	_ZN2at6native6mbtopk23computeBlockDigitCountsIijjLi2EEEvNS_4cuda6detail10TensorInfoIKT_T0_EEjPjjS8_iijT1_PSB_Ps, .Lfunc_end31-_ZN2at6native6mbtopk23computeBlockDigitCountsIijjLi2EEEvNS_4cuda6detail10TensorInfoIKT_T0_EEjPjjS8_iijT1_PSB_Ps
                                        ; -- End function
	.set _ZN2at6native6mbtopk23computeBlockDigitCountsIijjLi2EEEvNS_4cuda6detail10TensorInfoIKT_T0_EEjPjjS8_iijT1_PSB_Ps.num_vgpr, 12
	.set _ZN2at6native6mbtopk23computeBlockDigitCountsIijjLi2EEEvNS_4cuda6detail10TensorInfoIKT_T0_EEjPjjS8_iijT1_PSB_Ps.num_agpr, 0
	.set _ZN2at6native6mbtopk23computeBlockDigitCountsIijjLi2EEEvNS_4cuda6detail10TensorInfoIKT_T0_EEjPjjS8_iijT1_PSB_Ps.numbered_sgpr, 22
	.set _ZN2at6native6mbtopk23computeBlockDigitCountsIijjLi2EEEvNS_4cuda6detail10TensorInfoIKT_T0_EEjPjjS8_iijT1_PSB_Ps.num_named_barrier, 0
	.set _ZN2at6native6mbtopk23computeBlockDigitCountsIijjLi2EEEvNS_4cuda6detail10TensorInfoIKT_T0_EEjPjjS8_iijT1_PSB_Ps.private_seg_size, 0
	.set _ZN2at6native6mbtopk23computeBlockDigitCountsIijjLi2EEEvNS_4cuda6detail10TensorInfoIKT_T0_EEjPjjS8_iijT1_PSB_Ps.uses_vcc, 1
	.set _ZN2at6native6mbtopk23computeBlockDigitCountsIijjLi2EEEvNS_4cuda6detail10TensorInfoIKT_T0_EEjPjjS8_iijT1_PSB_Ps.uses_flat_scratch, 0
	.set _ZN2at6native6mbtopk23computeBlockDigitCountsIijjLi2EEEvNS_4cuda6detail10TensorInfoIKT_T0_EEjPjjS8_iijT1_PSB_Ps.has_dyn_sized_stack, 0
	.set _ZN2at6native6mbtopk23computeBlockDigitCountsIijjLi2EEEvNS_4cuda6detail10TensorInfoIKT_T0_EEjPjjS8_iijT1_PSB_Ps.has_recursion, 0
	.set _ZN2at6native6mbtopk23computeBlockDigitCountsIijjLi2EEEvNS_4cuda6detail10TensorInfoIKT_T0_EEjPjjS8_iijT1_PSB_Ps.has_indirect_call, 0
	.section	.AMDGPU.csdata,"",@progbits
; Kernel info:
; codeLenInByte = 1296
; TotalNumSgprs: 26
; NumVgprs: 12
; ScratchSize: 0
; MemoryBound: 0
; FloatMode: 240
; IeeeMode: 1
; LDSByteSize: 1024 bytes/workgroup (compile time only)
; SGPRBlocks: 3
; VGPRBlocks: 2
; NumSGPRsForWavesPerEU: 26
; NumVGPRsForWavesPerEU: 12
; Occupancy: 10
; WaveLimiterHint : 1
; COMPUTE_PGM_RSRC2:SCRATCH_EN: 0
; COMPUTE_PGM_RSRC2:USER_SGPR: 6
; COMPUTE_PGM_RSRC2:TRAP_HANDLER: 0
; COMPUTE_PGM_RSRC2:TGID_X_EN: 1
; COMPUTE_PGM_RSRC2:TGID_Y_EN: 1
; COMPUTE_PGM_RSRC2:TGID_Z_EN: 1
; COMPUTE_PGM_RSRC2:TIDIG_COMP_CNT: 0
	.section	.text._ZN2at6native6mbtopk10gatherTopKIijLi2EEEvNS_4cuda6detail10TensorInfoIKT_T0_EES8_S8_bjS8_NS5_IS6_S8_EES8_NS5_IlS8_EES8_jjPS6_PjSD_j,"axG",@progbits,_ZN2at6native6mbtopk10gatherTopKIijLi2EEEvNS_4cuda6detail10TensorInfoIKT_T0_EES8_S8_bjS8_NS5_IS6_S8_EES8_NS5_IlS8_EES8_jjPS6_PjSD_j,comdat
	.protected	_ZN2at6native6mbtopk10gatherTopKIijLi2EEEvNS_4cuda6detail10TensorInfoIKT_T0_EES8_S8_bjS8_NS5_IS6_S8_EES8_NS5_IlS8_EES8_jjPS6_PjSD_j ; -- Begin function _ZN2at6native6mbtopk10gatherTopKIijLi2EEEvNS_4cuda6detail10TensorInfoIKT_T0_EES8_S8_bjS8_NS5_IS6_S8_EES8_NS5_IlS8_EES8_jjPS6_PjSD_j
	.globl	_ZN2at6native6mbtopk10gatherTopKIijLi2EEEvNS_4cuda6detail10TensorInfoIKT_T0_EES8_S8_bjS8_NS5_IS6_S8_EES8_NS5_IlS8_EES8_jjPS6_PjSD_j
	.p2align	8
	.type	_ZN2at6native6mbtopk10gatherTopKIijLi2EEEvNS_4cuda6detail10TensorInfoIKT_T0_EES8_S8_bjS8_NS5_IS6_S8_EES8_NS5_IlS8_EES8_jjPS6_PjSD_j,@function
_ZN2at6native6mbtopk10gatherTopKIijLi2EEEvNS_4cuda6detail10TensorInfoIKT_T0_EES8_S8_bjS8_NS5_IS6_S8_EES8_NS5_IlS8_EES8_jjPS6_PjSD_j: ; @_ZN2at6native6mbtopk10gatherTopKIijLi2EEEvNS_4cuda6detail10TensorInfoIKT_T0_EES8_S8_bjS8_NS5_IS6_S8_EES8_NS5_IlS8_EES8_jjPS6_PjSD_j
; %bb.0:
	s_load_dwordx2 s[0:1], s[4:5], 0x2d8
	s_load_dword s2, s[4:5], 0x2d0
	s_waitcnt lgkmcnt(0)
	s_mul_i32 s1, s1, s8
	s_add_i32 s1, s1, s7
	s_mul_i32 s0, s1, s0
	s_add_i32 s0, s0, s6
	s_cmp_ge_u32 s0, s2
	s_cbranch_scc1 .LBB32_40
; %bb.1:
	s_load_dwordx8 s[8:15], s[4:5], 0x2a8
	s_load_dwordx2 s[20:21], s[4:5], 0x23c
	s_load_dword s40, s[4:5], 0x1dc
	s_load_dwordx2 s[6:7], s[4:5], 0x1d0
	s_load_dwordx2 s[28:29], s[4:5], 0x15c
	s_load_dword s41, s[4:5], 0xfc
	s_load_dwordx2 s[22:23], s[4:5], 0xf0
	s_load_dwordx2 s[30:31], s[4:5], 0x6c
	;; [unrolled: 1-line block ×3, first 2 shown]
	s_load_dword s42, s[4:5], 0xc
	s_mov_b32 s27, 0
	s_waitcnt lgkmcnt(0)
	v_cvt_f32_u32_e32 v1, s10
	s_sub_i32 s1, 0, s10
	v_cvt_f32_u32_e32 v2, s42
	v_rcp_iflag_f32_e32 v1, v1
	v_mul_f32_e32 v1, 0x4f7ffffe, v1
	v_cvt_u32_f32_e32 v1, v1
	v_readfirstlane_b32 s2, v1
	s_mul_i32 s1, s1, s2
	s_mul_hi_u32 s1, s2, s1
	s_add_i32 s2, s2, s1
	v_rcp_iflag_f32_e32 v1, v2
	s_mul_hi_u32 s1, s0, s2
	s_mul_i32 s2, s1, s10
	s_sub_i32 s2, s0, s2
	s_add_i32 s3, s1, 1
	s_sub_i32 s11, s2, s10
	v_mul_f32_e32 v1, 0x4f7ffffe, v1
	s_cmp_ge_u32 s2, s10
	v_cvt_u32_f32_e32 v1, v1
	v_cvt_f32_u32_e32 v2, s41
	s_cselect_b32 s1, s3, s1
	s_cselect_b32 s2, s11, s2
	s_add_i32 s3, s1, 1
	s_cmp_ge_u32 s2, s10
	s_cselect_b32 s26, s3, s1
	v_readfirstlane_b32 s1, v1
	v_rcp_iflag_f32_e32 v1, v2
	v_cvt_f32_u32_e32 v2, s40
	s_mul_i32 s16, s26, s10
	s_sub_i32 s11, s0, s16
	v_mul_f32_e32 v1, 0x4f7ffffe, v1
	s_sub_i32 s0, 0, s42
	v_cvt_u32_f32_e32 v1, v1
	v_rcp_iflag_f32_e32 v2, v2
	s_mul_i32 s0, s0, s1
	s_mul_hi_u32 s0, s1, s0
	s_add_i32 s1, s1, s0
	s_mul_hi_u32 s44, s26, s1
	v_readfirstlane_b32 s1, v1
	v_mul_f32_e32 v1, 0x4f7ffffe, v2
	v_cvt_u32_f32_e32 v1, v1
	s_sub_i32 s0, 0, s41
	s_mul_i32 s0, s0, s1
	s_mul_hi_u32 s0, s1, s0
	s_add_i32 s2, s1, s0
	s_sub_i32 s0, 0, s40
	v_readfirstlane_b32 s1, v1
	s_mul_i32 s0, s0, s1
	s_mul_hi_u32 s0, s1, s0
	s_add_i32 s3, s1, s0
	s_lshl_b64 s[0:1], s[26:27], 2
	s_add_u32 s0, s12, s0
	s_addc_u32 s1, s13, s1
	s_load_dword s33, s[0:1], 0x0
	s_mul_hi_u32 s45, s26, s2
	s_mul_hi_u32 s43, s26, s3
	v_cmp_ne_u32_e64 s[0:1], 0, v0
	v_cmp_eq_u32_e64 s[2:3], 0, v0
	s_and_saveexec_b64 s[12:13], s[2:3]
	s_cbranch_execz .LBB32_17
; %bb.2:
	s_load_dwordx2 s[34:35], s[4:5], 0x2c8
	s_mov_b32 s17, s27
	s_lshl_b64 s[36:37], s[16:17], 2
	s_add_u32 s16, s14, s36
	s_addc_u32 s17, s15, s37
	s_waitcnt lgkmcnt(0)
	s_add_u32 s18, s34, s36
	s_addc_u32 s19, s35, s37
	s_cmp_lt_u32 s10, 4
	s_cbranch_scc1 .LBB32_14
; %bb.3:
	s_mov_b32 s46, s27
	s_mov_b32 s47, s27
	;; [unrolled: 1-line block ×3, first 2 shown]
.LBB32_4:                               ; =>This Inner Loop Header: Depth=1
	s_add_u32 s38, s14, s36
	s_addc_u32 s39, s15, s37
	s_load_dwordx4 s[16:19], s[38:39], 0x0
	s_add_u32 s38, s34, s36
	s_addc_u32 s39, s35, s37
	s_cmp_ge_u32 s48, s11
	s_cbranch_scc0 .LBB32_11
; %bb.5:                                ;   in Loop: Header=BB32_4 Depth=1
	s_add_i32 s49, s48, 1
	s_cmp_ge_u32 s49, s11
	s_cbranch_scc0 .LBB32_12
.LBB32_6:                               ;   in Loop: Header=BB32_4 Depth=1
	s_add_i32 s49, s49, 1
	s_cmp_ge_u32 s49, s11
	s_cbranch_scc0 .LBB32_13
.LBB32_7:                               ;   in Loop: Header=BB32_4 Depth=1
	s_add_i32 s49, s49, 1
	s_cmp_ge_u32 s49, s11
	s_cbranch_scc1 .LBB32_9
.LBB32_8:                               ;   in Loop: Header=BB32_4 Depth=1
	s_load_dword s38, s[38:39], 0xc
	s_waitcnt lgkmcnt(0)
	s_add_i32 s27, s27, s19
	s_add_i32 s46, s38, s46
.LBB32_9:                               ;   in Loop: Header=BB32_4 Depth=1
	s_waitcnt lgkmcnt(0)
	s_add_i32 s16, s16, s47
	s_add_i32 s16, s16, s17
	;; [unrolled: 1-line block ×4, first 2 shown]
	s_add_u32 s14, s14, 16
	s_addc_u32 s15, s15, 0
	s_add_u32 s34, s34, 16
	s_addc_u32 s35, s35, 0
	s_add_i32 s39, s49, 4
	s_add_u32 s18, s34, s36
	s_addc_u32 s19, s35, s37
	s_add_u32 s16, s14, s36
	s_addc_u32 s17, s15, s37
	s_add_i32 s38, s49, 1
	s_cmp_ge_u32 s39, s10
	s_cbranch_scc1 .LBB32_15
; %bb.10:                               ;   in Loop: Header=BB32_4 Depth=1
	s_mov_b32 s48, s38
	s_branch .LBB32_4
.LBB32_11:                              ;   in Loop: Header=BB32_4 Depth=1
	s_load_dword s49, s[38:39], 0x0
	s_waitcnt lgkmcnt(0)
	s_add_i32 s27, s16, s27
	s_add_i32 s46, s49, s46
	;; [unrolled: 1-line block ×3, first 2 shown]
	s_cmp_ge_u32 s49, s11
	s_cbranch_scc1 .LBB32_6
.LBB32_12:                              ;   in Loop: Header=BB32_4 Depth=1
	s_load_dword s50, s[38:39], 0x4
	s_waitcnt lgkmcnt(0)
	s_add_i32 s27, s27, s17
	s_add_i32 s46, s50, s46
	;; [unrolled: 1-line block ×3, first 2 shown]
	s_cmp_ge_u32 s49, s11
	s_cbranch_scc1 .LBB32_7
.LBB32_13:                              ;   in Loop: Header=BB32_4 Depth=1
	s_load_dword s50, s[38:39], 0x8
	s_waitcnt lgkmcnt(0)
	s_add_i32 s27, s27, s18
	s_add_i32 s46, s50, s46
	;; [unrolled: 1-line block ×3, first 2 shown]
	s_cmp_ge_u32 s49, s11
	s_cbranch_scc0 .LBB32_8
	s_branch .LBB32_9
.LBB32_14:
	s_mov_b32 s46, 0
	s_mov_b32 s47, 0
	;; [unrolled: 1-line block ×3, first 2 shown]
	s_cmp_ge_u32 s14, s10
	s_cbranch_scc0 .LBB32_38
	s_branch .LBB32_16
.LBB32_15:
	s_add_i32 s14, s48, 4
	s_cmp_ge_u32 s14, s10
	s_cbranch_scc0 .LBB32_38
.LBB32_16:
	v_mov_b32_e32 v1, s46
	v_mov_b32_e32 v2, s47
	;; [unrolled: 1-line block ×4, first 2 shown]
	ds_write_b96 v4, v[1:3] offset:1056
.LBB32_17:
	s_or_b64 exec, exec, s[12:13]
	s_load_dwordx4 s[12:15], s[4:5], 0xd8
	s_mul_i32 s16, s9, s11
	s_lshl_b32 s27, s16, 8
	s_waitcnt lgkmcnt(0)
	s_add_i32 s15, s11, 1
	s_mov_b32 s11, 0
	s_sub_i32 s16, s12, s27
	s_add_u32 s16, s16, 0xff
	s_addc_u32 s17, 0, 0
	s_lshr_b64 s[16:17], s[16:17], 8
	s_cmp_lt_u32 s15, s10
	s_cselect_b32 s9, s9, s16
	s_cmp_eq_u32 s9, 0
	s_barrier
	s_cbranch_scc1 .LBB32_40
; %bb.18:
	s_mul_i32 s10, s44, s42
	s_sub_i32 s10, s26, s10
	s_add_i32 s15, s44, 1
	s_sub_i32 s16, s10, s42
	s_cmp_ge_u32 s10, s42
	s_cselect_b32 s15, s15, s44
	s_cselect_b32 s10, s16, s10
	s_add_i32 s16, s15, 1
	s_cmp_ge_u32 s10, s42
	s_cselect_b32 s10, s16, s15
	s_mul_i32 s15, s10, s42
	s_sub_i32 s15, s26, s15
	s_mul_i32 s15, s15, s31
	s_mul_i32 s10, s10, s30
	s_add_i32 s10, s10, s15
	s_mul_i32 s15, s45, s41
	s_sub_i32 s15, s26, s15
	s_add_i32 s16, s45, 1
	s_sub_i32 s17, s15, s41
	s_cmp_ge_u32 s15, s41
	s_cselect_b32 s16, s16, s45
	s_cselect_b32 s15, s17, s15
	s_add_i32 s17, s16, 1
	s_cmp_ge_u32 s15, s41
	s_cselect_b32 s15, s17, s16
	s_mul_i32 s16, s15, s41
	s_sub_i32 s16, s26, s16
	s_mul_i32 s16, s16, s29
	s_mul_i32 s15, s15, s28
	s_add_i32 s18, s15, s16
	s_mul_i32 s15, s43, s40
	s_sub_i32 s15, s26, s15
	s_add_i32 s16, s43, 1
	s_sub_i32 s17, s15, s40
	s_cmp_ge_u32 s15, s40
	s_cselect_b32 s16, s16, s43
	s_cselect_b32 s15, s17, s15
	s_add_i32 s17, s16, 1
	s_cmp_ge_u32 s15, s40
	s_cselect_b32 s15, s17, s16
	s_mul_i32 s16, s15, s40
	s_sub_i32 s16, s26, s16
	s_mul_i32 s16, s16, s21
	s_mul_i32 s15, s15, s20
	v_mov_b32_e32 v5, 0
	s_add_i32 s20, s15, s16
	s_lshl_b64 s[16:17], s[10:11], 2
	ds_read_b96 v[1:3], v5 offset:1056
	s_add_u32 s15, s24, s16
	s_mov_b32 s19, s11
	s_addc_u32 s16, s25, s17
	s_lshl_b64 s[18:19], s[18:19], 2
	s_add_u32 s17, s22, s18
	s_mov_b32 s21, s11
	s_addc_u32 s18, s23, s19
	s_lshl_b64 s[10:11], s[20:21], 3
	s_add_u32 s19, s6, s10
	s_waitcnt lgkmcnt(0)
	v_add_u32_e32 v2, v1, v2
	v_lshrrev_b32_e32 v1, 3, v0
	s_addc_u32 s20, s7, s11
	s_xor_b32 s21, s33, 0x80000000
	v_and_b32_e32 v1, 28, v1
	s_bitcmp1_b32 s14, 0
	s_load_dword s10, s[4:5], 0xe8
	s_load_dword s14, s[4:5], 0x1c8
	v_lshl_add_u32 v6, v0, 2, v1
	v_lshrrev_b32_e32 v1, 1, v0
	v_and_b32_e32 v7, 0x7c, v1
	v_add_u32_e32 v1, -1, v0
	v_lshrrev_b32_e32 v4, 3, v1
	v_cmp_gt_u32_e64 s[4:5], 64, v0
	v_lshlrev_b32_e32 v8, 4, v0
	v_and_b32_e32 v4, 0x1ffffffc, v4
	v_add_u32_e32 v0, s27, v0
	v_lshl_add_u32 v9, v1, 2, v4
	s_waitcnt lgkmcnt(0)
	v_mul_lo_u32 v4, s10, v0
	v_mbcnt_lo_u32_b32 v1, -1, 0
	s_cselect_b64 s[6:7], -1, 0
	s_lshl_b32 s22, s10, 8
	v_mbcnt_hi_u32_b32 v10, -1, v1
                                        ; implicit-def: $vgpr11
	s_branch .LBB32_21
.LBB32_19:                              ;   in Loop: Header=BB32_21 Depth=1
	s_or_b64 exec, exec, s[10:11]
	v_add_u32_e32 v2, v14, v2
.LBB32_20:                              ;   in Loop: Header=BB32_21 Depth=1
	s_add_i32 s9, s9, -1
	v_add_u32_e32 v3, v13, v3
	v_add_u32_e32 v4, s22, v4
	s_cmp_lg_u32 s9, 0
	v_add_u32_e32 v0, 0x100, v0
	s_cbranch_scc0 .LBB32_40
.LBB32_21:                              ; =>This Inner Loop Header: Depth=1
	v_cmp_gt_u32_e32 vcc, s12, v0
	v_mov_b32_e32 v1, 0
	v_mov_b32_e32 v12, 0
	s_and_saveexec_b64 s[10:11], vcc
	s_cbranch_execz .LBB32_23
; %bb.22:                               ;   in Loop: Header=BB32_21 Depth=1
	v_lshlrev_b64 v[11:12], 2, v[4:5]
	v_mov_b32_e32 v1, s16
	v_add_co_u32_e32 v11, vcc, s15, v11
	v_addc_co_u32_e32 v12, vcc, v1, v12, vcc
	global_load_dword v11, v[11:12], off
	s_waitcnt vmcnt(0)
	v_xor_b32_e32 v1, 0x80000000, v11
	v_cmp_lt_u32_e32 vcc, s21, v1
	v_cndmask_b32_e64 v12, 0, 1, vcc
	v_cmp_gt_u32_e32 vcc, s21, v1
	v_cndmask_b32_e64 v1, 0, 1, vcc
	v_cndmask_b32_e64 v1, v1, v12, s[6:7]
	v_cmp_eq_u32_e32 vcc, s33, v11
	v_and_b32_e32 v1, 1, v1
	v_cndmask_b32_e64 v12, 0, 1, vcc
.LBB32_23:                              ;   in Loop: Header=BB32_21 Depth=1
	s_or_b64 exec, exec, s[10:11]
	ds_write_b32 v6, v1
	s_waitcnt vmcnt(0) lgkmcnt(0)
	s_barrier
	s_and_saveexec_b64 s[10:11], s[4:5]
	s_cbranch_execz .LBB32_25
; %bb.24:                               ;   in Loop: Header=BB32_21 Depth=1
	v_add_u32_e32 v17, v7, v8
	ds_read2_b32 v[13:14], v17 offset1:1
	ds_read2_b32 v[15:16], v17 offset0:2 offset1:3
	v_and_b32_e32 v18, 15, v10
	v_cmp_ne_u32_e32 vcc, 0, v18
	s_waitcnt lgkmcnt(1)
	v_add_u32_e32 v14, v14, v13
	s_waitcnt lgkmcnt(0)
	v_add3_u32 v14, v14, v15, v16
	v_bfe_i32 v16, v10, 4, 1
	; wave barrier
	s_nop 0
	v_mov_b32_dpp v15, v14 row_shr:1 row_mask:0xf bank_mask:0xf
	v_cndmask_b32_e32 v15, 0, v15, vcc
	v_add_u32_e32 v14, v15, v14
	v_cmp_lt_u32_e32 vcc, 1, v18
	s_nop 0
	v_mov_b32_dpp v15, v14 row_shr:2 row_mask:0xf bank_mask:0xf
	v_cndmask_b32_e32 v15, 0, v15, vcc
	v_add_u32_e32 v14, v14, v15
	v_cmp_lt_u32_e32 vcc, 3, v18
	;; [unrolled: 5-line block ×4, first 2 shown]
	s_nop 0
	v_mov_b32_dpp v15, v14 row_bcast:15 row_mask:0xf bank_mask:0xf
	v_and_b32_e32 v15, v16, v15
	v_add_u32_e32 v14, v14, v15
	v_and_b32_e32 v16, 64, v10
	s_nop 0
	v_mov_b32_dpp v15, v14 row_bcast:31 row_mask:0xf bank_mask:0xf
	v_cndmask_b32_e32 v15, 0, v15, vcc
	v_add_u32_e32 v14, v14, v15
	v_add_u32_e32 v15, -1, v10
	v_cmp_lt_i32_e32 vcc, v15, v16
	v_cndmask_b32_e32 v15, v15, v10, vcc
	v_lshlrev_b32_e32 v15, 2, v15
	ds_bpermute_b32 v14, v15, v14
	s_waitcnt lgkmcnt(0)
	v_add_u32_e32 v13, v14, v13
	v_cndmask_b32_e64 v15, v13, v1, s[2:3]
	ds_write_b32 v17, v15
	; wave barrier
	ds_read2_b32 v[13:14], v17 offset0:1 offset1:2
	ds_read_b32 v16, v17 offset:12
	s_waitcnt lgkmcnt(1)
	v_add_u32_e32 v13, v13, v15
	v_add_u32_e32 v14, v14, v13
	ds_write2_b32 v17, v13, v14 offset0:1 offset1:2
	s_waitcnt lgkmcnt(1)
	v_add_u32_e32 v13, v16, v14
	ds_write_b32 v17, v13 offset:12
.LBB32_25:                              ;   in Loop: Header=BB32_21 Depth=1
	s_or_b64 exec, exec, s[10:11]
	v_mov_b32_e32 v14, 0
	s_waitcnt lgkmcnt(0)
	s_barrier
	s_and_saveexec_b64 s[10:11], s[0:1]
; %bb.26:                               ;   in Loop: Header=BB32_21 Depth=1
	ds_read_b32 v14, v9
; %bb.27:                               ;   in Loop: Header=BB32_21 Depth=1
	s_or_b64 exec, exec, s[10:11]
	ds_read_b32 v13, v5 offset:1048
	v_cmp_ne_u32_e32 vcc, 0, v1
	s_waitcnt lgkmcnt(0)
	s_barrier
	s_and_saveexec_b64 s[10:11], vcc
	s_cbranch_execz .LBB32_29
; %bb.28:                               ;   in Loop: Header=BB32_21 Depth=1
	v_add_u32_e32 v1, v14, v3
	v_mul_lo_u32 v14, v1, s14
	v_mov_b32_e32 v15, v5
	v_mov_b32_e32 v16, s18
	;; [unrolled: 1-line block ×3, first 2 shown]
	v_lshlrev_b64 v[14:15], 2, v[14:15]
	v_add_co_u32_e32 v14, vcc, s17, v14
	v_addc_co_u32_e32 v15, vcc, v16, v15, vcc
	v_mul_lo_u32 v16, v1, s8
	global_store_dword v[14:15], v11, off
	v_mov_b32_e32 v1, v5
	v_lshlrev_b64 v[14:15], 3, v[16:17]
	v_mov_b32_e32 v16, s20
	v_add_co_u32_e32 v14, vcc, s19, v14
	v_addc_co_u32_e32 v15, vcc, v16, v15, vcc
	global_store_dwordx2 v[14:15], v[0:1], off
.LBB32_29:                              ;   in Loop: Header=BB32_21 Depth=1
	s_or_b64 exec, exec, s[10:11]
	v_cmp_le_u32_e32 vcc, s13, v2
	s_cbranch_vccnz .LBB32_20
; %bb.30:                               ;   in Loop: Header=BB32_21 Depth=1
	ds_write_b32 v6, v12
	s_waitcnt vmcnt(0) lgkmcnt(0)
	s_barrier
	s_and_saveexec_b64 s[10:11], s[4:5]
	s_cbranch_execz .LBB32_32
; %bb.31:                               ;   in Loop: Header=BB32_21 Depth=1
	v_add_u32_e32 v1, v7, v8
	ds_read2_b32 v[14:15], v1 offset1:1
	ds_read2_b32 v[16:17], v1 offset0:2 offset1:3
	v_and_b32_e32 v18, 15, v10
	v_cmp_ne_u32_e32 vcc, 0, v18
	s_waitcnt lgkmcnt(1)
	v_add_u32_e32 v15, v15, v14
	s_waitcnt lgkmcnt(0)
	v_add3_u32 v15, v15, v16, v17
	v_bfe_i32 v17, v10, 4, 1
	; wave barrier
	s_nop 0
	v_mov_b32_dpp v16, v15 row_shr:1 row_mask:0xf bank_mask:0xf
	v_cndmask_b32_e32 v16, 0, v16, vcc
	v_add_u32_e32 v15, v16, v15
	v_cmp_lt_u32_e32 vcc, 1, v18
	s_nop 0
	v_mov_b32_dpp v16, v15 row_shr:2 row_mask:0xf bank_mask:0xf
	v_cndmask_b32_e32 v16, 0, v16, vcc
	v_add_u32_e32 v15, v15, v16
	v_cmp_lt_u32_e32 vcc, 3, v18
	;; [unrolled: 5-line block ×4, first 2 shown]
	s_nop 0
	v_mov_b32_dpp v16, v15 row_bcast:15 row_mask:0xf bank_mask:0xf
	v_and_b32_e32 v16, v17, v16
	v_add_u32_e32 v15, v15, v16
	v_and_b32_e32 v17, 64, v10
	s_nop 0
	v_mov_b32_dpp v16, v15 row_bcast:31 row_mask:0xf bank_mask:0xf
	v_cndmask_b32_e32 v16, 0, v16, vcc
	v_add_u32_e32 v15, v15, v16
	v_add_u32_e32 v16, -1, v10
	v_cmp_lt_i32_e32 vcc, v16, v17
	v_cndmask_b32_e32 v16, v16, v10, vcc
	v_lshlrev_b32_e32 v16, 2, v16
	ds_bpermute_b32 v15, v16, v15
	s_waitcnt lgkmcnt(0)
	v_add_u32_e32 v14, v15, v14
	v_cndmask_b32_e64 v16, v14, v12, s[2:3]
	ds_write_b32 v1, v16
	; wave barrier
	ds_read2_b32 v[14:15], v1 offset0:1 offset1:2
	ds_read_b32 v17, v1 offset:12
	s_waitcnt lgkmcnt(1)
	v_add_u32_e32 v14, v14, v16
	v_add_u32_e32 v15, v15, v14
	ds_write2_b32 v1, v14, v15 offset0:1 offset1:2
	s_waitcnt lgkmcnt(1)
	v_add_u32_e32 v14, v17, v15
	ds_write_b32 v1, v14 offset:12
.LBB32_32:                              ;   in Loop: Header=BB32_21 Depth=1
	s_or_b64 exec, exec, s[10:11]
	v_mov_b32_e32 v1, 0
	s_waitcnt lgkmcnt(0)
	s_barrier
	s_and_saveexec_b64 s[10:11], s[0:1]
; %bb.33:                               ;   in Loop: Header=BB32_21 Depth=1
	ds_read_b32 v1, v9
; %bb.34:                               ;   in Loop: Header=BB32_21 Depth=1
	s_or_b64 exec, exec, s[10:11]
	ds_read_b32 v14, v5 offset:1048
	v_cmp_ne_u32_e32 vcc, 0, v12
	s_waitcnt lgkmcnt(0)
	s_barrier
	s_and_saveexec_b64 s[10:11], vcc
	s_cbranch_execz .LBB32_19
; %bb.35:                               ;   in Loop: Header=BB32_21 Depth=1
	v_add_u32_e32 v1, v1, v2
	v_cmp_gt_u32_e32 vcc, s13, v1
	s_and_b64 exec, exec, vcc
	s_cbranch_execz .LBB32_19
; %bb.36:                               ;   in Loop: Header=BB32_21 Depth=1
	v_mul_lo_u32 v15, v1, s14
	v_mov_b32_e32 v16, v5
	v_mul_lo_u32 v17, v1, s8
	v_mov_b32_e32 v12, s18
	v_lshlrev_b64 v[15:16], 2, v[15:16]
	v_mov_b32_e32 v18, v5
	v_add_co_u32_e32 v15, vcc, s17, v15
	v_addc_co_u32_e32 v16, vcc, v12, v16, vcc
	global_store_dword v[15:16], v11, off
	v_lshlrev_b64 v[15:16], 3, v[17:18]
	v_mov_b32_e32 v12, s20
	v_add_co_u32_e32 v15, vcc, s19, v15
	v_mov_b32_e32 v1, v5
	v_addc_co_u32_e32 v16, vcc, v12, v16, vcc
	global_store_dwordx2 v[15:16], v[0:1], off
	s_branch .LBB32_19
.LBB32_37:                              ;   in Loop: Header=BB32_38 Depth=1
	s_add_u32 s16, s16, 4
	s_addc_u32 s17, s17, 0
	s_waitcnt lgkmcnt(0)
	s_add_i32 s47, s15, s47
	s_add_u32 s18, s18, 4
	s_addc_u32 s19, s19, 0
	s_add_i32 s14, s14, 1
	s_cmp_lt_u32 s14, s10
	s_cbranch_scc0 .LBB32_16
.LBB32_38:                              ; =>This Inner Loop Header: Depth=1
	s_load_dword s15, s[16:17], 0x0
	s_cmp_ge_u32 s14, s11
	s_cbranch_scc1 .LBB32_37
; %bb.39:                               ;   in Loop: Header=BB32_38 Depth=1
	s_load_dword s34, s[18:19], 0x0
	s_waitcnt lgkmcnt(0)
	s_add_i32 s27, s15, s27
	s_add_i32 s46, s34, s46
	s_branch .LBB32_37
.LBB32_40:
	s_endpgm
	.section	.rodata,"a",@progbits
	.p2align	6, 0x0
	.amdhsa_kernel _ZN2at6native6mbtopk10gatherTopKIijLi2EEEvNS_4cuda6detail10TensorInfoIKT_T0_EES8_S8_bjS8_NS5_IS6_S8_EES8_NS5_IlS8_EES8_jjPS6_PjSD_j
		.amdhsa_group_segment_fixed_size 1068
		.amdhsa_private_segment_fixed_size 0
		.amdhsa_kernarg_size 984
		.amdhsa_user_sgpr_count 6
		.amdhsa_user_sgpr_private_segment_buffer 1
		.amdhsa_user_sgpr_dispatch_ptr 0
		.amdhsa_user_sgpr_queue_ptr 0
		.amdhsa_user_sgpr_kernarg_segment_ptr 1
		.amdhsa_user_sgpr_dispatch_id 0
		.amdhsa_user_sgpr_flat_scratch_init 0
		.amdhsa_user_sgpr_private_segment_size 0
		.amdhsa_uses_dynamic_stack 0
		.amdhsa_system_sgpr_private_segment_wavefront_offset 0
		.amdhsa_system_sgpr_workgroup_id_x 1
		.amdhsa_system_sgpr_workgroup_id_y 1
		.amdhsa_system_sgpr_workgroup_id_z 1
		.amdhsa_system_sgpr_workgroup_info 0
		.amdhsa_system_vgpr_workitem_id 0
		.amdhsa_next_free_vgpr 19
		.amdhsa_next_free_sgpr 51
		.amdhsa_reserve_vcc 1
		.amdhsa_reserve_flat_scratch 0
		.amdhsa_float_round_mode_32 0
		.amdhsa_float_round_mode_16_64 0
		.amdhsa_float_denorm_mode_32 3
		.amdhsa_float_denorm_mode_16_64 3
		.amdhsa_dx10_clamp 1
		.amdhsa_ieee_mode 1
		.amdhsa_fp16_overflow 0
		.amdhsa_exception_fp_ieee_invalid_op 0
		.amdhsa_exception_fp_denorm_src 0
		.amdhsa_exception_fp_ieee_div_zero 0
		.amdhsa_exception_fp_ieee_overflow 0
		.amdhsa_exception_fp_ieee_underflow 0
		.amdhsa_exception_fp_ieee_inexact 0
		.amdhsa_exception_int_div_zero 0
	.end_amdhsa_kernel
	.section	.text._ZN2at6native6mbtopk10gatherTopKIijLi2EEEvNS_4cuda6detail10TensorInfoIKT_T0_EES8_S8_bjS8_NS5_IS6_S8_EES8_NS5_IlS8_EES8_jjPS6_PjSD_j,"axG",@progbits,_ZN2at6native6mbtopk10gatherTopKIijLi2EEEvNS_4cuda6detail10TensorInfoIKT_T0_EES8_S8_bjS8_NS5_IS6_S8_EES8_NS5_IlS8_EES8_jjPS6_PjSD_j,comdat
.Lfunc_end32:
	.size	_ZN2at6native6mbtopk10gatherTopKIijLi2EEEvNS_4cuda6detail10TensorInfoIKT_T0_EES8_S8_bjS8_NS5_IS6_S8_EES8_NS5_IlS8_EES8_jjPS6_PjSD_j, .Lfunc_end32-_ZN2at6native6mbtopk10gatherTopKIijLi2EEEvNS_4cuda6detail10TensorInfoIKT_T0_EES8_S8_bjS8_NS5_IS6_S8_EES8_NS5_IlS8_EES8_jjPS6_PjSD_j
                                        ; -- End function
	.set _ZN2at6native6mbtopk10gatherTopKIijLi2EEEvNS_4cuda6detail10TensorInfoIKT_T0_EES8_S8_bjS8_NS5_IS6_S8_EES8_NS5_IlS8_EES8_jjPS6_PjSD_j.num_vgpr, 19
	.set _ZN2at6native6mbtopk10gatherTopKIijLi2EEEvNS_4cuda6detail10TensorInfoIKT_T0_EES8_S8_bjS8_NS5_IS6_S8_EES8_NS5_IlS8_EES8_jjPS6_PjSD_j.num_agpr, 0
	.set _ZN2at6native6mbtopk10gatherTopKIijLi2EEEvNS_4cuda6detail10TensorInfoIKT_T0_EES8_S8_bjS8_NS5_IS6_S8_EES8_NS5_IlS8_EES8_jjPS6_PjSD_j.numbered_sgpr, 51
	.set _ZN2at6native6mbtopk10gatherTopKIijLi2EEEvNS_4cuda6detail10TensorInfoIKT_T0_EES8_S8_bjS8_NS5_IS6_S8_EES8_NS5_IlS8_EES8_jjPS6_PjSD_j.num_named_barrier, 0
	.set _ZN2at6native6mbtopk10gatherTopKIijLi2EEEvNS_4cuda6detail10TensorInfoIKT_T0_EES8_S8_bjS8_NS5_IS6_S8_EES8_NS5_IlS8_EES8_jjPS6_PjSD_j.private_seg_size, 0
	.set _ZN2at6native6mbtopk10gatherTopKIijLi2EEEvNS_4cuda6detail10TensorInfoIKT_T0_EES8_S8_bjS8_NS5_IS6_S8_EES8_NS5_IlS8_EES8_jjPS6_PjSD_j.uses_vcc, 1
	.set _ZN2at6native6mbtopk10gatherTopKIijLi2EEEvNS_4cuda6detail10TensorInfoIKT_T0_EES8_S8_bjS8_NS5_IS6_S8_EES8_NS5_IlS8_EES8_jjPS6_PjSD_j.uses_flat_scratch, 0
	.set _ZN2at6native6mbtopk10gatherTopKIijLi2EEEvNS_4cuda6detail10TensorInfoIKT_T0_EES8_S8_bjS8_NS5_IS6_S8_EES8_NS5_IlS8_EES8_jjPS6_PjSD_j.has_dyn_sized_stack, 0
	.set _ZN2at6native6mbtopk10gatherTopKIijLi2EEEvNS_4cuda6detail10TensorInfoIKT_T0_EES8_S8_bjS8_NS5_IS6_S8_EES8_NS5_IlS8_EES8_jjPS6_PjSD_j.has_recursion, 0
	.set _ZN2at6native6mbtopk10gatherTopKIijLi2EEEvNS_4cuda6detail10TensorInfoIKT_T0_EES8_S8_bjS8_NS5_IS6_S8_EES8_NS5_IlS8_EES8_jjPS6_PjSD_j.has_indirect_call, 0
	.section	.AMDGPU.csdata,"",@progbits
; Kernel info:
; codeLenInByte = 2424
; TotalNumSgprs: 55
; NumVgprs: 19
; ScratchSize: 0
; MemoryBound: 0
; FloatMode: 240
; IeeeMode: 1
; LDSByteSize: 1068 bytes/workgroup (compile time only)
; SGPRBlocks: 6
; VGPRBlocks: 4
; NumSGPRsForWavesPerEU: 55
; NumVGPRsForWavesPerEU: 19
; Occupancy: 10
; WaveLimiterHint : 1
; COMPUTE_PGM_RSRC2:SCRATCH_EN: 0
; COMPUTE_PGM_RSRC2:USER_SGPR: 6
; COMPUTE_PGM_RSRC2:TRAP_HANDLER: 0
; COMPUTE_PGM_RSRC2:TGID_X_EN: 1
; COMPUTE_PGM_RSRC2:TGID_Y_EN: 1
; COMPUTE_PGM_RSRC2:TGID_Z_EN: 1
; COMPUTE_PGM_RSRC2:TIDIG_COMP_CNT: 0
	.section	.text._ZN2at6native6sbtopk10gatherTopKIijLi2ELb0EEEvNS_4cuda6detail10TensorInfoIKT_T0_EES8_S8_bS8_S8_NS5_IS6_S8_EES8_NS5_IlS8_EES8_PS6_,"axG",@progbits,_ZN2at6native6sbtopk10gatherTopKIijLi2ELb0EEEvNS_4cuda6detail10TensorInfoIKT_T0_EES8_S8_bS8_S8_NS5_IS6_S8_EES8_NS5_IlS8_EES8_PS6_,comdat
	.protected	_ZN2at6native6sbtopk10gatherTopKIijLi2ELb0EEEvNS_4cuda6detail10TensorInfoIKT_T0_EES8_S8_bS8_S8_NS5_IS6_S8_EES8_NS5_IlS8_EES8_PS6_ ; -- Begin function _ZN2at6native6sbtopk10gatherTopKIijLi2ELb0EEEvNS_4cuda6detail10TensorInfoIKT_T0_EES8_S8_bS8_S8_NS5_IS6_S8_EES8_NS5_IlS8_EES8_PS6_
	.globl	_ZN2at6native6sbtopk10gatherTopKIijLi2ELb0EEEvNS_4cuda6detail10TensorInfoIKT_T0_EES8_S8_bS8_S8_NS5_IS6_S8_EES8_NS5_IlS8_EES8_PS6_
	.p2align	8
	.type	_ZN2at6native6sbtopk10gatherTopKIijLi2ELb0EEEvNS_4cuda6detail10TensorInfoIKT_T0_EES8_S8_bS8_S8_NS5_IS6_S8_EES8_NS5_IlS8_EES8_PS6_,@function
_ZN2at6native6sbtopk10gatherTopKIijLi2ELb0EEEvNS_4cuda6detail10TensorInfoIKT_T0_EES8_S8_bS8_S8_NS5_IS6_S8_EES8_NS5_IlS8_EES8_PS6_: ; @_ZN2at6native6sbtopk10gatherTopKIijLi2ELb0EEEvNS_4cuda6detail10TensorInfoIKT_T0_EES8_S8_bS8_S8_NS5_IS6_S8_EES8_NS5_IlS8_EES8_PS6_
; %bb.0:
	s_load_dwordx2 s[14:15], s[4:5], 0x2b8
	s_load_dwordx4 s[60:63], s[4:5], 0xd8
	s_mov_b64 s[18:19], s[4:5]
	s_add_u32 s12, s18, 0x2b8
	s_addc_u32 s13, s19, 0
	s_waitcnt lgkmcnt(0)
	s_mul_i32 s0, s15, s8
	s_add_i32 s0, s0, s7
	s_mul_i32 s0, s0, s14
	s_add_i32 s10, s0, s6
	s_cmp_ge_u32 s10, s63
	s_cbranch_scc1 .LBB33_398
; %bb.1:
	s_load_dword s4, s[18:19], 0xc
	s_load_dword s0, s[18:19], 0xe8
	s_load_dwordx2 s[8:9], s[18:19], 0x23c
                                        ; implicit-def: $vgpr46 : SGPR spill to VGPR lane
	s_mov_b32 s11, 0
	s_waitcnt lgkmcnt(0)
	v_cvt_f32_u32_e32 v1, s4
	v_writelane_b32 v46, s0, 0
	s_load_dwordx2 s[2:3], s[18:19], 0x6c
	s_load_dwordx2 s[0:1], s[18:19], 0x0
	s_load_dword s15, s[18:19], 0x1dc
	s_load_dword s16, s[18:19], 0xfc
	v_writelane_b32 v46, s8, 1
	v_writelane_b32 v46, s9, 2
	s_load_dwordx2 s[8:9], s[18:19], 0x1d0
	v_rcp_iflag_f32_e32 v1, v1
	s_waitcnt lgkmcnt(0)
	v_cvt_f32_u32_e32 v2, s16
	s_sub_i32 s5, 0, s4
	v_writelane_b32 v46, s8, 3
	v_mul_f32_e32 v1, 0x4f7ffffe, v1
	v_writelane_b32 v46, s9, 4
	s_load_dwordx2 s[8:9], s[18:19], 0x15c
	v_cvt_u32_f32_e32 v1, v1
	v_rcp_iflag_f32_e32 v2, v2
	v_readfirstlane_b32 s7, v1
	v_mul_f32_e32 v1, 0x4f7ffffe, v2
	v_cvt_f32_u32_e32 v2, s15
	s_waitcnt lgkmcnt(0)
	v_writelane_b32 v46, s8, 5
	v_writelane_b32 v46, s9, 6
	s_load_dwordx2 s[8:9], s[18:19], 0xf0
	v_cvt_u32_f32_e32 v1, v1
	v_rcp_iflag_f32_e32 v2, v2
	s_mul_i32 s5, s5, s7
	s_mul_hi_u32 s5, s7, s5
	s_waitcnt lgkmcnt(0)
	v_writelane_b32 v46, s8, 7
	s_add_i32 s7, s7, s5
	v_writelane_b32 v46, s9, 8
	s_mul_hi_u32 s5, s10, s7
	s_sub_i32 s7, 0, s16
	v_readfirstlane_b32 s8, v1
	v_mul_f32_e32 v1, 0x4f7ffffe, v2
	s_mul_i32 s7, s7, s8
	v_cvt_u32_f32_e32 v1, v1
	s_mul_hi_u32 s7, s8, s7
	s_add_i32 s8, s8, s7
	v_writelane_b32 v46, s16, 9
	s_mul_hi_u32 s7, s10, s8
	v_writelane_b32 v46, s7, 10
	s_sub_i32 s7, 0, s15
	v_readfirstlane_b32 s8, v1
	s_mul_i32 s7, s7, s8
	s_mul_hi_u32 s7, s8, s7
	s_add_i32 s8, s8, s7
	v_writelane_b32 v46, s15, 11
	s_mul_hi_u32 s7, s10, s8
	v_writelane_b32 v46, s7, 12
	v_cmp_eq_u32_e64 s[8:9], 0, v0
	s_mov_b64 s[16:17], exec
	v_writelane_b32 v46, s8, 13
	v_writelane_b32 v46, s9, 14
	s_and_b64 s[8:9], s[16:17], s[8:9]
	s_mov_b64 exec, s[8:9]
; %bb.2:
	v_mov_b32_e32 v1, 0
	v_mov_b32_e32 v2, s60
	;; [unrolled: 1-line block ×3, first 2 shown]
	ds_write_b96 v1, v[1:3] offset:4096
; %bb.3:
	s_or_b64 exec, exec, s[16:17]
	s_mul_i32 s7, s5, s4
	s_sub_i32 s7, s10, s7
	s_add_i32 s8, s5, 1
	s_sub_i32 s9, s7, s4
	s_cmp_ge_u32 s7, s4
	s_cselect_b32 s5, s8, s5
	s_cselect_b32 s7, s9, s7
	s_add_i32 s8, s5, 1
	s_cmp_ge_u32 s7, s4
	s_cselect_b32 s5, s8, s5
	s_mul_i32 s4, s5, s4
	s_sub_i32 s4, s10, s4
	s_mul_i32 s4, s4, s3
	s_mul_i32 s2, s5, s2
	v_writelane_b32 v46, s10, 15
	s_add_i32 s10, s2, s4
	s_lshl_b64 s[2:3], s[10:11], 2
	s_add_u32 s33, s0, s2
	s_addc_u32 s8, s1, s3
	s_bitcmp1_b32 s62, 0
	s_cselect_b64 s[2:3], -1, 0
	v_writelane_b32 v46, s2, 16
	v_writelane_b32 v46, s3, 17
	s_xor_b64 s[2:3], s[2:3], -1
	v_writelane_b32 v46, s2, 18
	v_writelane_b32 v46, s3, 19
	;; [unrolled: 1-line block ×3, first 2 shown]
	s_load_dword s7, s[18:19], 0xe8
	s_waitcnt lgkmcnt(0)
	s_barrier
	s_load_dword s0, s[12:13], 0xc
	v_mbcnt_lo_u32_b32 v1, -1, 0
	v_mbcnt_hi_u32_b32 v20, -1, v1
	v_mul_lo_u32 v9, s7, v0
	v_cmp_gt_u32_e32 vcc, 64, v0
	s_waitcnt lgkmcnt(0)
	s_and_b32 s9, s0, 0xffff
	v_cmp_gt_i32_e64 s[2:3], 4, v20
	s_lshl_b32 s16, s9, 2
	s_bfe_u32 s4, s0, 0xa0006
	v_mov_b32_e32 v8, 0
	s_and_b64 s[72:73], vcc, s[2:3]
	s_cmpk_gt_u32 s60, 0x300
	v_mov_b32_e32 v10, v8
	v_writelane_b32 v46, s19, 21
	s_cselect_b64 s[2:3], -1, 0
	v_lshlrev_b64 v[1:2], 2, v[9:10]
	v_writelane_b32 v46, s2, 22
	v_writelane_b32 v46, s3, 23
	v_cmp_gt_u32_e64 s[2:3], s60, v0
	v_mov_b32_e32 v21, s8
	v_add_co_u32_e32 v5, vcc, s33, v1
	v_writelane_b32 v46, s2, 24
	v_addc_co_u32_e32 v6, vcc, v21, v2, vcc
	s_cmp_gt_u32 s9, 63
	v_lshlrev_b64 v[2:3], v20, -1
	v_writelane_b32 v46, s3, 25
	s_cselect_b64 s[2:3], -1, 0
	v_writelane_b32 v46, s2, 26
	v_not_b32_e32 v18, v2
	v_lshrrev_b32_e32 v2, 2, v0
	v_writelane_b32 v46, s3, 27
	v_cmp_gt_u32_e64 s[2:3], 2, v0
	v_and_b32_e32 v2, 0xf0, v2
	v_writelane_b32 v46, s2, 28
	s_add_i32 s63, s9, -1
	v_or_b32_e32 v23, 0xc00, v2
	v_cvt_f32_u32_e32 v2, s16
	v_writelane_b32 v46, s3, 29
	s_add_i32 s2, s63, s60
	s_cmp_lt_u32 s6, s14
	s_cselect_b32 s3, 12, 18
	s_add_u32 s10, s12, s3
	v_rcp_iflag_f32_e32 v2, v2
	s_addc_u32 s11, s13, 0
	s_add_i32 s3, s4, -1
	s_bfe_u32 s5, s9, 0x30006
	s_and_b32 s3, s3, 0xffff
	v_writelane_b32 v46, s10, 30
	s_cmp_gt_u32 s3, 6
	v_writelane_b32 v46, s11, 31
	s_cselect_b64 s[10:11], -1, 0
	v_mul_f32_e32 v2, 0x4f7ffffe, v2
	v_writelane_b32 v46, s10, 32
	s_and_b32 s74, s4, 0x3f8
	v_cvt_u32_f32_e32 v2, v2
	v_writelane_b32 v46, s11, 33
	s_cmp_lg_u32 s5, 0
	v_writelane_b32 v46, s5, 34
	s_cselect_b64 s[4:5], -1, 0
	v_writelane_b32 v46, s4, 35
	v_writelane_b32 v46, s5, 36
	s_sub_i32 s3, 0, s16
	v_readfirstlane_b32 s4, v2
	s_mul_i32 s3, s3, s4
	s_mul_hi_u32 s3, s4, s3
	s_add_i32 s3, s4, s3
	v_writelane_b32 v46, s3, 37
	s_mul_hi_u32 s3, s60, s3
	s_mul_i32 s3, s3, s16
	v_cvt_f32_u32_e32 v2, s9
	s_sub_i32 s3, s60, s3
	s_sub_i32 s4, s3, s16
	s_cmp_ge_u32 s3, s16
	s_cselect_b32 s3, s4, s3
	v_rcp_iflag_f32_e32 v4, v2
	s_sub_i32 s4, s3, s16
	s_cmp_ge_u32 s3, s16
	s_cselect_b32 s3, s4, s3
	v_lshlrev_b32_e32 v19, 2, v0
	s_sub_i32 s76, s60, s3
	v_mul_f32_e32 v4, 0x4f7ffffe, v4
	v_cmp_gt_u32_e64 s[4:5], s76, v19
	v_cvt_u32_f32_e32 v4, v4
	v_add_u32_e32 v24, s76, v0
	v_writelane_b32 v46, s4, 38
	v_writelane_b32 v46, s5, 39
	v_cmp_gt_u32_e64 s[4:5], s60, v24
	v_writelane_b32 v46, s4, 40
	v_writelane_b32 v46, s5, 41
	s_sub_i32 s4, 0, s9
	v_readfirstlane_b32 s5, v4
	s_mul_i32 s4, s4, s5
	v_mul_lo_u32 v7, v24, s7
	s_mul_hi_u32 s4, s5, s4
	s_add_i32 s4, s5, s4
	v_writelane_b32 v46, s4, 42
	s_mul_hi_u32 s4, s2, s4
	s_mul_i32 s4, s4, s9
	v_not_b32_e32 v17, v3
	v_lshlrev_b64 v[2:3], 2, v[7:8]
	s_sub_i32 s4, s2, s4
	s_sub_i32 s5, s4, s9
	v_add_co_u32_e32 v12, vcc, s33, v2
	s_cmp_ge_u32 s4, s9
	v_mul_lo_u32 v2, s7, v19
	s_cselect_b32 s4, s5, s4
	s_sub_i32 s5, s4, s9
	s_cmp_ge_u32 s4, s9
	s_cselect_b32 s4, s5, s4
	v_add_u32_e32 v26, s7, v2
	v_or_b32_e32 v2, 2, v19
	s_sub_i32 s77, s2, s4
	v_mul_lo_u32 v27, s7, v2
	v_or_b32_e32 v2, 3, v19
	s_add_i32 s2, s9, s60
	v_mul_lo_u32 v28, s7, v2
	v_add_u32_e32 v2, s2, v0
	v_subrev_u32_e32 v2, s3, v2
	v_mul_lo_u32 v30, s7, v2
	v_lshlrev_b32_e32 v1, 2, v20
	v_mov_b32_e32 v7, s8
	v_cmp_gt_u32_e64 s[4:5], s77, v0
	s_mul_i32 s75, s7, s9
	v_cmp_eq_u32_e64 s[0:1], 0, v20
	v_add_u32_e32 v22, 0xc00, v19
	v_and_b32_e32 v16, 0x100, v1
	v_addc_co_u32_e32 v13, vcc, v7, v3, vcc
	v_writelane_b32 v46, s4, 43
	s_lshl_b32 s12, s75, 2
	v_lshlrev_b32_e32 v29, 2, v9
	v_lshlrev_b32_e32 v31, 4, v0
	s_lshl_b32 s13, s9, 4
	v_or_b32_e32 v32, 0xc00, v1
	s_mov_b32 s15, 30
	s_mov_b64 s[84:85], 0
	v_readfirstlane_b32 s14, v8
	v_mov_b32_e32 v34, s61
	v_mov_b32_e32 v25, 0
	v_mov_b32_e32 v33, 0
	v_mov_b32_e32 v14, 1
	v_mov_b32_e32 v11, 0
	v_writelane_b32 v46, s5, 44
                                        ; implicit-def: $sgpr86_sgpr87
                                        ; implicit-def: $sgpr88_sgpr89
                                        ; implicit-def: $sgpr92_sgpr93
                                        ; implicit-def: $sgpr94_sgpr95
                                        ; implicit-def: $sgpr90_sgpr91
                                        ; implicit-def: $sgpr64_sgpr65
                                        ; implicit-def: $sgpr66_sgpr67
                                        ; implicit-def: $sgpr68_sgpr69
                                        ; implicit-def: $sgpr70_sgpr71
                                        ; implicit-def: $sgpr20_sgpr21
	s_branch .LBB33_6
.LBB33_4:                               ;   in Loop: Header=BB33_6 Depth=1
	s_or_b64 exec, exec, s[2:3]
	s_andn2_b64 s[2:3], s[20:21], exec
	s_and_b64 s[4:5], s[22:23], exec
	s_or_b64 s[20:21], s[2:3], s[4:5]
	s_andn2_b64 s[70:71], s[70:71], exec
	s_andn2_b64 s[68:69], s[68:69], exec
	;; [unrolled: 1-line block ×4, first 2 shown]
	s_orn2_b64 s[26:27], s[18:19], exec
	v_mov_b32_e32 v34, v35
.LBB33_5:                               ;   in Loop: Header=BB33_6 Depth=1
	s_or_b64 exec, exec, s[6:7]
	s_and_b64 s[2:3], exec, s[26:27]
	s_or_b64 s[84:85], s[2:3], s[84:85]
	s_andn2_b64 s[2:3], s[90:91], exec
	s_and_b64 s[4:5], s[20:21], exec
	s_or_b64 s[90:91], s[2:3], s[4:5]
	s_andn2_b64 s[2:3], s[94:95], exec
	s_and_b64 s[4:5], s[70:71], exec
	;; [unrolled: 3-line block ×5, first 2 shown]
	s_or_b64 s[86:87], s[2:3], s[4:5]
	s_andn2_b64 exec, exec, s[84:85]
	s_cbranch_execz .LBB33_394
.LBB33_6:                               ; =>This Loop Header: Depth=1
                                        ;     Child Loop BB33_12 Depth 2
                                        ;     Child Loop BB33_25 Depth 2
	;; [unrolled: 1-line block ×24, first 2 shown]
	ds_read_b64 v[1:2], v8 offset:4096
	s_waitcnt lgkmcnt(0)
	v_readfirstlane_b32 s4, v1
	s_cmp_lg_u32 s4, 0
	s_cbranch_scc1 .LBB33_33
; %bb.7:                                ;   in Loop: Header=BB33_6 Depth=1
	v_readlane_b32 s2, v46, 22
	v_readlane_b32 s3, v46, 23
	s_and_b64 vcc, exec, s[2:3]
	s_cbranch_vccz .LBB33_20
; %bb.8:                                ;   in Loop: Header=BB33_6 Depth=1
	s_movk_i32 s2, 0x301
	v_cmp_gt_u32_e32 vcc, s2, v2
	s_mov_b64 s[22:23], 0
	s_mov_b64 s[6:7], 0
	s_cbranch_vccz .LBB33_21
; %bb.9:                                ;   in Loop: Header=BB33_6 Depth=1
	s_mov_b64 s[24:25], exec
	v_readlane_b32 s2, v46, 24
	v_readlane_b32 s3, v46, 25
	s_and_b64 s[2:3], s[24:25], s[2:3]
	s_mov_b64 exec, s[2:3]
	s_cbranch_execz .LBB33_81
; %bb.10:                               ;   in Loop: Header=BB33_6 Depth=1
	v_readlane_b32 s2, v46, 30
	v_readlane_b32 s3, v46, 31
	s_nop 4
	global_load_ushort v1, v8, s[2:3]
	global_load_dword v2, v[5:6], off
	v_readlane_b32 s2, v46, 20
	v_readlane_b32 s3, v46, 21
	s_load_dword s2, s[2:3], 0xe8
	s_mov_b64 s[26:27], 0
	v_mov_b32_e32 v4, v0
	s_waitcnt vmcnt(1)
	v_add_u32_e32 v3, v0, v1
	s_waitcnt lgkmcnt(0)
	v_mul_lo_u32 v7, s2, v3
	v_mul_lo_u32 v3, s2, v1
	s_branch .LBB33_12
.LBB33_11:                              ;   in Loop: Header=BB33_12 Depth=2
	s_or_b64 exec, exec, s[2:3]
	v_add_u32_e32 v7, v7, v3
	v_mov_b32_e32 v2, v10
	s_andn2_b64 exec, exec, s[26:27]
	s_cbranch_execz .LBB33_81
.LBB33_12:                              ;   Parent Loop BB33_6 Depth=1
                                        ; =>  This Inner Loop Header: Depth=2
	v_add_u32_e32 v4, v4, v1
	v_cmp_gt_u32_e64 s[6:7], s60, v4
	v_cmp_le_u32_e32 vcc, s60, v4
	s_waitcnt lgkmcnt(0)
	v_mov_b32_e32 v15, 0
	v_mov_b32_e32 v10, 0
	s_and_saveexec_b64 s[2:3], s[6:7]
	s_cbranch_execz .LBB33_14
; %bb.13:                               ;   in Loop: Header=BB33_12 Depth=2
	v_lshlrev_b64 v[35:36], 2, v[7:8]
	v_add_co_u32_e64 v35, s[6:7], s33, v35
	v_addc_co_u32_e64 v36, s[6:7], v21, v36, s[6:7]
	global_load_dword v10, v[35:36], off
.LBB33_14:                              ;   in Loop: Header=BB33_12 Depth=2
	s_or_b64 exec, exec, s[2:3]
	s_waitcnt vmcnt(0)
	v_xor_b32_e32 v35, 0x80000000, v2
	v_and_b32_e32 v35, v35, v33
	v_cmp_eq_u32_e64 s[18:19], v35, v25
	s_cmp_lg_u64 s[18:19], 0
	s_cselect_b64 s[2:3], -1, 0
	s_and_b64 s[2:3], s[0:1], s[2:3]
	s_and_saveexec_b64 s[28:29], s[2:3]
	s_cbranch_execz .LBB33_18
; %bb.15:                               ;   in Loop: Header=BB33_12 Depth=2
	s_mov_b64 s[30:31], exec
	v_mbcnt_lo_u32_b32 v15, s30, 0
	v_mbcnt_hi_u32_b32 v15, s31, v15
	s_bcnt1_i32_b64 s4, s[18:19]
	v_cmp_eq_u32_e64 s[6:7], 0, v15
                                        ; implicit-def: $vgpr35
	s_and_saveexec_b64 s[2:3], s[6:7]
; %bb.16:                               ;   in Loop: Header=BB33_12 Depth=2
	s_bcnt1_i32_b64 s5, s[30:31]
	s_mul_i32 s5, s4, s5
	v_mov_b32_e32 v35, s5
	ds_add_rtn_u32 v35, v8, v35 offset:4104
; %bb.17:                               ;   in Loop: Header=BB33_12 Depth=2
	s_or_b64 exec, exec, s[2:3]
	s_waitcnt lgkmcnt(0)
	v_readfirstlane_b32 s2, v35
	v_mov_b32_e32 v35, s2
	v_mad_u32_u24 v15, s4, v15, v35
.LBB33_18:                              ;   in Loop: Header=BB33_12 Depth=2
	s_or_b64 exec, exec, s[28:29]
	ds_bpermute_b32 v15, v16, v15
	s_and_b64 s[2:3], exec, vcc
	s_or_b64 s[26:27], s[2:3], s[26:27]
	s_and_saveexec_b64 s[2:3], s[18:19]
	s_cbranch_execz .LBB33_11
; %bb.19:                               ;   in Loop: Header=BB33_12 Depth=2
	v_and_b32_e32 v36, s18, v18
	v_and_b32_e32 v35, s19, v17
	v_bcnt_u32_b32 v36, v36, 0
	v_bcnt_u32_b32 v35, v35, v36
	v_lshlrev_b32_e32 v35, 2, v35
	s_waitcnt lgkmcnt(0)
	v_lshl_add_u32 v15, v15, 2, v35
	ds_write_b32 v15, v2
	s_branch .LBB33_11
.LBB33_20:                              ;   in Loop: Header=BB33_6 Depth=1
	s_mov_b64 s[22:23], -1
	s_mov_b64 s[6:7], 0
.LBB33_21:                              ;   in Loop: Header=BB33_6 Depth=1
	s_and_b64 vcc, exec, s[22:23]
	s_cbranch_vccz .LBB33_31
.LBB33_22:                              ;   in Loop: Header=BB33_6 Depth=1
	s_mov_b64 s[6:7], exec
	v_readlane_b32 s2, v46, 24
	v_readlane_b32 s3, v46, 25
	s_and_b64 s[2:3], s[6:7], s[2:3]
	s_mov_b64 exec, s[2:3]
	s_cbranch_execz .LBB33_28
; %bb.23:                               ;   in Loop: Header=BB33_6 Depth=1
	v_readlane_b32 s2, v46, 30
	v_readlane_b32 s3, v46, 31
	s_nop 4
	global_load_ushort v1, v8, s[2:3]
	global_load_dword v2, v[5:6], off
	v_mov_b32_e32 v3, v0
	s_waitcnt vmcnt(1)
	v_add_u32_e32 v7, v0, v1
	v_cmp_gt_u32_e32 vcc, s60, v7
	s_and_saveexec_b64 s[18:19], vcc
	s_cbranch_execz .LBB33_27
; %bb.24:                               ;   in Loop: Header=BB33_6 Depth=1
	v_readlane_b32 s2, v46, 20
	v_readlane_b32 s3, v46, 21
	s_load_dword s2, s[2:3], 0xe8
	v_lshlrev_b32_e32 v4, 2, v1
	s_mov_b64 s[22:23], 0
	v_mov_b32_e32 v15, v19
	v_mov_b32_e32 v3, v0
	s_waitcnt lgkmcnt(0)
	v_mul_lo_u32 v7, s2, v7
	v_mul_lo_u32 v10, s2, v1
.LBB33_25:                              ;   Parent Loop BB33_6 Depth=1
                                        ; =>  This Inner Loop Header: Depth=2
	v_lshlrev_b64 v[35:36], 2, v[7:8]
	v_mov_b32_e32 v37, s8
	v_add_co_u32_e32 v35, vcc, s33, v35
	v_addc_co_u32_e32 v36, vcc, v37, v36, vcc
	global_load_dword v35, v[35:36], off
	v_add_u32_e32 v3, v3, v1
	s_waitcnt vmcnt(1)
	ds_write_b32 v15, v2
	v_add_u32_e32 v2, v1, v3
	v_cmp_le_u32_e32 vcc, s60, v2
	v_add_u32_e32 v15, v15, v4
	v_add_u32_e32 v7, v7, v10
	s_or_b64 s[22:23], vcc, s[22:23]
	s_waitcnt vmcnt(0)
	v_mov_b32_e32 v2, v35
	s_andn2_b64 exec, exec, s[22:23]
	s_cbranch_execnz .LBB33_25
; %bb.26:                               ;   in Loop: Header=BB33_6 Depth=1
	s_or_b64 exec, exec, s[22:23]
	v_mov_b32_e32 v2, v35
.LBB33_27:                              ;   in Loop: Header=BB33_6 Depth=1
	s_or_b64 exec, exec, s[18:19]
	v_lshlrev_b32_e32 v1, 2, v3
	s_waitcnt vmcnt(0)
	ds_write_b32 v1, v2
.LBB33_28:                              ;   in Loop: Header=BB33_6 Depth=1
	s_or_b64 exec, exec, s[6:7]
	s_waitcnt lgkmcnt(0)
	s_barrier
	s_mov_b64 s[2:3], exec
	v_readlane_b32 s4, v46, 13
	v_readlane_b32 s5, v46, 14
	s_and_b64 s[4:5], s[2:3], s[4:5]
	s_mov_b64 exec, s[4:5]
; %bb.29:                               ;   in Loop: Header=BB33_6 Depth=1
	v_mov_b32_e32 v1, s60
	ds_write_b32 v8, v1 offset:4096
; %bb.30:                               ;   in Loop: Header=BB33_6 Depth=1
	s_or_b64 exec, exec, s[2:3]
	s_mov_b64 s[6:7], -1
	s_waitcnt lgkmcnt(0)
	s_barrier
.LBB33_31:                              ;   in Loop: Header=BB33_6 Depth=1
	s_mov_b32 s4, 0
	s_and_b64 vcc, exec, s[6:7]
	s_cbranch_vccz .LBB33_33
; %bb.32:                               ;   in Loop: Header=BB33_6 Depth=1
	ds_read_b32 v1, v8 offset:4096
	s_waitcnt lgkmcnt(0)
	v_readfirstlane_b32 s4, v1
.LBB33_33:                              ;   in Loop: Header=BB33_6 Depth=1
	s_cmp_lt_i32 s4, 1
	s_mov_b64 s[6:7], -1
                                        ; implicit-def: $vgpr4
	s_cbranch_scc1 .LBB33_43
; %bb.34:                               ;   in Loop: Header=BB33_6 Depth=1
	s_and_b64 vcc, exec, s[6:7]
	s_cbranch_vccnz .LBB33_54
.LBB33_35:                              ;   in Loop: Header=BB33_6 Depth=1
	s_lshl_b32 s4, s14, 6
	s_and_saveexec_b64 s[2:3], s[0:1]
.LBB33_36:                              ;   in Loop: Header=BB33_6 Depth=1
	v_lshl_add_u32 v7, s4, 2, v23
	ds_write_b128 v7, v[1:4]
.LBB33_37:                              ;   in Loop: Header=BB33_6 Depth=1
	s_or_b64 exec, exec, s[2:3]
	s_waitcnt lgkmcnt(0)
	s_barrier
	s_and_saveexec_b64 s[6:7], s[72:73]
	s_cbranch_execz .LBB33_68
; %bb.38:                               ;   in Loop: Header=BB33_6 Depth=1
	v_readlane_b32 s2, v46, 26
	v_readlane_b32 s3, v46, 27
	s_andn2_b64 vcc, exec, s[2:3]
	v_mov_b32_e32 v1, 0
	s_cbranch_vccnz .LBB33_67
; %bb.39:                               ;   in Loop: Header=BB33_6 Depth=1
	v_readlane_b32 s2, v46, 32
	v_readlane_b32 s3, v46, 33
	s_andn2_b64 vcc, exec, s[2:3]
	s_cbranch_vccnz .LBB33_63
; %bb.40:                               ;   in Loop: Header=BB33_6 Depth=1
	v_lshl_add_u32 v2, s14, 8, v32
	s_mov_b32 s2, 0
	v_mov_b32_e32 v1, 0
.LBB33_41:                              ;   Parent Loop BB33_6 Depth=1
                                        ; =>  This Inner Loop Header: Depth=2
	ds_read2_b32 v[3:4], v2 offset1:4
	ds_read2_b32 v[35:36], v2 offset0:8 offset1:12
	ds_read2_b32 v[37:38], v2 offset0:16 offset1:20
	;; [unrolled: 1-line block ×3, first 2 shown]
	s_add_i32 s2, s2, 8
	s_waitcnt lgkmcnt(3)
	v_add3_u32 v1, v3, v1, v4
	s_waitcnt lgkmcnt(2)
	v_add3_u32 v1, v35, v1, v36
	;; [unrolled: 2-line block ×3, first 2 shown]
	v_add_u32_e32 v2, 0x80, v2
	s_cmp_eq_u32 s74, s2
	s_waitcnt lgkmcnt(0)
	v_add3_u32 v1, v39, v1, v40
	s_cbranch_scc0 .LBB33_41
; %bb.42:                               ;   in Loop: Header=BB33_6 Depth=1
	s_mov_b32 s2, s74
	s_branch .LBB33_64
.LBB33_43:                              ;   in Loop: Header=BB33_6 Depth=1
	v_mov_b32_e32 v1, 0
	v_mov_b32_e32 v2, 0
	;; [unrolled: 1-line block ×4, first 2 shown]
	s_mov_b64 s[48:49], exec
	v_readlane_b32 s2, v46, 38
	v_readlane_b32 s3, v46, 39
	s_and_b64 s[2:3], s[48:49], s[2:3]
	s_mov_b64 exec, s[2:3]
	s_cbranch_execz .LBB33_47
; %bb.44:                               ;   in Loop: Header=BB33_6 Depth=1
	s_mov_b32 s2, 0
	s_mov_b64 s[50:51], 0
	s_mov_b32 s3, 0
	s_mov_b32 s5, 0
	;; [unrolled: 1-line block ×4, first 2 shown]
	v_mov_b32_e32 v10, v19
.LBB33_45:                              ;   Parent Loop BB33_6 Depth=1
                                        ; =>  This Inner Loop Header: Depth=2
	v_add_u32_e32 v7, s2, v29
	v_lshlrev_b64 v[2:3], 2, v[7:8]
	v_add_u32_e32 v7, s2, v26
	v_mov_b32_e32 v1, s8
	v_lshlrev_b64 v[35:36], 2, v[7:8]
	v_add_co_u32_e64 v2, s[6:7], s33, v2
	v_add_u32_e32 v7, s2, v27
	v_addc_co_u32_e64 v3, s[6:7], v1, v3, s[6:7]
	v_lshlrev_b64 v[37:38], 2, v[7:8]
	v_add_co_u32_e64 v35, s[6:7], s33, v35
	v_add_u32_e32 v7, s2, v28
	v_addc_co_u32_e64 v36, s[6:7], v1, v36, s[6:7]
	v_lshlrev_b64 v[39:40], 2, v[7:8]
	global_load_dword v4, v[2:3], off
	global_load_dword v7, v[35:36], off
	v_add_co_u32_e64 v2, s[6:7], s33, v37
	v_addc_co_u32_e64 v3, s[6:7], v1, v38, s[6:7]
	global_load_dword v15, v[2:3], off
	v_add_co_u32_e64 v2, s[6:7], s33, v39
	v_addc_co_u32_e64 v3, s[6:7], v1, v40, s[6:7]
	global_load_dword v1, v[2:3], off
	v_add_u32_e32 v10, s16, v10
	v_cmp_le_u32_e32 vcc, s76, v10
	s_add_i32 s2, s2, s12
	s_waitcnt vmcnt(3)
	v_xor_b32_e32 v2, 0x80000000, v4
	v_and_b32_e32 v4, v2, v33
	v_bfe_u32 v2, v2, s15, 2
	s_waitcnt vmcnt(2)
	v_xor_b32_e32 v3, 0x80000000, v7
	v_cmp_eq_u32_e64 s[6:7], v4, v25
	v_cmp_eq_u32_e64 s[18:19], 0, v2
	v_and_b32_e32 v4, v3, v33
	v_bfe_u32 v3, v3, s15, 2
	v_cmp_eq_u32_e64 s[22:23], 1, v2
	s_and_b64 s[18:19], s[6:7], s[18:19]
	s_waitcnt vmcnt(1)
	v_xor_b32_e32 v7, 0x80000000, v15
	v_cmp_eq_u32_e64 s[24:25], 2, v2
	v_cmp_eq_u32_e64 s[26:27], 3, v2
	;; [unrolled: 1-line block ×6, first 2 shown]
	v_cndmask_b32_e64 v3, 0, 1, s[18:19]
	s_and_b64 s[18:19], s[6:7], s[22:23]
	s_waitcnt vmcnt(0)
	v_xor_b32_e32 v1, 0x80000000, v1
	v_cmp_eq_u32_e64 s[28:29], v4, v25
	v_and_b32_e32 v2, v7, v33
	v_bfe_u32 v4, v7, s15, 2
	v_cndmask_b32_e64 v7, 0, 1, s[18:19]
	s_and_b64 s[18:19], s[6:7], s[24:25]
	s_and_b64 s[6:7], s[6:7], s[26:27]
	v_cndmask_b32_e64 v15, 0, 1, s[18:19]
	v_cndmask_b32_e64 v35, 0, 1, s[6:7]
	v_cmp_eq_u32_e64 s[6:7], v2, v25
	v_and_b32_e32 v2, v1, v33
	v_bfe_u32 v1, v1, s15, 2
	v_cmp_eq_u32_e64 s[18:19], 0, v4
	s_and_b64 s[30:31], s[28:29], s[30:31]
	s_and_b64 s[34:35], s[28:29], s[34:35]
	;; [unrolled: 1-line block ×4, first 2 shown]
	v_cmp_eq_u32_e64 s[22:23], 1, v4
	v_cmp_eq_u32_e64 s[24:25], 2, v4
	;; [unrolled: 1-line block ×3, first 2 shown]
	v_cndmask_b32_e64 v4, 0, 1, s[34:35]
	v_cmp_ne_u32_e64 s[34:35], 0, v15
	v_cndmask_b32_e64 v15, 0, 1, s[28:29]
	v_cmp_eq_u32_e64 s[28:29], v2, v25
	v_cmp_eq_u32_e64 s[38:39], 0, v1
	s_and_b64 s[18:19], s[6:7], s[18:19]
	v_cmp_ne_u32_e64 s[40:41], 0, v3
	v_cndmask_b32_e64 v3, 0, 1, s[30:31]
	v_cmp_ne_u32_e64 s[30:31], 0, v7
	v_cmp_eq_u32_e64 s[42:43], 1, v1
	v_cmp_eq_u32_e64 s[44:45], 2, v1
	v_cmp_eq_u32_e64 s[46:47], 3, v1
	v_cndmask_b32_e64 v1, 0, 1, s[18:19]
	s_and_b64 s[22:23], s[6:7], s[22:23]
	s_and_b64 s[24:25], s[6:7], s[24:25]
	;; [unrolled: 1-line block ×4, first 2 shown]
	v_cndmask_b32_e64 v7, 0, 1, s[36:37]
	v_cmp_ne_u32_e64 s[36:37], 0, v35
	s_bcnt1_i32_b64 s17, s[40:41]
	s_bcnt1_i32_b64 s30, s[30:31]
	v_cmp_ne_u32_e64 s[18:19], 0, v4
	v_cndmask_b32_e64 v2, 0, 1, s[22:23]
	v_cndmask_b32_e64 v4, 0, 1, s[6:7]
	v_cmp_ne_u32_e64 s[6:7], 0, v1
	v_cndmask_b32_e64 v1, 0, 1, s[26:27]
	s_and_b64 s[26:27], s[28:29], s[42:43]
	v_cmp_ne_u32_e64 s[40:41], 0, v3
	s_bcnt1_i32_b64 s31, s[34:35]
	v_cmp_ne_u32_e64 s[22:23], 0, v7
	v_cndmask_b32_e64 v3, 0, 1, s[24:25]
	s_bcnt1_i32_b64 s34, s[36:37]
	s_add_i32 s17, s11, s17
	s_bcnt1_i32_b64 s36, s[18:19]
	v_cmp_ne_u32_e64 s[18:19], 0, v2
	v_cndmask_b32_e64 v2, 0, 1, s[26:27]
	s_add_i32 s26, s10, s30
	s_and_b64 s[10:11], s[28:29], s[44:45]
	v_cmp_ne_u32_e64 s[24:25], 0, v15
	s_bcnt1_i32_b64 s27, s[22:23]
	v_cmp_ne_u32_e64 s[22:23], 0, v3
	v_cndmask_b32_e64 v3, 0, 1, s[10:11]
	s_and_b64 s[10:11], s[28:29], s[46:47]
	s_bcnt1_i32_b64 s35, s[40:41]
	s_add_i32 s5, s5, s31
	s_bcnt1_i32_b64 s30, s[24:25]
	v_cmp_ne_u32_e64 s[24:25], 0, v4
	v_cndmask_b32_e64 v4, 0, 1, s[10:11]
	s_add_i32 s3, s3, s34
	s_bcnt1_i32_b64 s10, s[6:7]
	v_cmp_ne_u32_e64 s[6:7], 0, v1
	s_add_i32 s11, s17, s35
	s_bcnt1_i32_b64 s17, s[18:19]
	v_cmp_ne_u32_e64 s[18:19], 0, v2
	;; [unrolled: 3-line block ×4, first 2 shown]
	s_add_i32 s3, s3, s30
	s_bcnt1_i32_b64 s6, s[6:7]
	s_add_i32 s7, s11, s10
	s_bcnt1_i32_b64 s10, s[18:19]
	;; [unrolled: 2-line block ×4, first 2 shown]
	s_add_i32 s3, s3, s27
	s_add_i32 s11, s7, s6
	;; [unrolled: 1-line block ×5, first 2 shown]
	s_or_b64 s[50:51], vcc, s[50:51]
	v_mov_b32_e32 v1, s11
	v_mov_b32_e32 v2, s10
	;; [unrolled: 1-line block ×4, first 2 shown]
	s_andn2_b64 exec, exec, s[50:51]
	s_cbranch_execnz .LBB33_45
; %bb.46:                               ;   in Loop: Header=BB33_6 Depth=1
	s_or_b64 exec, exec, s[50:51]
.LBB33_47:                              ;   in Loop: Header=BB33_6 Depth=1
	s_or_b64 exec, exec, s[48:49]
	s_mov_b64 s[18:19], exec
	v_readlane_b32 s2, v46, 40
	v_readlane_b32 s3, v46, 41
	s_and_b64 s[2:3], s[18:19], s[2:3]
	s_mov_b64 exec, s[2:3]
	s_cbranch_execz .LBB33_53
; %bb.48:                               ;   in Loop: Header=BB33_6 Depth=1
	global_load_dword v15, v[12:13], off
	s_mov_b64 s[22:23], 0
	v_mov_b32_e32 v7, v30
	v_mov_b32_e32 v10, v24
	s_branch .LBB33_50
.LBB33_49:                              ;   in Loop: Header=BB33_50 Depth=2
	s_or_b64 exec, exec, s[2:3]
	s_waitcnt vmcnt(0)
	v_xor_b32_e32 v15, 0x80000000, v15
	s_and_b64 s[2:3], exec, vcc
	v_and_b32_e32 v36, v15, v33
	v_bfe_u32 v15, v15, s15, 2
	s_or_b64 s[22:23], s[2:3], s[22:23]
	v_cmp_eq_u32_e32 vcc, v36, v25
	v_cmp_eq_u32_e64 s[6:7], 0, v15
	s_and_b64 s[2:3], vcc, s[6:7]
	v_cndmask_b32_e64 v36, 0, 1, s[2:3]
	v_cmp_ne_u32_e64 s[6:7], 0, v36
	s_bcnt1_i32_b64 s2, s[6:7]
	v_cmp_eq_u32_e64 s[6:7], 1, v15
	v_add_u32_e32 v1, s2, v1
	s_and_b64 s[2:3], vcc, s[6:7]
	v_cndmask_b32_e64 v36, 0, 1, s[2:3]
	v_cmp_ne_u32_e64 s[6:7], 0, v36
	s_bcnt1_i32_b64 s2, s[6:7]
	v_cmp_eq_u32_e64 s[6:7], 2, v15
	v_add_u32_e32 v2, s2, v2
	;; [unrolled: 6-line block ×3, first 2 shown]
	s_and_b64 s[2:3], vcc, s[6:7]
	v_cndmask_b32_e64 v15, 0, 1, s[2:3]
	v_cmp_ne_u32_e32 vcc, 0, v15
	s_bcnt1_i32_b64 s2, vcc
	v_add_u32_e32 v4, s2, v4
	v_add_u32_e32 v7, s75, v7
	v_mov_b32_e32 v15, v35
	s_andn2_b64 exec, exec, s[22:23]
	s_cbranch_execz .LBB33_52
.LBB33_50:                              ;   Parent Loop BB33_6 Depth=1
                                        ; =>  This Inner Loop Header: Depth=2
	v_add_u32_e32 v10, s9, v10
	v_cmp_gt_u32_e64 s[6:7], s60, v10
	v_cmp_le_u32_e32 vcc, s60, v10
	v_mov_b32_e32 v35, 0
	s_and_saveexec_b64 s[2:3], s[6:7]
	s_cbranch_execz .LBB33_49
; %bb.51:                               ;   in Loop: Header=BB33_50 Depth=2
	v_lshlrev_b64 v[35:36], 2, v[7:8]
	v_mov_b32_e32 v37, s8
	v_add_co_u32_e64 v35, s[6:7], s33, v35
	v_addc_co_u32_e64 v36, s[6:7], v37, v36, s[6:7]
	global_load_dword v35, v[35:36], off
	s_branch .LBB33_49
.LBB33_52:                              ;   in Loop: Header=BB33_6 Depth=1
	s_or_b64 exec, exec, s[22:23]
.LBB33_53:                              ;   in Loop: Header=BB33_6 Depth=1
	s_or_b64 exec, exec, s[18:19]
	s_branch .LBB33_35
.LBB33_54:                              ;   in Loop: Header=BB33_6 Depth=1
	v_readlane_b32 s2, v46, 37
	s_mul_hi_u32 s2, s4, s2
	s_mul_i32 s2, s2, s16
	s_sub_i32 s2, s4, s2
	s_sub_i32 s3, s2, s16
	s_cmp_ge_u32 s2, s16
	s_cselect_b32 s2, s3, s2
	s_sub_i32 s3, s2, s16
	s_cmp_ge_u32 s2, s16
	s_cselect_b32 s2, s3, s2
	s_sub_i32 s2, s4, s2
	v_cmp_gt_u32_e32 vcc, s2, v19
	v_mov_b32_e32 v1, 0
	v_mov_b32_e32 v2, 0
	;; [unrolled: 1-line block ×4, first 2 shown]
	s_and_saveexec_b64 s[78:79], vcc
	s_cbranch_execz .LBB33_58
; %bb.55:                               ;   in Loop: Header=BB33_6 Depth=1
	s_mov_b32 s3, 0
	s_mov_b64 s[80:81], 0
	v_mov_b32_e32 v7, v31
	s_mov_b32 s5, 0
	s_mov_b32 s10, 0
	s_mov_b32 s11, 0
	v_mov_b32_e32 v10, v19
.LBB33_56:                              ;   Parent Loop BB33_6 Depth=1
                                        ; =>  This Inner Loop Header: Depth=2
	ds_read_b128 v[1:4], v7
	v_add_u32_e32 v10, s16, v10
	v_cmp_le_u32_e32 vcc, s2, v10
	v_add_u32_e32 v7, s13, v7
	s_waitcnt lgkmcnt(0)
	v_xor_b32_e32 v1, 0x80000000, v1
	v_xor_b32_e32 v2, 0x80000000, v2
	v_and_b32_e32 v15, v1, v33
	v_bfe_u32 v1, v1, s15, 2
	v_xor_b32_e32 v3, 0x80000000, v3
	v_and_b32_e32 v35, v2, v33
	v_bfe_u32 v2, v2, s15, 2
	v_cmp_eq_u32_e64 s[6:7], v15, v25
	v_cmp_eq_u32_e64 s[26:27], 0, v1
	v_xor_b32_e32 v4, 0x80000000, v4
	v_and_b32_e32 v36, v3, v33
	v_bfe_u32 v3, v3, s15, 2
	v_cmp_eq_u32_e64 s[18:19], v35, v25
	v_cmp_eq_u32_e64 s[28:29], 0, v2
	s_and_b64 s[26:27], s[6:7], s[26:27]
	v_and_b32_e32 v37, v4, v33
	v_bfe_u32 v4, v4, s15, 2
	v_cmp_eq_u32_e64 s[22:23], v36, v25
	v_cmp_eq_u32_e64 s[30:31], 0, v3
	v_cmp_eq_u32_e64 s[36:37], 1, v1
	v_cmp_eq_u32_e64 s[44:45], 2, v1
	v_cmp_eq_u32_e64 s[52:53], 3, v1
	v_cndmask_b32_e64 v1, 0, 1, s[26:27]
	s_and_b64 s[26:27], s[18:19], s[28:29]
	v_cmp_eq_u32_e64 s[24:25], v37, v25
	v_cmp_eq_u32_e64 s[34:35], 0, v4
	;; [unrolled: 1-line block ×5, first 2 shown]
	v_cndmask_b32_e64 v2, 0, 1, s[26:27]
	s_and_b64 s[26:27], s[22:23], s[30:31]
	v_cmp_eq_u32_e64 s[40:41], 1, v3
	v_cmp_eq_u32_e64 s[48:49], 2, v3
	;; [unrolled: 1-line block ×3, first 2 shown]
	v_cndmask_b32_e64 v3, 0, 1, s[26:27]
	s_and_b64 s[26:27], s[24:25], s[34:35]
	v_cmp_eq_u32_e64 s[42:43], 1, v4
	v_cmp_eq_u32_e64 s[50:51], 2, v4
	;; [unrolled: 1-line block ×3, first 2 shown]
	v_cndmask_b32_e64 v4, 0, 1, s[26:27]
	s_and_b64 s[26:27], s[6:7], s[36:37]
	v_cndmask_b32_e64 v15, 0, 1, s[26:27]
	s_and_b64 s[26:27], s[18:19], s[38:39]
	;; [unrolled: 2-line block ×5, first 2 shown]
	s_and_b64 s[6:7], s[6:7], s[52:53]
	v_cndmask_b32_e64 v38, 0, 1, s[26:27]
	s_and_b64 s[26:27], s[18:19], s[46:47]
	v_cndmask_b32_e64 v42, 0, 1, s[6:7]
	;; [unrolled: 2-line block ×7, first 2 shown]
	v_cndmask_b32_e64 v45, 0, 1, s[6:7]
	v_cmp_ne_u32_e64 s[6:7], 0, v1
	v_cmp_ne_u32_e64 s[18:19], 0, v2
	;; [unrolled: 1-line block ×11, first 2 shown]
	s_bcnt1_i32_b64 s6, s[6:7]
	s_bcnt1_i32_b64 s7, s[18:19]
	;; [unrolled: 1-line block ×8, first 2 shown]
	v_cmp_ne_u32_e64 s[40:41], 0, v40
	v_cmp_ne_u32_e64 s[48:49], 0, v44
	s_bcnt1_i32_b64 s23, s[30:31]
	s_bcnt1_i32_b64 s26, s[38:39]
	;; [unrolled: 1-line block ×3, first 2 shown]
	s_add_i32 s6, s11, s6
	s_add_i32 s10, s10, s19
	;; [unrolled: 1-line block ×4, first 2 shown]
	v_cmp_ne_u32_e64 s[34:35], 0, v37
	v_cmp_ne_u32_e64 s[42:43], 0, v41
	;; [unrolled: 1-line block ×3, first 2 shown]
	s_bcnt1_i32_b64 s27, s[40:41]
	s_bcnt1_i32_b64 s31, s[48:49]
	s_add_i32 s6, s6, s7
	s_add_i32 s7, s10, s22
	;; [unrolled: 1-line block ×4, first 2 shown]
	s_bcnt1_i32_b64 s24, s[34:35]
	s_bcnt1_i32_b64 s28, s[42:43]
	;; [unrolled: 1-line block ×3, first 2 shown]
	s_add_i32 s6, s6, s17
	s_add_i32 s7, s7, s23
	;; [unrolled: 1-line block ×8, first 2 shown]
	s_or_b64 s[80:81], vcc, s[80:81]
	v_mov_b32_e32 v1, s11
	v_mov_b32_e32 v2, s10
	;; [unrolled: 1-line block ×4, first 2 shown]
	s_andn2_b64 exec, exec, s[80:81]
	s_cbranch_execnz .LBB33_56
; %bb.57:                               ;   in Loop: Header=BB33_6 Depth=1
	s_or_b64 exec, exec, s[80:81]
.LBB33_58:                              ;   in Loop: Header=BB33_6 Depth=1
	s_or_b64 exec, exec, s[78:79]
	v_add_u32_e32 v7, s2, v0
	v_cmp_gt_u32_e32 vcc, s4, v7
	s_and_saveexec_b64 s[28:29], vcc
	s_cbranch_execz .LBB33_62
; %bb.59:                               ;   in Loop: Header=BB33_6 Depth=1
	v_lshlrev_b32_e32 v10, 2, v7
	s_mov_b64 s[30:31], 0
.LBB33_60:                              ;   Parent Loop BB33_6 Depth=1
                                        ; =>  This Inner Loop Header: Depth=2
	ds_read_b32 v15, v10
	v_add_u32_e32 v7, s9, v7
	v_cmp_le_u32_e32 vcc, s4, v7
	v_add_u32_e32 v10, s16, v10
	s_waitcnt lgkmcnt(0)
	v_xor_b32_e32 v15, 0x80000000, v15
	v_and_b32_e32 v35, v15, v33
	v_bfe_u32 v15, v15, s15, 2
	v_cmp_eq_u32_e64 s[6:7], v35, v25
	v_cmp_eq_u32_e64 s[18:19], 0, v15
	;; [unrolled: 1-line block ×3, first 2 shown]
	s_and_b64 s[2:3], s[6:7], s[18:19]
	v_cmp_eq_u32_e64 s[24:25], 2, v15
	v_cmp_eq_u32_e64 s[26:27], 3, v15
	v_cndmask_b32_e64 v15, 0, 1, s[2:3]
	s_and_b64 s[2:3], s[6:7], s[22:23]
	v_cndmask_b32_e64 v35, 0, 1, s[2:3]
	s_and_b64 s[2:3], s[6:7], s[24:25]
	;; [unrolled: 2-line block ×3, first 2 shown]
	v_cndmask_b32_e64 v37, 0, 1, s[2:3]
	v_cmp_ne_u32_e64 s[6:7], 0, v15
	v_cmp_ne_u32_e64 s[18:19], 0, v35
	;; [unrolled: 1-line block ×4, first 2 shown]
	s_bcnt1_i32_b64 s2, s[6:7]
	s_bcnt1_i32_b64 s3, s[18:19]
	s_bcnt1_i32_b64 s5, s[22:23]
	s_bcnt1_i32_b64 s6, s[24:25]
	v_add_u32_e32 v1, s2, v1
	v_add_u32_e32 v2, s3, v2
	;; [unrolled: 1-line block ×3, first 2 shown]
	s_or_b64 s[30:31], vcc, s[30:31]
	v_add_u32_e32 v4, s6, v4
	s_andn2_b64 exec, exec, s[30:31]
	s_cbranch_execnz .LBB33_60
; %bb.61:                               ;   in Loop: Header=BB33_6 Depth=1
	s_or_b64 exec, exec, s[30:31]
.LBB33_62:                              ;   in Loop: Header=BB33_6 Depth=1
	s_or_b64 exec, exec, s[28:29]
	s_lshl_b32 s4, s14, 6
	s_and_saveexec_b64 s[2:3], s[0:1]
	s_cbranch_execnz .LBB33_36
	s_branch .LBB33_37
.LBB33_63:                              ;   in Loop: Header=BB33_6 Depth=1
	v_mov_b32_e32 v1, 0
	s_mov_b32 s2, 0
.LBB33_64:                              ;   in Loop: Header=BB33_6 Depth=1
	v_readlane_b32 s10, v46, 35
	v_readlane_b32 s11, v46, 36
	s_andn2_b64 vcc, exec, s[10:11]
	s_cbranch_vccnz .LBB33_67
; %bb.65:                               ;   in Loop: Header=BB33_6 Depth=1
	s_lshl_b32 s3, s14, 8
	s_lshl_b32 s2, s2, 4
	s_add_i32 s3, s3, s2
	v_add_u32_e32 v2, s3, v32
	v_readlane_b32 s2, v46, 34
.LBB33_66:                              ;   Parent Loop BB33_6 Depth=1
                                        ; =>  This Inner Loop Header: Depth=2
	ds_read_b32 v3, v2
	s_add_i32 s2, s2, -1
	v_add_u32_e32 v2, 16, v2
	s_cmp_lg_u32 s2, 0
	s_waitcnt lgkmcnt(0)
	v_add_u32_e32 v1, v3, v1
	s_cbranch_scc1 .LBB33_66
.LBB33_67:                              ;   in Loop: Header=BB33_6 Depth=1
	v_add_lshl_u32 v2, s4, v20, 2
	ds_write_b32 v2, v1 offset:3072
.LBB33_68:                              ;   in Loop: Header=BB33_6 Depth=1
	s_or_b64 exec, exec, s[6:7]
	s_lshl_b32 s2, s4, 2
	v_mov_b32_e32 v1, s2
	s_waitcnt lgkmcnt(0)
	s_barrier
	ds_read_b128 v[1:4], v1 offset:3072
	v_readlane_b32 s2, v46, 18
	s_lshl_b32 s10, 3, s15
	v_readlane_b32 s3, v46, 19
	s_not_b32 s11, s10
	s_waitcnt lgkmcnt(0)
	v_readfirstlane_b32 s17, v1
	v_readfirstlane_b32 s4, v2
	;; [unrolled: 1-line block ×4, first 2 shown]
	v_cmp_eq_u32_e64 s[18:19], 1, v34
	s_mov_b64 s[34:35], -1
	s_mov_b64 s[22:23], 0
	s_andn2_b64 vcc, exec, s[2:3]
	s_mov_b64 s[26:27], 0
	s_mov_b64 s[24:25], 0
                                        ; implicit-def: $sgpr28_sgpr29
                                        ; implicit-def: $sgpr30_sgpr31
                                        ; implicit-def: $vgpr35
                                        ; implicit-def: $vgpr3
                                        ; implicit-def: $vgpr10
                                        ; implicit-def: $vgpr4
                                        ; implicit-def: $vgpr2
	s_cbranch_vccnz .LBB33_231
; %bb.69:                               ;   in Loop: Header=BB33_6 Depth=1
	s_cmp_eq_u32 s17, 1
	s_cselect_b64 s[2:3], -1, 0
	s_and_b64 s[6:7], s[2:3], s[18:19]
	s_mov_b64 s[38:39], -1
	v_mov_b32_e32 v10, v25
	v_mov_b32_e32 v4, v33
	;; [unrolled: 1-line block ×3, first 2 shown]
                                        ; implicit-def: $sgpr30_sgpr31
                                        ; implicit-def: $sgpr28_sgpr29
	s_and_saveexec_b64 s[24:25], s[6:7]
	s_cbranch_execz .LBB33_98
; %bb.70:                               ;   in Loop: Header=BB33_6 Depth=1
	ds_read_b32 v1, v8 offset:4096
	s_waitcnt lgkmcnt(0)
	s_barrier
	v_readfirstlane_b32 s42, v1
	s_mov_b64 s[2:3], exec
	v_readlane_b32 s26, v46, 28
	v_readlane_b32 s27, v46, 29
	s_and_b64 s[26:27], s[2:3], s[26:27]
	s_mov_b64 exec, s[26:27]
; %bb.71:                               ;   in Loop: Header=BB33_6 Depth=1
	ds_write_b32 v22, v8
; %bb.72:                               ;   in Loop: Header=BB33_6 Depth=1
	s_or_b64 exec, exec, s[2:3]
	v_and_b32_e32 v10, s11, v25
	v_or_b32_e32 v4, s10, v33
	s_mov_b64 s[28:29], -1
	s_mov_b64 s[30:31], 0
	s_cmp_eq_u32 s42, 0
	s_mov_b64 s[26:27], 0
	s_waitcnt lgkmcnt(0)
	s_barrier
                                        ; implicit-def: $vgpr2
	s_cbranch_scc1 .LBB33_86
; %bb.73:                               ;   in Loop: Header=BB33_6 Depth=1
	s_add_i32 s2, s42, s63
	v_readlane_b32 s3, v46, 42
	s_mul_hi_u32 s3, s2, s3
	s_mul_i32 s3, s3, s9
	s_sub_i32 s3, s2, s3
	s_sub_i32 s26, s3, s9
	s_cmp_ge_u32 s3, s9
	s_cselect_b32 s3, s26, s3
	s_sub_i32 s26, s3, s9
	s_cmp_ge_u32 s3, s9
	s_cselect_b32 s3, s26, s3
	s_sub_i32 s43, s2, s3
	v_cmp_gt_u32_e32 vcc, s43, v0
	s_mov_b64 s[34:35], 0
	s_mov_b64 s[26:27], 0
                                        ; implicit-def: $vgpr2
	s_and_saveexec_b64 s[36:37], vcc
	s_cbranch_execz .LBB33_85
; %bb.74:                               ;   in Loop: Header=BB33_6 Depth=1
	v_mov_b32_e32 v3, v19
	v_mov_b32_e32 v7, v0
                                        ; implicit-def: $sgpr38_sgpr39
	s_branch .LBB33_77
.LBB33_75:                              ;   in Loop: Header=BB33_77 Depth=2
	s_or_b64 exec, exec, s[2:3]
	s_waitcnt lgkmcnt(0)
	s_barrier
	ds_read_b64 v[1:2], v8 offset:3072
	s_mov_b64 s[2:3], -1
	s_mov_b64 s[40:41], -1
	s_waitcnt lgkmcnt(0)
	s_barrier
	v_cmp_ne_u32_e32 vcc, 0, v1
	s_cbranch_vccz .LBB33_80
.LBB33_76:                              ;   in Loop: Header=BB33_77 Depth=2
	s_and_b64 s[2:3], exec, s[2:3]
	s_or_b64 s[26:27], s[2:3], s[26:27]
	s_andn2_b64 s[2:3], s[38:39], exec
	s_and_b64 s[38:39], s[40:41], exec
	s_or_b64 s[38:39], s[2:3], s[38:39]
	s_andn2_b64 exec, exec, s[26:27]
	s_cbranch_execz .LBB33_84
.LBB33_77:                              ;   Parent Loop BB33_6 Depth=1
                                        ; =>  This Inner Loop Header: Depth=2
	v_cmp_gt_u32_e32 vcc, s42, v7
	s_and_saveexec_b64 s[2:3], vcc
	s_cbranch_execz .LBB33_75
; %bb.78:                               ;   in Loop: Header=BB33_77 Depth=2
	ds_read_b32 v15, v3
	s_waitcnt lgkmcnt(0)
	v_xor_b32_e32 v1, 0x80000000, v15
	v_and_b32_e32 v1, v1, v4
	v_cmp_eq_u32_e32 vcc, v1, v10
	s_and_b64 exec, exec, vcc
	s_cbranch_execz .LBB33_75
; %bb.79:                               ;   in Loop: Header=BB33_77 Depth=2
	ds_write_b64 v8, v[14:15] offset:3072
	s_branch .LBB33_75
.LBB33_80:                              ;   in Loop: Header=BB33_77 Depth=2
	v_add_u32_e32 v7, s9, v7
	v_cmp_le_u32_e32 vcc, s43, v7
	v_add_u32_e32 v3, s16, v3
	s_mov_b64 s[40:41], 0
	s_orn2_b64 s[2:3], vcc, exec
	s_branch .LBB33_76
.LBB33_81:                              ;   in Loop: Header=BB33_6 Depth=1
	s_or_b64 exec, exec, s[24:25]
	s_waitcnt lgkmcnt(0)
	s_barrier
	s_mov_b64 s[2:3], exec
	v_readlane_b32 s4, v46, 13
	v_readlane_b32 s5, v46, 14
	s_and_b64 s[4:5], s[2:3], s[4:5]
	s_mov_b64 exec, s[4:5]
	s_cbranch_execz .LBB33_83
; %bb.82:                               ;   in Loop: Header=BB33_6 Depth=1
	ds_read_b32 v1, v8 offset:4104
	s_waitcnt lgkmcnt(0)
	ds_write_b32 v8, v1 offset:4096
.LBB33_83:                              ;   in Loop: Header=BB33_6 Depth=1
	s_or_b64 exec, exec, s[2:3]
	s_waitcnt lgkmcnt(0)
	s_barrier
	s_mov_b64 s[6:7], -1
	s_and_b64 vcc, exec, s[22:23]
	s_cbranch_vccnz .LBB33_22
	s_branch .LBB33_31
.LBB33_84:                              ;   in Loop: Header=BB33_6 Depth=1
	s_or_b64 exec, exec, s[26:27]
	s_and_b64 s[26:27], s[38:39], exec
.LBB33_85:                              ;   in Loop: Header=BB33_6 Depth=1
	s_or_b64 exec, exec, s[36:37]
.LBB33_86:                              ;   in Loop: Header=BB33_6 Depth=1
	s_and_b64 vcc, exec, s[34:35]
	s_cbranch_vccz .LBB33_97
; %bb.87:                               ;   in Loop: Header=BB33_6 Depth=1
                                        ; implicit-def: $vgpr2
	s_mov_b64 s[28:29], exec
	v_readlane_b32 s2, v46, 43
	v_readlane_b32 s3, v46, 44
	s_and_b64 s[2:3], s[28:29], s[2:3]
	s_mov_b64 exec, s[2:3]
	s_cbranch_execz .LBB33_96
; %bb.88:                               ;   in Loop: Header=BB33_6 Depth=1
	s_mov_b64 s[30:31], 0
	v_mov_b32_e32 v7, v9
	v_mov_b32_e32 v3, v0
                                        ; implicit-def: $sgpr34_sgpr35
	s_branch .LBB33_91
.LBB33_89:                              ;   in Loop: Header=BB33_91 Depth=2
	s_or_b64 exec, exec, s[36:37]
	s_waitcnt lgkmcnt(0)
	s_barrier
	ds_read_b64 v[1:2], v8 offset:3072
	s_mov_b64 s[2:3], -1
	s_mov_b64 s[36:37], -1
	s_waitcnt lgkmcnt(0)
	s_barrier
	v_cmp_ne_u32_e32 vcc, 0, v1
	s_cbranch_vccz .LBB33_94
.LBB33_90:                              ;   in Loop: Header=BB33_91 Depth=2
	s_and_b64 s[2:3], exec, s[2:3]
	s_or_b64 s[30:31], s[2:3], s[30:31]
	s_andn2_b64 s[2:3], s[34:35], exec
	s_and_b64 s[34:35], s[36:37], exec
	s_or_b64 s[34:35], s[2:3], s[34:35]
	s_andn2_b64 exec, exec, s[30:31]
	s_cbranch_execz .LBB33_95
.LBB33_91:                              ;   Parent Loop BB33_6 Depth=1
                                        ; =>  This Inner Loop Header: Depth=2
	v_cmp_gt_u32_e32 vcc, s60, v3
	s_and_saveexec_b64 s[36:37], vcc
	s_cbranch_execz .LBB33_89
; %bb.92:                               ;   in Loop: Header=BB33_91 Depth=2
	v_lshlrev_b64 v[1:2], 2, v[7:8]
	v_mov_b32_e32 v15, s8
	v_add_co_u32_e32 v1, vcc, s33, v1
	v_addc_co_u32_e32 v2, vcc, v15, v2, vcc
	global_load_dword v15, v[1:2], off
	s_waitcnt vmcnt(0)
	v_xor_b32_e32 v1, 0x80000000, v15
	v_and_b32_e32 v1, v1, v4
	v_cmp_eq_u32_e32 vcc, v1, v10
	s_and_b64 exec, exec, vcc
	s_cbranch_execz .LBB33_89
; %bb.93:                               ;   in Loop: Header=BB33_91 Depth=2
	ds_write_b64 v8, v[14:15] offset:3072
	s_branch .LBB33_89
.LBB33_94:                              ;   in Loop: Header=BB33_91 Depth=2
	v_add_u32_e32 v3, s9, v3
	v_cmp_le_u32_e32 vcc, s77, v3
	v_add_u32_e32 v7, s75, v7
	s_mov_b64 s[36:37], 0
	s_orn2_b64 s[2:3], vcc, exec
	s_branch .LBB33_90
.LBB33_95:                              ;   in Loop: Header=BB33_6 Depth=1
	s_or_b64 exec, exec, s[30:31]
	s_andn2_b64 s[2:3], s[26:27], exec
	s_and_b64 s[26:27], s[34:35], exec
	s_or_b64 s[26:27], s[2:3], s[26:27]
.LBB33_96:                              ;   in Loop: Header=BB33_6 Depth=1
	s_or_b64 exec, exec, s[28:29]
	s_mov_b64 s[28:29], 0
	s_mov_b64 s[30:31], -1
.LBB33_97:                              ;   in Loop: Header=BB33_6 Depth=1
	s_orn2_b64 s[38:39], s[26:27], exec
.LBB33_98:                              ;   in Loop: Header=BB33_6 Depth=1
	s_or_b64 exec, exec, s[24:25]
	s_mov_b64 s[34:35], 0
	s_mov_b64 s[26:27], 0
	;; [unrolled: 1-line block ×3, first 2 shown]
                                        ; implicit-def: $vgpr35
                                        ; implicit-def: $vgpr3
	s_and_saveexec_b64 s[36:37], s[38:39]
	s_cbranch_execz .LBB33_230
; %bb.99:                               ;   in Loop: Header=BB33_6 Depth=1
	s_xor_b64 s[2:3], s[6:7], -1
	s_mov_b64 s[40:41], 0
	v_mov_b32_e32 v35, 1
	v_mov_b32_e32 v3, 1
	s_and_saveexec_b64 s[6:7], s[2:3]
	s_cbranch_execz .LBB33_108
; %bb.100:                              ;   in Loop: Header=BB33_6 Depth=1
	v_cmp_ge_u32_e32 vcc, s17, v34
	s_and_saveexec_b64 s[2:3], vcc
	s_xor_b64 s[24:25], exec, s[2:3]
	s_cbranch_execz .LBB33_105
; %bb.101:                              ;   in Loop: Header=BB33_6 Depth=1
	ds_read_b32 v1, v8 offset:4096
	v_and_b32_e32 v10, s11, v10
	v_or_b32_e32 v4, s10, v4
	s_waitcnt lgkmcnt(0)
	v_cmp_ne_u32_e32 vcc, 0, v1
	s_cbranch_vccnz .LBB33_105
; %bb.102:                              ;   in Loop: Header=BB33_6 Depth=1
	s_mov_b64 s[2:3], exec
	v_readlane_b32 s26, v46, 13
	v_readlane_b32 s27, v46, 14
	s_and_b64 s[26:27], s[2:3], s[26:27]
	s_mov_b64 exec, s[26:27]
; %bb.103:                              ;   in Loop: Header=BB33_6 Depth=1
	v_mov_b32_e32 v1, s17
	ds_write_b32 v8, v1 offset:4100
; %bb.104:                              ;   in Loop: Header=BB33_6 Depth=1
	s_or_b64 exec, exec, s[2:3]
	s_waitcnt lgkmcnt(0)
	s_barrier
.LBB33_105:                             ;   in Loop: Header=BB33_6 Depth=1
	s_or_saveexec_b64 s[24:25], s[24:25]
	s_mov_b64 s[26:27], 0
	v_mov_b32_e32 v3, 8
	v_mov_b32_e32 v35, v34
	s_xor_b64 exec, exec, s[24:25]
; %bb.106:                              ;   in Loop: Header=BB33_6 Depth=1
	s_mov_b64 s[26:27], exec
	v_subrev_u32_e32 v35, s17, v34
	v_mov_b32_e32 v3, 0
; %bb.107:                              ;   in Loop: Header=BB33_6 Depth=1
	s_or_b64 exec, exec, s[24:25]
	s_and_b64 s[40:41], s[26:27], exec
.LBB33_108:                             ;   in Loop: Header=BB33_6 Depth=1
	s_or_b64 exec, exec, s[6:7]
	s_mov_b64 s[38:39], -1
                                        ; implicit-def: $sgpr24_sgpr25
                                        ; implicit-def: $sgpr26_sgpr27
	s_and_saveexec_b64 s[2:3], s[40:41]
	s_xor_b64 s[6:7], exec, s[2:3]
	s_cbranch_execz .LBB33_227
; %bb.109:                              ;   in Loop: Header=BB33_6 Depth=1
	s_cmp_eq_u32 s4, 1
	s_cselect_b64 s[2:3], -1, 0
	v_cmp_eq_u32_e32 vcc, 1, v35
	s_and_b64 s[40:41], s[2:3], vcc
	s_mov_b64 s[42:43], -1
                                        ; implicit-def: $sgpr26_sgpr27
                                        ; implicit-def: $sgpr24_sgpr25
	s_and_saveexec_b64 s[38:39], s[40:41]
	s_cbranch_execz .LBB33_135
; %bb.110:                              ;   in Loop: Header=BB33_6 Depth=1
	ds_read_b32 v1, v8 offset:4096
	s_waitcnt lgkmcnt(0)
	s_barrier
	v_readfirstlane_b32 s52, v1
	s_mov_b64 s[2:3], exec
	v_readlane_b32 s24, v46, 28
	v_readlane_b32 s25, v46, 29
	s_and_b64 s[24:25], s[2:3], s[24:25]
	s_mov_b64 exec, s[24:25]
; %bb.111:                              ;   in Loop: Header=BB33_6 Depth=1
	ds_write_b32 v22, v8
; %bb.112:                              ;   in Loop: Header=BB33_6 Depth=1
	s_or_b64 exec, exec, s[2:3]
	v_and_b32_e32 v1, s11, v10
	v_lshl_or_b32 v10, 1, s15, v1
	v_or_b32_e32 v4, s10, v4
	s_mov_b64 s[24:25], -1
	s_mov_b64 s[26:27], 0
	s_cmp_eq_u32 s52, 0
	s_mov_b64 s[42:43], 0
	s_mov_b64 s[44:45], -1
	s_waitcnt lgkmcnt(0)
	s_barrier
                                        ; implicit-def: $vgpr2
	s_cbranch_scc1 .LBB33_123
; %bb.113:                              ;   in Loop: Header=BB33_6 Depth=1
	s_add_i32 s2, s52, s63
	v_readlane_b32 s3, v46, 42
	s_mul_hi_u32 s3, s2, s3
	s_mul_i32 s3, s3, s9
	s_sub_i32 s3, s2, s3
	s_sub_i32 s42, s3, s9
	s_cmp_ge_u32 s3, s9
	s_cselect_b32 s3, s42, s3
	s_sub_i32 s42, s3, s9
	s_cmp_ge_u32 s3, s9
	s_cselect_b32 s3, s42, s3
	s_sub_i32 s53, s2, s3
	v_cmp_gt_u32_e32 vcc, s53, v0
	s_mov_b64 s[44:45], 0
	s_mov_b64 s[42:43], 0
                                        ; implicit-def: $vgpr2
	s_and_saveexec_b64 s[46:47], vcc
	s_cbranch_execz .LBB33_122
; %bb.114:                              ;   in Loop: Header=BB33_6 Depth=1
	v_mov_b32_e32 v7, v19
	v_mov_b32_e32 v36, v0
                                        ; implicit-def: $sgpr48_sgpr49
	s_branch .LBB33_117
.LBB33_115:                             ;   in Loop: Header=BB33_117 Depth=2
	s_or_b64 exec, exec, s[50:51]
	s_waitcnt lgkmcnt(0)
	s_barrier
	ds_read_b64 v[1:2], v8 offset:3072
	s_mov_b64 s[2:3], -1
	s_mov_b64 s[50:51], -1
	s_waitcnt lgkmcnt(0)
	s_barrier
	v_cmp_ne_u32_e32 vcc, 0, v1
	s_cbranch_vccz .LBB33_120
.LBB33_116:                             ;   in Loop: Header=BB33_117 Depth=2
	s_and_b64 s[2:3], exec, s[2:3]
	s_or_b64 s[42:43], s[2:3], s[42:43]
	s_andn2_b64 s[2:3], s[48:49], exec
	s_and_b64 s[48:49], s[50:51], exec
	s_or_b64 s[48:49], s[2:3], s[48:49]
	s_andn2_b64 exec, exec, s[42:43]
	s_cbranch_execz .LBB33_121
.LBB33_117:                             ;   Parent Loop BB33_6 Depth=1
                                        ; =>  This Inner Loop Header: Depth=2
	v_cmp_gt_u32_e32 vcc, s52, v36
	s_and_saveexec_b64 s[50:51], vcc
	s_cbranch_execz .LBB33_115
; %bb.118:                              ;   in Loop: Header=BB33_117 Depth=2
	ds_read_b32 v15, v7
	s_waitcnt lgkmcnt(0)
	v_xor_b32_e32 v1, 0x80000000, v15
	v_and_b32_e32 v1, v1, v4
	v_cmp_eq_u32_e32 vcc, v1, v10
	s_and_b64 exec, exec, vcc
	s_cbranch_execz .LBB33_115
; %bb.119:                              ;   in Loop: Header=BB33_117 Depth=2
	ds_write_b64 v8, v[14:15] offset:3072
	s_branch .LBB33_115
.LBB33_120:                             ;   in Loop: Header=BB33_117 Depth=2
	v_add_u32_e32 v36, s9, v36
	v_cmp_le_u32_e32 vcc, s53, v36
	v_add_u32_e32 v7, s16, v7
	s_mov_b64 s[50:51], 0
	s_orn2_b64 s[2:3], vcc, exec
	s_branch .LBB33_116
.LBB33_121:                             ;   in Loop: Header=BB33_6 Depth=1
	s_or_b64 exec, exec, s[42:43]
	s_and_b64 s[42:43], s[48:49], exec
.LBB33_122:                             ;   in Loop: Header=BB33_6 Depth=1
	s_or_b64 exec, exec, s[46:47]
.LBB33_123:                             ;   in Loop: Header=BB33_6 Depth=1
	s_and_b64 vcc, exec, s[44:45]
	s_cbranch_vccz .LBB33_134
; %bb.124:                              ;   in Loop: Header=BB33_6 Depth=1
                                        ; implicit-def: $vgpr2
	s_mov_b64 s[24:25], exec
	v_readlane_b32 s2, v46, 43
	v_readlane_b32 s3, v46, 44
	s_and_b64 s[2:3], s[24:25], s[2:3]
	s_mov_b64 exec, s[2:3]
	s_cbranch_execz .LBB33_133
; %bb.125:                              ;   in Loop: Header=BB33_6 Depth=1
	s_mov_b64 s[26:27], 0
	v_mov_b32_e32 v7, v9
	v_mov_b32_e32 v36, v0
                                        ; implicit-def: $sgpr44_sgpr45
	s_branch .LBB33_128
.LBB33_126:                             ;   in Loop: Header=BB33_128 Depth=2
	s_or_b64 exec, exec, s[46:47]
	s_waitcnt lgkmcnt(0)
	s_barrier
	ds_read_b64 v[1:2], v8 offset:3072
	s_mov_b64 s[2:3], -1
	s_mov_b64 s[46:47], -1
	s_waitcnt lgkmcnt(0)
	s_barrier
	v_cmp_eq_u32_e32 vcc, 0, v1
	s_cbranch_vccnz .LBB33_131
.LBB33_127:                             ;   in Loop: Header=BB33_128 Depth=2
	s_and_b64 s[2:3], exec, s[2:3]
	s_or_b64 s[26:27], s[2:3], s[26:27]
	s_andn2_b64 s[2:3], s[44:45], exec
	s_and_b64 s[44:45], s[46:47], exec
	s_or_b64 s[44:45], s[2:3], s[44:45]
	s_andn2_b64 exec, exec, s[26:27]
	s_cbranch_execz .LBB33_132
.LBB33_128:                             ;   Parent Loop BB33_6 Depth=1
                                        ; =>  This Inner Loop Header: Depth=2
	v_cmp_gt_u32_e32 vcc, s60, v36
	s_and_saveexec_b64 s[46:47], vcc
	s_cbranch_execz .LBB33_126
; %bb.129:                              ;   in Loop: Header=BB33_128 Depth=2
	v_lshlrev_b64 v[1:2], 2, v[7:8]
	v_mov_b32_e32 v15, s8
	v_add_co_u32_e32 v1, vcc, s33, v1
	v_addc_co_u32_e32 v2, vcc, v15, v2, vcc
	global_load_dword v15, v[1:2], off
	s_waitcnt vmcnt(0)
	v_xor_b32_e32 v1, 0x80000000, v15
	v_and_b32_e32 v1, v1, v4
	v_cmp_eq_u32_e32 vcc, v1, v10
	s_and_b64 exec, exec, vcc
	s_cbranch_execz .LBB33_126
; %bb.130:                              ;   in Loop: Header=BB33_128 Depth=2
	ds_write_b64 v8, v[14:15] offset:3072
	s_branch .LBB33_126
.LBB33_131:                             ;   in Loop: Header=BB33_128 Depth=2
	v_add_u32_e32 v36, s9, v36
	v_cmp_le_u32_e32 vcc, s77, v36
	v_add_u32_e32 v7, s75, v7
	s_mov_b64 s[46:47], 0
	s_orn2_b64 s[2:3], vcc, exec
	s_branch .LBB33_127
.LBB33_132:                             ;   in Loop: Header=BB33_6 Depth=1
	s_or_b64 exec, exec, s[26:27]
	s_andn2_b64 s[2:3], s[42:43], exec
	s_and_b64 s[26:27], s[44:45], exec
	s_or_b64 s[42:43], s[2:3], s[26:27]
.LBB33_133:                             ;   in Loop: Header=BB33_6 Depth=1
	s_or_b64 exec, exec, s[24:25]
	s_mov_b64 s[24:25], 0
	s_mov_b64 s[26:27], -1
.LBB33_134:                             ;   in Loop: Header=BB33_6 Depth=1
	s_orn2_b64 s[42:43], s[42:43], exec
.LBB33_135:                             ;   in Loop: Header=BB33_6 Depth=1
	s_or_b64 exec, exec, s[38:39]
	s_mov_b64 s[44:45], 0
	s_and_saveexec_b64 s[38:39], s[42:43]
	s_cbranch_execz .LBB33_226
; %bb.136:                              ;   in Loop: Header=BB33_6 Depth=1
	s_xor_b64 s[2:3], s[40:41], -1
	s_mov_b64 s[48:49], 0
	v_mov_b32_e32 v36, 1
	v_mov_b32_e32 v3, 1
	s_and_saveexec_b64 s[40:41], s[2:3]
	s_cbranch_execz .LBB33_145
; %bb.137:                              ;   in Loop: Header=BB33_6 Depth=1
	v_cmp_ge_u32_e32 vcc, s4, v35
	s_and_saveexec_b64 s[2:3], vcc
	s_xor_b64 s[42:43], exec, s[2:3]
	s_cbranch_execz .LBB33_142
; %bb.138:                              ;   in Loop: Header=BB33_6 Depth=1
	ds_read_b32 v1, v8 offset:4096
	v_and_b32_e32 v3, s11, v10
	v_lshl_or_b32 v10, 1, s15, v3
	v_or_b32_e32 v4, s10, v4
	s_waitcnt lgkmcnt(0)
	v_cmp_ne_u32_e32 vcc, 0, v1
	s_cbranch_vccnz .LBB33_142
; %bb.139:                              ;   in Loop: Header=BB33_6 Depth=1
	s_mov_b64 s[2:3], exec
	v_readlane_b32 s44, v46, 13
	v_readlane_b32 s45, v46, 14
	s_and_b64 s[44:45], s[2:3], s[44:45]
	s_mov_b64 exec, s[44:45]
; %bb.140:                              ;   in Loop: Header=BB33_6 Depth=1
	v_mov_b32_e32 v1, s4
	ds_write_b32 v8, v1 offset:4100
; %bb.141:                              ;   in Loop: Header=BB33_6 Depth=1
	s_or_b64 exec, exec, s[2:3]
	s_waitcnt lgkmcnt(0)
	s_barrier
.LBB33_142:                             ;   in Loop: Header=BB33_6 Depth=1
	s_or_saveexec_b64 s[42:43], s[42:43]
	s_mov_b64 s[44:45], 0
	v_mov_b32_e32 v3, 8
	s_xor_b64 exec, exec, s[42:43]
; %bb.143:                              ;   in Loop: Header=BB33_6 Depth=1
	s_mov_b64 s[44:45], exec
	v_subrev_u32_e32 v35, s4, v35
	v_mov_b32_e32 v3, 0
; %bb.144:                              ;   in Loop: Header=BB33_6 Depth=1
	s_or_b64 exec, exec, s[42:43]
	s_and_b64 s[48:49], s[44:45], exec
	v_mov_b32_e32 v36, v35
.LBB33_145:                             ;   in Loop: Header=BB33_6 Depth=1
	s_or_b64 exec, exec, s[40:41]
	s_mov_b64 s[46:47], -1
                                        ; implicit-def: $sgpr42_sgpr43
                                        ; implicit-def: $sgpr44_sgpr45
	s_and_saveexec_b64 s[40:41], s[48:49]
	s_cbranch_execz .LBB33_225
; %bb.146:                              ;   in Loop: Header=BB33_6 Depth=1
	s_cmp_eq_u32 s5, 1
	s_cselect_b64 s[2:3], -1, 0
	v_cmp_eq_u32_e32 vcc, 1, v36
	s_and_b64 s[48:49], s[2:3], vcc
	s_mov_b64 s[50:51], -1
                                        ; implicit-def: $sgpr44_sgpr45
                                        ; implicit-def: $sgpr42_sgpr43
	s_and_saveexec_b64 s[46:47], s[48:49]
	s_cbranch_execz .LBB33_173
; %bb.147:                              ;   in Loop: Header=BB33_6 Depth=1
	ds_read_b32 v1, v8 offset:4096
	s_mov_b32 s79, s63
	s_waitcnt lgkmcnt(0)
	s_barrier
	v_readfirstlane_b32 s63, v1
	s_mov_b64 s[2:3], exec
	v_readlane_b32 s42, v46, 28
	v_readlane_b32 s43, v46, 29
	s_and_b64 s[42:43], s[2:3], s[42:43]
	s_mov_b64 exec, s[42:43]
; %bb.148:                              ;   in Loop: Header=BB33_6 Depth=1
	ds_write_b32 v22, v8
; %bb.149:                              ;   in Loop: Header=BB33_6 Depth=1
	s_or_b64 exec, exec, s[2:3]
	v_and_b32_e32 v1, s11, v10
	v_lshl_or_b32 v10, 2, s15, v1
	v_or_b32_e32 v4, s10, v4
	s_mov_b64 s[42:43], -1
	s_mov_b64 s[44:45], 0
	s_cmp_eq_u32 s63, 0
	s_mov_b64 s[50:51], 0
	s_mov_b64 s[52:53], -1
	s_waitcnt lgkmcnt(0)
	s_barrier
                                        ; implicit-def: $vgpr2
	s_cbranch_scc1 .LBB33_160
; %bb.150:                              ;   in Loop: Header=BB33_6 Depth=1
	s_add_i32 s2, s63, s79
	v_readlane_b32 s3, v46, 42
	s_mul_hi_u32 s3, s2, s3
	s_mul_i32 s3, s3, s9
	s_sub_i32 s3, s2, s3
	s_sub_i32 s50, s3, s9
	s_cmp_ge_u32 s3, s9
	s_cselect_b32 s3, s50, s3
	s_sub_i32 s50, s3, s9
	s_cmp_ge_u32 s3, s9
	s_cselect_b32 s3, s50, s3
	s_sub_i32 s78, s2, s3
	v_cmp_gt_u32_e32 vcc, s78, v0
	s_mov_b64 s[52:53], 0
	s_mov_b64 s[50:51], 0
                                        ; implicit-def: $vgpr2
	s_and_saveexec_b64 s[54:55], vcc
	s_cbranch_execz .LBB33_159
; %bb.151:                              ;   in Loop: Header=BB33_6 Depth=1
	v_mov_b32_e32 v7, v19
	v_mov_b32_e32 v35, v0
                                        ; implicit-def: $sgpr56_sgpr57
	s_branch .LBB33_154
.LBB33_152:                             ;   in Loop: Header=BB33_154 Depth=2
	s_or_b64 exec, exec, s[58:59]
	s_waitcnt lgkmcnt(0)
	s_barrier
	ds_read_b64 v[1:2], v8 offset:3072
	s_mov_b64 s[2:3], -1
	s_mov_b64 s[58:59], -1
	s_waitcnt lgkmcnt(0)
	s_barrier
	v_cmp_ne_u32_e32 vcc, 0, v1
	s_cbranch_vccz .LBB33_157
.LBB33_153:                             ;   in Loop: Header=BB33_154 Depth=2
	s_and_b64 s[2:3], exec, s[2:3]
	s_or_b64 s[50:51], s[2:3], s[50:51]
	s_andn2_b64 s[2:3], s[56:57], exec
	s_and_b64 s[56:57], s[58:59], exec
	s_or_b64 s[56:57], s[2:3], s[56:57]
	s_andn2_b64 exec, exec, s[50:51]
	s_cbranch_execz .LBB33_158
.LBB33_154:                             ;   Parent Loop BB33_6 Depth=1
                                        ; =>  This Inner Loop Header: Depth=2
	v_cmp_gt_u32_e32 vcc, s63, v35
	s_and_saveexec_b64 s[58:59], vcc
	s_cbranch_execz .LBB33_152
; %bb.155:                              ;   in Loop: Header=BB33_154 Depth=2
	ds_read_b32 v15, v7
	s_waitcnt lgkmcnt(0)
	v_xor_b32_e32 v1, 0x80000000, v15
	v_and_b32_e32 v1, v1, v4
	v_cmp_eq_u32_e32 vcc, v1, v10
	s_and_b64 exec, exec, vcc
	s_cbranch_execz .LBB33_152
; %bb.156:                              ;   in Loop: Header=BB33_154 Depth=2
	ds_write_b64 v8, v[14:15] offset:3072
	s_branch .LBB33_152
.LBB33_157:                             ;   in Loop: Header=BB33_154 Depth=2
	v_add_u32_e32 v35, s9, v35
	v_cmp_le_u32_e32 vcc, s78, v35
	v_add_u32_e32 v7, s16, v7
	s_mov_b64 s[58:59], 0
	s_orn2_b64 s[2:3], vcc, exec
	s_branch .LBB33_153
.LBB33_158:                             ;   in Loop: Header=BB33_6 Depth=1
	s_or_b64 exec, exec, s[50:51]
	s_and_b64 s[50:51], s[56:57], exec
.LBB33_159:                             ;   in Loop: Header=BB33_6 Depth=1
	s_or_b64 exec, exec, s[54:55]
.LBB33_160:                             ;   in Loop: Header=BB33_6 Depth=1
	s_and_b64 vcc, exec, s[52:53]
	s_cbranch_vccz .LBB33_169
; %bb.161:                              ;   in Loop: Header=BB33_6 Depth=1
                                        ; implicit-def: $vgpr2
	s_mov_b64 s[42:43], exec
	v_readlane_b32 s2, v46, 43
	v_readlane_b32 s3, v46, 44
	s_and_b64 s[2:3], s[42:43], s[2:3]
	s_mov_b32 s63, s79
	s_mov_b64 exec, s[2:3]
	s_cbranch_execz .LBB33_171
; %bb.162:                              ;   in Loop: Header=BB33_6 Depth=1
	s_mov_b64 s[44:45], 0
	v_mov_b32_e32 v7, v9
	v_mov_b32_e32 v35, v0
                                        ; implicit-def: $sgpr52_sgpr53
	s_branch .LBB33_165
.LBB33_163:                             ;   in Loop: Header=BB33_165 Depth=2
	s_or_b64 exec, exec, s[54:55]
	s_waitcnt lgkmcnt(0)
	s_barrier
	ds_read_b64 v[1:2], v8 offset:3072
	s_mov_b64 s[2:3], -1
	s_mov_b64 s[54:55], -1
	s_waitcnt lgkmcnt(0)
	s_barrier
	v_cmp_eq_u32_e32 vcc, 0, v1
	s_cbranch_vccnz .LBB33_168
.LBB33_164:                             ;   in Loop: Header=BB33_165 Depth=2
	s_and_b64 s[2:3], exec, s[2:3]
	s_or_b64 s[44:45], s[2:3], s[44:45]
	s_andn2_b64 s[2:3], s[52:53], exec
	s_and_b64 s[52:53], s[54:55], exec
	s_or_b64 s[52:53], s[2:3], s[52:53]
	s_andn2_b64 exec, exec, s[44:45]
	s_cbranch_execz .LBB33_170
.LBB33_165:                             ;   Parent Loop BB33_6 Depth=1
                                        ; =>  This Inner Loop Header: Depth=2
	v_cmp_gt_u32_e32 vcc, s60, v35
	s_and_saveexec_b64 s[54:55], vcc
	s_cbranch_execz .LBB33_163
; %bb.166:                              ;   in Loop: Header=BB33_165 Depth=2
	v_lshlrev_b64 v[1:2], 2, v[7:8]
	v_mov_b32_e32 v15, s8
	v_add_co_u32_e32 v1, vcc, s33, v1
	v_addc_co_u32_e32 v2, vcc, v15, v2, vcc
	global_load_dword v15, v[1:2], off
	s_waitcnt vmcnt(0)
	v_xor_b32_e32 v1, 0x80000000, v15
	v_and_b32_e32 v1, v1, v4
	v_cmp_eq_u32_e32 vcc, v1, v10
	s_and_b64 exec, exec, vcc
	s_cbranch_execz .LBB33_163
; %bb.167:                              ;   in Loop: Header=BB33_165 Depth=2
	ds_write_b64 v8, v[14:15] offset:3072
	s_branch .LBB33_163
.LBB33_168:                             ;   in Loop: Header=BB33_165 Depth=2
	v_add_u32_e32 v35, s9, v35
	v_cmp_le_u32_e32 vcc, s77, v35
	v_add_u32_e32 v7, s75, v7
	s_mov_b64 s[54:55], 0
	s_orn2_b64 s[2:3], vcc, exec
	s_branch .LBB33_164
.LBB33_169:                             ;   in Loop: Header=BB33_6 Depth=1
	s_mov_b32 s63, s79
	s_branch .LBB33_172
.LBB33_170:                             ;   in Loop: Header=BB33_6 Depth=1
	s_or_b64 exec, exec, s[44:45]
	s_andn2_b64 s[2:3], s[50:51], exec
	s_and_b64 s[44:45], s[52:53], exec
	s_or_b64 s[50:51], s[2:3], s[44:45]
.LBB33_171:                             ;   in Loop: Header=BB33_6 Depth=1
	s_or_b64 exec, exec, s[42:43]
	s_mov_b64 s[42:43], 0
	s_mov_b64 s[44:45], -1
.LBB33_172:                             ;   in Loop: Header=BB33_6 Depth=1
	s_orn2_b64 s[50:51], s[50:51], exec
.LBB33_173:                             ;   in Loop: Header=BB33_6 Depth=1
	s_or_b64 exec, exec, s[46:47]
	s_mov_b64 s[52:53], 0
	s_and_saveexec_b64 s[46:47], s[50:51]
	s_cbranch_execz .LBB33_224
; %bb.174:                              ;   in Loop: Header=BB33_6 Depth=1
	s_xor_b64 s[2:3], s[48:49], -1
	s_mov_b64 s[56:57], 0
	v_mov_b32_e32 v35, 1
	v_mov_b32_e32 v3, 1
	s_and_saveexec_b64 s[48:49], s[2:3]
	s_cbranch_execz .LBB33_183
; %bb.175:                              ;   in Loop: Header=BB33_6 Depth=1
	v_cmp_ge_u32_e32 vcc, s5, v36
	s_and_saveexec_b64 s[2:3], vcc
	s_xor_b64 s[50:51], exec, s[2:3]
	s_cbranch_execz .LBB33_180
; %bb.176:                              ;   in Loop: Header=BB33_6 Depth=1
	ds_read_b32 v1, v8 offset:4096
	v_and_b32_e32 v3, s11, v10
	v_lshl_or_b32 v10, 2, s15, v3
	v_or_b32_e32 v4, s10, v4
	s_waitcnt lgkmcnt(0)
	v_cmp_ne_u32_e32 vcc, 0, v1
	s_cbranch_vccnz .LBB33_180
; %bb.177:                              ;   in Loop: Header=BB33_6 Depth=1
	s_mov_b64 s[2:3], exec
	v_readlane_b32 s52, v46, 13
	v_readlane_b32 s53, v46, 14
	s_and_b64 s[52:53], s[2:3], s[52:53]
	s_mov_b64 exec, s[52:53]
; %bb.178:                              ;   in Loop: Header=BB33_6 Depth=1
	v_mov_b32_e32 v1, s5
	ds_write_b32 v8, v1 offset:4100
; %bb.179:                              ;   in Loop: Header=BB33_6 Depth=1
	s_or_b64 exec, exec, s[2:3]
	s_waitcnt lgkmcnt(0)
	s_barrier
.LBB33_180:                             ;   in Loop: Header=BB33_6 Depth=1
	s_or_saveexec_b64 s[50:51], s[50:51]
	s_mov_b64 s[52:53], 0
	v_mov_b32_e32 v3, 8
	s_xor_b64 exec, exec, s[50:51]
; %bb.181:                              ;   in Loop: Header=BB33_6 Depth=1
	s_mov_b64 s[52:53], exec
	v_subrev_u32_e32 v36, s5, v36
	v_mov_b32_e32 v3, 0
; %bb.182:                              ;   in Loop: Header=BB33_6 Depth=1
	s_or_b64 exec, exec, s[50:51]
	s_and_b64 s[56:57], s[52:53], exec
	v_mov_b32_e32 v35, v36
.LBB33_183:                             ;   in Loop: Header=BB33_6 Depth=1
	s_or_b64 exec, exec, s[48:49]
	s_mov_b64 s[54:55], -1
                                        ; implicit-def: $sgpr52_sgpr53
                                        ; implicit-def: $sgpr2_sgpr3
                                        ; kill: killed $sgpr2_sgpr3
	s_and_saveexec_b64 s[48:49], s[56:57]
	s_cbranch_execz .LBB33_223
; %bb.184:                              ;   in Loop: Header=BB33_6 Depth=1
	s_cmp_eq_u32 s62, 1
	s_cselect_b64 s[2:3], -1, 0
	v_cmp_eq_u32_e32 vcc, 1, v35
	s_and_b64 s[50:51], s[2:3], vcc
	s_mov_b64 s[58:59], -1
	v_writelane_b32 v46, s50, 47
                                        ; implicit-def: $sgpr52_sgpr53
                                        ; implicit-def: $sgpr2_sgpr3
                                        ; kill: killed $sgpr2_sgpr3
	v_writelane_b32 v46, s51, 48
	s_and_saveexec_b64 s[56:57], s[50:51]
	s_cbranch_execz .LBB33_211
; %bb.185:                              ;   in Loop: Header=BB33_6 Depth=1
	ds_read_b32 v1, v8 offset:4096
	v_writelane_b32 v46, s63, 49
	s_waitcnt lgkmcnt(0)
	s_barrier
	v_readfirstlane_b32 s63, v1
	s_mov_b64 s[2:3], exec
	v_readlane_b32 s50, v46, 28
	v_readlane_b32 s51, v46, 29
	s_and_b64 s[50:51], s[2:3], s[50:51]
	s_mov_b64 exec, s[50:51]
; %bb.186:                              ;   in Loop: Header=BB33_6 Depth=1
	ds_write_b32 v22, v8
; %bb.187:                              ;   in Loop: Header=BB33_6 Depth=1
	s_or_b64 exec, exec, s[2:3]
	s_mov_b64 s[2:3], -1
	v_or_b32_e32 v10, s10, v10
	v_or_b32_e32 v4, s10, v4
	v_writelane_b32 v46, s2, 45
	s_mov_b64 s[52:53], 0
	s_cmp_eq_u32 s63, 0
	s_mov_b64 s[58:59], 0
	s_mov_b64 s[78:79], -1
	s_waitcnt lgkmcnt(0)
	s_barrier
	v_writelane_b32 v46, s3, 46
                                        ; implicit-def: $vgpr2
	s_cbranch_scc1 .LBB33_198
; %bb.188:                              ;   in Loop: Header=BB33_6 Depth=1
	v_readlane_b32 s2, v46, 49
	s_add_i32 s2, s63, s2
	v_readlane_b32 s3, v46, 42
	s_mul_hi_u32 s3, s2, s3
	s_mul_i32 s3, s3, s9
	s_sub_i32 s3, s2, s3
	s_sub_i32 s50, s3, s9
	s_cmp_ge_u32 s3, s9
	s_cselect_b32 s3, s50, s3
	s_sub_i32 s50, s3, s9
	s_cmp_ge_u32 s3, s9
	s_cselect_b32 s3, s50, s3
	s_sub_i32 s50, s2, s3
	v_cmp_gt_u32_e32 vcc, s50, v0
	s_mov_b64 s[78:79], 0
                                        ; implicit-def: $vgpr2
	s_and_saveexec_b64 s[80:81], vcc
	s_cbranch_execz .LBB33_197
; %bb.189:                              ;   in Loop: Header=BB33_6 Depth=1
	v_mov_b32_e32 v7, v19
	v_mov_b32_e32 v36, v0
                                        ; implicit-def: $sgpr82_sgpr83
	s_branch .LBB33_192
.LBB33_190:                             ;   in Loop: Header=BB33_192 Depth=2
	s_or_b64 exec, exec, s[2:3]
	s_waitcnt lgkmcnt(0)
	s_barrier
	ds_read_b64 v[1:2], v8 offset:3072
	s_mov_b64 s[2:3], -1
	s_mov_b64 s[54:55], -1
	s_waitcnt lgkmcnt(0)
	s_barrier
	v_cmp_ne_u32_e32 vcc, 0, v1
	s_cbranch_vccz .LBB33_195
.LBB33_191:                             ;   in Loop: Header=BB33_192 Depth=2
	s_and_b64 s[2:3], exec, s[2:3]
	s_or_b64 s[58:59], s[2:3], s[58:59]
	s_andn2_b64 s[2:3], s[82:83], exec
	s_and_b64 s[54:55], s[54:55], exec
	s_or_b64 s[82:83], s[2:3], s[54:55]
	s_andn2_b64 exec, exec, s[58:59]
	s_cbranch_execz .LBB33_196
.LBB33_192:                             ;   Parent Loop BB33_6 Depth=1
                                        ; =>  This Inner Loop Header: Depth=2
	v_cmp_gt_u32_e32 vcc, s63, v36
	s_and_saveexec_b64 s[2:3], vcc
	s_cbranch_execz .LBB33_190
; %bb.193:                              ;   in Loop: Header=BB33_192 Depth=2
	ds_read_b32 v15, v7
	s_waitcnt lgkmcnt(0)
	v_xor_b32_e32 v1, 0x80000000, v15
	v_and_b32_e32 v1, v1, v4
	v_cmp_eq_u32_e32 vcc, v1, v10
	s_and_b64 exec, exec, vcc
	s_cbranch_execz .LBB33_190
; %bb.194:                              ;   in Loop: Header=BB33_192 Depth=2
	ds_write_b64 v8, v[14:15] offset:3072
	s_branch .LBB33_190
.LBB33_195:                             ;   in Loop: Header=BB33_192 Depth=2
	v_add_u32_e32 v36, s9, v36
	v_cmp_le_u32_e32 vcc, s50, v36
	v_add_u32_e32 v7, s16, v7
	s_mov_b64 s[54:55], 0
	s_orn2_b64 s[2:3], vcc, exec
	s_branch .LBB33_191
.LBB33_196:                             ;   in Loop: Header=BB33_6 Depth=1
	s_or_b64 exec, exec, s[58:59]
	s_and_b64 s[58:59], s[82:83], exec
.LBB33_197:                             ;   in Loop: Header=BB33_6 Depth=1
	s_or_b64 exec, exec, s[80:81]
.LBB33_198:                             ;   in Loop: Header=BB33_6 Depth=1
	s_and_b64 vcc, exec, s[78:79]
	s_cbranch_vccz .LBB33_207
; %bb.199:                              ;   in Loop: Header=BB33_6 Depth=1
                                        ; implicit-def: $vgpr2
	s_mov_b64 s[50:51], exec
	v_readlane_b32 s2, v46, 43
	v_readlane_b32 s3, v46, 44
	s_and_b64 s[2:3], s[50:51], s[2:3]
	v_readlane_b32 s63, v46, 49
	s_mov_b64 exec, s[2:3]
	s_cbranch_execz .LBB33_209
; %bb.200:                              ;   in Loop: Header=BB33_6 Depth=1
	s_mov_b64 s[52:53], 0
	v_mov_b32_e32 v7, v9
	v_mov_b32_e32 v36, v0
                                        ; implicit-def: $sgpr78_sgpr79
	s_branch .LBB33_203
.LBB33_201:                             ;   in Loop: Header=BB33_203 Depth=2
	s_or_b64 exec, exec, s[80:81]
	s_waitcnt lgkmcnt(0)
	s_barrier
	ds_read_b64 v[1:2], v8 offset:3072
	s_mov_b64 s[2:3], -1
	s_mov_b64 s[54:55], -1
	s_waitcnt lgkmcnt(0)
	s_barrier
	v_cmp_eq_u32_e32 vcc, 0, v1
	s_cbranch_vccnz .LBB33_206
.LBB33_202:                             ;   in Loop: Header=BB33_203 Depth=2
	s_and_b64 s[2:3], exec, s[2:3]
	s_or_b64 s[52:53], s[2:3], s[52:53]
	s_andn2_b64 s[2:3], s[78:79], exec
	s_and_b64 s[54:55], s[54:55], exec
	s_or_b64 s[78:79], s[2:3], s[54:55]
	s_andn2_b64 exec, exec, s[52:53]
	s_cbranch_execz .LBB33_208
.LBB33_203:                             ;   Parent Loop BB33_6 Depth=1
                                        ; =>  This Inner Loop Header: Depth=2
	v_cmp_gt_u32_e32 vcc, s60, v36
	s_and_saveexec_b64 s[80:81], vcc
	s_cbranch_execz .LBB33_201
; %bb.204:                              ;   in Loop: Header=BB33_203 Depth=2
	v_lshlrev_b64 v[1:2], 2, v[7:8]
	v_mov_b32_e32 v15, s8
	v_add_co_u32_e32 v1, vcc, s33, v1
	v_addc_co_u32_e32 v2, vcc, v15, v2, vcc
	global_load_dword v15, v[1:2], off
	s_waitcnt vmcnt(0)
	v_xor_b32_e32 v1, 0x80000000, v15
	v_and_b32_e32 v1, v1, v4
	v_cmp_eq_u32_e32 vcc, v1, v10
	s_and_b64 exec, exec, vcc
	s_cbranch_execz .LBB33_201
; %bb.205:                              ;   in Loop: Header=BB33_203 Depth=2
	ds_write_b64 v8, v[14:15] offset:3072
	s_branch .LBB33_201
.LBB33_206:                             ;   in Loop: Header=BB33_203 Depth=2
	v_add_u32_e32 v36, s9, v36
	v_cmp_le_u32_e32 vcc, s77, v36
	v_add_u32_e32 v7, s75, v7
	s_mov_b64 s[54:55], 0
	s_orn2_b64 s[2:3], vcc, exec
	s_branch .LBB33_202
.LBB33_207:                             ;   in Loop: Header=BB33_6 Depth=1
	v_readlane_b32 s63, v46, 49
	s_branch .LBB33_210
.LBB33_208:                             ;   in Loop: Header=BB33_6 Depth=1
	s_or_b64 exec, exec, s[52:53]
	s_andn2_b64 s[2:3], s[58:59], exec
	s_and_b64 s[52:53], s[78:79], exec
	s_or_b64 s[58:59], s[2:3], s[52:53]
.LBB33_209:                             ;   in Loop: Header=BB33_6 Depth=1
	s_or_b64 exec, exec, s[50:51]
	s_mov_b64 s[2:3], 0
	v_writelane_b32 v46, s2, 45
	v_writelane_b32 v46, s3, 46
	s_mov_b64 s[52:53], -1
.LBB33_210:                             ;   in Loop: Header=BB33_6 Depth=1
	s_orn2_b64 s[58:59], s[58:59], exec
.LBB33_211:                             ;   in Loop: Header=BB33_6 Depth=1
	s_or_b64 exec, exec, s[56:57]
	s_mov_b64 s[78:79], 0
	s_and_saveexec_b64 s[56:57], s[58:59]
	s_cbranch_execz .LBB33_222
; %bb.212:                              ;   in Loop: Header=BB33_6 Depth=1
	v_readlane_b32 s2, v46, 47
	v_readlane_b32 s3, v46, 48
	s_xor_b64 s[2:3], s[2:3], -1
	v_mov_b32_e32 v3, 1
	v_mov_b32_e32 v1, 1
	s_and_saveexec_b64 s[54:55], s[2:3]
	s_cbranch_execz .LBB33_221
; %bb.213:                              ;   in Loop: Header=BB33_6 Depth=1
	v_cmp_ge_u32_e32 vcc, s62, v35
	s_and_saveexec_b64 s[2:3], vcc
	s_xor_b64 s[58:59], exec, s[2:3]
	s_cbranch_execz .LBB33_218
; %bb.214:                              ;   in Loop: Header=BB33_6 Depth=1
	ds_read_b32 v1, v8 offset:4096
	v_or_b32_e32 v10, s10, v10
	v_or_b32_e32 v4, s10, v4
	s_waitcnt lgkmcnt(0)
	v_cmp_ne_u32_e32 vcc, 0, v1
	s_cbranch_vccnz .LBB33_218
; %bb.215:                              ;   in Loop: Header=BB33_6 Depth=1
	s_mov_b64 s[2:3], exec
	v_readlane_b32 s50, v46, 13
	v_readlane_b32 s51, v46, 14
	s_and_b64 s[50:51], s[2:3], s[50:51]
	s_mov_b64 exec, s[50:51]
; %bb.216:                              ;   in Loop: Header=BB33_6 Depth=1
	v_mov_b32_e32 v1, s62
	ds_write_b32 v8, v1 offset:4100
; %bb.217:                              ;   in Loop: Header=BB33_6 Depth=1
	s_or_b64 exec, exec, s[2:3]
	s_waitcnt lgkmcnt(0)
	s_barrier
.LBB33_218:                             ;   in Loop: Header=BB33_6 Depth=1
	s_andn2_saveexec_b64 s[2:3], s[58:59]
; %bb.219:                              ;   in Loop: Header=BB33_6 Depth=1
	v_subrev_u32_e32 v35, s62, v35
; %bb.220:                              ;   in Loop: Header=BB33_6 Depth=1
	s_or_b64 exec, exec, s[2:3]
	v_mov_b32_e32 v3, 8
	v_mov_b32_e32 v1, v35
.LBB33_221:                             ;   in Loop: Header=BB33_6 Depth=1
	s_or_b64 exec, exec, s[54:55]
	s_mov_b64 s[78:79], exec
	v_mov_b32_e32 v35, v1
.LBB33_222:                             ;   in Loop: Header=BB33_6 Depth=1
	s_or_b64 exec, exec, s[56:57]
	s_orn2_b64 s[54:55], s[78:79], exec
.LBB33_223:                             ;   in Loop: Header=BB33_6 Depth=1
	s_or_b64 exec, exec, s[48:49]
	s_andn2_b64 s[2:3], s[44:45], exec
	s_and_b64 s[44:45], s[52:53], exec
	s_or_b64 s[44:45], s[2:3], s[44:45]
	s_andn2_b64 s[2:3], s[42:43], exec
	v_readlane_b32 s42, v46, 45
	v_readlane_b32 s43, v46, 46
	s_and_b64 s[42:43], s[42:43], exec
	s_or_b64 s[42:43], s[2:3], s[42:43]
	s_and_b64 s[52:53], s[54:55], exec
	v_mov_b32_e32 v36, v35
.LBB33_224:                             ;   in Loop: Header=BB33_6 Depth=1
	s_or_b64 exec, exec, s[46:47]
	s_orn2_b64 s[46:47], s[52:53], exec
.LBB33_225:                             ;   in Loop: Header=BB33_6 Depth=1
	s_or_b64 exec, exec, s[40:41]
	s_andn2_b64 s[2:3], s[26:27], exec
	s_and_b64 s[26:27], s[44:45], exec
	s_or_b64 s[26:27], s[2:3], s[26:27]
	s_andn2_b64 s[2:3], s[24:25], exec
	s_and_b64 s[24:25], s[42:43], exec
	s_or_b64 s[24:25], s[2:3], s[24:25]
	s_and_b64 s[44:45], s[46:47], exec
	v_mov_b32_e32 v35, v36
.LBB33_226:                             ;   in Loop: Header=BB33_6 Depth=1
	s_or_b64 exec, exec, s[38:39]
	s_orn2_b64 s[38:39], s[44:45], exec
.LBB33_227:                             ;   in Loop: Header=BB33_6 Depth=1
	s_or_b64 exec, exec, s[6:7]
	s_mov_b64 s[6:7], 0
	s_mov_b64 s[40:41], 0
	s_and_saveexec_b64 s[2:3], s[38:39]
	s_xor_b64 s[2:3], exec, s[2:3]
; %bb.228:                              ;   in Loop: Header=BB33_6 Depth=1
	v_cmp_eq_u32_e32 vcc, 8, v3
	v_cmp_ne_u32_e64 s[6:7], 8, v3
	s_and_b64 s[40:41], s[6:7], exec
	s_and_b64 s[6:7], vcc, exec
; %bb.229:                              ;   in Loop: Header=BB33_6 Depth=1
	s_or_b64 exec, exec, s[2:3]
	s_andn2_b64 s[2:3], s[30:31], exec
	s_and_b64 s[26:27], s[26:27], exec
	s_or_b64 s[30:31], s[2:3], s[26:27]
	s_andn2_b64 s[2:3], s[28:29], exec
	s_and_b64 s[24:25], s[24:25], exec
	s_or_b64 s[28:29], s[2:3], s[24:25]
	s_and_b64 s[24:25], s[40:41], exec
	s_and_b64 s[26:27], s[6:7], exec
.LBB33_230:                             ;   in Loop: Header=BB33_6 Depth=1
	s_or_b64 exec, exec, s[36:37]
.LBB33_231:                             ;   in Loop: Header=BB33_6 Depth=1
	s_and_b64 vcc, exec, s[34:35]
	s_cbranch_vccz .LBB33_244
; %bb.232:                              ;   in Loop: Header=BB33_6 Depth=1
	s_cmp_eq_u32 s62, 1
	s_cselect_b64 s[2:3], -1, 0
	s_and_b64 s[6:7], s[2:3], s[18:19]
	s_mov_b64 s[30:31], -1
                                        ; implicit-def: $sgpr18_sgpr19
                                        ; implicit-def: $sgpr22_sgpr23
	s_and_saveexec_b64 s[28:29], s[6:7]
	s_cbranch_execz .LBB33_259
; %bb.233:                              ;   in Loop: Header=BB33_6 Depth=1
	ds_read_b32 v1, v8 offset:4096
	s_waitcnt lgkmcnt(0)
	s_barrier
	v_readfirstlane_b32 s42, v1
	s_mov_b64 s[2:3], exec
	v_readlane_b32 s18, v46, 28
	v_readlane_b32 s19, v46, 29
	s_and_b64 s[18:19], s[2:3], s[18:19]
	s_mov_b64 exec, s[18:19]
; %bb.234:                              ;   in Loop: Header=BB33_6 Depth=1
	ds_write_b32 v22, v8
; %bb.235:                              ;   in Loop: Header=BB33_6 Depth=1
	s_or_b64 exec, exec, s[2:3]
	v_or_b32_e32 v25, s10, v25
	v_or_b32_e32 v33, s10, v33
	s_mov_b64 s[22:23], -1
	s_mov_b64 s[18:19], 0
	s_cmp_eq_u32 s42, 0
	s_mov_b64 s[30:31], 0
	s_mov_b64 s[34:35], -1
	s_waitcnt lgkmcnt(0)
	s_barrier
                                        ; implicit-def: $vgpr11
	s_cbranch_scc1 .LBB33_247
; %bb.236:                              ;   in Loop: Header=BB33_6 Depth=1
	s_add_i32 s2, s42, s63
	v_readlane_b32 s3, v46, 42
	s_mul_hi_u32 s3, s2, s3
	s_mul_i32 s3, s3, s9
	s_sub_i32 s3, s2, s3
	s_sub_i32 s30, s3, s9
	s_cmp_ge_u32 s3, s9
	s_cselect_b32 s3, s30, s3
	s_sub_i32 s30, s3, s9
	s_cmp_ge_u32 s3, s9
	s_cselect_b32 s3, s30, s3
	s_sub_i32 s43, s2, s3
	v_cmp_gt_u32_e32 vcc, s43, v0
	s_mov_b64 s[34:35], 0
	s_mov_b64 s[30:31], 0
                                        ; implicit-def: $vgpr11
	s_and_saveexec_b64 s[36:37], vcc
	s_cbranch_execz .LBB33_246
; %bb.237:                              ;   in Loop: Header=BB33_6 Depth=1
	v_mov_b32_e32 v1, v19
	v_mov_b32_e32 v2, v0
                                        ; implicit-def: $sgpr38_sgpr39
	s_branch .LBB33_240
.LBB33_238:                             ;   in Loop: Header=BB33_240 Depth=2
	s_or_b64 exec, exec, s[40:41]
	s_waitcnt lgkmcnt(0)
	s_barrier
	ds_read_b64 v[10:11], v8 offset:3072
	s_mov_b64 s[2:3], -1
	s_mov_b64 s[40:41], -1
	s_waitcnt lgkmcnt(0)
	s_barrier
	v_cmp_ne_u32_e32 vcc, 0, v10
	s_cbranch_vccz .LBB33_243
.LBB33_239:                             ;   in Loop: Header=BB33_240 Depth=2
	s_and_b64 s[2:3], exec, s[2:3]
	s_or_b64 s[30:31], s[2:3], s[30:31]
	s_andn2_b64 s[2:3], s[38:39], exec
	s_and_b64 s[38:39], s[40:41], exec
	s_or_b64 s[38:39], s[2:3], s[38:39]
	s_andn2_b64 exec, exec, s[30:31]
	s_cbranch_execz .LBB33_245
.LBB33_240:                             ;   Parent Loop BB33_6 Depth=1
                                        ; =>  This Inner Loop Header: Depth=2
	v_cmp_gt_u32_e32 vcc, s42, v2
	s_and_saveexec_b64 s[40:41], vcc
	s_cbranch_execz .LBB33_238
; %bb.241:                              ;   in Loop: Header=BB33_240 Depth=2
	ds_read_b32 v15, v1
	s_waitcnt lgkmcnt(0)
	v_xor_b32_e32 v3, 0x80000000, v15
	v_and_b32_e32 v3, v3, v33
	v_cmp_eq_u32_e32 vcc, v3, v25
	s_and_b64 exec, exec, vcc
	s_cbranch_execz .LBB33_238
; %bb.242:                              ;   in Loop: Header=BB33_240 Depth=2
	ds_write_b64 v8, v[14:15] offset:3072
	s_branch .LBB33_238
.LBB33_243:                             ;   in Loop: Header=BB33_240 Depth=2
	v_add_u32_e32 v2, s9, v2
	v_cmp_le_u32_e32 vcc, s43, v2
	v_add_u32_e32 v1, s16, v1
	s_mov_b64 s[40:41], 0
	s_orn2_b64 s[2:3], vcc, exec
	s_branch .LBB33_239
.LBB33_244:                             ;   in Loop: Header=BB33_6 Depth=1
	s_mov_b64 s[18:19], 0
	v_mov_b32_e32 v25, v10
	v_mov_b32_e32 v33, v4
	;; [unrolled: 1-line block ×3, first 2 shown]
	s_and_saveexec_b64 s[2:3], s[26:27]
	s_cbranch_execnz .LBB33_390
	s_branch .LBB33_391
.LBB33_245:                             ;   in Loop: Header=BB33_6 Depth=1
	s_or_b64 exec, exec, s[30:31]
	s_and_b64 s[30:31], s[38:39], exec
.LBB33_246:                             ;   in Loop: Header=BB33_6 Depth=1
	s_or_b64 exec, exec, s[36:37]
.LBB33_247:                             ;   in Loop: Header=BB33_6 Depth=1
	s_and_b64 vcc, exec, s[34:35]
	s_cbranch_vccz .LBB33_258
; %bb.248:                              ;   in Loop: Header=BB33_6 Depth=1
                                        ; implicit-def: $vgpr11
	s_mov_b64 s[18:19], exec
	v_readlane_b32 s2, v46, 43
	v_readlane_b32 s3, v46, 44
	s_and_b64 s[2:3], s[18:19], s[2:3]
	s_mov_b64 exec, s[2:3]
	s_cbranch_execz .LBB33_257
; %bb.249:                              ;   in Loop: Header=BB33_6 Depth=1
	s_mov_b64 s[22:23], 0
	v_mov_b32_e32 v7, v9
	v_mov_b32_e32 v1, v0
                                        ; implicit-def: $sgpr34_sgpr35
	s_branch .LBB33_252
.LBB33_250:                             ;   in Loop: Header=BB33_252 Depth=2
	s_or_b64 exec, exec, s[36:37]
	s_waitcnt lgkmcnt(0)
	s_barrier
	ds_read_b64 v[10:11], v8 offset:3072
	s_mov_b64 s[2:3], -1
	s_mov_b64 s[36:37], -1
	s_waitcnt lgkmcnt(0)
	s_barrier
	v_cmp_ne_u32_e32 vcc, 0, v10
	s_cbranch_vccz .LBB33_255
.LBB33_251:                             ;   in Loop: Header=BB33_252 Depth=2
	s_and_b64 s[2:3], exec, s[2:3]
	s_or_b64 s[22:23], s[2:3], s[22:23]
	s_andn2_b64 s[2:3], s[34:35], exec
	s_and_b64 s[34:35], s[36:37], exec
	s_or_b64 s[34:35], s[2:3], s[34:35]
	s_andn2_b64 exec, exec, s[22:23]
	s_cbranch_execz .LBB33_256
.LBB33_252:                             ;   Parent Loop BB33_6 Depth=1
                                        ; =>  This Inner Loop Header: Depth=2
	v_cmp_gt_u32_e32 vcc, s60, v1
	s_and_saveexec_b64 s[36:37], vcc
	s_cbranch_execz .LBB33_250
; %bb.253:                              ;   in Loop: Header=BB33_252 Depth=2
	v_lshlrev_b64 v[2:3], 2, v[7:8]
	v_mov_b32_e32 v4, s8
	v_add_co_u32_e32 v2, vcc, s33, v2
	v_addc_co_u32_e32 v3, vcc, v4, v3, vcc
	global_load_dword v15, v[2:3], off
	s_waitcnt vmcnt(0)
	v_xor_b32_e32 v2, 0x80000000, v15
	v_and_b32_e32 v2, v2, v33
	v_cmp_eq_u32_e32 vcc, v2, v25
	s_and_b64 exec, exec, vcc
	s_cbranch_execz .LBB33_250
; %bb.254:                              ;   in Loop: Header=BB33_252 Depth=2
	ds_write_b64 v8, v[14:15] offset:3072
	s_branch .LBB33_250
.LBB33_255:                             ;   in Loop: Header=BB33_252 Depth=2
	v_add_u32_e32 v1, s9, v1
	v_cmp_le_u32_e32 vcc, s77, v1
	v_add_u32_e32 v7, s75, v7
	s_mov_b64 s[36:37], 0
	s_orn2_b64 s[2:3], vcc, exec
	s_branch .LBB33_251
.LBB33_256:                             ;   in Loop: Header=BB33_6 Depth=1
	s_or_b64 exec, exec, s[22:23]
	s_andn2_b64 s[2:3], s[30:31], exec
	s_and_b64 s[22:23], s[34:35], exec
	s_or_b64 s[30:31], s[2:3], s[22:23]
.LBB33_257:                             ;   in Loop: Header=BB33_6 Depth=1
	s_or_b64 exec, exec, s[18:19]
	s_mov_b64 s[22:23], 0
	s_mov_b64 s[18:19], -1
.LBB33_258:                             ;   in Loop: Header=BB33_6 Depth=1
	s_orn2_b64 s[30:31], s[30:31], exec
.LBB33_259:                             ;   in Loop: Header=BB33_6 Depth=1
	s_or_b64 exec, exec, s[28:29]
                                        ; implicit-def: $vgpr35
                                        ; implicit-def: $vgpr3
	s_and_saveexec_b64 s[28:29], s[30:31]
	s_cbranch_execz .LBB33_389
; %bb.260:                              ;   in Loop: Header=BB33_6 Depth=1
	s_xor_b64 s[2:3], s[6:7], -1
	s_mov_b64 s[38:39], 0
	v_mov_b32_e32 v35, 1
	v_mov_b32_e32 v3, 1
	s_and_saveexec_b64 s[6:7], s[2:3]
	s_cbranch_execz .LBB33_269
; %bb.261:                              ;   in Loop: Header=BB33_6 Depth=1
	v_cmp_ge_u32_e32 vcc, s62, v34
	s_and_saveexec_b64 s[2:3], vcc
	s_xor_b64 s[30:31], exec, s[2:3]
	s_cbranch_execz .LBB33_266
; %bb.262:                              ;   in Loop: Header=BB33_6 Depth=1
	ds_read_b32 v1, v8 offset:4096
	v_or_b32_e32 v25, s10, v25
	v_or_b32_e32 v33, s10, v33
	s_waitcnt lgkmcnt(0)
	v_cmp_ne_u32_e32 vcc, 0, v1
	s_cbranch_vccnz .LBB33_266
; %bb.263:                              ;   in Loop: Header=BB33_6 Depth=1
	s_mov_b64 s[2:3], exec
	v_readlane_b32 s34, v46, 13
	v_readlane_b32 s35, v46, 14
	s_and_b64 s[34:35], s[2:3], s[34:35]
	s_mov_b64 exec, s[34:35]
; %bb.264:                              ;   in Loop: Header=BB33_6 Depth=1
	v_mov_b32_e32 v1, s62
	ds_write_b32 v8, v1 offset:4100
; %bb.265:                              ;   in Loop: Header=BB33_6 Depth=1
	s_or_b64 exec, exec, s[2:3]
	s_waitcnt lgkmcnt(0)
	s_barrier
.LBB33_266:                             ;   in Loop: Header=BB33_6 Depth=1
	s_or_saveexec_b64 s[30:31], s[30:31]
	s_mov_b64 s[34:35], 0
	v_mov_b32_e32 v3, 5
	s_xor_b64 exec, exec, s[30:31]
; %bb.267:                              ;   in Loop: Header=BB33_6 Depth=1
	s_mov_b64 s[34:35], exec
	v_subrev_u32_e32 v34, s62, v34
	v_mov_b32_e32 v3, 0
; %bb.268:                              ;   in Loop: Header=BB33_6 Depth=1
	s_or_b64 exec, exec, s[30:31]
	s_and_b64 s[38:39], s[34:35], exec
	v_mov_b32_e32 v35, v34
.LBB33_269:                             ;   in Loop: Header=BB33_6 Depth=1
	s_or_b64 exec, exec, s[6:7]
	s_mov_b64 s[36:37], -1
                                        ; implicit-def: $sgpr30_sgpr31
                                        ; implicit-def: $sgpr34_sgpr35
	s_and_saveexec_b64 s[2:3], s[38:39]
	s_xor_b64 s[6:7], exec, s[2:3]
	s_cbranch_execz .LBB33_386
; %bb.270:                              ;   in Loop: Header=BB33_6 Depth=1
	s_cmp_eq_u32 s5, 1
	s_cselect_b64 s[2:3], -1, 0
	v_cmp_eq_u32_e32 vcc, 1, v35
	s_and_b64 s[38:39], s[2:3], vcc
	s_mov_b64 s[40:41], -1
                                        ; implicit-def: $sgpr34_sgpr35
                                        ; implicit-def: $sgpr30_sgpr31
	s_and_saveexec_b64 s[36:37], s[38:39]
	s_cbranch_execz .LBB33_296
; %bb.271:                              ;   in Loop: Header=BB33_6 Depth=1
	ds_read_b32 v1, v8 offset:4096
	s_waitcnt lgkmcnt(0)
	s_barrier
	v_readfirstlane_b32 s50, v1
	s_mov_b64 s[2:3], exec
	v_readlane_b32 s30, v46, 28
	v_readlane_b32 s31, v46, 29
	s_and_b64 s[30:31], s[2:3], s[30:31]
	s_mov_b64 exec, s[30:31]
; %bb.272:                              ;   in Loop: Header=BB33_6 Depth=1
	ds_write_b32 v22, v8
; %bb.273:                              ;   in Loop: Header=BB33_6 Depth=1
	s_or_b64 exec, exec, s[2:3]
	v_and_b32_e32 v1, s11, v25
	v_lshl_or_b32 v25, 2, s15, v1
	v_or_b32_e32 v33, s10, v33
	s_mov_b64 s[30:31], -1
	s_mov_b64 s[34:35], 0
	s_cmp_eq_u32 s50, 0
	s_mov_b64 s[40:41], 0
	s_mov_b64 s[42:43], -1
	s_waitcnt lgkmcnt(0)
	s_barrier
                                        ; implicit-def: $vgpr11
	s_cbranch_scc1 .LBB33_284
; %bb.274:                              ;   in Loop: Header=BB33_6 Depth=1
	s_add_i32 s2, s50, s63
	v_readlane_b32 s3, v46, 42
	s_mul_hi_u32 s3, s2, s3
	s_mul_i32 s3, s3, s9
	s_sub_i32 s3, s2, s3
	s_sub_i32 s40, s3, s9
	s_cmp_ge_u32 s3, s9
	s_cselect_b32 s3, s40, s3
	s_sub_i32 s40, s3, s9
	s_cmp_ge_u32 s3, s9
	s_cselect_b32 s3, s40, s3
	s_sub_i32 s51, s2, s3
	v_cmp_gt_u32_e32 vcc, s51, v0
	s_mov_b64 s[42:43], 0
	s_mov_b64 s[40:41], 0
                                        ; implicit-def: $vgpr11
	s_and_saveexec_b64 s[44:45], vcc
	s_cbranch_execz .LBB33_283
; %bb.275:                              ;   in Loop: Header=BB33_6 Depth=1
	v_mov_b32_e32 v1, v19
	v_mov_b32_e32 v2, v0
                                        ; implicit-def: $sgpr46_sgpr47
	s_branch .LBB33_278
.LBB33_276:                             ;   in Loop: Header=BB33_278 Depth=2
	s_or_b64 exec, exec, s[48:49]
	s_waitcnt lgkmcnt(0)
	s_barrier
	ds_read_b64 v[10:11], v8 offset:3072
	s_mov_b64 s[2:3], -1
	s_mov_b64 s[48:49], -1
	s_waitcnt lgkmcnt(0)
	s_barrier
	v_cmp_ne_u32_e32 vcc, 0, v10
	s_cbranch_vccz .LBB33_281
.LBB33_277:                             ;   in Loop: Header=BB33_278 Depth=2
	s_and_b64 s[2:3], exec, s[2:3]
	s_or_b64 s[40:41], s[2:3], s[40:41]
	s_andn2_b64 s[2:3], s[46:47], exec
	s_and_b64 s[46:47], s[48:49], exec
	s_or_b64 s[46:47], s[2:3], s[46:47]
	s_andn2_b64 exec, exec, s[40:41]
	s_cbranch_execz .LBB33_282
.LBB33_278:                             ;   Parent Loop BB33_6 Depth=1
                                        ; =>  This Inner Loop Header: Depth=2
	v_cmp_gt_u32_e32 vcc, s50, v2
	s_and_saveexec_b64 s[48:49], vcc
	s_cbranch_execz .LBB33_276
; %bb.279:                              ;   in Loop: Header=BB33_278 Depth=2
	ds_read_b32 v15, v1
	s_waitcnt lgkmcnt(0)
	v_xor_b32_e32 v4, 0x80000000, v15
	v_and_b32_e32 v4, v4, v33
	v_cmp_eq_u32_e32 vcc, v4, v25
	s_and_b64 exec, exec, vcc
	s_cbranch_execz .LBB33_276
; %bb.280:                              ;   in Loop: Header=BB33_278 Depth=2
	ds_write_b64 v8, v[14:15] offset:3072
	s_branch .LBB33_276
.LBB33_281:                             ;   in Loop: Header=BB33_278 Depth=2
	v_add_u32_e32 v2, s9, v2
	v_cmp_le_u32_e32 vcc, s51, v2
	v_add_u32_e32 v1, s16, v1
	s_mov_b64 s[48:49], 0
	s_orn2_b64 s[2:3], vcc, exec
	s_branch .LBB33_277
.LBB33_282:                             ;   in Loop: Header=BB33_6 Depth=1
	s_or_b64 exec, exec, s[40:41]
	s_and_b64 s[40:41], s[46:47], exec
.LBB33_283:                             ;   in Loop: Header=BB33_6 Depth=1
	s_or_b64 exec, exec, s[44:45]
.LBB33_284:                             ;   in Loop: Header=BB33_6 Depth=1
	s_and_b64 vcc, exec, s[42:43]
	s_cbranch_vccz .LBB33_295
; %bb.285:                              ;   in Loop: Header=BB33_6 Depth=1
                                        ; implicit-def: $vgpr11
	s_mov_b64 s[30:31], exec
	v_readlane_b32 s2, v46, 43
	v_readlane_b32 s3, v46, 44
	s_and_b64 s[2:3], s[30:31], s[2:3]
	s_mov_b64 exec, s[2:3]
	s_cbranch_execz .LBB33_294
; %bb.286:                              ;   in Loop: Header=BB33_6 Depth=1
	s_mov_b64 s[34:35], 0
	v_mov_b32_e32 v7, v9
	v_mov_b32_e32 v1, v0
                                        ; implicit-def: $sgpr42_sgpr43
	s_branch .LBB33_289
.LBB33_287:                             ;   in Loop: Header=BB33_289 Depth=2
	s_or_b64 exec, exec, s[44:45]
	s_waitcnt lgkmcnt(0)
	s_barrier
	ds_read_b64 v[10:11], v8 offset:3072
	s_mov_b64 s[2:3], -1
	s_mov_b64 s[44:45], -1
	s_waitcnt lgkmcnt(0)
	s_barrier
	v_cmp_eq_u32_e32 vcc, 0, v10
	s_cbranch_vccnz .LBB33_292
.LBB33_288:                             ;   in Loop: Header=BB33_289 Depth=2
	s_and_b64 s[2:3], exec, s[2:3]
	s_or_b64 s[34:35], s[2:3], s[34:35]
	s_andn2_b64 s[2:3], s[42:43], exec
	s_and_b64 s[42:43], s[44:45], exec
	s_or_b64 s[42:43], s[2:3], s[42:43]
	s_andn2_b64 exec, exec, s[34:35]
	s_cbranch_execz .LBB33_293
.LBB33_289:                             ;   Parent Loop BB33_6 Depth=1
                                        ; =>  This Inner Loop Header: Depth=2
	v_cmp_gt_u32_e32 vcc, s60, v1
	s_and_saveexec_b64 s[44:45], vcc
	s_cbranch_execz .LBB33_287
; %bb.290:                              ;   in Loop: Header=BB33_289 Depth=2
	v_lshlrev_b64 v[10:11], 2, v[7:8]
	v_mov_b32_e32 v2, s8
	v_add_co_u32_e32 v10, vcc, s33, v10
	v_addc_co_u32_e32 v11, vcc, v2, v11, vcc
	global_load_dword v15, v[10:11], off
	s_waitcnt vmcnt(0)
	v_xor_b32_e32 v2, 0x80000000, v15
	v_and_b32_e32 v2, v2, v33
	v_cmp_eq_u32_e32 vcc, v2, v25
	s_and_b64 exec, exec, vcc
	s_cbranch_execz .LBB33_287
; %bb.291:                              ;   in Loop: Header=BB33_289 Depth=2
	ds_write_b64 v8, v[14:15] offset:3072
	s_branch .LBB33_287
.LBB33_292:                             ;   in Loop: Header=BB33_289 Depth=2
	v_add_u32_e32 v1, s9, v1
	v_cmp_le_u32_e32 vcc, s77, v1
	v_add_u32_e32 v7, s75, v7
	s_mov_b64 s[44:45], 0
	s_orn2_b64 s[2:3], vcc, exec
	s_branch .LBB33_288
.LBB33_293:                             ;   in Loop: Header=BB33_6 Depth=1
	s_or_b64 exec, exec, s[34:35]
	s_andn2_b64 s[2:3], s[40:41], exec
	s_and_b64 s[34:35], s[42:43], exec
	s_or_b64 s[40:41], s[2:3], s[34:35]
.LBB33_294:                             ;   in Loop: Header=BB33_6 Depth=1
	s_or_b64 exec, exec, s[30:31]
	s_mov_b64 s[30:31], 0
	s_mov_b64 s[34:35], -1
.LBB33_295:                             ;   in Loop: Header=BB33_6 Depth=1
	s_orn2_b64 s[40:41], s[40:41], exec
.LBB33_296:                             ;   in Loop: Header=BB33_6 Depth=1
	s_or_b64 exec, exec, s[36:37]
	s_mov_b64 s[42:43], 0
	s_and_saveexec_b64 s[36:37], s[40:41]
	s_cbranch_execz .LBB33_385
; %bb.297:                              ;   in Loop: Header=BB33_6 Depth=1
	s_xor_b64 s[2:3], s[38:39], -1
	s_mov_b64 s[46:47], 0
	v_mov_b32_e32 v1, 1
	v_mov_b32_e32 v3, 1
	s_and_saveexec_b64 s[38:39], s[2:3]
	s_cbranch_execz .LBB33_306
; %bb.298:                              ;   in Loop: Header=BB33_6 Depth=1
	v_cmp_ge_u32_e32 vcc, s5, v35
	s_and_saveexec_b64 s[2:3], vcc
	s_xor_b64 s[40:41], exec, s[2:3]
	s_cbranch_execz .LBB33_303
; %bb.299:                              ;   in Loop: Header=BB33_6 Depth=1
	ds_read_b32 v1, v8 offset:4096
	v_and_b32_e32 v2, s11, v25
	v_lshl_or_b32 v25, 2, s15, v2
	v_or_b32_e32 v33, s10, v33
	s_waitcnt lgkmcnt(0)
	v_cmp_ne_u32_e32 vcc, 0, v1
	s_cbranch_vccnz .LBB33_303
; %bb.300:                              ;   in Loop: Header=BB33_6 Depth=1
	s_mov_b64 s[2:3], exec
	v_readlane_b32 s42, v46, 13
	v_readlane_b32 s43, v46, 14
	s_and_b64 s[42:43], s[2:3], s[42:43]
	s_mov_b64 exec, s[42:43]
; %bb.301:                              ;   in Loop: Header=BB33_6 Depth=1
	v_mov_b32_e32 v1, s5
	ds_write_b32 v8, v1 offset:4100
; %bb.302:                              ;   in Loop: Header=BB33_6 Depth=1
	s_or_b64 exec, exec, s[2:3]
	s_waitcnt lgkmcnt(0)
	s_barrier
.LBB33_303:                             ;   in Loop: Header=BB33_6 Depth=1
	s_or_saveexec_b64 s[40:41], s[40:41]
	s_mov_b64 s[42:43], 0
	v_mov_b32_e32 v3, 5
	s_xor_b64 exec, exec, s[40:41]
; %bb.304:                              ;   in Loop: Header=BB33_6 Depth=1
	s_mov_b64 s[42:43], exec
	v_subrev_u32_e32 v35, s5, v35
	v_mov_b32_e32 v3, 0
; %bb.305:                              ;   in Loop: Header=BB33_6 Depth=1
	s_or_b64 exec, exec, s[40:41]
	s_and_b64 s[46:47], s[42:43], exec
	v_mov_b32_e32 v1, v35
.LBB33_306:                             ;   in Loop: Header=BB33_6 Depth=1
	s_or_b64 exec, exec, s[38:39]
	s_mov_b64 s[44:45], -1
                                        ; implicit-def: $sgpr40_sgpr41
                                        ; implicit-def: $sgpr42_sgpr43
	s_and_saveexec_b64 s[38:39], s[46:47]
	s_cbranch_execz .LBB33_384
; %bb.307:                              ;   in Loop: Header=BB33_6 Depth=1
	s_cmp_eq_u32 s4, 1
	s_cselect_b64 s[2:3], -1, 0
	v_cmp_eq_u32_e32 vcc, 1, v1
	s_and_b64 s[46:47], s[2:3], vcc
	s_mov_b64 s[48:49], -1
                                        ; implicit-def: $sgpr42_sgpr43
                                        ; implicit-def: $sgpr40_sgpr41
	s_and_saveexec_b64 s[44:45], s[46:47]
	s_cbranch_execz .LBB33_333
; %bb.308:                              ;   in Loop: Header=BB33_6 Depth=1
	ds_read_b32 v2, v8 offset:4096
	s_waitcnt lgkmcnt(0)
	s_barrier
	v_readfirstlane_b32 s5, v2
	s_mov_b64 s[2:3], exec
	v_readlane_b32 s40, v46, 28
	v_readlane_b32 s41, v46, 29
	s_and_b64 s[40:41], s[2:3], s[40:41]
	s_mov_b64 exec, s[40:41]
; %bb.309:                              ;   in Loop: Header=BB33_6 Depth=1
	ds_write_b32 v22, v8
; %bb.310:                              ;   in Loop: Header=BB33_6 Depth=1
	s_or_b64 exec, exec, s[2:3]
	v_and_b32_e32 v2, s11, v25
	v_lshl_or_b32 v25, 1, s15, v2
	v_or_b32_e32 v33, s10, v33
	s_mov_b64 s[40:41], -1
	s_mov_b64 s[42:43], 0
	s_cmp_eq_u32 s5, 0
	s_mov_b64 s[48:49], 0
	s_mov_b64 s[50:51], -1
	s_waitcnt lgkmcnt(0)
	s_barrier
                                        ; implicit-def: $vgpr11
	s_cbranch_scc1 .LBB33_321
; %bb.311:                              ;   in Loop: Header=BB33_6 Depth=1
	s_add_i32 s2, s5, s63
	v_readlane_b32 s3, v46, 42
	s_mul_hi_u32 s3, s2, s3
	s_mul_i32 s3, s3, s9
	s_sub_i32 s3, s2, s3
	s_sub_i32 s48, s3, s9
	s_cmp_ge_u32 s3, s9
	s_cselect_b32 s3, s48, s3
	s_sub_i32 s48, s3, s9
	s_cmp_ge_u32 s3, s9
	s_cselect_b32 s3, s48, s3
	s_sub_i32 s58, s2, s3
	v_cmp_gt_u32_e32 vcc, s58, v0
	s_mov_b64 s[50:51], 0
	s_mov_b64 s[48:49], 0
                                        ; implicit-def: $vgpr11
	s_and_saveexec_b64 s[52:53], vcc
	s_cbranch_execz .LBB33_320
; %bb.312:                              ;   in Loop: Header=BB33_6 Depth=1
	v_mov_b32_e32 v2, v19
	v_mov_b32_e32 v4, v0
                                        ; implicit-def: $sgpr54_sgpr55
	s_branch .LBB33_315
.LBB33_313:                             ;   in Loop: Header=BB33_315 Depth=2
	s_or_b64 exec, exec, s[56:57]
	s_waitcnt lgkmcnt(0)
	s_barrier
	ds_read_b64 v[10:11], v8 offset:3072
	s_mov_b64 s[2:3], -1
	s_mov_b64 s[56:57], -1
	s_waitcnt lgkmcnt(0)
	s_barrier
	v_cmp_ne_u32_e32 vcc, 0, v10
	s_cbranch_vccz .LBB33_318
.LBB33_314:                             ;   in Loop: Header=BB33_315 Depth=2
	s_and_b64 s[2:3], exec, s[2:3]
	s_or_b64 s[48:49], s[2:3], s[48:49]
	s_andn2_b64 s[2:3], s[54:55], exec
	s_and_b64 s[54:55], s[56:57], exec
	s_or_b64 s[54:55], s[2:3], s[54:55]
	s_andn2_b64 exec, exec, s[48:49]
	s_cbranch_execz .LBB33_319
.LBB33_315:                             ;   Parent Loop BB33_6 Depth=1
                                        ; =>  This Inner Loop Header: Depth=2
	v_cmp_gt_u32_e32 vcc, s5, v4
	s_and_saveexec_b64 s[56:57], vcc
	s_cbranch_execz .LBB33_313
; %bb.316:                              ;   in Loop: Header=BB33_315 Depth=2
	ds_read_b32 v15, v2
	s_waitcnt lgkmcnt(0)
	v_xor_b32_e32 v7, 0x80000000, v15
	v_and_b32_e32 v7, v7, v33
	v_cmp_eq_u32_e32 vcc, v7, v25
	s_and_b64 exec, exec, vcc
	s_cbranch_execz .LBB33_313
; %bb.317:                              ;   in Loop: Header=BB33_315 Depth=2
	ds_write_b64 v8, v[14:15] offset:3072
	s_branch .LBB33_313
.LBB33_318:                             ;   in Loop: Header=BB33_315 Depth=2
	v_add_u32_e32 v4, s9, v4
	v_cmp_le_u32_e32 vcc, s58, v4
	v_add_u32_e32 v2, s16, v2
	s_mov_b64 s[56:57], 0
	s_orn2_b64 s[2:3], vcc, exec
	s_branch .LBB33_314
.LBB33_319:                             ;   in Loop: Header=BB33_6 Depth=1
	s_or_b64 exec, exec, s[48:49]
	s_and_b64 s[48:49], s[54:55], exec
.LBB33_320:                             ;   in Loop: Header=BB33_6 Depth=1
	s_or_b64 exec, exec, s[52:53]
.LBB33_321:                             ;   in Loop: Header=BB33_6 Depth=1
	s_and_b64 vcc, exec, s[50:51]
	s_cbranch_vccz .LBB33_332
; %bb.322:                              ;   in Loop: Header=BB33_6 Depth=1
                                        ; implicit-def: $vgpr11
	s_mov_b64 s[40:41], exec
	v_readlane_b32 s2, v46, 43
	v_readlane_b32 s3, v46, 44
	s_and_b64 s[2:3], s[40:41], s[2:3]
	s_mov_b64 exec, s[2:3]
	s_cbranch_execz .LBB33_331
; %bb.323:                              ;   in Loop: Header=BB33_6 Depth=1
	s_mov_b64 s[42:43], 0
	v_mov_b32_e32 v7, v9
	v_mov_b32_e32 v2, v0
                                        ; implicit-def: $sgpr50_sgpr51
	s_branch .LBB33_326
.LBB33_324:                             ;   in Loop: Header=BB33_326 Depth=2
	s_or_b64 exec, exec, s[52:53]
	s_waitcnt lgkmcnt(0)
	s_barrier
	ds_read_b64 v[10:11], v8 offset:3072
	s_mov_b64 s[2:3], -1
	s_mov_b64 s[52:53], -1
	s_waitcnt lgkmcnt(0)
	s_barrier
	v_cmp_eq_u32_e32 vcc, 0, v10
	s_cbranch_vccnz .LBB33_329
.LBB33_325:                             ;   in Loop: Header=BB33_326 Depth=2
	s_and_b64 s[2:3], exec, s[2:3]
	s_or_b64 s[42:43], s[2:3], s[42:43]
	s_andn2_b64 s[2:3], s[50:51], exec
	s_and_b64 s[50:51], s[52:53], exec
	s_or_b64 s[50:51], s[2:3], s[50:51]
	s_andn2_b64 exec, exec, s[42:43]
	s_cbranch_execz .LBB33_330
.LBB33_326:                             ;   Parent Loop BB33_6 Depth=1
                                        ; =>  This Inner Loop Header: Depth=2
	v_cmp_gt_u32_e32 vcc, s60, v2
	s_and_saveexec_b64 s[52:53], vcc
	s_cbranch_execz .LBB33_324
; %bb.327:                              ;   in Loop: Header=BB33_326 Depth=2
	v_lshlrev_b64 v[10:11], 2, v[7:8]
	v_mov_b32_e32 v4, s8
	v_add_co_u32_e32 v10, vcc, s33, v10
	v_addc_co_u32_e32 v11, vcc, v4, v11, vcc
	global_load_dword v15, v[10:11], off
	s_waitcnt vmcnt(0)
	v_xor_b32_e32 v4, 0x80000000, v15
	v_and_b32_e32 v4, v4, v33
	v_cmp_eq_u32_e32 vcc, v4, v25
	s_and_b64 exec, exec, vcc
	s_cbranch_execz .LBB33_324
; %bb.328:                              ;   in Loop: Header=BB33_326 Depth=2
	ds_write_b64 v8, v[14:15] offset:3072
	s_branch .LBB33_324
.LBB33_329:                             ;   in Loop: Header=BB33_326 Depth=2
	v_add_u32_e32 v2, s9, v2
	v_cmp_le_u32_e32 vcc, s77, v2
	v_add_u32_e32 v7, s75, v7
	s_mov_b64 s[52:53], 0
	s_orn2_b64 s[2:3], vcc, exec
	s_branch .LBB33_325
.LBB33_330:                             ;   in Loop: Header=BB33_6 Depth=1
	s_or_b64 exec, exec, s[42:43]
	s_andn2_b64 s[2:3], s[48:49], exec
	s_and_b64 s[42:43], s[50:51], exec
	s_or_b64 s[48:49], s[2:3], s[42:43]
.LBB33_331:                             ;   in Loop: Header=BB33_6 Depth=1
	s_or_b64 exec, exec, s[40:41]
	s_mov_b64 s[40:41], 0
	s_mov_b64 s[42:43], -1
.LBB33_332:                             ;   in Loop: Header=BB33_6 Depth=1
	s_orn2_b64 s[48:49], s[48:49], exec
.LBB33_333:                             ;   in Loop: Header=BB33_6 Depth=1
	s_or_b64 exec, exec, s[44:45]
	s_mov_b64 s[50:51], 0
	s_and_saveexec_b64 s[44:45], s[48:49]
	s_cbranch_execz .LBB33_383
; %bb.334:                              ;   in Loop: Header=BB33_6 Depth=1
	s_xor_b64 s[2:3], s[46:47], -1
	s_mov_b64 s[54:55], 0
	v_mov_b32_e32 v2, 1
	v_mov_b32_e32 v3, 1
	s_and_saveexec_b64 s[46:47], s[2:3]
	s_cbranch_execz .LBB33_343
; %bb.335:                              ;   in Loop: Header=BB33_6 Depth=1
	v_cmp_ge_u32_e32 vcc, s4, v1
	s_and_saveexec_b64 s[2:3], vcc
	s_xor_b64 s[48:49], exec, s[2:3]
	s_cbranch_execz .LBB33_340
; %bb.336:                              ;   in Loop: Header=BB33_6 Depth=1
	ds_read_b32 v2, v8 offset:4096
	v_and_b32_e32 v3, s11, v25
	v_lshl_or_b32 v25, 1, s15, v3
	v_or_b32_e32 v33, s10, v33
	s_waitcnt lgkmcnt(0)
	v_cmp_ne_u32_e32 vcc, 0, v2
	s_cbranch_vccnz .LBB33_340
; %bb.337:                              ;   in Loop: Header=BB33_6 Depth=1
	s_mov_b64 s[2:3], exec
	v_readlane_b32 s50, v46, 13
	v_readlane_b32 s51, v46, 14
	s_and_b64 s[50:51], s[2:3], s[50:51]
	s_mov_b64 exec, s[50:51]
; %bb.338:                              ;   in Loop: Header=BB33_6 Depth=1
	v_mov_b32_e32 v2, s4
	ds_write_b32 v8, v2 offset:4100
; %bb.339:                              ;   in Loop: Header=BB33_6 Depth=1
	s_or_b64 exec, exec, s[2:3]
	s_waitcnt lgkmcnt(0)
	s_barrier
.LBB33_340:                             ;   in Loop: Header=BB33_6 Depth=1
	s_or_saveexec_b64 s[48:49], s[48:49]
	s_mov_b64 s[50:51], 0
	v_mov_b32_e32 v3, 5
	s_xor_b64 exec, exec, s[48:49]
; %bb.341:                              ;   in Loop: Header=BB33_6 Depth=1
	s_mov_b64 s[50:51], exec
	v_subrev_u32_e32 v1, s4, v1
	v_mov_b32_e32 v3, 0
; %bb.342:                              ;   in Loop: Header=BB33_6 Depth=1
	s_or_b64 exec, exec, s[48:49]
	s_and_b64 s[54:55], s[50:51], exec
	v_mov_b32_e32 v2, v1
.LBB33_343:                             ;   in Loop: Header=BB33_6 Depth=1
	s_or_b64 exec, exec, s[46:47]
	s_mov_b64 s[52:53], -1
                                        ; implicit-def: $sgpr50_sgpr51
                                        ; implicit-def: $sgpr48_sgpr49
	s_and_saveexec_b64 s[46:47], s[54:55]
	s_cbranch_execz .LBB33_382
; %bb.344:                              ;   in Loop: Header=BB33_6 Depth=1
	s_cmp_eq_u32 s17, 1
	s_cselect_b64 s[2:3], -1, 0
	v_cmp_eq_u32_e32 vcc, 1, v2
	s_and_b64 s[52:53], s[2:3], vcc
	s_mov_b64 s[56:57], -1
                                        ; implicit-def: $sgpr50_sgpr51
                                        ; implicit-def: $sgpr48_sgpr49
	s_and_saveexec_b64 s[54:55], s[52:53]
	s_cbranch_execz .LBB33_370
; %bb.345:                              ;   in Loop: Header=BB33_6 Depth=1
	ds_read_b32 v1, v8 offset:4096
	s_waitcnt lgkmcnt(0)
	s_barrier
	v_readfirstlane_b32 s4, v1
	s_mov_b64 s[2:3], exec
	v_readlane_b32 s48, v46, 28
	v_readlane_b32 s49, v46, 29
	s_and_b64 s[48:49], s[2:3], s[48:49]
	s_mov_b64 exec, s[48:49]
; %bb.346:                              ;   in Loop: Header=BB33_6 Depth=1
	ds_write_b32 v22, v8
; %bb.347:                              ;   in Loop: Header=BB33_6 Depth=1
	s_or_b64 exec, exec, s[2:3]
	v_and_b32_e32 v25, s11, v25
	v_or_b32_e32 v33, s10, v33
	s_mov_b64 s[48:49], -1
	s_mov_b64 s[50:51], 0
	s_cmp_eq_u32 s4, 0
	s_mov_b64 s[56:57], 0
	s_mov_b64 s[58:59], -1
	s_waitcnt lgkmcnt(0)
	s_barrier
                                        ; implicit-def: $vgpr11
	s_cbranch_scc1 .LBB33_358
; %bb.348:                              ;   in Loop: Header=BB33_6 Depth=1
	s_add_i32 s2, s4, s63
	v_readlane_b32 s3, v46, 42
	s_mul_hi_u32 s3, s2, s3
	s_mul_i32 s3, s3, s9
	s_sub_i32 s3, s2, s3
	s_sub_i32 s5, s3, s9
	s_cmp_ge_u32 s3, s9
	s_cselect_b32 s3, s5, s3
	s_sub_i32 s5, s3, s9
	s_cmp_ge_u32 s3, s9
	s_cselect_b32 s3, s5, s3
	s_sub_i32 s5, s2, s3
	v_cmp_gt_u32_e32 vcc, s5, v0
	s_mov_b64 s[58:59], 0
                                        ; implicit-def: $vgpr11
	s_and_saveexec_b64 s[78:79], vcc
	s_cbranch_execz .LBB33_357
; %bb.349:                              ;   in Loop: Header=BB33_6 Depth=1
	v_writelane_b32 v46, s52, 45
	v_mov_b32_e32 v1, v19
	v_mov_b32_e32 v4, v0
	v_writelane_b32 v46, s53, 46
                                        ; implicit-def: $sgpr80_sgpr81
	s_branch .LBB33_352
.LBB33_350:                             ;   in Loop: Header=BB33_352 Depth=2
	s_mov_b32 s52, s63
	s_or_b64 exec, exec, s[82:83]
	s_waitcnt lgkmcnt(0)
	s_barrier
	ds_read_b64 v[10:11], v8 offset:3072
	s_mov_b64 s[2:3], -1
	s_mov_b64 s[82:83], -1
	s_waitcnt lgkmcnt(0)
	s_barrier
	v_cmp_ne_u32_e32 vcc, 0, v10
	s_cbranch_vccz .LBB33_355
.LBB33_351:                             ;   in Loop: Header=BB33_352 Depth=2
	s_and_b64 s[2:3], exec, s[2:3]
	s_or_b64 s[56:57], s[2:3], s[56:57]
	s_andn2_b64 s[2:3], s[80:81], exec
	s_and_b64 s[62:63], s[82:83], exec
	s_or_b64 s[80:81], s[2:3], s[62:63]
	s_mov_b32 s63, s52
	s_andn2_b64 exec, exec, s[56:57]
	s_cbranch_execz .LBB33_356
.LBB33_352:                             ;   Parent Loop BB33_6 Depth=1
                                        ; =>  This Inner Loop Header: Depth=2
	v_cmp_gt_u32_e32 vcc, s4, v4
	s_and_saveexec_b64 s[82:83], vcc
	s_cbranch_execz .LBB33_350
; %bb.353:                              ;   in Loop: Header=BB33_352 Depth=2
	ds_read_b32 v15, v1
	s_waitcnt lgkmcnt(0)
	v_xor_b32_e32 v7, 0x80000000, v15
	v_and_b32_e32 v7, v7, v33
	v_cmp_eq_u32_e32 vcc, v7, v25
	s_and_b64 exec, exec, vcc
	s_cbranch_execz .LBB33_350
; %bb.354:                              ;   in Loop: Header=BB33_352 Depth=2
	ds_write_b64 v8, v[14:15] offset:3072
	s_branch .LBB33_350
.LBB33_355:                             ;   in Loop: Header=BB33_352 Depth=2
	v_add_u32_e32 v4, s9, v4
	v_cmp_le_u32_e32 vcc, s5, v4
	v_add_u32_e32 v1, s16, v1
	s_mov_b64 s[82:83], 0
	s_orn2_b64 s[2:3], vcc, exec
	s_branch .LBB33_351
.LBB33_356:                             ;   in Loop: Header=BB33_6 Depth=1
	s_or_b64 exec, exec, s[56:57]
	v_readlane_b32 s52, v46, 45
	s_and_b64 s[56:57], s[80:81], exec
	v_readlane_b32 s53, v46, 46
.LBB33_357:                             ;   in Loop: Header=BB33_6 Depth=1
	s_or_b64 exec, exec, s[78:79]
.LBB33_358:                             ;   in Loop: Header=BB33_6 Depth=1
	s_and_b64 vcc, exec, s[58:59]
	s_cbranch_vccz .LBB33_369
; %bb.359:                              ;   in Loop: Header=BB33_6 Depth=1
                                        ; implicit-def: $vgpr11
	s_mov_b64 s[48:49], exec
	v_readlane_b32 s2, v46, 43
	v_readlane_b32 s3, v46, 44
	s_and_b64 s[2:3], s[48:49], s[2:3]
	s_mov_b64 exec, s[2:3]
	s_cbranch_execz .LBB33_368
; %bb.360:                              ;   in Loop: Header=BB33_6 Depth=1
	s_mov_b64 s[50:51], 0
	v_mov_b32_e32 v7, v9
	v_mov_b32_e32 v1, v0
                                        ; implicit-def: $sgpr58_sgpr59
	s_branch .LBB33_363
.LBB33_361:                             ;   in Loop: Header=BB33_363 Depth=2
	s_or_b64 exec, exec, s[78:79]
	s_waitcnt lgkmcnt(0)
	s_barrier
	ds_read_b64 v[10:11], v8 offset:3072
	s_mov_b64 s[2:3], -1
	s_mov_b64 s[78:79], -1
	s_waitcnt lgkmcnt(0)
	s_barrier
	v_cmp_eq_u32_e32 vcc, 0, v10
	s_cbranch_vccnz .LBB33_366
.LBB33_362:                             ;   in Loop: Header=BB33_363 Depth=2
	s_and_b64 s[2:3], exec, s[2:3]
	s_or_b64 s[50:51], s[2:3], s[50:51]
	s_andn2_b64 s[2:3], s[58:59], exec
	s_and_b64 s[4:5], s[78:79], exec
	s_or_b64 s[58:59], s[2:3], s[4:5]
	s_andn2_b64 exec, exec, s[50:51]
	s_cbranch_execz .LBB33_367
.LBB33_363:                             ;   Parent Loop BB33_6 Depth=1
                                        ; =>  This Inner Loop Header: Depth=2
	v_cmp_gt_u32_e32 vcc, s60, v1
	s_and_saveexec_b64 s[78:79], vcc
	s_cbranch_execz .LBB33_361
; %bb.364:                              ;   in Loop: Header=BB33_363 Depth=2
	v_lshlrev_b64 v[10:11], 2, v[7:8]
	v_mov_b32_e32 v4, s8
	v_add_co_u32_e32 v10, vcc, s33, v10
	v_addc_co_u32_e32 v11, vcc, v4, v11, vcc
	global_load_dword v15, v[10:11], off
	s_waitcnt vmcnt(0)
	v_xor_b32_e32 v4, 0x80000000, v15
	v_and_b32_e32 v4, v4, v33
	v_cmp_eq_u32_e32 vcc, v4, v25
	s_and_b64 exec, exec, vcc
	s_cbranch_execz .LBB33_361
; %bb.365:                              ;   in Loop: Header=BB33_363 Depth=2
	ds_write_b64 v8, v[14:15] offset:3072
	s_branch .LBB33_361
.LBB33_366:                             ;   in Loop: Header=BB33_363 Depth=2
	v_add_u32_e32 v1, s9, v1
	v_cmp_le_u32_e32 vcc, s77, v1
	v_add_u32_e32 v7, s75, v7
	s_mov_b64 s[78:79], 0
	s_orn2_b64 s[2:3], vcc, exec
	s_branch .LBB33_362
.LBB33_367:                             ;   in Loop: Header=BB33_6 Depth=1
	s_or_b64 exec, exec, s[50:51]
	s_andn2_b64 s[2:3], s[56:57], exec
	s_and_b64 s[4:5], s[58:59], exec
	s_or_b64 s[56:57], s[2:3], s[4:5]
.LBB33_368:                             ;   in Loop: Header=BB33_6 Depth=1
	s_or_b64 exec, exec, s[48:49]
	s_mov_b64 s[48:49], 0
	s_mov_b64 s[50:51], -1
.LBB33_369:                             ;   in Loop: Header=BB33_6 Depth=1
	s_orn2_b64 s[56:57], s[56:57], exec
.LBB33_370:                             ;   in Loop: Header=BB33_6 Depth=1
	s_or_b64 exec, exec, s[54:55]
	s_mov_b64 s[58:59], 0
	s_and_saveexec_b64 s[54:55], s[56:57]
	s_cbranch_execz .LBB33_381
; %bb.371:                              ;   in Loop: Header=BB33_6 Depth=1
	s_xor_b64 s[2:3], s[52:53], -1
	v_mov_b32_e32 v3, 1
	v_mov_b32_e32 v1, 1
	s_and_saveexec_b64 s[52:53], s[2:3]
	s_cbranch_execz .LBB33_380
; %bb.372:                              ;   in Loop: Header=BB33_6 Depth=1
	v_cmp_ge_u32_e32 vcc, s17, v2
	s_and_saveexec_b64 s[2:3], vcc
	s_xor_b64 s[56:57], exec, s[2:3]
	s_cbranch_execz .LBB33_377
; %bb.373:                              ;   in Loop: Header=BB33_6 Depth=1
	ds_read_b32 v1, v8 offset:4096
	v_and_b32_e32 v25, s11, v25
	v_or_b32_e32 v33, s10, v33
	s_waitcnt lgkmcnt(0)
	v_cmp_ne_u32_e32 vcc, 0, v1
	s_cbranch_vccnz .LBB33_377
; %bb.374:                              ;   in Loop: Header=BB33_6 Depth=1
	s_mov_b64 s[2:3], exec
	v_readlane_b32 s4, v46, 13
	v_readlane_b32 s5, v46, 14
	s_and_b64 s[4:5], s[2:3], s[4:5]
	s_mov_b64 exec, s[4:5]
; %bb.375:                              ;   in Loop: Header=BB33_6 Depth=1
	v_mov_b32_e32 v1, s17
	ds_write_b32 v8, v1 offset:4100
; %bb.376:                              ;   in Loop: Header=BB33_6 Depth=1
	s_or_b64 exec, exec, s[2:3]
	s_waitcnt lgkmcnt(0)
	s_barrier
.LBB33_377:                             ;   in Loop: Header=BB33_6 Depth=1
	s_andn2_saveexec_b64 s[2:3], s[56:57]
; %bb.378:                              ;   in Loop: Header=BB33_6 Depth=1
	v_subrev_u32_e32 v2, s17, v2
; %bb.379:                              ;   in Loop: Header=BB33_6 Depth=1
	s_or_b64 exec, exec, s[2:3]
	v_mov_b32_e32 v3, 5
	v_mov_b32_e32 v1, v2
.LBB33_380:                             ;   in Loop: Header=BB33_6 Depth=1
	s_or_b64 exec, exec, s[52:53]
	s_mov_b64 s[58:59], exec
	v_mov_b32_e32 v2, v1
.LBB33_381:                             ;   in Loop: Header=BB33_6 Depth=1
	s_or_b64 exec, exec, s[54:55]
	s_orn2_b64 s[52:53], s[58:59], exec
.LBB33_382:                             ;   in Loop: Header=BB33_6 Depth=1
	s_or_b64 exec, exec, s[46:47]
	s_andn2_b64 s[2:3], s[42:43], exec
	s_and_b64 s[4:5], s[50:51], exec
	s_or_b64 s[42:43], s[2:3], s[4:5]
	s_andn2_b64 s[2:3], s[40:41], exec
	s_and_b64 s[4:5], s[48:49], exec
	s_or_b64 s[40:41], s[2:3], s[4:5]
	s_and_b64 s[50:51], s[52:53], exec
	v_mov_b32_e32 v1, v2
.LBB33_383:                             ;   in Loop: Header=BB33_6 Depth=1
	s_or_b64 exec, exec, s[44:45]
	s_orn2_b64 s[44:45], s[50:51], exec
.LBB33_384:                             ;   in Loop: Header=BB33_6 Depth=1
	s_or_b64 exec, exec, s[38:39]
	s_andn2_b64 s[2:3], s[34:35], exec
	s_and_b64 s[4:5], s[42:43], exec
	s_or_b64 s[34:35], s[2:3], s[4:5]
	s_andn2_b64 s[2:3], s[30:31], exec
	s_and_b64 s[4:5], s[40:41], exec
	s_or_b64 s[30:31], s[2:3], s[4:5]
	s_and_b64 s[42:43], s[44:45], exec
	v_mov_b32_e32 v35, v1
.LBB33_385:                             ;   in Loop: Header=BB33_6 Depth=1
	s_or_b64 exec, exec, s[36:37]
	s_orn2_b64 s[36:37], s[42:43], exec
.LBB33_386:                             ;   in Loop: Header=BB33_6 Depth=1
	s_or_b64 exec, exec, s[6:7]
	s_mov_b64 s[6:7], s[26:27]
	s_mov_b64 s[38:39], s[24:25]
	s_and_saveexec_b64 s[2:3], s[36:37]
; %bb.387:                              ;   in Loop: Header=BB33_6 Depth=1
	v_cmp_ne_u32_e64 s[6:7], 5, v3
	v_cmp_eq_u32_e32 vcc, 5, v3
	s_andn2_b64 s[4:5], s[24:25], exec
	s_and_b64 s[6:7], s[6:7], exec
	s_or_b64 s[38:39], s[4:5], s[6:7]
	s_andn2_b64 s[4:5], s[26:27], exec
	s_and_b64 s[6:7], vcc, exec
	s_or_b64 s[6:7], s[4:5], s[6:7]
; %bb.388:                              ;   in Loop: Header=BB33_6 Depth=1
	s_or_b64 exec, exec, s[2:3]
	s_andn2_b64 s[2:3], s[18:19], exec
	s_and_b64 s[4:5], s[34:35], exec
	s_or_b64 s[18:19], s[2:3], s[4:5]
	s_andn2_b64 s[2:3], s[22:23], exec
	s_and_b64 s[4:5], s[30:31], exec
	s_or_b64 s[22:23], s[2:3], s[4:5]
	;; [unrolled: 3-line block ×4, first 2 shown]
.LBB33_389:                             ;   in Loop: Header=BB33_6 Depth=1
	s_or_b64 exec, exec, s[28:29]
	s_mov_b64 s[28:29], 0
	s_mov_b64 s[30:31], 0
	s_and_saveexec_b64 s[2:3], s[26:27]
.LBB33_390:                             ;   in Loop: Header=BB33_6 Depth=1
	v_mov_b32_e32 v3, 0
	s_or_b64 s[24:25], s[24:25], exec
.LBB33_391:                             ;   in Loop: Header=BB33_6 Depth=1
	s_or_b64 exec, exec, s[2:3]
	s_andn2_b64 s[2:3], s[70:71], exec
	s_and_b64 s[4:5], s[18:19], exec
	s_or_b64 s[70:71], s[2:3], s[4:5]
	s_andn2_b64 s[2:3], s[68:69], exec
	s_and_b64 s[4:5], s[22:23], exec
	s_or_b64 s[68:69], s[2:3], s[4:5]
	;; [unrolled: 3-line block ×3, first 2 shown]
	s_andn2_b64 s[2:3], s[64:65], exec
	s_and_b64 s[4:5], s[28:29], exec
	s_mov_b64 s[26:27], -1
	s_andn2_b64 s[20:21], s[20:21], exec
	s_or_b64 s[64:65], s[2:3], s[4:5]
	v_mov_b32_e32 v34, v35
	s_and_saveexec_b64 s[2:3], s[24:25]
	s_xor_b64 s[6:7], exec, s[2:3]
	s_cbranch_execz .LBB33_5
; %bb.392:                              ;   in Loop: Header=BB33_6 Depth=1
	v_cmp_eq_u32_e32 vcc, 0, v3
	s_mov_b64 s[18:19], -1
	s_mov_b64 s[22:23], -1
	s_and_saveexec_b64 s[2:3], vcc
	s_cbranch_execz .LBB33_4
; %bb.393:                              ;   in Loop: Header=BB33_6 Depth=1
	s_xor_b32 s14, s14, 1
	s_add_i32 s10, s15, -2
	s_cmp_eq_u32 s15, 0
	s_cselect_b64 s[4:5], -1, 0
	s_xor_b64 s[22:23], exec, -1
	s_orn2_b64 s[18:19], s[4:5], exec
	s_mov_b32 s15, s10
	s_branch .LBB33_4
.LBB33_394:
	s_or_b64 exec, exec, s[84:85]
	s_xor_b64 s[16:17], s[94:95], -1
	s_xor_b64 s[20:21], s[92:93], -1
	;; [unrolled: 1-line block ×5, first 2 shown]
	s_mov_b64 s[12:13], 0
	s_and_saveexec_b64 s[10:11], s[4:5]
	s_xor_b64 s[10:11], exec, s[10:11]
	s_cbranch_execnz .LBB33_399
; %bb.395:
	s_andn2_saveexec_b64 s[0:1], s[10:11]
	s_cbranch_execnz .LBB33_418
.LBB33_396:
	s_or_b64 exec, exec, s[0:1]
	s_and_saveexec_b64 s[0:1], s[12:13]
.LBB33_397:
	; divergent unreachable
.LBB33_398:
	s_endpgm
.LBB33_399:
	s_mov_b64 s[14:15], 0
	s_and_saveexec_b64 s[4:5], s[2:3]
	s_xor_b64 s[12:13], exec, s[4:5]
	s_cbranch_execz .LBB33_416
; %bb.400:
	s_mov_b64 s[18:19], 0
	s_and_saveexec_b64 s[2:3], s[20:21]
	s_xor_b64 s[14:15], exec, s[2:3]
	s_cbranch_execz .LBB33_414
; %bb.401:
	s_and_saveexec_b64 s[2:3], s[16:17]
	s_xor_b64 s[16:17], exec, s[2:3]
	s_cbranch_execz .LBB33_412
; %bb.402:
	s_and_saveexec_b64 s[2:3], s[6:7]
	s_xor_b64 s[2:3], exec, s[2:3]
; %bb.403:
	v_xor_b32_e32 v11, 0x80000000, v25
; %bb.404:
	s_or_b64 exec, exec, s[2:3]
	s_mov_b64 s[2:3], exec
	v_readlane_b32 s4, v46, 13
	v_readlane_b32 s5, v46, 14
	;; [unrolled: 1-line block ×4, first 2 shown]
	s_and_b64 s[4:5], s[2:3], s[4:5]
	v_readlane_b32 s43, v46, 17
	v_readlane_b32 s19, v46, 21
	s_mov_b64 exec, s[4:5]
; %bb.405:
	v_mov_b32_e32 v1, 0
	ds_write_b32 v1, v1 offset:4108
; %bb.406:
	s_or_b64 exec, exec, s[2:3]
	v_mov_b32_e32 v4, 0
	s_waitcnt lgkmcnt(0)
	s_barrier
	s_mov_b64 s[2:3], exec
	v_readlane_b32 s4, v46, 24
	v_readlane_b32 s5, v46, 25
	s_and_b64 s[4:5], s[2:3], s[4:5]
	s_mov_b64 exec, s[4:5]
	s_cbranch_execz .LBB33_408
; %bb.407:
	global_load_dword v4, v[5:6], off
.LBB33_408:
	s_or_b64 exec, exec, s[2:3]
	v_readlane_b32 s5, v46, 9
	v_readlane_b32 s7, v46, 10
	s_mul_i32 s2, s7, s5
	v_readlane_b32 s6, v46, 15
	s_add_i32 s34, s60, 63
	s_sub_i32 s2, s6, s2
	s_andn2_b32 s34, s34, 63
	s_add_i32 s3, s7, 1
	s_sub_i32 s4, s2, s5
	s_cmp_ge_u32 s2, s5
	s_cselect_b32 s3, s3, s7
	s_cselect_b32 s2, s4, s2
	s_add_i32 s4, s3, 1
	s_cmp_ge_u32 s2, s5
	s_cselect_b32 s2, s4, s3
	s_mul_i32 s3, s2, s5
	v_readlane_b32 s4, v46, 5
	s_sub_i32 s3, s6, s3
	v_readlane_b32 s5, v46, 6
	s_mul_i32 s3, s3, s5
	s_mul_i32 s2, s2, s4
	v_readlane_b32 s7, v46, 11
	v_readlane_b32 s20, v46, 12
	s_add_i32 s2, s2, s3
	s_mul_i32 s3, s20, s7
	s_sub_i32 s3, s6, s3
	s_add_i32 s4, s20, 1
	s_sub_i32 s5, s3, s7
	s_cmp_ge_u32 s3, s7
	s_cselect_b32 s4, s4, s20
	s_cselect_b32 s3, s5, s3
	s_add_i32 s5, s4, 1
	s_cmp_ge_u32 s3, s7
	s_cselect_b32 s3, s5, s4
	s_mul_i32 s4, s3, s7
	s_sub_i32 s4, s6, s4
	v_readlane_b32 s6, v46, 1
	v_readlane_b32 s7, v46, 2
	s_mul_i32 s4, s4, s7
	s_mul_i32 s3, s3, s6
	s_add_i32 s4, s3, s4
	s_mov_b32 s3, 0
	s_lshl_b64 s[6:7], s[2:3], 2
	v_readlane_b32 s20, v46, 7
	s_load_dword s39, s[18:19], 0x1c8
	s_load_dword s40, s[18:19], 0x2a8
	v_readlane_b32 s21, v46, 8
	s_add_u32 s35, s20, s6
	s_mov_b32 s5, s3
	s_addc_u32 s36, s21, s7
	s_lshl_b64 s[2:3], s[4:5], 3
	v_readlane_b32 s4, v46, 3
	v_readlane_b32 s5, v46, 4
	s_add_u32 s37, s4, s2
	s_addc_u32 s38, s5, s3
	v_cmp_gt_u32_e32 vcc, s34, v0
	s_mov_b64 s[2:3], -1
	s_mov_b64 s[30:31], 0
	s_mov_b64 s[4:5], 0
	s_and_saveexec_b64 s[18:19], vcc
	s_cbranch_execnz .LBB33_419
; %bb.409:
	s_or_b64 exec, exec, s[18:19]
	s_and_saveexec_b64 s[6:7], s[2:3]
	s_cbranch_execnz .LBB33_434
.LBB33_410:
	s_or_b64 exec, exec, s[6:7]
	s_and_saveexec_b64 s[0:1], s[4:5]
	s_xor_b64 s[0:1], exec, s[0:1]
	s_cbranch_execnz .LBB33_457
.LBB33_411:
	s_or_b64 exec, exec, s[0:1]
	s_and_b64 s[18:19], s[30:31], exec
.LBB33_412:
	s_andn2_saveexec_b64 s[0:1], s[16:17]
	s_cbranch_execnz .LBB33_459
.LBB33_413:
	s_or_b64 exec, exec, s[0:1]
	s_and_b64 s[18:19], s[18:19], exec
.LBB33_414:
	s_andn2_saveexec_b64 s[0:1], s[14:15]
	s_cbranch_execnz .LBB33_458
.LBB33_415:
	s_or_b64 exec, exec, s[0:1]
	s_and_b64 s[14:15], s[18:19], exec
.LBB33_416:
	s_andn2_saveexec_b64 s[0:1], s[12:13]
	s_cbranch_execnz .LBB33_453
.LBB33_417:
	s_or_b64 exec, exec, s[0:1]
	s_and_b64 s[12:13], s[14:15], exec
	s_andn2_saveexec_b64 s[0:1], s[10:11]
	s_cbranch_execz .LBB33_396
.LBB33_418:
	s_or_b64 s[12:13], s[12:13], exec
	s_trap 2
	s_or_b64 exec, exec, s[0:1]
	s_and_saveexec_b64 s[0:1], s[12:13]
	s_cbranch_execnz .LBB33_397
	s_branch .LBB33_398
.LBB33_419:
	v_add_u32_e32 v1, s9, v0
	v_readlane_b32 s2, v46, 0
	v_mul_lo_u32 v1, s2, v1
	v_xor_b32_e32 v7, 0x80000000, v11
	s_mov_b64 s[20:21], 0
	v_mov_b32_e32 v2, 0
	v_mov_b32_e32 v3, v0
                                        ; implicit-def: $sgpr22_sgpr23
                                        ; implicit-def: $vgpr9
	s_branch .LBB33_421
.LBB33_420:                             ;   in Loop: Header=BB33_421 Depth=1
	s_or_b64 exec, exec, s[24:25]
	s_xor_b64 s[2:3], s[2:3], -1
	s_and_b64 s[4:5], exec, s[6:7]
	s_or_b64 s[20:21], s[4:5], s[20:21]
	s_andn2_b64 s[4:5], s[22:23], exec
	s_and_b64 s[2:3], s[2:3], exec
	s_or_b64 s[22:23], s[4:5], s[2:3]
	v_mov_b32_e32 v4, v10
	v_mov_b32_e32 v3, v8
	s_andn2_b64 exec, exec, s[20:21]
	s_cbranch_execz .LBB33_433
.LBB33_421:                             ; =>This Inner Loop Header: Depth=1
	v_add_u32_e32 v8, s9, v3
	v_cmp_gt_u32_e64 s[4:5], s60, v8
	v_mov_b32_e32 v10, 0
	s_and_saveexec_b64 s[2:3], s[4:5]
	s_cbranch_execz .LBB33_423
; %bb.422:                              ;   in Loop: Header=BB33_421 Depth=1
	v_lshlrev_b64 v[12:13], 2, v[1:2]
	v_mov_b32_e32 v10, s8
	v_add_co_u32_e64 v12, s[4:5], s33, v12
	v_addc_co_u32_e64 v13, s[4:5], v10, v13, s[4:5]
	global_load_dword v10, v[12:13], off
.LBB33_423:                             ;   in Loop: Header=BB33_421 Depth=1
	s_or_b64 exec, exec, s[2:3]
	s_waitcnt vmcnt(0)
	v_xor_b32_e32 v12, 0x80000000, v4
	v_cmp_gt_u32_e64 s[6:7], v12, v7
	v_cndmask_b32_e64 v13, 0, 1, s[6:7]
	v_cmp_lt_u32_e64 s[6:7], v12, v7
	v_cndmask_b32_e64 v12, 0, 1, s[6:7]
	v_cndmask_b32_e64 v12, v12, v13, s[42:43]
	v_and_b32_e32 v12, 1, v12
	v_cmp_gt_u32_e64 s[4:5], s60, v3
	v_cmp_eq_u32_e64 s[6:7], 1, v12
	s_and_b64 s[26:27], s[4:5], s[6:7]
	v_cndmask_b32_e64 v12, 0, 1, s[26:27]
	v_cmp_ne_u32_e64 s[4:5], 0, v12
	s_cmp_lg_u64 s[4:5], 0
	s_cselect_b64 s[2:3], -1, 0
	s_and_b64 s[2:3], s[0:1], s[2:3]
	s_and_saveexec_b64 s[24:25], s[2:3]
	s_cbranch_execz .LBB33_427
; %bb.424:                              ;   in Loop: Header=BB33_421 Depth=1
	s_mov_b64 s[28:29], exec
	s_waitcnt lgkmcnt(0)
	v_mbcnt_lo_u32_b32 v9, s28, 0
	v_mbcnt_hi_u32_b32 v9, s29, v9
	s_bcnt1_i32_b64 s41, s[4:5]
	v_cmp_eq_u32_e64 s[6:7], 0, v9
                                        ; implicit-def: $vgpr12
	s_and_saveexec_b64 s[2:3], s[6:7]
; %bb.425:                              ;   in Loop: Header=BB33_421 Depth=1
	s_bcnt1_i32_b64 s6, s[28:29]
	s_mul_i32 s6, s41, s6
	v_mov_b32_e32 v12, s6
	ds_add_rtn_u32 v12, v2, v12 offset:4108
; %bb.426:                              ;   in Loop: Header=BB33_421 Depth=1
	s_or_b64 exec, exec, s[2:3]
	s_waitcnt lgkmcnt(0)
	v_readfirstlane_b32 s2, v12
	v_mov_b32_e32 v12, s2
	v_mad_u32_u24 v9, s41, v9, v12
.LBB33_427:                             ;   in Loop: Header=BB33_421 Depth=1
	s_or_b64 exec, exec, s[24:25]
	s_waitcnt lgkmcnt(0)
	ds_bpermute_b32 v9, v16, v9
	s_mov_b64 s[6:7], -1
	s_mov_b64 s[28:29], -1
	s_and_saveexec_b64 s[24:25], s[26:27]
	s_cbranch_execz .LBB33_431
; %bb.428:                              ;   in Loop: Header=BB33_421 Depth=1
	v_and_b32_e32 v13, s4, v18
	v_and_b32_e32 v12, s5, v17
	v_bcnt_u32_b32 v13, v13, 0
	v_bcnt_u32_b32 v12, v12, v13
	s_waitcnt lgkmcnt(0)
	v_add_u32_e32 v12, v9, v12
	v_cmp_gt_u32_e64 s[4:5], s61, v12
	s_mov_b64 s[26:27], 0
	s_and_saveexec_b64 s[28:29], s[4:5]
; %bb.429:                              ;   in Loop: Header=BB33_421 Depth=1
	v_mul_lo_u32 v13, v12, s39
	v_mov_b32_e32 v14, v2
	v_mul_lo_u32 v12, v12, s40
	v_mov_b32_e32 v15, s36
	v_lshlrev_b64 v[13:14], 2, v[13:14]
	s_mov_b64 s[26:27], exec
	v_add_co_u32_e64 v13, s[4:5], s35, v13
	v_addc_co_u32_e64 v14, s[4:5], v15, v14, s[4:5]
	global_store_dword v[13:14], v4, off
	v_mov_b32_e32 v13, v2
	v_lshlrev_b64 v[12:13], 3, v[12:13]
	v_mov_b32_e32 v14, s38
	v_add_co_u32_e64 v12, s[4:5], s37, v12
	v_mov_b32_e32 v4, v2
	v_addc_co_u32_e64 v13, s[4:5], v14, v13, s[4:5]
	global_store_dwordx2 v[12:13], v[3:4], off
; %bb.430:                              ;   in Loop: Header=BB33_421 Depth=1
	s_or_b64 exec, exec, s[28:29]
	s_orn2_b64 s[28:29], s[26:27], exec
.LBB33_431:                             ;   in Loop: Header=BB33_421 Depth=1
	s_or_b64 exec, exec, s[24:25]
	s_mov_b64 s[2:3], -1
	s_and_saveexec_b64 s[24:25], s[28:29]
	s_cbranch_execz .LBB33_420
; %bb.432:                              ;   in Loop: Header=BB33_421 Depth=1
	v_cmp_le_u32_e64 s[4:5], s34, v8
	v_add_u32_e32 v1, s75, v1
	s_xor_b64 s[2:3], exec, -1
	s_orn2_b64 s[6:7], s[4:5], exec
	s_branch .LBB33_420
.LBB33_433:
	s_or_b64 exec, exec, s[20:21]
	s_mov_b64 s[4:5], exec
	s_orn2_b64 s[2:3], s[22:23], exec
	s_or_b64 exec, exec, s[18:19]
	s_and_saveexec_b64 s[6:7], s[2:3]
	s_cbranch_execz .LBB33_410
.LBB33_434:
	v_mov_b32_e32 v1, 0
	s_waitcnt vmcnt(0) lgkmcnt(0)
	s_barrier
	s_mov_b64 s[2:3], exec
	v_readlane_b32 s18, v46, 24
	v_readlane_b32 s19, v46, 25
	s_and_b64 s[18:19], s[2:3], s[18:19]
	s_mov_b64 exec, s[18:19]
	s_cbranch_execz .LBB33_436
; %bb.435:
	global_load_dword v1, v[5:6], off
.LBB33_436:
	s_or_b64 exec, exec, s[2:3]
	s_mov_b64 s[2:3], 0
	s_and_saveexec_b64 s[30:31], vcc
	s_cbranch_execz .LBB33_456
; %bb.437:
	v_add_u32_e32 v2, s9, v0
	v_readlane_b32 s2, v46, 0
	v_mul_lo_u32 v2, s2, v2
	s_mov_b64 s[18:19], 0
	v_mov_b32_e32 v3, 0
                                        ; implicit-def: $sgpr20_sgpr21
                                        ; implicit-def: $vgpr5
	s_branch .LBB33_440
.LBB33_438:                             ;   in Loop: Header=BB33_440 Depth=1
	s_or_b64 exec, exec, s[24:25]
	s_orn2_b64 s[26:27], s[28:29], exec
	s_orn2_b64 s[24:25], s[22:23], exec
.LBB33_439:                             ;   in Loop: Header=BB33_440 Depth=1
	s_or_b64 exec, exec, s[2:3]
	s_xor_b64 s[2:3], s[26:27], -1
	s_and_b64 s[22:23], exec, s[24:25]
	s_or_b64 s[18:19], s[22:23], s[18:19]
	s_andn2_b64 s[20:21], s[20:21], exec
	s_and_b64 s[2:3], s[2:3], exec
	s_or_b64 s[20:21], s[20:21], s[2:3]
	v_mov_b32_e32 v0, v4
	v_mov_b32_e32 v1, v6
	s_andn2_b64 exec, exec, s[18:19]
	s_cbranch_execz .LBB33_454
.LBB33_440:                             ; =>This Inner Loop Header: Depth=1
	v_add_u32_e32 v4, s9, v0
	v_cmp_gt_u32_e32 vcc, s60, v4
	v_mov_b32_e32 v6, 0
	s_and_saveexec_b64 s[2:3], vcc
	s_cbranch_execz .LBB33_442
; %bb.441:                              ;   in Loop: Header=BB33_440 Depth=1
	v_lshlrev_b64 v[6:7], 2, v[2:3]
	v_mov_b32_e32 v8, s8
	v_add_co_u32_e32 v6, vcc, s33, v6
	v_addc_co_u32_e32 v7, vcc, v8, v7, vcc
	global_load_dword v6, v[6:7], off
.LBB33_442:                             ;   in Loop: Header=BB33_440 Depth=1
	s_or_b64 exec, exec, s[2:3]
	v_cmp_gt_u32_e32 vcc, s60, v0
	s_waitcnt vmcnt(0)
	v_cmp_eq_u32_e64 s[2:3], v1, v11
	s_and_b64 s[22:23], vcc, s[2:3]
	v_cndmask_b32_e64 v1, 0, 1, s[22:23]
	v_cmp_ne_u32_e32 vcc, 0, v1
	s_cmp_lg_u64 vcc, 0
	s_cselect_b64 s[2:3], -1, 0
	s_and_b64 s[2:3], s[0:1], s[2:3]
	s_and_saveexec_b64 s[24:25], s[2:3]
	s_cbranch_execz .LBB33_446
; %bb.443:                              ;   in Loop: Header=BB33_440 Depth=1
	s_mov_b64 s[28:29], exec
	v_mbcnt_lo_u32_b32 v1, s28, 0
	v_mbcnt_hi_u32_b32 v1, s29, v1
	s_bcnt1_i32_b64 s41, vcc
	v_cmp_eq_u32_e64 s[2:3], 0, v1
                                        ; implicit-def: $vgpr5
	s_and_saveexec_b64 s[26:27], s[2:3]
; %bb.444:                              ;   in Loop: Header=BB33_440 Depth=1
	s_bcnt1_i32_b64 s2, s[28:29]
	s_mul_i32 s2, s41, s2
	v_mov_b32_e32 v5, s2
	ds_add_rtn_u32 v5, v3, v5 offset:4108
; %bb.445:                              ;   in Loop: Header=BB33_440 Depth=1
	s_or_b64 exec, exec, s[26:27]
	s_waitcnt lgkmcnt(0)
	v_readfirstlane_b32 s2, v5
	v_mov_b32_e32 v5, s2
	v_mad_u32_u24 v5, s41, v1, v5
.LBB33_446:                             ;   in Loop: Header=BB33_440 Depth=1
	s_or_b64 exec, exec, s[24:25]
	ds_bpermute_b32 v5, v16, v5
	s_cmp_eq_u64 vcc, 0
	s_cselect_b64 s[26:27], -1, 0
	s_mov_b64 s[24:25], -1
	s_waitcnt lgkmcnt(0)
	v_cmp_gt_u32_e64 s[2:3], s61, v5
	s_or_b64 s[28:29], s[26:27], s[2:3]
	s_mov_b64 s[26:27], -1
	s_and_saveexec_b64 s[2:3], s[28:29]
	s_cbranch_execz .LBB33_439
; %bb.447:                              ;   in Loop: Header=BB33_440 Depth=1
	v_and_b32_e32 v7, vcc_lo, v18
	v_and_b32_e32 v1, vcc_hi, v17
	v_bcnt_u32_b32 v7, v7, 0
	v_bcnt_u32_b32 v1, v1, v7
	v_sub_u32_e32 v7, s61, v5
	v_cmp_gt_u32_e32 vcc, v7, v1
	s_and_b64 s[42:43], s[22:23], vcc
	s_mov_b64 s[22:23], -1
	s_mov_b64 s[28:29], -1
	s_and_saveexec_b64 s[24:25], s[42:43]
	s_cbranch_execz .LBB33_451
; %bb.448:                              ;   in Loop: Header=BB33_440 Depth=1
	v_add_u32_e32 v1, v5, v1
	v_cmp_gt_u32_e32 vcc, s61, v1
	s_mov_b64 s[26:27], 0
	s_and_saveexec_b64 s[28:29], vcc
; %bb.449:                              ;   in Loop: Header=BB33_440 Depth=1
	v_mul_lo_u32 v7, v1, s39
	v_mov_b32_e32 v8, v3
	v_mul_lo_u32 v9, v1, s40
	v_mov_b32_e32 v1, s36
	v_lshlrev_b64 v[7:8], 2, v[7:8]
	v_mov_b32_e32 v10, v3
	v_add_co_u32_e32 v7, vcc, s35, v7
	v_addc_co_u32_e32 v8, vcc, v1, v8, vcc
	global_store_dword v[7:8], v11, off
	v_lshlrev_b64 v[7:8], 3, v[9:10]
	v_mov_b32_e32 v9, s38
	v_add_co_u32_e32 v7, vcc, s37, v7
	s_mov_b64 s[26:27], exec
	v_mov_b32_e32 v1, v3
	v_addc_co_u32_e32 v8, vcc, v9, v8, vcc
	global_store_dwordx2 v[7:8], v[0:1], off
; %bb.450:                              ;   in Loop: Header=BB33_440 Depth=1
	s_or_b64 exec, exec, s[28:29]
	s_xor_b64 s[28:29], exec, -1
	s_orn2_b64 s[26:27], s[26:27], exec
.LBB33_451:                             ;   in Loop: Header=BB33_440 Depth=1
	s_or_b64 exec, exec, s[24:25]
	s_and_saveexec_b64 s[24:25], s[26:27]
	s_cbranch_execz .LBB33_438
; %bb.452:                              ;   in Loop: Header=BB33_440 Depth=1
	v_cmp_le_u32_e32 vcc, s34, v4
	v_add_u32_e32 v2, s75, v2
	s_or_b64 s[28:29], s[28:29], exec
	s_orn2_b64 s[22:23], vcc, exec
	s_branch .LBB33_438
.LBB33_453:
	s_or_b64 s[14:15], s[14:15], exec
	s_trap 2
	s_branch .LBB33_417
.LBB33_454:
	s_or_b64 exec, exec, s[18:19]
	s_mov_b64 s[0:1], 0
	s_and_saveexec_b64 s[2:3], s[20:21]
	s_xor_b64 s[2:3], exec, s[2:3]
	s_cbranch_execnz .LBB33_460
.LBB33_455:
	s_or_b64 exec, exec, s[2:3]
	s_and_b64 s[2:3], s[0:1], exec
.LBB33_456:
	s_or_b64 exec, exec, s[30:31]
	s_and_b64 s[30:31], s[2:3], exec
	s_andn2_b64 s[4:5], s[4:5], exec
	s_or_b64 exec, exec, s[6:7]
	s_and_saveexec_b64 s[0:1], s[4:5]
	s_xor_b64 s[0:1], exec, s[0:1]
	s_cbranch_execz .LBB33_411
.LBB33_457:
	s_trap 2
	s_or_b64 s[30:31], s[30:31], exec
	s_branch .LBB33_411
.LBB33_458:
	s_or_b64 s[18:19], s[18:19], exec
	s_trap 2
	s_branch .LBB33_415
.LBB33_459:
	s_trap 2
	s_or_b64 s[18:19], s[18:19], exec
	s_branch .LBB33_413
.LBB33_460:
	s_mov_b64 s[0:1], exec
	s_trap 2
	s_branch .LBB33_455
	.section	.rodata,"a",@progbits
	.p2align	6, 0x0
	.amdhsa_kernel _ZN2at6native6sbtopk10gatherTopKIijLi2ELb0EEEvNS_4cuda6detail10TensorInfoIKT_T0_EES8_S8_bS8_S8_NS5_IS6_S8_EES8_NS5_IlS8_EES8_PS6_
		.amdhsa_group_segment_fixed_size 4112
		.amdhsa_private_segment_fixed_size 0
		.amdhsa_kernarg_size 952
		.amdhsa_user_sgpr_count 6
		.amdhsa_user_sgpr_private_segment_buffer 1
		.amdhsa_user_sgpr_dispatch_ptr 0
		.amdhsa_user_sgpr_queue_ptr 0
		.amdhsa_user_sgpr_kernarg_segment_ptr 1
		.amdhsa_user_sgpr_dispatch_id 0
		.amdhsa_user_sgpr_flat_scratch_init 0
		.amdhsa_user_sgpr_private_segment_size 0
		.amdhsa_uses_dynamic_stack 0
		.amdhsa_system_sgpr_private_segment_wavefront_offset 0
		.amdhsa_system_sgpr_workgroup_id_x 1
		.amdhsa_system_sgpr_workgroup_id_y 1
		.amdhsa_system_sgpr_workgroup_id_z 1
		.amdhsa_system_sgpr_workgroup_info 0
		.amdhsa_system_vgpr_workitem_id 0
		.amdhsa_next_free_vgpr 47
		.amdhsa_next_free_sgpr 96
		.amdhsa_reserve_vcc 1
		.amdhsa_reserve_flat_scratch 0
		.amdhsa_float_round_mode_32 0
		.amdhsa_float_round_mode_16_64 0
		.amdhsa_float_denorm_mode_32 3
		.amdhsa_float_denorm_mode_16_64 3
		.amdhsa_dx10_clamp 1
		.amdhsa_ieee_mode 1
		.amdhsa_fp16_overflow 0
		.amdhsa_exception_fp_ieee_invalid_op 0
		.amdhsa_exception_fp_denorm_src 0
		.amdhsa_exception_fp_ieee_div_zero 0
		.amdhsa_exception_fp_ieee_overflow 0
		.amdhsa_exception_fp_ieee_underflow 0
		.amdhsa_exception_fp_ieee_inexact 0
		.amdhsa_exception_int_div_zero 0
	.end_amdhsa_kernel
	.section	.text._ZN2at6native6sbtopk10gatherTopKIijLi2ELb0EEEvNS_4cuda6detail10TensorInfoIKT_T0_EES8_S8_bS8_S8_NS5_IS6_S8_EES8_NS5_IlS8_EES8_PS6_,"axG",@progbits,_ZN2at6native6sbtopk10gatherTopKIijLi2ELb0EEEvNS_4cuda6detail10TensorInfoIKT_T0_EES8_S8_bS8_S8_NS5_IS6_S8_EES8_NS5_IlS8_EES8_PS6_,comdat
.Lfunc_end33:
	.size	_ZN2at6native6sbtopk10gatherTopKIijLi2ELb0EEEvNS_4cuda6detail10TensorInfoIKT_T0_EES8_S8_bS8_S8_NS5_IS6_S8_EES8_NS5_IlS8_EES8_PS6_, .Lfunc_end33-_ZN2at6native6sbtopk10gatherTopKIijLi2ELb0EEEvNS_4cuda6detail10TensorInfoIKT_T0_EES8_S8_bS8_S8_NS5_IS6_S8_EES8_NS5_IlS8_EES8_PS6_
                                        ; -- End function
	.set _ZN2at6native6sbtopk10gatherTopKIijLi2ELb0EEEvNS_4cuda6detail10TensorInfoIKT_T0_EES8_S8_bS8_S8_NS5_IS6_S8_EES8_NS5_IlS8_EES8_PS6_.num_vgpr, 47
	.set _ZN2at6native6sbtopk10gatherTopKIijLi2ELb0EEEvNS_4cuda6detail10TensorInfoIKT_T0_EES8_S8_bS8_S8_NS5_IS6_S8_EES8_NS5_IlS8_EES8_PS6_.num_agpr, 0
	.set _ZN2at6native6sbtopk10gatherTopKIijLi2ELb0EEEvNS_4cuda6detail10TensorInfoIKT_T0_EES8_S8_bS8_S8_NS5_IS6_S8_EES8_NS5_IlS8_EES8_PS6_.numbered_sgpr, 96
	.set _ZN2at6native6sbtopk10gatherTopKIijLi2ELb0EEEvNS_4cuda6detail10TensorInfoIKT_T0_EES8_S8_bS8_S8_NS5_IS6_S8_EES8_NS5_IlS8_EES8_PS6_.num_named_barrier, 0
	.set _ZN2at6native6sbtopk10gatherTopKIijLi2ELb0EEEvNS_4cuda6detail10TensorInfoIKT_T0_EES8_S8_bS8_S8_NS5_IS6_S8_EES8_NS5_IlS8_EES8_PS6_.private_seg_size, 0
	.set _ZN2at6native6sbtopk10gatherTopKIijLi2ELb0EEEvNS_4cuda6detail10TensorInfoIKT_T0_EES8_S8_bS8_S8_NS5_IS6_S8_EES8_NS5_IlS8_EES8_PS6_.uses_vcc, 1
	.set _ZN2at6native6sbtopk10gatherTopKIijLi2ELb0EEEvNS_4cuda6detail10TensorInfoIKT_T0_EES8_S8_bS8_S8_NS5_IS6_S8_EES8_NS5_IlS8_EES8_PS6_.uses_flat_scratch, 0
	.set _ZN2at6native6sbtopk10gatherTopKIijLi2ELb0EEEvNS_4cuda6detail10TensorInfoIKT_T0_EES8_S8_bS8_S8_NS5_IS6_S8_EES8_NS5_IlS8_EES8_PS6_.has_dyn_sized_stack, 0
	.set _ZN2at6native6sbtopk10gatherTopKIijLi2ELb0EEEvNS_4cuda6detail10TensorInfoIKT_T0_EES8_S8_bS8_S8_NS5_IS6_S8_EES8_NS5_IlS8_EES8_PS6_.has_recursion, 0
	.set _ZN2at6native6sbtopk10gatherTopKIijLi2ELb0EEEvNS_4cuda6detail10TensorInfoIKT_T0_EES8_S8_bS8_S8_NS5_IS6_S8_EES8_NS5_IlS8_EES8_PS6_.has_indirect_call, 0
	.section	.AMDGPU.csdata,"",@progbits
; Kernel info:
; codeLenInByte = 14768
; TotalNumSgprs: 100
; NumVgprs: 47
; ScratchSize: 0
; MemoryBound: 0
; FloatMode: 240
; IeeeMode: 1
; LDSByteSize: 4112 bytes/workgroup (compile time only)
; SGPRBlocks: 12
; VGPRBlocks: 11
; NumSGPRsForWavesPerEU: 100
; NumVGPRsForWavesPerEU: 47
; Occupancy: 5
; WaveLimiterHint : 1
; COMPUTE_PGM_RSRC2:SCRATCH_EN: 0
; COMPUTE_PGM_RSRC2:USER_SGPR: 6
; COMPUTE_PGM_RSRC2:TRAP_HANDLER: 0
; COMPUTE_PGM_RSRC2:TGID_X_EN: 1
; COMPUTE_PGM_RSRC2:TGID_Y_EN: 1
; COMPUTE_PGM_RSRC2:TGID_Z_EN: 1
; COMPUTE_PGM_RSRC2:TIDIG_COMP_CNT: 0
	.section	.text._ZN2at6native6mbtopk23computeBlockDigitCountsIijjLi3EEEvNS_4cuda6detail10TensorInfoIKT_T0_EEjPjjS8_iijT1_PSB_Ps,"axG",@progbits,_ZN2at6native6mbtopk23computeBlockDigitCountsIijjLi3EEEvNS_4cuda6detail10TensorInfoIKT_T0_EEjPjjS8_iijT1_PSB_Ps,comdat
	.protected	_ZN2at6native6mbtopk23computeBlockDigitCountsIijjLi3EEEvNS_4cuda6detail10TensorInfoIKT_T0_EEjPjjS8_iijT1_PSB_Ps ; -- Begin function _ZN2at6native6mbtopk23computeBlockDigitCountsIijjLi3EEEvNS_4cuda6detail10TensorInfoIKT_T0_EEjPjjS8_iijT1_PSB_Ps
	.globl	_ZN2at6native6mbtopk23computeBlockDigitCountsIijjLi3EEEvNS_4cuda6detail10TensorInfoIKT_T0_EEjPjjS8_iijT1_PSB_Ps
	.p2align	8
	.type	_ZN2at6native6mbtopk23computeBlockDigitCountsIijjLi3EEEvNS_4cuda6detail10TensorInfoIKT_T0_EEjPjjS8_iijT1_PSB_Ps,@function
_ZN2at6native6mbtopk23computeBlockDigitCountsIijjLi3EEEvNS_4cuda6detail10TensorInfoIKT_T0_EEjPjjS8_iijT1_PSB_Ps: ; @_ZN2at6native6mbtopk23computeBlockDigitCountsIijjLi3EEEvNS_4cuda6detail10TensorInfoIKT_T0_EEjPjjS8_iijT1_PSB_Ps
; %bb.0:
	s_load_dwordx2 s[10:11], s[4:5], 0xf8
	s_load_dwordx4 s[12:15], s[4:5], 0xe8
	s_load_dwordx2 s[0:1], s[4:5], 0x110
	s_waitcnt lgkmcnt(0)
	v_cvt_f32_u32_e32 v1, s10
	s_sub_i32 s2, 0, s10
	s_mul_i32 s1, s1, s8
	s_add_i32 s1, s1, s7
	v_rcp_iflag_f32_e32 v1, v1
	s_mul_i32 s18, s1, s0
	s_add_i32 s18, s18, s6
	s_mov_b32 s7, 0
	v_mul_f32_e32 v1, 0x4f7ffffe, v1
	v_cvt_u32_f32_e32 v1, v1
	v_readfirstlane_b32 s0, v1
	s_mul_i32 s2, s2, s0
	s_mul_hi_u32 s1, s0, s2
	s_add_i32 s0, s0, s1
	s_mul_hi_u32 s0, s18, s0
	s_mul_i32 s1, s0, s10
	s_sub_i32 s1, s18, s1
	s_add_i32 s2, s0, 1
	s_sub_i32 s3, s1, s10
	s_cmp_ge_u32 s1, s10
	s_cselect_b32 s0, s2, s0
	s_cselect_b32 s1, s3, s1
	s_add_i32 s2, s0, 1
	s_cmp_ge_u32 s1, s10
	s_cselect_b32 s6, s2, s0
	s_cmp_ge_u32 s6, s12
	s_cbranch_scc1 .LBB34_27
; %bb.1:
	s_load_dwordx2 s[8:9], s[4:5], 0xc
	s_load_dwordx4 s[0:3], s[4:5], 0x100
	s_lshl_b64 s[16:17], s[6:7], 2
	s_movk_i32 s7, 0x100
	v_cmp_gt_u32_e32 vcc, s7, v0
	s_waitcnt lgkmcnt(0)
	v_cvt_f32_u32_e32 v1, s9
	v_cvt_f32_u32_e32 v2, s8
	s_add_u32 s0, s0, s16
	s_addc_u32 s1, s1, s17
	v_rcp_iflag_f32_e32 v1, v1
	s_sub_i32 s12, 0, s9
	v_rcp_iflag_f32_e32 v2, v2
	v_lshlrev_b32_e32 v3, 2, v0
	v_mul_f32_e32 v1, 0x4f7ffffe, v1
	v_cvt_u32_f32_e32 v1, v1
	v_mul_f32_e32 v2, 0x4f7ffffe, v2
	v_cvt_u32_f32_e32 v2, v2
	v_readfirstlane_b32 s16, v1
	s_mul_i32 s12, s12, s16
	s_mul_hi_u32 s12, s16, s12
	s_add_i32 s16, s16, s12
	s_mul_hi_u32 s12, s6, s16
	s_mul_i32 s16, s12, s9
	s_sub_i32 s16, s6, s16
	s_add_i32 s17, s12, 1
	s_sub_i32 s19, s16, s9
	s_cmp_ge_u32 s16, s9
	s_cselect_b32 s12, s17, s12
	s_cselect_b32 s16, s19, s16
	s_add_i32 s17, s12, 1
	s_cmp_ge_u32 s16, s9
	v_readfirstlane_b32 s20, v2
	s_cselect_b32 s19, s17, s12
	s_and_saveexec_b64 s[16:17], vcc
; %bb.2:
	v_mov_b32_e32 v1, 0
	ds_write_b32 v3, v1
; %bb.3:
	s_or_b64 exec, exec, s[16:17]
	s_load_dword s12, s[4:5], 0xd8
	s_mul_i32 s7, s6, s10
	s_sub_i32 s7, s18, s7
	s_add_i32 s17, s7, 1
	s_mul_i32 s7, s15, s7
	s_lshl_b32 s16, s7, 8
	s_waitcnt lgkmcnt(0)
	s_sub_i32 s7, s12, s16
	s_add_u32 s22, s7, 0xff
	s_addc_u32 s23, 0, 0
	s_lshr_b64 s[22:23], s[22:23], 8
	s_cmp_lt_u32 s17, s10
	s_cselect_b32 s15, s15, s22
	s_cmp_lt_i32 s15, 1
	s_mov_b32 s7, 0
	s_barrier
	s_cbranch_scc1 .LBB34_25
; %bb.4:
	s_sub_i32 s10, 0, s8
	s_mul_i32 s10, s10, s20
	s_mul_hi_u32 s10, s20, s10
	s_add_i32 s10, s20, s10
	s_load_dwordx4 s[20:23], s[4:5], 0x6c
	s_load_dwordx2 s[24:25], s[4:5], 0x0
	s_mul_hi_u32 s4, s19, s10
	s_load_dword s10, s[0:1], 0x0
	s_mul_i32 s1, s4, s8
	s_mul_i32 s0, s19, s9
	s_sub_i32 s1, s19, s1
	s_sub_i32 s0, s6, s0
	s_add_i32 s5, s4, 1
	s_sub_i32 s6, s1, s8
	s_cmp_ge_u32 s1, s8
	s_cselect_b32 s4, s5, s4
	s_cselect_b32 s1, s6, s1
	s_add_i32 s5, s4, 1
	s_cmp_ge_u32 s1, s8
	s_cselect_b32 s1, s5, s4
	s_mul_i32 s4, s1, s8
	s_sub_i32 s4, s19, s4
	s_waitcnt lgkmcnt(0)
	s_mul_i32 s0, s0, s22
	s_mul_i32 s4, s4, s21
	s_add_i32 s0, s4, s0
	s_mul_i32 s1, s1, s20
	s_add_i32 s6, s0, s1
	s_lshl_b64 s[0:1], s[6:7], 2
	s_add_u32 s6, s24, s0
	s_addc_u32 s8, s25, s1
	s_and_b32 s9, s14, 0xff
	s_cmp_lt_u32 s15, 4
	s_cbranch_scc1 .LBB34_19
; %bb.5:
	v_add_u32_e32 v1, s16, v0
	v_add_u32_e32 v2, 0x200, v1
	v_add_u32_e32 v4, 0x300, v1
	v_mul_lo_u32 v6, s13, v2
	v_add_u32_e32 v2, 0x100, v1
	v_mul_lo_u32 v5, s13, v4
	v_mul_lo_u32 v7, s13, v2
	;; [unrolled: 1-line block ×3, first 2 shown]
	s_and_b32 s7, s15, 0x7ffffffc
	s_lshl_b32 s14, s13, 10
	s_mov_b32 s17, 0
	v_mov_b32_e32 v2, 0
	v_mov_b32_e32 v9, 1
	s_mov_b32 s19, 0
	s_branch .LBB34_7
.LBB34_6:                               ;   in Loop: Header=BB34_7 Depth=1
	s_or_b64 exec, exec, s[4:5]
	s_add_i32 s19, s19, 4
	s_add_i32 s17, s17, s14
	s_cmp_eq_u32 s7, s19
	v_add_u32_e32 v4, 0x400, v4
	s_cbranch_scc1 .LBB34_19
.LBB34_7:                               ; =>This Inner Loop Header: Depth=1
	v_add_u32_e32 v1, 0xfffffd00, v4
	v_cmp_gt_u32_e64 s[0:1], s12, v1
	s_and_saveexec_b64 s[4:5], s[0:1]
	s_cbranch_execz .LBB34_10
; %bb.8:                                ;   in Loop: Header=BB34_7 Depth=1
	v_add_u32_e32 v1, s17, v8
	v_lshlrev_b64 v[10:11], 2, v[1:2]
	v_mov_b32_e32 v1, s8
	v_add_co_u32_e64 v10, s[0:1], s6, v10
	v_addc_co_u32_e64 v11, s[0:1], v1, v11, s[0:1]
	global_load_dword v1, v[10:11], off
	s_waitcnt vmcnt(0)
	v_xor_b32_e32 v1, 0x80000000, v1
	v_xor_b32_e32 v10, s10, v1
	v_and_b32_e32 v10, s11, v10
	v_cmp_eq_u32_e64 s[0:1], 0, v10
	s_and_b64 exec, exec, s[0:1]
; %bb.9:                                ;   in Loop: Header=BB34_7 Depth=1
	v_bfe_u32 v1, v1, s9, 8
	v_lshlrev_b32_e32 v1, 2, v1
	ds_add_u32 v1, v9
.LBB34_10:                              ;   in Loop: Header=BB34_7 Depth=1
	s_or_b64 exec, exec, s[4:5]
	v_add_u32_e32 v1, 0xfffffe00, v4
	v_cmp_gt_u32_e64 s[0:1], s12, v1
	s_and_saveexec_b64 s[4:5], s[0:1]
	s_cbranch_execz .LBB34_13
; %bb.11:                               ;   in Loop: Header=BB34_7 Depth=1
	v_add_u32_e32 v1, s17, v7
	v_lshlrev_b64 v[10:11], 2, v[1:2]
	v_mov_b32_e32 v1, s8
	v_add_co_u32_e64 v10, s[0:1], s6, v10
	v_addc_co_u32_e64 v11, s[0:1], v1, v11, s[0:1]
	global_load_dword v1, v[10:11], off
	s_waitcnt vmcnt(0)
	v_xor_b32_e32 v1, 0x80000000, v1
	v_xor_b32_e32 v10, s10, v1
	v_and_b32_e32 v10, s11, v10
	v_cmp_eq_u32_e64 s[0:1], 0, v10
	s_and_b64 exec, exec, s[0:1]
; %bb.12:                               ;   in Loop: Header=BB34_7 Depth=1
	v_bfe_u32 v1, v1, s9, 8
	v_lshlrev_b32_e32 v1, 2, v1
	ds_add_u32 v1, v9
.LBB34_13:                              ;   in Loop: Header=BB34_7 Depth=1
	s_or_b64 exec, exec, s[4:5]
	v_add_u32_e32 v1, 0xffffff00, v4
	v_cmp_gt_u32_e64 s[0:1], s12, v1
	s_and_saveexec_b64 s[4:5], s[0:1]
	s_cbranch_execz .LBB34_16
; %bb.14:                               ;   in Loop: Header=BB34_7 Depth=1
	v_add_u32_e32 v1, s17, v6
	v_lshlrev_b64 v[10:11], 2, v[1:2]
	v_mov_b32_e32 v1, s8
	v_add_co_u32_e64 v10, s[0:1], s6, v10
	v_addc_co_u32_e64 v11, s[0:1], v1, v11, s[0:1]
	global_load_dword v1, v[10:11], off
	s_waitcnt vmcnt(0)
	v_xor_b32_e32 v1, 0x80000000, v1
	v_xor_b32_e32 v10, s10, v1
	v_and_b32_e32 v10, s11, v10
	v_cmp_eq_u32_e64 s[0:1], 0, v10
	s_and_b64 exec, exec, s[0:1]
; %bb.15:                               ;   in Loop: Header=BB34_7 Depth=1
	v_bfe_u32 v1, v1, s9, 8
	v_lshlrev_b32_e32 v1, 2, v1
	ds_add_u32 v1, v9
.LBB34_16:                              ;   in Loop: Header=BB34_7 Depth=1
	s_or_b64 exec, exec, s[4:5]
	v_cmp_gt_u32_e64 s[0:1], s12, v4
	s_and_saveexec_b64 s[4:5], s[0:1]
	s_cbranch_execz .LBB34_6
; %bb.17:                               ;   in Loop: Header=BB34_7 Depth=1
	v_add_u32_e32 v1, s17, v5
	v_lshlrev_b64 v[10:11], 2, v[1:2]
	v_mov_b32_e32 v1, s8
	v_add_co_u32_e64 v10, s[0:1], s6, v10
	v_addc_co_u32_e64 v11, s[0:1], v1, v11, s[0:1]
	global_load_dword v1, v[10:11], off
	s_waitcnt vmcnt(0)
	v_xor_b32_e32 v1, 0x80000000, v1
	v_xor_b32_e32 v10, s10, v1
	v_and_b32_e32 v10, s11, v10
	v_cmp_eq_u32_e64 s[0:1], 0, v10
	s_and_b64 exec, exec, s[0:1]
	s_cbranch_execz .LBB34_6
; %bb.18:                               ;   in Loop: Header=BB34_7 Depth=1
	v_bfe_u32 v1, v1, s9, 8
	v_lshlrev_b32_e32 v1, 2, v1
	ds_add_u32 v1, v9
	s_branch .LBB34_6
.LBB34_19:
	s_and_b32 s14, s15, 3
	s_cmp_eq_u32 s14, 0
	s_cbranch_scc1 .LBB34_25
; %bb.20:
	s_lshl_b32 s0, s7, 8
	s_add_i32 s0, s0, s16
	v_add_u32_e32 v4, s0, v0
	v_mul_lo_u32 v1, s13, v4
	s_lshl_b32 s7, s13, 8
	v_mov_b32_e32 v2, 0
	v_mov_b32_e32 v5, 1
	s_branch .LBB34_22
.LBB34_21:                              ;   in Loop: Header=BB34_22 Depth=1
	s_or_b64 exec, exec, s[4:5]
	s_add_i32 s14, s14, -1
	v_add_u32_e32 v1, s7, v1
	s_cmp_lg_u32 s14, 0
	v_add_u32_e32 v4, 0x100, v4
	s_cbranch_scc0 .LBB34_25
.LBB34_22:                              ; =>This Inner Loop Header: Depth=1
	v_cmp_gt_u32_e64 s[0:1], s12, v4
	s_and_saveexec_b64 s[4:5], s[0:1]
	s_cbranch_execz .LBB34_21
; %bb.23:                               ;   in Loop: Header=BB34_22 Depth=1
	v_lshlrev_b64 v[6:7], 2, v[1:2]
	v_mov_b32_e32 v8, s8
	v_add_co_u32_e64 v6, s[0:1], s6, v6
	v_addc_co_u32_e64 v7, s[0:1], v8, v7, s[0:1]
	global_load_dword v6, v[6:7], off
	s_waitcnt vmcnt(0)
	v_xor_b32_e32 v6, 0x80000000, v6
	v_xor_b32_e32 v7, s10, v6
	v_and_b32_e32 v7, s11, v7
	v_cmp_eq_u32_e64 s[0:1], 0, v7
	s_and_b64 exec, exec, s[0:1]
	s_cbranch_execz .LBB34_21
; %bb.24:                               ;   in Loop: Header=BB34_22 Depth=1
	v_bfe_u32 v6, v6, s9, 8
	v_lshlrev_b32_e32 v6, 2, v6
	ds_add_u32 v6, v5
	s_branch .LBB34_21
.LBB34_25:
	s_waitcnt lgkmcnt(0)
	s_barrier
	s_and_saveexec_b64 s[0:1], vcc
	s_cbranch_execz .LBB34_27
; %bb.26:
	v_lshl_or_b32 v0, s18, 8, v0
	v_mov_b32_e32 v1, 0
	ds_read_b32 v3, v3
	v_lshlrev_b64 v[0:1], 1, v[0:1]
	v_mov_b32_e32 v2, s3
	v_add_co_u32_e32 v0, vcc, s2, v0
	v_addc_co_u32_e32 v1, vcc, v2, v1, vcc
	s_waitcnt lgkmcnt(0)
	global_store_short v[0:1], v3, off
.LBB34_27:
	s_endpgm
	.section	.rodata,"a",@progbits
	.p2align	6, 0x0
	.amdhsa_kernel _ZN2at6native6mbtopk23computeBlockDigitCountsIijjLi3EEEvNS_4cuda6detail10TensorInfoIKT_T0_EEjPjjS8_iijT1_PSB_Ps
		.amdhsa_group_segment_fixed_size 1024
		.amdhsa_private_segment_fixed_size 0
		.amdhsa_kernarg_size 528
		.amdhsa_user_sgpr_count 6
		.amdhsa_user_sgpr_private_segment_buffer 1
		.amdhsa_user_sgpr_dispatch_ptr 0
		.amdhsa_user_sgpr_queue_ptr 0
		.amdhsa_user_sgpr_kernarg_segment_ptr 1
		.amdhsa_user_sgpr_dispatch_id 0
		.amdhsa_user_sgpr_flat_scratch_init 0
		.amdhsa_user_sgpr_private_segment_size 0
		.amdhsa_uses_dynamic_stack 0
		.amdhsa_system_sgpr_private_segment_wavefront_offset 0
		.amdhsa_system_sgpr_workgroup_id_x 1
		.amdhsa_system_sgpr_workgroup_id_y 1
		.amdhsa_system_sgpr_workgroup_id_z 1
		.amdhsa_system_sgpr_workgroup_info 0
		.amdhsa_system_vgpr_workitem_id 0
		.amdhsa_next_free_vgpr 12
		.amdhsa_next_free_sgpr 26
		.amdhsa_reserve_vcc 1
		.amdhsa_reserve_flat_scratch 0
		.amdhsa_float_round_mode_32 0
		.amdhsa_float_round_mode_16_64 0
		.amdhsa_float_denorm_mode_32 3
		.amdhsa_float_denorm_mode_16_64 3
		.amdhsa_dx10_clamp 1
		.amdhsa_ieee_mode 1
		.amdhsa_fp16_overflow 0
		.amdhsa_exception_fp_ieee_invalid_op 0
		.amdhsa_exception_fp_denorm_src 0
		.amdhsa_exception_fp_ieee_div_zero 0
		.amdhsa_exception_fp_ieee_overflow 0
		.amdhsa_exception_fp_ieee_underflow 0
		.amdhsa_exception_fp_ieee_inexact 0
		.amdhsa_exception_int_div_zero 0
	.end_amdhsa_kernel
	.section	.text._ZN2at6native6mbtopk23computeBlockDigitCountsIijjLi3EEEvNS_4cuda6detail10TensorInfoIKT_T0_EEjPjjS8_iijT1_PSB_Ps,"axG",@progbits,_ZN2at6native6mbtopk23computeBlockDigitCountsIijjLi3EEEvNS_4cuda6detail10TensorInfoIKT_T0_EEjPjjS8_iijT1_PSB_Ps,comdat
.Lfunc_end34:
	.size	_ZN2at6native6mbtopk23computeBlockDigitCountsIijjLi3EEEvNS_4cuda6detail10TensorInfoIKT_T0_EEjPjjS8_iijT1_PSB_Ps, .Lfunc_end34-_ZN2at6native6mbtopk23computeBlockDigitCountsIijjLi3EEEvNS_4cuda6detail10TensorInfoIKT_T0_EEjPjjS8_iijT1_PSB_Ps
                                        ; -- End function
	.set _ZN2at6native6mbtopk23computeBlockDigitCountsIijjLi3EEEvNS_4cuda6detail10TensorInfoIKT_T0_EEjPjjS8_iijT1_PSB_Ps.num_vgpr, 12
	.set _ZN2at6native6mbtopk23computeBlockDigitCountsIijjLi3EEEvNS_4cuda6detail10TensorInfoIKT_T0_EEjPjjS8_iijT1_PSB_Ps.num_agpr, 0
	.set _ZN2at6native6mbtopk23computeBlockDigitCountsIijjLi3EEEvNS_4cuda6detail10TensorInfoIKT_T0_EEjPjjS8_iijT1_PSB_Ps.numbered_sgpr, 26
	.set _ZN2at6native6mbtopk23computeBlockDigitCountsIijjLi3EEEvNS_4cuda6detail10TensorInfoIKT_T0_EEjPjjS8_iijT1_PSB_Ps.num_named_barrier, 0
	.set _ZN2at6native6mbtopk23computeBlockDigitCountsIijjLi3EEEvNS_4cuda6detail10TensorInfoIKT_T0_EEjPjjS8_iijT1_PSB_Ps.private_seg_size, 0
	.set _ZN2at6native6mbtopk23computeBlockDigitCountsIijjLi3EEEvNS_4cuda6detail10TensorInfoIKT_T0_EEjPjjS8_iijT1_PSB_Ps.uses_vcc, 1
	.set _ZN2at6native6mbtopk23computeBlockDigitCountsIijjLi3EEEvNS_4cuda6detail10TensorInfoIKT_T0_EEjPjjS8_iijT1_PSB_Ps.uses_flat_scratch, 0
	.set _ZN2at6native6mbtopk23computeBlockDigitCountsIijjLi3EEEvNS_4cuda6detail10TensorInfoIKT_T0_EEjPjjS8_iijT1_PSB_Ps.has_dyn_sized_stack, 0
	.set _ZN2at6native6mbtopk23computeBlockDigitCountsIijjLi3EEEvNS_4cuda6detail10TensorInfoIKT_T0_EEjPjjS8_iijT1_PSB_Ps.has_recursion, 0
	.set _ZN2at6native6mbtopk23computeBlockDigitCountsIijjLi3EEEvNS_4cuda6detail10TensorInfoIKT_T0_EEjPjjS8_iijT1_PSB_Ps.has_indirect_call, 0
	.section	.AMDGPU.csdata,"",@progbits
; Kernel info:
; codeLenInByte = 1396
; TotalNumSgprs: 30
; NumVgprs: 12
; ScratchSize: 0
; MemoryBound: 0
; FloatMode: 240
; IeeeMode: 1
; LDSByteSize: 1024 bytes/workgroup (compile time only)
; SGPRBlocks: 3
; VGPRBlocks: 2
; NumSGPRsForWavesPerEU: 30
; NumVGPRsForWavesPerEU: 12
; Occupancy: 10
; WaveLimiterHint : 1
; COMPUTE_PGM_RSRC2:SCRATCH_EN: 0
; COMPUTE_PGM_RSRC2:USER_SGPR: 6
; COMPUTE_PGM_RSRC2:TRAP_HANDLER: 0
; COMPUTE_PGM_RSRC2:TGID_X_EN: 1
; COMPUTE_PGM_RSRC2:TGID_Y_EN: 1
; COMPUTE_PGM_RSRC2:TGID_Z_EN: 1
; COMPUTE_PGM_RSRC2:TIDIG_COMP_CNT: 0
	.section	.text._ZN2at6native6mbtopk10gatherTopKIijLi3EEEvNS_4cuda6detail10TensorInfoIKT_T0_EES8_S8_bjS8_NS5_IS6_S8_EES8_NS5_IlS8_EES8_jjPS6_PjSD_j,"axG",@progbits,_ZN2at6native6mbtopk10gatherTopKIijLi3EEEvNS_4cuda6detail10TensorInfoIKT_T0_EES8_S8_bjS8_NS5_IS6_S8_EES8_NS5_IlS8_EES8_jjPS6_PjSD_j,comdat
	.protected	_ZN2at6native6mbtopk10gatherTopKIijLi3EEEvNS_4cuda6detail10TensorInfoIKT_T0_EES8_S8_bjS8_NS5_IS6_S8_EES8_NS5_IlS8_EES8_jjPS6_PjSD_j ; -- Begin function _ZN2at6native6mbtopk10gatherTopKIijLi3EEEvNS_4cuda6detail10TensorInfoIKT_T0_EES8_S8_bjS8_NS5_IS6_S8_EES8_NS5_IlS8_EES8_jjPS6_PjSD_j
	.globl	_ZN2at6native6mbtopk10gatherTopKIijLi3EEEvNS_4cuda6detail10TensorInfoIKT_T0_EES8_S8_bjS8_NS5_IS6_S8_EES8_NS5_IlS8_EES8_jjPS6_PjSD_j
	.p2align	8
	.type	_ZN2at6native6mbtopk10gatherTopKIijLi3EEEvNS_4cuda6detail10TensorInfoIKT_T0_EES8_S8_bjS8_NS5_IS6_S8_EES8_NS5_IlS8_EES8_jjPS6_PjSD_j,@function
_ZN2at6native6mbtopk10gatherTopKIijLi3EEEvNS_4cuda6detail10TensorInfoIKT_T0_EES8_S8_bjS8_NS5_IS6_S8_EES8_NS5_IlS8_EES8_jjPS6_PjSD_j: ; @_ZN2at6native6mbtopk10gatherTopKIijLi3EEEvNS_4cuda6detail10TensorInfoIKT_T0_EES8_S8_bjS8_NS5_IS6_S8_EES8_NS5_IlS8_EES8_jjPS6_PjSD_j
; %bb.0:
	s_load_dwordx2 s[0:1], s[4:5], 0x2d8
	s_load_dword s2, s[4:5], 0x2d0
	s_waitcnt lgkmcnt(0)
	s_mul_i32 s1, s1, s8
	s_add_i32 s1, s1, s7
	s_mul_i32 s0, s1, s0
	s_add_i32 s0, s0, s6
	s_cmp_ge_u32 s0, s2
	s_cbranch_scc1 .LBB35_40
; %bb.1:
	s_load_dwordx8 s[8:15], s[4:5], 0x2a8
	s_load_dwordx4 s[16:19], s[4:5], 0x23c
	s_load_dwordx2 s[38:39], s[4:5], 0x1dc
	s_load_dwordx2 s[6:7], s[4:5], 0x1d0
	s_load_dwordx4 s[20:23], s[4:5], 0x15c
	s_load_dwordx2 s[40:41], s[4:5], 0xfc
	s_load_dwordx2 s[34:35], s[4:5], 0xf0
	;; [unrolled: 3-line block ×3, first 2 shown]
	s_mov_b32 s43, 0
	s_waitcnt lgkmcnt(0)
	v_cvt_f32_u32_e32 v1, s10
	s_sub_i32 s1, 0, s10
	v_cvt_f32_u32_e32 v2, s45
	v_rcp_iflag_f32_e32 v1, v1
	v_mul_f32_e32 v1, 0x4f7ffffe, v1
	v_cvt_u32_f32_e32 v1, v1
	v_readfirstlane_b32 s2, v1
	s_mul_i32 s1, s1, s2
	s_mul_hi_u32 s1, s2, s1
	s_add_i32 s2, s2, s1
	v_rcp_iflag_f32_e32 v1, v2
	s_mul_hi_u32 s1, s0, s2
	s_mul_i32 s2, s1, s10
	s_sub_i32 s2, s0, s2
	s_add_i32 s3, s1, 1
	s_sub_i32 s11, s2, s10
	v_mul_f32_e32 v1, 0x4f7ffffe, v1
	s_cmp_ge_u32 s2, s10
	v_cvt_u32_f32_e32 v1, v1
	s_cselect_b32 s1, s3, s1
	s_cselect_b32 s2, s11, s2
	s_add_i32 s3, s1, 1
	s_cmp_ge_u32 s2, s10
	s_cselect_b32 s42, s3, s1
	v_readfirstlane_b32 s1, v1
	v_cvt_f32_u32_e32 v1, s44
	s_mul_i32 s28, s42, s10
	s_sub_i32 s11, s0, s28
	s_sub_i32 s0, 0, s45
	s_mul_i32 s0, s0, s1
	s_mul_hi_u32 s0, s1, s0
	v_rcp_iflag_f32_e32 v1, v1
	s_add_i32 s1, s1, s0
	v_cvt_f32_u32_e32 v2, s41
	s_mul_hi_u32 s0, s42, s1
	s_mul_i32 s1, s0, s45
	s_sub_i32 s1, s42, s1
	v_mul_f32_e32 v1, 0x4f7ffffe, v1
	s_add_i32 s2, s0, 1
	s_sub_i32 s3, s1, s45
	v_cvt_u32_f32_e32 v1, v1
	v_rcp_iflag_f32_e32 v2, v2
	s_cmp_ge_u32 s1, s45
	s_cselect_b32 s0, s2, s0
	s_cselect_b32 s1, s3, s1
	s_add_i32 s2, s0, 1
	s_cmp_ge_u32 s1, s45
	v_readfirstlane_b32 s1, v1
	v_mul_f32_e32 v1, 0x4f7ffffe, v2
	s_cselect_b32 s23, s2, s0
	s_sub_i32 s0, 0, s44
	v_cvt_u32_f32_e32 v1, v1
	s_mul_i32 s0, s0, s1
	s_mul_hi_u32 s0, s1, s0
	s_add_i32 s1, s1, s0
	s_mul_hi_u32 s27, s23, s1
	v_readfirstlane_b32 s1, v1
	v_cvt_f32_u32_e32 v1, s40
	s_sub_i32 s0, 0, s41
	s_mul_i32 s0, s0, s1
	s_mul_hi_u32 s0, s1, s0
	v_rcp_iflag_f32_e32 v1, v1
	s_add_i32 s1, s1, s0
	v_cvt_f32_u32_e32 v2, s39
	s_mul_hi_u32 s0, s42, s1
	s_mul_i32 s1, s0, s41
	s_sub_i32 s1, s42, s1
	v_mul_f32_e32 v1, 0x4f7ffffe, v1
	s_add_i32 s2, s0, 1
	s_sub_i32 s3, s1, s41
	v_cvt_u32_f32_e32 v1, v1
	v_rcp_iflag_f32_e32 v2, v2
	s_cmp_ge_u32 s1, s41
	s_cselect_b32 s0, s2, s0
	s_cselect_b32 s1, s3, s1
	s_add_i32 s2, s0, 1
	s_cmp_ge_u32 s1, s41
	v_readfirstlane_b32 s1, v1
	v_mul_f32_e32 v1, 0x4f7ffffe, v2
	v_cvt_u32_f32_e32 v1, v1
	s_cselect_b32 s33, s2, s0
	s_sub_i32 s0, 0, s40
	s_mul_i32 s0, s0, s1
	s_mul_hi_u32 s0, s1, s0
	s_add_i32 s2, s1, s0
	v_readfirstlane_b32 s1, v1
	v_cvt_f32_u32_e32 v1, s38
	s_sub_i32 s0, 0, s39
	s_mul_i32 s0, s0, s1
	s_mul_hi_u32 s0, s1, s0
	s_add_i32 s1, s1, s0
	v_rcp_iflag_f32_e32 v1, v1
	s_mul_hi_u32 s0, s42, s1
	s_mul_i32 s1, s0, s39
	s_sub_i32 s1, s42, s1
	s_add_i32 s3, s0, 1
	s_sub_i32 s19, s1, s39
	v_mul_f32_e32 v1, 0x4f7ffffe, v1
	s_cmp_ge_u32 s1, s39
	v_cvt_u32_f32_e32 v1, v1
	s_cselect_b32 s0, s3, s0
	s_cselect_b32 s1, s19, s1
	s_add_i32 s3, s0, 1
	s_cmp_ge_u32 s1, s39
	s_cselect_b32 s52, s3, s0
	s_sub_i32 s0, 0, s38
	v_readfirstlane_b32 s1, v1
	s_mul_i32 s0, s0, s1
	s_mul_hi_u32 s0, s1, s0
	s_add_i32 s3, s1, s0
	s_lshl_b64 s[0:1], s[42:43], 2
	s_add_u32 s0, s12, s0
	s_addc_u32 s1, s13, s1
	s_load_dword s19, s[0:1], 0x0
	s_mul_hi_u32 s54, s33, s2
	s_mul_hi_u32 s53, s52, s3
	v_cmp_ne_u32_e64 s[0:1], 0, v0
	v_cmp_eq_u32_e64 s[2:3], 0, v0
	s_and_saveexec_b64 s[12:13], s[2:3]
	s_cbranch_execz .LBB35_17
; %bb.2:
	s_load_dwordx2 s[46:47], s[4:5], 0x2c8
	s_mov_b32 s29, s43
	s_lshl_b64 s[48:49], s[28:29], 2
	s_add_u32 s28, s14, s48
	s_addc_u32 s29, s15, s49
	s_waitcnt lgkmcnt(0)
	s_add_u32 s30, s46, s48
	s_addc_u32 s31, s47, s49
	s_cmp_lt_u32 s10, 4
	s_cbranch_scc1 .LBB35_14
; %bb.3:
	s_mov_b32 s55, s43
	s_mov_b32 s56, s43
	;; [unrolled: 1-line block ×3, first 2 shown]
.LBB35_4:                               ; =>This Inner Loop Header: Depth=1
	s_add_u32 s50, s14, s48
	s_addc_u32 s51, s15, s49
	s_load_dwordx4 s[28:31], s[50:51], 0x0
	s_add_u32 s50, s46, s48
	s_addc_u32 s51, s47, s49
	s_cmp_ge_u32 s57, s11
	s_cbranch_scc0 .LBB35_11
; %bb.5:                                ;   in Loop: Header=BB35_4 Depth=1
	s_add_i32 s58, s57, 1
	s_cmp_ge_u32 s58, s11
	s_cbranch_scc0 .LBB35_12
.LBB35_6:                               ;   in Loop: Header=BB35_4 Depth=1
	s_add_i32 s58, s58, 1
	s_cmp_ge_u32 s58, s11
	s_cbranch_scc0 .LBB35_13
.LBB35_7:                               ;   in Loop: Header=BB35_4 Depth=1
	s_add_i32 s58, s58, 1
	s_cmp_ge_u32 s58, s11
	s_cbranch_scc1 .LBB35_9
.LBB35_8:                               ;   in Loop: Header=BB35_4 Depth=1
	s_load_dword s50, s[50:51], 0xc
	s_waitcnt lgkmcnt(0)
	s_add_i32 s43, s43, s31
	s_add_i32 s55, s50, s55
.LBB35_9:                               ;   in Loop: Header=BB35_4 Depth=1
	s_waitcnt lgkmcnt(0)
	s_add_i32 s28, s28, s56
	s_add_i32 s28, s28, s29
	;; [unrolled: 1-line block ×4, first 2 shown]
	s_add_u32 s14, s14, 16
	s_addc_u32 s15, s15, 0
	s_add_u32 s46, s46, 16
	s_addc_u32 s47, s47, 0
	s_add_i32 s51, s58, 4
	s_add_u32 s30, s46, s48
	s_addc_u32 s31, s47, s49
	s_add_u32 s28, s14, s48
	s_addc_u32 s29, s15, s49
	s_add_i32 s50, s58, 1
	s_cmp_ge_u32 s51, s10
	s_cbranch_scc1 .LBB35_15
; %bb.10:                               ;   in Loop: Header=BB35_4 Depth=1
	s_mov_b32 s57, s50
	s_branch .LBB35_4
.LBB35_11:                              ;   in Loop: Header=BB35_4 Depth=1
	s_load_dword s58, s[50:51], 0x0
	s_waitcnt lgkmcnt(0)
	s_add_i32 s43, s28, s43
	s_add_i32 s55, s58, s55
	;; [unrolled: 1-line block ×3, first 2 shown]
	s_cmp_ge_u32 s58, s11
	s_cbranch_scc1 .LBB35_6
.LBB35_12:                              ;   in Loop: Header=BB35_4 Depth=1
	s_load_dword s59, s[50:51], 0x4
	s_waitcnt lgkmcnt(0)
	s_add_i32 s43, s43, s29
	s_add_i32 s55, s59, s55
	;; [unrolled: 1-line block ×3, first 2 shown]
	s_cmp_ge_u32 s58, s11
	s_cbranch_scc1 .LBB35_7
.LBB35_13:                              ;   in Loop: Header=BB35_4 Depth=1
	s_load_dword s59, s[50:51], 0x8
	s_waitcnt lgkmcnt(0)
	s_add_i32 s43, s43, s30
	s_add_i32 s55, s59, s55
	;; [unrolled: 1-line block ×3, first 2 shown]
	s_cmp_ge_u32 s58, s11
	s_cbranch_scc0 .LBB35_8
	s_branch .LBB35_9
.LBB35_14:
	s_mov_b32 s55, 0
	s_mov_b32 s56, 0
	;; [unrolled: 1-line block ×3, first 2 shown]
	s_cmp_ge_u32 s14, s10
	s_cbranch_scc0 .LBB35_38
	s_branch .LBB35_16
.LBB35_15:
	s_add_i32 s14, s57, 4
	s_cmp_ge_u32 s14, s10
	s_cbranch_scc0 .LBB35_38
.LBB35_16:
	v_mov_b32_e32 v1, s55
	v_mov_b32_e32 v2, s56
	;; [unrolled: 1-line block ×4, first 2 shown]
	ds_write_b96 v4, v[1:3] offset:1056
.LBB35_17:
	s_or_b64 exec, exec, s[12:13]
	s_load_dwordx4 s[12:15], s[4:5], 0xd8
	s_mul_i32 s28, s9, s11
	s_lshl_b32 s28, s28, 8
	s_waitcnt lgkmcnt(0)
	s_add_i32 s15, s11, 1
	s_mov_b32 s11, 0
	s_sub_i32 s29, s12, s28
	s_add_u32 s30, s29, 0xff
	s_addc_u32 s31, 0, 0
	s_lshr_b64 s[30:31], s[30:31], 8
	s_cmp_lt_u32 s15, s10
	s_cselect_b32 s9, s9, s30
	s_cmp_eq_u32 s9, 0
	s_barrier
	s_cbranch_scc1 .LBB35_40
; %bb.18:
	s_mul_i32 s10, s23, s45
	s_mul_i32 s15, s27, s44
	s_sub_i32 s10, s42, s10
	s_sub_i32 s15, s23, s15
	s_mul_i32 s10, s10, s26
	s_add_i32 s26, s27, 1
	s_sub_i32 s29, s15, s44
	s_cmp_ge_u32 s15, s44
	s_cselect_b32 s26, s26, s27
	s_cselect_b32 s15, s29, s15
	s_add_i32 s27, s26, 1
	s_cmp_ge_u32 s15, s44
	s_cselect_b32 s15, s27, s26
	s_mul_i32 s26, s15, s44
	s_sub_i32 s23, s23, s26
	s_mul_i32 s23, s23, s25
	s_add_i32 s10, s23, s10
	s_mul_i32 s15, s15, s24
	s_add_i32 s10, s10, s15
	s_mul_i32 s15, s33, s41
	s_sub_i32 s15, s42, s15
	s_mul_i32 s15, s15, s22
	s_mul_i32 s22, s54, s40
	s_sub_i32 s22, s33, s22
	s_add_i32 s23, s54, 1
	s_sub_i32 s24, s22, s40
	s_cmp_ge_u32 s22, s40
	s_cselect_b32 s23, s23, s54
	s_cselect_b32 s22, s24, s22
	s_add_i32 s24, s23, 1
	s_cmp_ge_u32 s22, s40
	s_cselect_b32 s22, s24, s23
	s_mul_i32 s23, s22, s40
	s_sub_i32 s23, s33, s23
	s_mul_i32 s21, s23, s21
	s_add_i32 s15, s21, s15
	s_mul_i32 s22, s22, s20
	s_add_i32 s20, s15, s22
	s_mul_i32 s15, s52, s39
	s_sub_i32 s15, s42, s15
	s_mul_i32 s15, s15, s18
	s_mul_i32 s18, s53, s38
	s_sub_i32 s18, s52, s18
	s_add_i32 s21, s53, 1
	s_sub_i32 s22, s18, s38
	s_cmp_ge_u32 s18, s38
	s_cselect_b32 s21, s21, s53
	s_cselect_b32 s18, s22, s18
	s_add_i32 s22, s21, 1
	s_cmp_ge_u32 s18, s38
	s_cselect_b32 s18, s22, s21
	s_mul_i32 s21, s18, s38
	s_sub_i32 s21, s52, s21
	s_mul_i32 s17, s21, s17
	s_add_i32 s15, s17, s15
	s_mul_i32 s18, s18, s16
	v_mov_b32_e32 v5, 0
	s_add_i32 s22, s15, s18
	s_lshl_b64 s[16:17], s[10:11], 2
	ds_read_b96 v[1:3], v5 offset:1056
	s_add_u32 s15, s36, s16
	s_mov_b32 s21, s11
	s_addc_u32 s16, s37, s17
	s_lshl_b64 s[20:21], s[20:21], 2
	s_add_u32 s17, s34, s20
	s_mov_b32 s23, s11
	s_addc_u32 s18, s35, s21
	s_lshl_b64 s[10:11], s[22:23], 3
	s_add_u32 s20, s6, s10
	s_waitcnt lgkmcnt(0)
	v_add_u32_e32 v2, v1, v2
	v_lshrrev_b32_e32 v1, 3, v0
	s_addc_u32 s21, s7, s11
	s_xor_b32 s22, s19, 0x80000000
	v_and_b32_e32 v1, 28, v1
	s_bitcmp1_b32 s14, 0
	s_load_dword s10, s[4:5], 0xe8
	s_load_dword s14, s[4:5], 0x1c8
	v_lshl_add_u32 v6, v0, 2, v1
	v_lshrrev_b32_e32 v1, 1, v0
	v_and_b32_e32 v7, 0x7c, v1
	v_add_u32_e32 v1, -1, v0
	v_lshrrev_b32_e32 v4, 3, v1
	v_cmp_gt_u32_e64 s[4:5], 64, v0
	v_lshlrev_b32_e32 v8, 4, v0
	v_and_b32_e32 v4, 0x1ffffffc, v4
	v_add_u32_e32 v0, s28, v0
	v_lshl_add_u32 v9, v1, 2, v4
	s_waitcnt lgkmcnt(0)
	v_mul_lo_u32 v4, s10, v0
	v_mbcnt_lo_u32_b32 v1, -1, 0
	s_cselect_b64 s[6:7], -1, 0
	s_lshl_b32 s23, s10, 8
	v_mbcnt_hi_u32_b32 v10, -1, v1
                                        ; implicit-def: $vgpr11
	s_branch .LBB35_21
.LBB35_19:                              ;   in Loop: Header=BB35_21 Depth=1
	s_or_b64 exec, exec, s[10:11]
	v_add_u32_e32 v2, v14, v2
.LBB35_20:                              ;   in Loop: Header=BB35_21 Depth=1
	s_add_i32 s9, s9, -1
	v_add_u32_e32 v3, v13, v3
	v_add_u32_e32 v4, s23, v4
	s_cmp_lg_u32 s9, 0
	v_add_u32_e32 v0, 0x100, v0
	s_cbranch_scc0 .LBB35_40
.LBB35_21:                              ; =>This Inner Loop Header: Depth=1
	v_cmp_gt_u32_e32 vcc, s12, v0
	v_mov_b32_e32 v1, 0
	v_mov_b32_e32 v12, 0
	s_and_saveexec_b64 s[10:11], vcc
	s_cbranch_execz .LBB35_23
; %bb.22:                               ;   in Loop: Header=BB35_21 Depth=1
	v_lshlrev_b64 v[11:12], 2, v[4:5]
	v_mov_b32_e32 v1, s16
	v_add_co_u32_e32 v11, vcc, s15, v11
	v_addc_co_u32_e32 v12, vcc, v1, v12, vcc
	global_load_dword v11, v[11:12], off
	s_waitcnt vmcnt(0)
	v_xor_b32_e32 v1, 0x80000000, v11
	v_cmp_lt_u32_e32 vcc, s22, v1
	v_cndmask_b32_e64 v12, 0, 1, vcc
	v_cmp_gt_u32_e32 vcc, s22, v1
	v_cndmask_b32_e64 v1, 0, 1, vcc
	v_cndmask_b32_e64 v1, v1, v12, s[6:7]
	v_cmp_eq_u32_e32 vcc, s19, v11
	v_and_b32_e32 v1, 1, v1
	v_cndmask_b32_e64 v12, 0, 1, vcc
.LBB35_23:                              ;   in Loop: Header=BB35_21 Depth=1
	s_or_b64 exec, exec, s[10:11]
	ds_write_b32 v6, v1
	s_waitcnt vmcnt(0) lgkmcnt(0)
	s_barrier
	s_and_saveexec_b64 s[10:11], s[4:5]
	s_cbranch_execz .LBB35_25
; %bb.24:                               ;   in Loop: Header=BB35_21 Depth=1
	v_add_u32_e32 v17, v7, v8
	ds_read2_b32 v[13:14], v17 offset1:1
	ds_read2_b32 v[15:16], v17 offset0:2 offset1:3
	v_and_b32_e32 v18, 15, v10
	v_cmp_ne_u32_e32 vcc, 0, v18
	s_waitcnt lgkmcnt(1)
	v_add_u32_e32 v14, v14, v13
	s_waitcnt lgkmcnt(0)
	v_add3_u32 v14, v14, v15, v16
	v_bfe_i32 v16, v10, 4, 1
	; wave barrier
	s_nop 0
	v_mov_b32_dpp v15, v14 row_shr:1 row_mask:0xf bank_mask:0xf
	v_cndmask_b32_e32 v15, 0, v15, vcc
	v_add_u32_e32 v14, v15, v14
	v_cmp_lt_u32_e32 vcc, 1, v18
	s_nop 0
	v_mov_b32_dpp v15, v14 row_shr:2 row_mask:0xf bank_mask:0xf
	v_cndmask_b32_e32 v15, 0, v15, vcc
	v_add_u32_e32 v14, v14, v15
	v_cmp_lt_u32_e32 vcc, 3, v18
	;; [unrolled: 5-line block ×4, first 2 shown]
	s_nop 0
	v_mov_b32_dpp v15, v14 row_bcast:15 row_mask:0xf bank_mask:0xf
	v_and_b32_e32 v15, v16, v15
	v_add_u32_e32 v14, v14, v15
	v_and_b32_e32 v16, 64, v10
	s_nop 0
	v_mov_b32_dpp v15, v14 row_bcast:31 row_mask:0xf bank_mask:0xf
	v_cndmask_b32_e32 v15, 0, v15, vcc
	v_add_u32_e32 v14, v14, v15
	v_add_u32_e32 v15, -1, v10
	v_cmp_lt_i32_e32 vcc, v15, v16
	v_cndmask_b32_e32 v15, v15, v10, vcc
	v_lshlrev_b32_e32 v15, 2, v15
	ds_bpermute_b32 v14, v15, v14
	s_waitcnt lgkmcnt(0)
	v_add_u32_e32 v13, v14, v13
	v_cndmask_b32_e64 v15, v13, v1, s[2:3]
	ds_write_b32 v17, v15
	; wave barrier
	ds_read2_b32 v[13:14], v17 offset0:1 offset1:2
	ds_read_b32 v16, v17 offset:12
	s_waitcnt lgkmcnt(1)
	v_add_u32_e32 v13, v13, v15
	v_add_u32_e32 v14, v14, v13
	ds_write2_b32 v17, v13, v14 offset0:1 offset1:2
	s_waitcnt lgkmcnt(1)
	v_add_u32_e32 v13, v16, v14
	ds_write_b32 v17, v13 offset:12
.LBB35_25:                              ;   in Loop: Header=BB35_21 Depth=1
	s_or_b64 exec, exec, s[10:11]
	v_mov_b32_e32 v14, 0
	s_waitcnt lgkmcnt(0)
	s_barrier
	s_and_saveexec_b64 s[10:11], s[0:1]
; %bb.26:                               ;   in Loop: Header=BB35_21 Depth=1
	ds_read_b32 v14, v9
; %bb.27:                               ;   in Loop: Header=BB35_21 Depth=1
	s_or_b64 exec, exec, s[10:11]
	ds_read_b32 v13, v5 offset:1048
	v_cmp_ne_u32_e32 vcc, 0, v1
	s_waitcnt lgkmcnt(0)
	s_barrier
	s_and_saveexec_b64 s[10:11], vcc
	s_cbranch_execz .LBB35_29
; %bb.28:                               ;   in Loop: Header=BB35_21 Depth=1
	v_add_u32_e32 v1, v14, v3
	v_mul_lo_u32 v14, v1, s14
	v_mov_b32_e32 v15, v5
	v_mov_b32_e32 v16, s18
	;; [unrolled: 1-line block ×3, first 2 shown]
	v_lshlrev_b64 v[14:15], 2, v[14:15]
	v_add_co_u32_e32 v14, vcc, s17, v14
	v_addc_co_u32_e32 v15, vcc, v16, v15, vcc
	v_mul_lo_u32 v16, v1, s8
	global_store_dword v[14:15], v11, off
	v_mov_b32_e32 v1, v5
	v_lshlrev_b64 v[14:15], 3, v[16:17]
	v_mov_b32_e32 v16, s21
	v_add_co_u32_e32 v14, vcc, s20, v14
	v_addc_co_u32_e32 v15, vcc, v16, v15, vcc
	global_store_dwordx2 v[14:15], v[0:1], off
.LBB35_29:                              ;   in Loop: Header=BB35_21 Depth=1
	s_or_b64 exec, exec, s[10:11]
	v_cmp_le_u32_e32 vcc, s13, v2
	s_cbranch_vccnz .LBB35_20
; %bb.30:                               ;   in Loop: Header=BB35_21 Depth=1
	ds_write_b32 v6, v12
	s_waitcnt vmcnt(0) lgkmcnt(0)
	s_barrier
	s_and_saveexec_b64 s[10:11], s[4:5]
	s_cbranch_execz .LBB35_32
; %bb.31:                               ;   in Loop: Header=BB35_21 Depth=1
	v_add_u32_e32 v1, v7, v8
	ds_read2_b32 v[14:15], v1 offset1:1
	ds_read2_b32 v[16:17], v1 offset0:2 offset1:3
	v_and_b32_e32 v18, 15, v10
	v_cmp_ne_u32_e32 vcc, 0, v18
	s_waitcnt lgkmcnt(1)
	v_add_u32_e32 v15, v15, v14
	s_waitcnt lgkmcnt(0)
	v_add3_u32 v15, v15, v16, v17
	v_bfe_i32 v17, v10, 4, 1
	; wave barrier
	s_nop 0
	v_mov_b32_dpp v16, v15 row_shr:1 row_mask:0xf bank_mask:0xf
	v_cndmask_b32_e32 v16, 0, v16, vcc
	v_add_u32_e32 v15, v16, v15
	v_cmp_lt_u32_e32 vcc, 1, v18
	s_nop 0
	v_mov_b32_dpp v16, v15 row_shr:2 row_mask:0xf bank_mask:0xf
	v_cndmask_b32_e32 v16, 0, v16, vcc
	v_add_u32_e32 v15, v15, v16
	v_cmp_lt_u32_e32 vcc, 3, v18
	;; [unrolled: 5-line block ×4, first 2 shown]
	s_nop 0
	v_mov_b32_dpp v16, v15 row_bcast:15 row_mask:0xf bank_mask:0xf
	v_and_b32_e32 v16, v17, v16
	v_add_u32_e32 v15, v15, v16
	v_and_b32_e32 v17, 64, v10
	s_nop 0
	v_mov_b32_dpp v16, v15 row_bcast:31 row_mask:0xf bank_mask:0xf
	v_cndmask_b32_e32 v16, 0, v16, vcc
	v_add_u32_e32 v15, v15, v16
	v_add_u32_e32 v16, -1, v10
	v_cmp_lt_i32_e32 vcc, v16, v17
	v_cndmask_b32_e32 v16, v16, v10, vcc
	v_lshlrev_b32_e32 v16, 2, v16
	ds_bpermute_b32 v15, v16, v15
	s_waitcnt lgkmcnt(0)
	v_add_u32_e32 v14, v15, v14
	v_cndmask_b32_e64 v16, v14, v12, s[2:3]
	ds_write_b32 v1, v16
	; wave barrier
	ds_read2_b32 v[14:15], v1 offset0:1 offset1:2
	ds_read_b32 v17, v1 offset:12
	s_waitcnt lgkmcnt(1)
	v_add_u32_e32 v14, v14, v16
	v_add_u32_e32 v15, v15, v14
	ds_write2_b32 v1, v14, v15 offset0:1 offset1:2
	s_waitcnt lgkmcnt(1)
	v_add_u32_e32 v14, v17, v15
	ds_write_b32 v1, v14 offset:12
.LBB35_32:                              ;   in Loop: Header=BB35_21 Depth=1
	s_or_b64 exec, exec, s[10:11]
	v_mov_b32_e32 v1, 0
	s_waitcnt lgkmcnt(0)
	s_barrier
	s_and_saveexec_b64 s[10:11], s[0:1]
; %bb.33:                               ;   in Loop: Header=BB35_21 Depth=1
	ds_read_b32 v1, v9
; %bb.34:                               ;   in Loop: Header=BB35_21 Depth=1
	s_or_b64 exec, exec, s[10:11]
	ds_read_b32 v14, v5 offset:1048
	v_cmp_ne_u32_e32 vcc, 0, v12
	s_waitcnt lgkmcnt(0)
	s_barrier
	s_and_saveexec_b64 s[10:11], vcc
	s_cbranch_execz .LBB35_19
; %bb.35:                               ;   in Loop: Header=BB35_21 Depth=1
	v_add_u32_e32 v1, v1, v2
	v_cmp_gt_u32_e32 vcc, s13, v1
	s_and_b64 exec, exec, vcc
	s_cbranch_execz .LBB35_19
; %bb.36:                               ;   in Loop: Header=BB35_21 Depth=1
	v_mul_lo_u32 v15, v1, s14
	v_mov_b32_e32 v16, v5
	v_mul_lo_u32 v17, v1, s8
	v_mov_b32_e32 v12, s18
	v_lshlrev_b64 v[15:16], 2, v[15:16]
	v_mov_b32_e32 v18, v5
	v_add_co_u32_e32 v15, vcc, s17, v15
	v_addc_co_u32_e32 v16, vcc, v12, v16, vcc
	global_store_dword v[15:16], v11, off
	v_lshlrev_b64 v[15:16], 3, v[17:18]
	v_mov_b32_e32 v12, s21
	v_add_co_u32_e32 v15, vcc, s20, v15
	v_mov_b32_e32 v1, v5
	v_addc_co_u32_e32 v16, vcc, v12, v16, vcc
	global_store_dwordx2 v[15:16], v[0:1], off
	s_branch .LBB35_19
.LBB35_37:                              ;   in Loop: Header=BB35_38 Depth=1
	s_add_u32 s28, s28, 4
	s_addc_u32 s29, s29, 0
	s_waitcnt lgkmcnt(0)
	s_add_i32 s56, s15, s56
	s_add_u32 s30, s30, 4
	s_addc_u32 s31, s31, 0
	s_add_i32 s14, s14, 1
	s_cmp_lt_u32 s14, s10
	s_cbranch_scc0 .LBB35_16
.LBB35_38:                              ; =>This Inner Loop Header: Depth=1
	s_load_dword s15, s[28:29], 0x0
	s_cmp_ge_u32 s14, s11
	s_cbranch_scc1 .LBB35_37
; %bb.39:                               ;   in Loop: Header=BB35_38 Depth=1
	s_load_dword s46, s[30:31], 0x0
	s_waitcnt lgkmcnt(0)
	s_add_i32 s43, s15, s43
	s_add_i32 s55, s46, s55
	s_branch .LBB35_37
.LBB35_40:
	s_endpgm
	.section	.rodata,"a",@progbits
	.p2align	6, 0x0
	.amdhsa_kernel _ZN2at6native6mbtopk10gatherTopKIijLi3EEEvNS_4cuda6detail10TensorInfoIKT_T0_EES8_S8_bjS8_NS5_IS6_S8_EES8_NS5_IlS8_EES8_jjPS6_PjSD_j
		.amdhsa_group_segment_fixed_size 1068
		.amdhsa_private_segment_fixed_size 0
		.amdhsa_kernarg_size 984
		.amdhsa_user_sgpr_count 6
		.amdhsa_user_sgpr_private_segment_buffer 1
		.amdhsa_user_sgpr_dispatch_ptr 0
		.amdhsa_user_sgpr_queue_ptr 0
		.amdhsa_user_sgpr_kernarg_segment_ptr 1
		.amdhsa_user_sgpr_dispatch_id 0
		.amdhsa_user_sgpr_flat_scratch_init 0
		.amdhsa_user_sgpr_private_segment_size 0
		.amdhsa_uses_dynamic_stack 0
		.amdhsa_system_sgpr_private_segment_wavefront_offset 0
		.amdhsa_system_sgpr_workgroup_id_x 1
		.amdhsa_system_sgpr_workgroup_id_y 1
		.amdhsa_system_sgpr_workgroup_id_z 1
		.amdhsa_system_sgpr_workgroup_info 0
		.amdhsa_system_vgpr_workitem_id 0
		.amdhsa_next_free_vgpr 19
		.amdhsa_next_free_sgpr 60
		.amdhsa_reserve_vcc 1
		.amdhsa_reserve_flat_scratch 0
		.amdhsa_float_round_mode_32 0
		.amdhsa_float_round_mode_16_64 0
		.amdhsa_float_denorm_mode_32 3
		.amdhsa_float_denorm_mode_16_64 3
		.amdhsa_dx10_clamp 1
		.amdhsa_ieee_mode 1
		.amdhsa_fp16_overflow 0
		.amdhsa_exception_fp_ieee_invalid_op 0
		.amdhsa_exception_fp_denorm_src 0
		.amdhsa_exception_fp_ieee_div_zero 0
		.amdhsa_exception_fp_ieee_overflow 0
		.amdhsa_exception_fp_ieee_underflow 0
		.amdhsa_exception_fp_ieee_inexact 0
		.amdhsa_exception_int_div_zero 0
	.end_amdhsa_kernel
	.section	.text._ZN2at6native6mbtopk10gatherTopKIijLi3EEEvNS_4cuda6detail10TensorInfoIKT_T0_EES8_S8_bjS8_NS5_IS6_S8_EES8_NS5_IlS8_EES8_jjPS6_PjSD_j,"axG",@progbits,_ZN2at6native6mbtopk10gatherTopKIijLi3EEEvNS_4cuda6detail10TensorInfoIKT_T0_EES8_S8_bjS8_NS5_IS6_S8_EES8_NS5_IlS8_EES8_jjPS6_PjSD_j,comdat
.Lfunc_end35:
	.size	_ZN2at6native6mbtopk10gatherTopKIijLi3EEEvNS_4cuda6detail10TensorInfoIKT_T0_EES8_S8_bjS8_NS5_IS6_S8_EES8_NS5_IlS8_EES8_jjPS6_PjSD_j, .Lfunc_end35-_ZN2at6native6mbtopk10gatherTopKIijLi3EEEvNS_4cuda6detail10TensorInfoIKT_T0_EES8_S8_bjS8_NS5_IS6_S8_EES8_NS5_IlS8_EES8_jjPS6_PjSD_j
                                        ; -- End function
	.set _ZN2at6native6mbtopk10gatherTopKIijLi3EEEvNS_4cuda6detail10TensorInfoIKT_T0_EES8_S8_bjS8_NS5_IS6_S8_EES8_NS5_IlS8_EES8_jjPS6_PjSD_j.num_vgpr, 19
	.set _ZN2at6native6mbtopk10gatherTopKIijLi3EEEvNS_4cuda6detail10TensorInfoIKT_T0_EES8_S8_bjS8_NS5_IS6_S8_EES8_NS5_IlS8_EES8_jjPS6_PjSD_j.num_agpr, 0
	.set _ZN2at6native6mbtopk10gatherTopKIijLi3EEEvNS_4cuda6detail10TensorInfoIKT_T0_EES8_S8_bjS8_NS5_IS6_S8_EES8_NS5_IlS8_EES8_jjPS6_PjSD_j.numbered_sgpr, 60
	.set _ZN2at6native6mbtopk10gatherTopKIijLi3EEEvNS_4cuda6detail10TensorInfoIKT_T0_EES8_S8_bjS8_NS5_IS6_S8_EES8_NS5_IlS8_EES8_jjPS6_PjSD_j.num_named_barrier, 0
	.set _ZN2at6native6mbtopk10gatherTopKIijLi3EEEvNS_4cuda6detail10TensorInfoIKT_T0_EES8_S8_bjS8_NS5_IS6_S8_EES8_NS5_IlS8_EES8_jjPS6_PjSD_j.private_seg_size, 0
	.set _ZN2at6native6mbtopk10gatherTopKIijLi3EEEvNS_4cuda6detail10TensorInfoIKT_T0_EES8_S8_bjS8_NS5_IS6_S8_EES8_NS5_IlS8_EES8_jjPS6_PjSD_j.uses_vcc, 1
	.set _ZN2at6native6mbtopk10gatherTopKIijLi3EEEvNS_4cuda6detail10TensorInfoIKT_T0_EES8_S8_bjS8_NS5_IS6_S8_EES8_NS5_IlS8_EES8_jjPS6_PjSD_j.uses_flat_scratch, 0
	.set _ZN2at6native6mbtopk10gatherTopKIijLi3EEEvNS_4cuda6detail10TensorInfoIKT_T0_EES8_S8_bjS8_NS5_IS6_S8_EES8_NS5_IlS8_EES8_jjPS6_PjSD_j.has_dyn_sized_stack, 0
	.set _ZN2at6native6mbtopk10gatherTopKIijLi3EEEvNS_4cuda6detail10TensorInfoIKT_T0_EES8_S8_bjS8_NS5_IS6_S8_EES8_NS5_IlS8_EES8_jjPS6_PjSD_j.has_recursion, 0
	.set _ZN2at6native6mbtopk10gatherTopKIijLi3EEEvNS_4cuda6detail10TensorInfoIKT_T0_EES8_S8_bjS8_NS5_IS6_S8_EES8_NS5_IlS8_EES8_jjPS6_PjSD_j.has_indirect_call, 0
	.section	.AMDGPU.csdata,"",@progbits
; Kernel info:
; codeLenInByte = 2724
; TotalNumSgprs: 64
; NumVgprs: 19
; ScratchSize: 0
; MemoryBound: 0
; FloatMode: 240
; IeeeMode: 1
; LDSByteSize: 1068 bytes/workgroup (compile time only)
; SGPRBlocks: 7
; VGPRBlocks: 4
; NumSGPRsForWavesPerEU: 64
; NumVGPRsForWavesPerEU: 19
; Occupancy: 10
; WaveLimiterHint : 1
; COMPUTE_PGM_RSRC2:SCRATCH_EN: 0
; COMPUTE_PGM_RSRC2:USER_SGPR: 6
; COMPUTE_PGM_RSRC2:TRAP_HANDLER: 0
; COMPUTE_PGM_RSRC2:TGID_X_EN: 1
; COMPUTE_PGM_RSRC2:TGID_Y_EN: 1
; COMPUTE_PGM_RSRC2:TGID_Z_EN: 1
; COMPUTE_PGM_RSRC2:TIDIG_COMP_CNT: 0
	.section	.text._ZN2at6native6sbtopk10gatherTopKIijLi3ELb0EEEvNS_4cuda6detail10TensorInfoIKT_T0_EES8_S8_bS8_S8_NS5_IS6_S8_EES8_NS5_IlS8_EES8_PS6_,"axG",@progbits,_ZN2at6native6sbtopk10gatherTopKIijLi3ELb0EEEvNS_4cuda6detail10TensorInfoIKT_T0_EES8_S8_bS8_S8_NS5_IS6_S8_EES8_NS5_IlS8_EES8_PS6_,comdat
	.protected	_ZN2at6native6sbtopk10gatherTopKIijLi3ELb0EEEvNS_4cuda6detail10TensorInfoIKT_T0_EES8_S8_bS8_S8_NS5_IS6_S8_EES8_NS5_IlS8_EES8_PS6_ ; -- Begin function _ZN2at6native6sbtopk10gatherTopKIijLi3ELb0EEEvNS_4cuda6detail10TensorInfoIKT_T0_EES8_S8_bS8_S8_NS5_IS6_S8_EES8_NS5_IlS8_EES8_PS6_
	.globl	_ZN2at6native6sbtopk10gatherTopKIijLi3ELb0EEEvNS_4cuda6detail10TensorInfoIKT_T0_EES8_S8_bS8_S8_NS5_IS6_S8_EES8_NS5_IlS8_EES8_PS6_
	.p2align	8
	.type	_ZN2at6native6sbtopk10gatherTopKIijLi3ELb0EEEvNS_4cuda6detail10TensorInfoIKT_T0_EES8_S8_bS8_S8_NS5_IS6_S8_EES8_NS5_IlS8_EES8_PS6_,@function
_ZN2at6native6sbtopk10gatherTopKIijLi3ELb0EEEvNS_4cuda6detail10TensorInfoIKT_T0_EES8_S8_bS8_S8_NS5_IS6_S8_EES8_NS5_IlS8_EES8_PS6_: ; @_ZN2at6native6sbtopk10gatherTopKIijLi3ELb0EEEvNS_4cuda6detail10TensorInfoIKT_T0_EES8_S8_bS8_S8_NS5_IS6_S8_EES8_NS5_IlS8_EES8_PS6_
; %bb.0:
	s_load_dwordx2 s[14:15], s[4:5], 0x2b8
	s_load_dwordx4 s[60:63], s[4:5], 0xd8
	s_mov_b64 s[20:21], s[4:5]
	s_add_u32 s12, s20, 0x2b8
	s_addc_u32 s13, s21, 0
	s_waitcnt lgkmcnt(0)
	s_mul_i32 s0, s15, s8
	s_add_i32 s0, s0, s7
	s_mul_i32 s0, s0, s14
	s_add_i32 s22, s0, s6
	s_cmp_ge_u32 s22, s63
	s_cbranch_scc1 .LBB36_398
; %bb.1:
	s_load_dwordx4 s[0:3], s[20:21], 0x23c
                                        ; implicit-def: $vgpr46 : SGPR spill to VGPR lane
	s_load_dwordx2 s[16:17], s[20:21], 0xc
	s_load_dwordx2 s[10:11], s[20:21], 0x0
	s_waitcnt lgkmcnt(0)
	v_cvt_f32_u32_e32 v1, s17
	v_writelane_b32 v46, s0, 0
	v_writelane_b32 v46, s1, 1
	;; [unrolled: 1-line block ×4, first 2 shown]
	s_load_dwordx2 s[18:19], s[20:21], 0x1dc
	s_load_dwordx2 s[0:1], s[20:21], 0x1d0
	v_rcp_iflag_f32_e32 v1, v1
	v_cvt_f32_u32_e32 v2, s16
	s_sub_i32 s4, 0, s17
	s_waitcnt lgkmcnt(0)
	v_writelane_b32 v46, s0, 4
	v_writelane_b32 v46, s1, 5
	s_load_dwordx4 s[0:3], s[20:21], 0x15c
	v_mul_f32_e32 v1, 0x4f7ffffe, v1
	v_cvt_u32_f32_e32 v1, v1
	s_waitcnt lgkmcnt(0)
	v_writelane_b32 v46, s0, 6
	v_writelane_b32 v46, s1, 7
	;; [unrolled: 1-line block ×4, first 2 shown]
	s_load_dwordx2 s[24:25], s[20:21], 0xfc
	s_load_dwordx2 s[0:1], s[20:21], 0xf0
	v_readfirstlane_b32 s5, v1
	s_mul_i32 s4, s4, s5
	s_mul_hi_u32 s4, s5, s4
	s_add_i32 s5, s5, s4
	v_rcp_iflag_f32_e32 v1, v2
	s_mul_hi_u32 s4, s22, s5
	s_waitcnt lgkmcnt(0)
	v_cvt_f32_u32_e32 v2, s25
	s_mul_i32 s5, s4, s17
	s_sub_i32 s5, s22, s5
	s_add_i32 s7, s4, 1
	s_sub_i32 s8, s5, s17
	v_mul_f32_e32 v1, 0x4f7ffffe, v1
	s_cmp_ge_u32 s5, s17
	v_cvt_u32_f32_e32 v1, v1
	v_rcp_iflag_f32_e32 v2, v2
	s_cselect_b32 s4, s7, s4
	s_cselect_b32 s5, s8, s5
	s_add_i32 s7, s4, 1
	s_cmp_ge_u32 s5, s17
	s_cselect_b32 s4, s7, s4
	v_readfirstlane_b32 s7, v1
	v_mul_f32_e32 v1, 0x4f7ffffe, v2
	v_cvt_u32_f32_e32 v1, v1
	s_sub_i32 s5, 0, s16
	s_mul_i32 s5, s5, s7
	s_mul_hi_u32 s5, s7, s5
	v_readfirstlane_b32 s8, v1
	v_cvt_f32_u32_e32 v1, s24
	s_add_i32 s7, s7, s5
	s_mul_hi_u32 s5, s4, s7
	s_sub_i32 s7, 0, s25
	s_mul_i32 s7, s7, s8
	s_mul_hi_u32 s7, s8, s7
	v_rcp_iflag_f32_e32 v1, v1
	s_add_i32 s8, s8, s7
	v_cvt_f32_u32_e32 v2, s19
	s_mul_hi_u32 s7, s22, s8
	v_writelane_b32 v46, s0, 10
	s_mul_i32 s8, s7, s25
	v_writelane_b32 v46, s1, 11
	s_load_dword s0, s[20:21], 0xe8
	s_sub_i32 s8, s22, s8
	v_mul_f32_e32 v1, 0x4f7ffffe, v1
	s_add_i32 s9, s7, 1
	s_sub_i32 s15, s8, s25
	v_cvt_u32_f32_e32 v1, v1
	v_rcp_iflag_f32_e32 v2, v2
	s_cmp_ge_u32 s8, s25
	s_cselect_b32 s7, s9, s7
	s_cselect_b32 s8, s15, s8
	s_add_i32 s9, s7, 1
	s_waitcnt lgkmcnt(0)
	v_writelane_b32 v46, s0, 12
	s_cmp_ge_u32 s8, s25
	v_readfirstlane_b32 s8, v1
	v_mul_f32_e32 v1, 0x4f7ffffe, v2
	s_cselect_b32 s9, s9, s7
	v_writelane_b32 v46, s24, 13
	s_sub_i32 s7, 0, s24
	v_cvt_u32_f32_e32 v1, v1
	s_mul_i32 s7, s7, s8
	s_mul_hi_u32 s7, s8, s7
	v_writelane_b32 v46, s25, 14
	s_add_i32 s8, s8, s7
	v_writelane_b32 v46, s9, 15
	s_mul_hi_u32 s7, s9, s8
	v_readfirstlane_b32 s8, v1
	v_cvt_f32_u32_e32 v1, s18
	v_writelane_b32 v46, s7, 16
	s_sub_i32 s7, 0, s19
	s_mul_i32 s7, s7, s8
	s_mul_hi_u32 s7, s8, s7
	s_add_i32 s8, s8, s7
	v_rcp_iflag_f32_e32 v1, v1
	s_mul_hi_u32 s7, s22, s8
	s_mul_i32 s8, s7, s19
	s_sub_i32 s8, s22, s8
	s_add_i32 s9, s7, 1
	s_sub_i32 s15, s8, s19
	v_mul_f32_e32 v1, 0x4f7ffffe, v1
	s_cmp_ge_u32 s8, s19
	v_cvt_u32_f32_e32 v1, v1
	s_cselect_b32 s7, s9, s7
	s_cselect_b32 s8, s15, s8
	s_add_i32 s9, s7, 1
	s_cmp_ge_u32 s8, s19
	s_load_dwordx4 s[0:3], s[20:21], 0x6c
	s_cselect_b32 s9, s9, s7
	v_writelane_b32 v46, s18, 17
	s_sub_i32 s7, 0, s18
	v_readfirstlane_b32 s8, v1
	s_mul_i32 s7, s7, s8
	s_mul_hi_u32 s7, s8, s7
	v_writelane_b32 v46, s19, 18
	s_add_i32 s8, s8, s7
	s_waitcnt lgkmcnt(0)
	s_mov_b32 s3, 0
	v_writelane_b32 v46, s9, 19
	s_mul_hi_u32 s7, s9, s8
	v_writelane_b32 v46, s7, 20
	v_cmp_eq_u32_e64 s[8:9], 0, v0
	s_mov_b64 s[18:19], exec
	v_writelane_b32 v46, s8, 21
	v_writelane_b32 v46, s9, 22
	s_and_b64 s[8:9], s[18:19], s[8:9]
	s_mov_b64 exec, s[8:9]
; %bb.2:
	v_mov_b32_e32 v1, 0
	v_mov_b32_e32 v2, s60
	;; [unrolled: 1-line block ×3, first 2 shown]
	ds_write_b96 v1, v[1:3] offset:4096
; %bb.3:
	s_or_b64 exec, exec, s[18:19]
	s_mul_i32 s7, s4, s17
	s_sub_i32 s7, s22, s7
	s_mul_i32 s7, s7, s2
	s_mul_i32 s2, s5, s16
	s_sub_i32 s2, s4, s2
	s_add_i32 s8, s5, 1
	s_sub_i32 s9, s2, s16
	s_cmp_ge_u32 s2, s16
	s_cselect_b32 s5, s8, s5
	s_cselect_b32 s2, s9, s2
	s_add_i32 s8, s5, 1
	s_cmp_ge_u32 s2, s16
	s_cselect_b32 s2, s8, s5
	s_mul_i32 s5, s2, s16
	s_sub_i32 s4, s4, s5
	s_mul_i32 s1, s4, s1
	s_add_i32 s1, s1, s7
	s_mul_i32 s2, s2, s0
	s_add_i32 s2, s1, s2
	s_lshl_b64 s[0:1], s[2:3], 2
	s_add_u32 s33, s10, s0
	s_addc_u32 s8, s11, s1
	s_bitcmp1_b32 s62, 0
	v_writelane_b32 v46, s22, 23
	s_cselect_b64 s[2:3], -1, 0
	v_writelane_b32 v46, s2, 24
	v_writelane_b32 v46, s3, 25
	s_xor_b64 s[2:3], s[2:3], -1
	v_writelane_b32 v46, s2, 26
	v_writelane_b32 v46, s3, 27
	;; [unrolled: 1-line block ×3, first 2 shown]
	s_load_dword s7, s[20:21], 0xe8
	s_waitcnt lgkmcnt(0)
	s_barrier
	s_load_dword s0, s[12:13], 0xc
	v_mbcnt_lo_u32_b32 v1, -1, 0
	v_mbcnt_hi_u32_b32 v20, -1, v1
	v_mul_lo_u32 v9, s7, v0
	v_cmp_gt_u32_e32 vcc, 64, v0
	s_waitcnt lgkmcnt(0)
	s_and_b32 s9, s0, 0xffff
	v_cmp_gt_i32_e64 s[2:3], 4, v20
	s_lshl_b32 s16, s9, 2
	s_bfe_u32 s4, s0, 0xa0006
	v_mov_b32_e32 v8, 0
	s_and_b64 s[80:81], vcc, s[2:3]
	s_cmpk_gt_u32 s60, 0x300
	v_mov_b32_e32 v10, v8
	v_writelane_b32 v46, s21, 29
	s_cselect_b64 s[2:3], -1, 0
	v_lshlrev_b64 v[1:2], 2, v[9:10]
	v_writelane_b32 v46, s2, 30
	v_writelane_b32 v46, s3, 31
	v_cmp_gt_u32_e64 s[2:3], s60, v0
	v_mov_b32_e32 v21, s8
	v_add_co_u32_e32 v5, vcc, s33, v1
	v_writelane_b32 v46, s2, 32
	v_addc_co_u32_e32 v6, vcc, v21, v2, vcc
	s_cmp_gt_u32 s9, 63
	v_lshlrev_b64 v[2:3], v20, -1
	v_writelane_b32 v46, s3, 33
	s_cselect_b64 s[2:3], -1, 0
	v_writelane_b32 v46, s2, 34
	v_not_b32_e32 v18, v2
	v_lshrrev_b32_e32 v2, 2, v0
	v_writelane_b32 v46, s3, 35
	v_cmp_gt_u32_e64 s[2:3], 2, v0
	v_and_b32_e32 v2, 0xf0, v2
	v_writelane_b32 v46, s2, 36
	s_add_i32 s63, s9, -1
	v_or_b32_e32 v23, 0xc00, v2
	v_cvt_f32_u32_e32 v2, s16
	v_writelane_b32 v46, s3, 37
	s_add_i32 s2, s63, s60
	s_cmp_lt_u32 s6, s14
	s_cselect_b32 s3, 12, 18
	s_add_u32 s10, s12, s3
	v_rcp_iflag_f32_e32 v2, v2
	s_addc_u32 s11, s13, 0
	s_add_i32 s3, s4, -1
	s_bfe_u32 s5, s9, 0x30006
	s_and_b32 s3, s3, 0xffff
	v_writelane_b32 v46, s10, 38
	s_cmp_gt_u32 s3, 6
	v_writelane_b32 v46, s11, 39
	s_cselect_b64 s[10:11], -1, 0
	v_mul_f32_e32 v2, 0x4f7ffffe, v2
	v_writelane_b32 v46, s10, 40
	s_and_b32 s82, s4, 0x3f8
	v_cvt_u32_f32_e32 v2, v2
	v_writelane_b32 v46, s11, 41
	s_cmp_lg_u32 s5, 0
	v_writelane_b32 v46, s5, 42
	s_cselect_b64 s[4:5], -1, 0
	v_writelane_b32 v46, s4, 43
	v_writelane_b32 v46, s5, 44
	s_sub_i32 s3, 0, s16
	v_readfirstlane_b32 s4, v2
	s_mul_i32 s3, s3, s4
	s_mul_hi_u32 s3, s4, s3
	s_add_i32 s3, s4, s3
	v_writelane_b32 v46, s3, 45
	s_mul_hi_u32 s3, s60, s3
	s_mul_i32 s3, s3, s16
	v_cvt_f32_u32_e32 v2, s9
	s_sub_i32 s3, s60, s3
	s_sub_i32 s4, s3, s16
	s_cmp_ge_u32 s3, s16
	s_cselect_b32 s3, s4, s3
	v_rcp_iflag_f32_e32 v4, v2
	s_sub_i32 s4, s3, s16
	s_cmp_ge_u32 s3, s16
	s_cselect_b32 s3, s4, s3
	v_lshlrev_b32_e32 v19, 2, v0
	s_sub_i32 s84, s60, s3
	v_mul_f32_e32 v4, 0x4f7ffffe, v4
	v_cmp_gt_u32_e64 s[4:5], s84, v19
	v_cvt_u32_f32_e32 v4, v4
	v_add_u32_e32 v24, s84, v0
	v_writelane_b32 v46, s4, 46
	v_writelane_b32 v46, s5, 47
	v_cmp_gt_u32_e64 s[4:5], s60, v24
	v_writelane_b32 v46, s4, 48
	v_writelane_b32 v46, s5, 49
	s_sub_i32 s4, 0, s9
	v_readfirstlane_b32 s5, v4
	s_mul_i32 s4, s4, s5
	v_mul_lo_u32 v7, v24, s7
	s_mul_hi_u32 s4, s5, s4
	s_add_i32 s4, s5, s4
	v_writelane_b32 v46, s4, 50
	s_mul_hi_u32 s4, s2, s4
	s_mul_i32 s4, s4, s9
	v_not_b32_e32 v17, v3
	v_lshlrev_b64 v[2:3], 2, v[7:8]
	s_sub_i32 s4, s2, s4
	s_sub_i32 s5, s4, s9
	v_add_co_u32_e32 v12, vcc, s33, v2
	s_cmp_ge_u32 s4, s9
	v_mul_lo_u32 v2, s7, v19
	s_cselect_b32 s4, s5, s4
	s_sub_i32 s5, s4, s9
	s_cmp_ge_u32 s4, s9
	s_cselect_b32 s4, s5, s4
	v_add_u32_e32 v26, s7, v2
	v_or_b32_e32 v2, 2, v19
	s_sub_i32 s85, s2, s4
	v_mul_lo_u32 v27, s7, v2
	v_or_b32_e32 v2, 3, v19
	s_add_i32 s2, s9, s60
	v_mul_lo_u32 v28, s7, v2
	v_add_u32_e32 v2, s2, v0
	v_subrev_u32_e32 v2, s3, v2
	v_mul_lo_u32 v30, s7, v2
	v_lshlrev_b32_e32 v1, 2, v20
	v_mov_b32_e32 v7, s8
	v_cmp_gt_u32_e64 s[4:5], s85, v0
	s_mul_i32 s83, s7, s9
	v_cmp_eq_u32_e64 s[0:1], 0, v20
	v_add_u32_e32 v22, 0xc00, v19
	v_and_b32_e32 v16, 0x100, v1
	v_addc_co_u32_e32 v13, vcc, v7, v3, vcc
	v_writelane_b32 v46, s4, 51
	s_lshl_b32 s12, s83, 2
	v_lshlrev_b32_e32 v29, 2, v9
	v_lshlrev_b32_e32 v31, 4, v0
	s_lshl_b32 s13, s9, 4
	v_or_b32_e32 v32, 0xc00, v1
	s_mov_b32 s15, 30
	s_mov_b64 s[92:93], 0
	v_readfirstlane_b32 s14, v8
	v_mov_b32_e32 v34, s61
	v_mov_b32_e32 v25, 0
	;; [unrolled: 1-line block ×5, first 2 shown]
	v_writelane_b32 v46, s5, 52
                                        ; implicit-def: $sgpr94_sgpr95
                                        ; implicit-def: $sgpr72_sgpr73
                                        ; implicit-def: $sgpr64_sgpr65
                                        ; implicit-def: $sgpr66_sgpr67
                                        ; implicit-def: $sgpr74_sgpr75
                                        ; implicit-def: $sgpr68_sgpr69
                                        ; implicit-def: $sgpr70_sgpr71
                                        ; implicit-def: $sgpr20_sgpr21
                                        ; implicit-def: $sgpr76_sgpr77
                                        ; implicit-def: $sgpr78_sgpr79
	s_branch .LBB36_6
.LBB36_4:                               ;   in Loop: Header=BB36_6 Depth=1
	s_or_b64 exec, exec, s[2:3]
	s_andn2_b64 s[2:3], s[78:79], exec
	s_and_b64 s[4:5], s[22:23], exec
	s_or_b64 s[78:79], s[2:3], s[4:5]
	s_andn2_b64 s[76:77], s[76:77], exec
	s_andn2_b64 s[20:21], s[20:21], exec
	;; [unrolled: 1-line block ×4, first 2 shown]
	s_orn2_b64 s[26:27], s[18:19], exec
	v_mov_b32_e32 v34, v35
.LBB36_5:                               ;   in Loop: Header=BB36_6 Depth=1
	s_or_b64 exec, exec, s[6:7]
	s_and_b64 s[2:3], exec, s[26:27]
	s_or_b64 s[92:93], s[2:3], s[92:93]
	s_andn2_b64 s[2:3], s[74:75], exec
	s_and_b64 s[4:5], s[78:79], exec
	s_or_b64 s[74:75], s[2:3], s[4:5]
	s_andn2_b64 s[2:3], s[66:67], exec
	s_and_b64 s[4:5], s[76:77], exec
	s_or_b64 s[66:67], s[2:3], s[4:5]
	s_andn2_b64 s[2:3], s[64:65], exec
	s_and_b64 s[4:5], s[20:21], exec
	s_or_b64 s[64:65], s[2:3], s[4:5]
	s_andn2_b64 s[2:3], s[72:73], exec
	s_and_b64 s[4:5], s[70:71], exec
	s_or_b64 s[72:73], s[2:3], s[4:5]
	s_andn2_b64 s[2:3], s[94:95], exec
	s_and_b64 s[4:5], s[68:69], exec
	s_or_b64 s[94:95], s[2:3], s[4:5]
	s_andn2_b64 exec, exec, s[92:93]
	s_cbranch_execz .LBB36_394
.LBB36_6:                               ; =>This Loop Header: Depth=1
                                        ;     Child Loop BB36_12 Depth 2
                                        ;     Child Loop BB36_25 Depth 2
                                        ;     Child Loop BB36_56 Depth 2
                                        ;     Child Loop BB36_60 Depth 2
                                        ;     Child Loop BB36_45 Depth 2
                                        ;     Child Loop BB36_50 Depth 2
                                        ;     Child Loop BB36_41 Depth 2
                                        ;     Child Loop BB36_66 Depth 2
                                        ;     Child Loop BB36_77 Depth 2
                                        ;     Child Loop BB36_91 Depth 2
                                        ;     Child Loop BB36_117 Depth 2
                                        ;     Child Loop BB36_128 Depth 2
                                        ;     Child Loop BB36_154 Depth 2
                                        ;     Child Loop BB36_165 Depth 2
                                        ;     Child Loop BB36_192 Depth 2
                                        ;     Child Loop BB36_203 Depth 2
                                        ;     Child Loop BB36_240 Depth 2
                                        ;     Child Loop BB36_252 Depth 2
                                        ;     Child Loop BB36_278 Depth 2
                                        ;     Child Loop BB36_289 Depth 2
                                        ;     Child Loop BB36_315 Depth 2
                                        ;     Child Loop BB36_326 Depth 2
                                        ;     Child Loop BB36_352 Depth 2
                                        ;     Child Loop BB36_363 Depth 2
	ds_read_b64 v[1:2], v8 offset:4096
	s_waitcnt lgkmcnt(0)
	v_readfirstlane_b32 s4, v1
	s_cmp_lg_u32 s4, 0
	s_cbranch_scc1 .LBB36_33
; %bb.7:                                ;   in Loop: Header=BB36_6 Depth=1
	v_readlane_b32 s2, v46, 30
	v_readlane_b32 s3, v46, 31
	s_and_b64 vcc, exec, s[2:3]
	s_cbranch_vccz .LBB36_20
; %bb.8:                                ;   in Loop: Header=BB36_6 Depth=1
	s_movk_i32 s2, 0x301
	v_cmp_gt_u32_e32 vcc, s2, v2
	s_mov_b64 s[22:23], 0
	s_mov_b64 s[6:7], 0
	s_cbranch_vccz .LBB36_21
; %bb.9:                                ;   in Loop: Header=BB36_6 Depth=1
	s_mov_b64 s[24:25], exec
	v_readlane_b32 s2, v46, 32
	v_readlane_b32 s3, v46, 33
	s_and_b64 s[2:3], s[24:25], s[2:3]
	s_mov_b64 exec, s[2:3]
	s_cbranch_execz .LBB36_81
; %bb.10:                               ;   in Loop: Header=BB36_6 Depth=1
	v_readlane_b32 s2, v46, 38
	v_readlane_b32 s3, v46, 39
	s_nop 4
	global_load_ushort v1, v8, s[2:3]
	global_load_dword v2, v[5:6], off
	v_readlane_b32 s2, v46, 28
	v_readlane_b32 s3, v46, 29
	s_load_dword s2, s[2:3], 0xe8
	s_mov_b64 s[26:27], 0
	v_mov_b32_e32 v4, v0
	s_waitcnt vmcnt(1)
	v_add_u32_e32 v3, v0, v1
	s_waitcnt lgkmcnt(0)
	v_mul_lo_u32 v7, s2, v3
	v_mul_lo_u32 v3, s2, v1
	s_branch .LBB36_12
.LBB36_11:                              ;   in Loop: Header=BB36_12 Depth=2
	s_or_b64 exec, exec, s[2:3]
	v_add_u32_e32 v7, v7, v3
	v_mov_b32_e32 v2, v10
	s_andn2_b64 exec, exec, s[26:27]
	s_cbranch_execz .LBB36_81
.LBB36_12:                              ;   Parent Loop BB36_6 Depth=1
                                        ; =>  This Inner Loop Header: Depth=2
	v_add_u32_e32 v4, v4, v1
	v_cmp_gt_u32_e64 s[6:7], s60, v4
	v_cmp_le_u32_e32 vcc, s60, v4
	s_waitcnt lgkmcnt(0)
	v_mov_b32_e32 v15, 0
	v_mov_b32_e32 v10, 0
	s_and_saveexec_b64 s[2:3], s[6:7]
	s_cbranch_execz .LBB36_14
; %bb.13:                               ;   in Loop: Header=BB36_12 Depth=2
	v_lshlrev_b64 v[35:36], 2, v[7:8]
	v_add_co_u32_e64 v35, s[6:7], s33, v35
	v_addc_co_u32_e64 v36, s[6:7], v21, v36, s[6:7]
	global_load_dword v10, v[35:36], off
.LBB36_14:                              ;   in Loop: Header=BB36_12 Depth=2
	s_or_b64 exec, exec, s[2:3]
	s_waitcnt vmcnt(0)
	v_xor_b32_e32 v35, 0x80000000, v2
	v_and_b32_e32 v35, v35, v33
	v_cmp_eq_u32_e64 s[18:19], v35, v25
	s_cmp_lg_u64 s[18:19], 0
	s_cselect_b64 s[2:3], -1, 0
	s_and_b64 s[2:3], s[0:1], s[2:3]
	s_and_saveexec_b64 s[28:29], s[2:3]
	s_cbranch_execz .LBB36_18
; %bb.15:                               ;   in Loop: Header=BB36_12 Depth=2
	s_mov_b64 s[30:31], exec
	v_mbcnt_lo_u32_b32 v15, s30, 0
	v_mbcnt_hi_u32_b32 v15, s31, v15
	s_bcnt1_i32_b64 s4, s[18:19]
	v_cmp_eq_u32_e64 s[6:7], 0, v15
                                        ; implicit-def: $vgpr35
	s_and_saveexec_b64 s[2:3], s[6:7]
; %bb.16:                               ;   in Loop: Header=BB36_12 Depth=2
	s_bcnt1_i32_b64 s5, s[30:31]
	s_mul_i32 s5, s4, s5
	v_mov_b32_e32 v35, s5
	ds_add_rtn_u32 v35, v8, v35 offset:4104
; %bb.17:                               ;   in Loop: Header=BB36_12 Depth=2
	s_or_b64 exec, exec, s[2:3]
	s_waitcnt lgkmcnt(0)
	v_readfirstlane_b32 s2, v35
	v_mov_b32_e32 v35, s2
	v_mad_u32_u24 v15, s4, v15, v35
.LBB36_18:                              ;   in Loop: Header=BB36_12 Depth=2
	s_or_b64 exec, exec, s[28:29]
	ds_bpermute_b32 v15, v16, v15
	s_and_b64 s[2:3], exec, vcc
	s_or_b64 s[26:27], s[2:3], s[26:27]
	s_and_saveexec_b64 s[2:3], s[18:19]
	s_cbranch_execz .LBB36_11
; %bb.19:                               ;   in Loop: Header=BB36_12 Depth=2
	v_and_b32_e32 v36, s18, v18
	v_and_b32_e32 v35, s19, v17
	v_bcnt_u32_b32 v36, v36, 0
	v_bcnt_u32_b32 v35, v35, v36
	v_lshlrev_b32_e32 v35, 2, v35
	s_waitcnt lgkmcnt(0)
	v_lshl_add_u32 v15, v15, 2, v35
	ds_write_b32 v15, v2
	s_branch .LBB36_11
.LBB36_20:                              ;   in Loop: Header=BB36_6 Depth=1
	s_mov_b64 s[22:23], -1
	s_mov_b64 s[6:7], 0
.LBB36_21:                              ;   in Loop: Header=BB36_6 Depth=1
	s_and_b64 vcc, exec, s[22:23]
	s_cbranch_vccz .LBB36_31
.LBB36_22:                              ;   in Loop: Header=BB36_6 Depth=1
	s_mov_b64 s[6:7], exec
	v_readlane_b32 s2, v46, 32
	v_readlane_b32 s3, v46, 33
	s_and_b64 s[2:3], s[6:7], s[2:3]
	s_mov_b64 exec, s[2:3]
	s_cbranch_execz .LBB36_28
; %bb.23:                               ;   in Loop: Header=BB36_6 Depth=1
	v_readlane_b32 s2, v46, 38
	v_readlane_b32 s3, v46, 39
	s_nop 4
	global_load_ushort v1, v8, s[2:3]
	global_load_dword v2, v[5:6], off
	v_mov_b32_e32 v3, v0
	s_waitcnt vmcnt(1)
	v_add_u32_e32 v7, v0, v1
	v_cmp_gt_u32_e32 vcc, s60, v7
	s_and_saveexec_b64 s[18:19], vcc
	s_cbranch_execz .LBB36_27
; %bb.24:                               ;   in Loop: Header=BB36_6 Depth=1
	v_readlane_b32 s2, v46, 28
	v_readlane_b32 s3, v46, 29
	s_load_dword s2, s[2:3], 0xe8
	v_lshlrev_b32_e32 v4, 2, v1
	s_mov_b64 s[22:23], 0
	v_mov_b32_e32 v15, v19
	v_mov_b32_e32 v3, v0
	s_waitcnt lgkmcnt(0)
	v_mul_lo_u32 v7, s2, v7
	v_mul_lo_u32 v10, s2, v1
.LBB36_25:                              ;   Parent Loop BB36_6 Depth=1
                                        ; =>  This Inner Loop Header: Depth=2
	v_lshlrev_b64 v[35:36], 2, v[7:8]
	v_mov_b32_e32 v37, s8
	v_add_co_u32_e32 v35, vcc, s33, v35
	v_addc_co_u32_e32 v36, vcc, v37, v36, vcc
	global_load_dword v35, v[35:36], off
	v_add_u32_e32 v3, v3, v1
	s_waitcnt vmcnt(1)
	ds_write_b32 v15, v2
	v_add_u32_e32 v2, v1, v3
	v_cmp_le_u32_e32 vcc, s60, v2
	v_add_u32_e32 v15, v15, v4
	v_add_u32_e32 v7, v7, v10
	s_or_b64 s[22:23], vcc, s[22:23]
	s_waitcnt vmcnt(0)
	v_mov_b32_e32 v2, v35
	s_andn2_b64 exec, exec, s[22:23]
	s_cbranch_execnz .LBB36_25
; %bb.26:                               ;   in Loop: Header=BB36_6 Depth=1
	s_or_b64 exec, exec, s[22:23]
	v_mov_b32_e32 v2, v35
.LBB36_27:                              ;   in Loop: Header=BB36_6 Depth=1
	s_or_b64 exec, exec, s[18:19]
	v_lshlrev_b32_e32 v1, 2, v3
	s_waitcnt vmcnt(0)
	ds_write_b32 v1, v2
.LBB36_28:                              ;   in Loop: Header=BB36_6 Depth=1
	s_or_b64 exec, exec, s[6:7]
	s_waitcnt lgkmcnt(0)
	s_barrier
	s_mov_b64 s[2:3], exec
	v_readlane_b32 s4, v46, 21
	v_readlane_b32 s5, v46, 22
	s_and_b64 s[4:5], s[2:3], s[4:5]
	s_mov_b64 exec, s[4:5]
; %bb.29:                               ;   in Loop: Header=BB36_6 Depth=1
	v_mov_b32_e32 v1, s60
	ds_write_b32 v8, v1 offset:4096
; %bb.30:                               ;   in Loop: Header=BB36_6 Depth=1
	s_or_b64 exec, exec, s[2:3]
	s_mov_b64 s[6:7], -1
	s_waitcnt lgkmcnt(0)
	s_barrier
.LBB36_31:                              ;   in Loop: Header=BB36_6 Depth=1
	s_mov_b32 s4, 0
	s_and_b64 vcc, exec, s[6:7]
	s_cbranch_vccz .LBB36_33
; %bb.32:                               ;   in Loop: Header=BB36_6 Depth=1
	ds_read_b32 v1, v8 offset:4096
	s_waitcnt lgkmcnt(0)
	v_readfirstlane_b32 s4, v1
.LBB36_33:                              ;   in Loop: Header=BB36_6 Depth=1
	s_cmp_lt_i32 s4, 1
	s_mov_b64 s[6:7], -1
                                        ; implicit-def: $vgpr4
	s_cbranch_scc1 .LBB36_43
; %bb.34:                               ;   in Loop: Header=BB36_6 Depth=1
	s_and_b64 vcc, exec, s[6:7]
	s_cbranch_vccnz .LBB36_54
.LBB36_35:                              ;   in Loop: Header=BB36_6 Depth=1
	s_lshl_b32 s4, s14, 6
	s_and_saveexec_b64 s[2:3], s[0:1]
.LBB36_36:                              ;   in Loop: Header=BB36_6 Depth=1
	v_lshl_add_u32 v7, s4, 2, v23
	ds_write_b128 v7, v[1:4]
.LBB36_37:                              ;   in Loop: Header=BB36_6 Depth=1
	s_or_b64 exec, exec, s[2:3]
	s_waitcnt lgkmcnt(0)
	s_barrier
	s_and_saveexec_b64 s[6:7], s[80:81]
	s_cbranch_execz .LBB36_68
; %bb.38:                               ;   in Loop: Header=BB36_6 Depth=1
	v_readlane_b32 s2, v46, 34
	v_readlane_b32 s3, v46, 35
	s_andn2_b64 vcc, exec, s[2:3]
	v_mov_b32_e32 v1, 0
	s_cbranch_vccnz .LBB36_67
; %bb.39:                               ;   in Loop: Header=BB36_6 Depth=1
	v_readlane_b32 s2, v46, 40
	v_readlane_b32 s3, v46, 41
	s_andn2_b64 vcc, exec, s[2:3]
	s_cbranch_vccnz .LBB36_63
; %bb.40:                               ;   in Loop: Header=BB36_6 Depth=1
	v_lshl_add_u32 v2, s14, 8, v32
	s_mov_b32 s2, 0
	v_mov_b32_e32 v1, 0
.LBB36_41:                              ;   Parent Loop BB36_6 Depth=1
                                        ; =>  This Inner Loop Header: Depth=2
	ds_read2_b32 v[3:4], v2 offset1:4
	ds_read2_b32 v[35:36], v2 offset0:8 offset1:12
	ds_read2_b32 v[37:38], v2 offset0:16 offset1:20
	;; [unrolled: 1-line block ×3, first 2 shown]
	s_add_i32 s2, s2, 8
	s_waitcnt lgkmcnt(3)
	v_add3_u32 v1, v3, v1, v4
	s_waitcnt lgkmcnt(2)
	v_add3_u32 v1, v35, v1, v36
	;; [unrolled: 2-line block ×3, first 2 shown]
	v_add_u32_e32 v2, 0x80, v2
	s_cmp_eq_u32 s82, s2
	s_waitcnt lgkmcnt(0)
	v_add3_u32 v1, v39, v1, v40
	s_cbranch_scc0 .LBB36_41
; %bb.42:                               ;   in Loop: Header=BB36_6 Depth=1
	s_mov_b32 s2, s82
	s_branch .LBB36_64
.LBB36_43:                              ;   in Loop: Header=BB36_6 Depth=1
	v_mov_b32_e32 v1, 0
	v_mov_b32_e32 v2, 0
	;; [unrolled: 1-line block ×4, first 2 shown]
	s_mov_b64 s[48:49], exec
	v_readlane_b32 s2, v46, 46
	v_readlane_b32 s3, v46, 47
	s_and_b64 s[2:3], s[48:49], s[2:3]
	s_mov_b64 exec, s[2:3]
	s_cbranch_execz .LBB36_47
; %bb.44:                               ;   in Loop: Header=BB36_6 Depth=1
	s_mov_b32 s2, 0
	s_mov_b64 s[50:51], 0
	s_mov_b32 s3, 0
	s_mov_b32 s5, 0
	;; [unrolled: 1-line block ×4, first 2 shown]
	v_mov_b32_e32 v10, v19
.LBB36_45:                              ;   Parent Loop BB36_6 Depth=1
                                        ; =>  This Inner Loop Header: Depth=2
	v_add_u32_e32 v7, s2, v29
	v_lshlrev_b64 v[2:3], 2, v[7:8]
	v_add_u32_e32 v7, s2, v26
	v_mov_b32_e32 v1, s8
	v_lshlrev_b64 v[35:36], 2, v[7:8]
	v_add_co_u32_e64 v2, s[6:7], s33, v2
	v_add_u32_e32 v7, s2, v27
	v_addc_co_u32_e64 v3, s[6:7], v1, v3, s[6:7]
	v_lshlrev_b64 v[37:38], 2, v[7:8]
	v_add_co_u32_e64 v35, s[6:7], s33, v35
	v_add_u32_e32 v7, s2, v28
	v_addc_co_u32_e64 v36, s[6:7], v1, v36, s[6:7]
	v_lshlrev_b64 v[39:40], 2, v[7:8]
	global_load_dword v4, v[2:3], off
	global_load_dword v7, v[35:36], off
	v_add_co_u32_e64 v2, s[6:7], s33, v37
	v_addc_co_u32_e64 v3, s[6:7], v1, v38, s[6:7]
	global_load_dword v15, v[2:3], off
	v_add_co_u32_e64 v2, s[6:7], s33, v39
	v_addc_co_u32_e64 v3, s[6:7], v1, v40, s[6:7]
	global_load_dword v1, v[2:3], off
	v_add_u32_e32 v10, s16, v10
	v_cmp_le_u32_e32 vcc, s84, v10
	s_add_i32 s2, s2, s12
	s_waitcnt vmcnt(3)
	v_xor_b32_e32 v2, 0x80000000, v4
	v_and_b32_e32 v4, v2, v33
	v_bfe_u32 v2, v2, s15, 2
	s_waitcnt vmcnt(2)
	v_xor_b32_e32 v3, 0x80000000, v7
	v_cmp_eq_u32_e64 s[6:7], v4, v25
	v_cmp_eq_u32_e64 s[18:19], 0, v2
	v_and_b32_e32 v4, v3, v33
	v_bfe_u32 v3, v3, s15, 2
	v_cmp_eq_u32_e64 s[22:23], 1, v2
	s_and_b64 s[18:19], s[6:7], s[18:19]
	s_waitcnt vmcnt(1)
	v_xor_b32_e32 v7, 0x80000000, v15
	v_cmp_eq_u32_e64 s[24:25], 2, v2
	v_cmp_eq_u32_e64 s[26:27], 3, v2
	;; [unrolled: 1-line block ×6, first 2 shown]
	v_cndmask_b32_e64 v3, 0, 1, s[18:19]
	s_and_b64 s[18:19], s[6:7], s[22:23]
	s_waitcnt vmcnt(0)
	v_xor_b32_e32 v1, 0x80000000, v1
	v_cmp_eq_u32_e64 s[28:29], v4, v25
	v_and_b32_e32 v2, v7, v33
	v_bfe_u32 v4, v7, s15, 2
	v_cndmask_b32_e64 v7, 0, 1, s[18:19]
	s_and_b64 s[18:19], s[6:7], s[24:25]
	s_and_b64 s[6:7], s[6:7], s[26:27]
	v_cndmask_b32_e64 v15, 0, 1, s[18:19]
	v_cndmask_b32_e64 v35, 0, 1, s[6:7]
	v_cmp_eq_u32_e64 s[6:7], v2, v25
	v_and_b32_e32 v2, v1, v33
	v_bfe_u32 v1, v1, s15, 2
	v_cmp_eq_u32_e64 s[18:19], 0, v4
	s_and_b64 s[30:31], s[28:29], s[30:31]
	s_and_b64 s[34:35], s[28:29], s[34:35]
	;; [unrolled: 1-line block ×4, first 2 shown]
	v_cmp_eq_u32_e64 s[22:23], 1, v4
	v_cmp_eq_u32_e64 s[24:25], 2, v4
	;; [unrolled: 1-line block ×3, first 2 shown]
	v_cndmask_b32_e64 v4, 0, 1, s[34:35]
	v_cmp_ne_u32_e64 s[34:35], 0, v15
	v_cndmask_b32_e64 v15, 0, 1, s[28:29]
	v_cmp_eq_u32_e64 s[28:29], v2, v25
	v_cmp_eq_u32_e64 s[38:39], 0, v1
	s_and_b64 s[18:19], s[6:7], s[18:19]
	v_cmp_ne_u32_e64 s[40:41], 0, v3
	v_cndmask_b32_e64 v3, 0, 1, s[30:31]
	v_cmp_ne_u32_e64 s[30:31], 0, v7
	v_cmp_eq_u32_e64 s[42:43], 1, v1
	v_cmp_eq_u32_e64 s[44:45], 2, v1
	;; [unrolled: 1-line block ×3, first 2 shown]
	v_cndmask_b32_e64 v1, 0, 1, s[18:19]
	s_and_b64 s[22:23], s[6:7], s[22:23]
	s_and_b64 s[24:25], s[6:7], s[24:25]
	;; [unrolled: 1-line block ×4, first 2 shown]
	v_cndmask_b32_e64 v7, 0, 1, s[36:37]
	v_cmp_ne_u32_e64 s[36:37], 0, v35
	s_bcnt1_i32_b64 s17, s[40:41]
	s_bcnt1_i32_b64 s30, s[30:31]
	v_cmp_ne_u32_e64 s[18:19], 0, v4
	v_cndmask_b32_e64 v2, 0, 1, s[22:23]
	v_cndmask_b32_e64 v4, 0, 1, s[6:7]
	v_cmp_ne_u32_e64 s[6:7], 0, v1
	v_cndmask_b32_e64 v1, 0, 1, s[26:27]
	s_and_b64 s[26:27], s[28:29], s[42:43]
	v_cmp_ne_u32_e64 s[40:41], 0, v3
	s_bcnt1_i32_b64 s31, s[34:35]
	v_cmp_ne_u32_e64 s[22:23], 0, v7
	v_cndmask_b32_e64 v3, 0, 1, s[24:25]
	s_bcnt1_i32_b64 s34, s[36:37]
	s_add_i32 s17, s11, s17
	s_bcnt1_i32_b64 s36, s[18:19]
	v_cmp_ne_u32_e64 s[18:19], 0, v2
	v_cndmask_b32_e64 v2, 0, 1, s[26:27]
	s_add_i32 s26, s10, s30
	s_and_b64 s[10:11], s[28:29], s[44:45]
	v_cmp_ne_u32_e64 s[24:25], 0, v15
	s_bcnt1_i32_b64 s27, s[22:23]
	v_cmp_ne_u32_e64 s[22:23], 0, v3
	v_cndmask_b32_e64 v3, 0, 1, s[10:11]
	s_and_b64 s[10:11], s[28:29], s[46:47]
	s_bcnt1_i32_b64 s35, s[40:41]
	s_add_i32 s5, s5, s31
	s_bcnt1_i32_b64 s30, s[24:25]
	v_cmp_ne_u32_e64 s[24:25], 0, v4
	v_cndmask_b32_e64 v4, 0, 1, s[10:11]
	s_add_i32 s3, s3, s34
	s_bcnt1_i32_b64 s10, s[6:7]
	v_cmp_ne_u32_e64 s[6:7], 0, v1
	s_add_i32 s11, s17, s35
	s_bcnt1_i32_b64 s17, s[18:19]
	v_cmp_ne_u32_e64 s[18:19], 0, v2
	;; [unrolled: 3-line block ×4, first 2 shown]
	s_add_i32 s3, s3, s30
	s_bcnt1_i32_b64 s6, s[6:7]
	s_add_i32 s7, s11, s10
	s_bcnt1_i32_b64 s10, s[18:19]
	;; [unrolled: 2-line block ×4, first 2 shown]
	s_add_i32 s3, s3, s27
	s_add_i32 s11, s7, s6
	;; [unrolled: 1-line block ×5, first 2 shown]
	s_or_b64 s[50:51], vcc, s[50:51]
	v_mov_b32_e32 v1, s11
	v_mov_b32_e32 v2, s10
	;; [unrolled: 1-line block ×4, first 2 shown]
	s_andn2_b64 exec, exec, s[50:51]
	s_cbranch_execnz .LBB36_45
; %bb.46:                               ;   in Loop: Header=BB36_6 Depth=1
	s_or_b64 exec, exec, s[50:51]
.LBB36_47:                              ;   in Loop: Header=BB36_6 Depth=1
	s_or_b64 exec, exec, s[48:49]
	s_mov_b64 s[18:19], exec
	v_readlane_b32 s2, v46, 48
	v_readlane_b32 s3, v46, 49
	s_and_b64 s[2:3], s[18:19], s[2:3]
	s_mov_b64 exec, s[2:3]
	s_cbranch_execz .LBB36_53
; %bb.48:                               ;   in Loop: Header=BB36_6 Depth=1
	global_load_dword v15, v[12:13], off
	s_mov_b64 s[22:23], 0
	v_mov_b32_e32 v7, v30
	v_mov_b32_e32 v10, v24
	s_branch .LBB36_50
.LBB36_49:                              ;   in Loop: Header=BB36_50 Depth=2
	s_or_b64 exec, exec, s[2:3]
	s_waitcnt vmcnt(0)
	v_xor_b32_e32 v15, 0x80000000, v15
	s_and_b64 s[2:3], exec, vcc
	v_and_b32_e32 v36, v15, v33
	v_bfe_u32 v15, v15, s15, 2
	s_or_b64 s[22:23], s[2:3], s[22:23]
	v_cmp_eq_u32_e32 vcc, v36, v25
	v_cmp_eq_u32_e64 s[6:7], 0, v15
	s_and_b64 s[2:3], vcc, s[6:7]
	v_cndmask_b32_e64 v36, 0, 1, s[2:3]
	v_cmp_ne_u32_e64 s[6:7], 0, v36
	s_bcnt1_i32_b64 s2, s[6:7]
	v_cmp_eq_u32_e64 s[6:7], 1, v15
	v_add_u32_e32 v1, s2, v1
	s_and_b64 s[2:3], vcc, s[6:7]
	v_cndmask_b32_e64 v36, 0, 1, s[2:3]
	v_cmp_ne_u32_e64 s[6:7], 0, v36
	s_bcnt1_i32_b64 s2, s[6:7]
	v_cmp_eq_u32_e64 s[6:7], 2, v15
	v_add_u32_e32 v2, s2, v2
	;; [unrolled: 6-line block ×3, first 2 shown]
	s_and_b64 s[2:3], vcc, s[6:7]
	v_cndmask_b32_e64 v15, 0, 1, s[2:3]
	v_cmp_ne_u32_e32 vcc, 0, v15
	s_bcnt1_i32_b64 s2, vcc
	v_add_u32_e32 v4, s2, v4
	v_add_u32_e32 v7, s83, v7
	v_mov_b32_e32 v15, v35
	s_andn2_b64 exec, exec, s[22:23]
	s_cbranch_execz .LBB36_52
.LBB36_50:                              ;   Parent Loop BB36_6 Depth=1
                                        ; =>  This Inner Loop Header: Depth=2
	v_add_u32_e32 v10, s9, v10
	v_cmp_gt_u32_e64 s[6:7], s60, v10
	v_cmp_le_u32_e32 vcc, s60, v10
	v_mov_b32_e32 v35, 0
	s_and_saveexec_b64 s[2:3], s[6:7]
	s_cbranch_execz .LBB36_49
; %bb.51:                               ;   in Loop: Header=BB36_50 Depth=2
	v_lshlrev_b64 v[35:36], 2, v[7:8]
	v_mov_b32_e32 v37, s8
	v_add_co_u32_e64 v35, s[6:7], s33, v35
	v_addc_co_u32_e64 v36, s[6:7], v37, v36, s[6:7]
	global_load_dword v35, v[35:36], off
	s_branch .LBB36_49
.LBB36_52:                              ;   in Loop: Header=BB36_6 Depth=1
	s_or_b64 exec, exec, s[22:23]
.LBB36_53:                              ;   in Loop: Header=BB36_6 Depth=1
	s_or_b64 exec, exec, s[18:19]
	s_branch .LBB36_35
.LBB36_54:                              ;   in Loop: Header=BB36_6 Depth=1
	v_readlane_b32 s2, v46, 45
	s_mul_hi_u32 s2, s4, s2
	s_mul_i32 s2, s2, s16
	s_sub_i32 s2, s4, s2
	s_sub_i32 s3, s2, s16
	s_cmp_ge_u32 s2, s16
	s_cselect_b32 s2, s3, s2
	s_sub_i32 s3, s2, s16
	s_cmp_ge_u32 s2, s16
	s_cselect_b32 s2, s3, s2
	s_sub_i32 s2, s4, s2
	v_cmp_gt_u32_e32 vcc, s2, v19
	v_mov_b32_e32 v1, 0
	v_mov_b32_e32 v2, 0
	;; [unrolled: 1-line block ×4, first 2 shown]
	s_and_saveexec_b64 s[86:87], vcc
	s_cbranch_execz .LBB36_58
; %bb.55:                               ;   in Loop: Header=BB36_6 Depth=1
	s_mov_b32 s3, 0
	s_mov_b64 s[88:89], 0
	v_mov_b32_e32 v7, v31
	s_mov_b32 s5, 0
	s_mov_b32 s10, 0
	;; [unrolled: 1-line block ×3, first 2 shown]
	v_mov_b32_e32 v10, v19
.LBB36_56:                              ;   Parent Loop BB36_6 Depth=1
                                        ; =>  This Inner Loop Header: Depth=2
	ds_read_b128 v[1:4], v7
	v_add_u32_e32 v10, s16, v10
	v_cmp_le_u32_e32 vcc, s2, v10
	v_add_u32_e32 v7, s13, v7
	s_waitcnt lgkmcnt(0)
	v_xor_b32_e32 v1, 0x80000000, v1
	v_xor_b32_e32 v2, 0x80000000, v2
	v_and_b32_e32 v15, v1, v33
	v_bfe_u32 v1, v1, s15, 2
	v_xor_b32_e32 v3, 0x80000000, v3
	v_and_b32_e32 v35, v2, v33
	v_bfe_u32 v2, v2, s15, 2
	v_cmp_eq_u32_e64 s[6:7], v15, v25
	v_cmp_eq_u32_e64 s[26:27], 0, v1
	v_xor_b32_e32 v4, 0x80000000, v4
	v_and_b32_e32 v36, v3, v33
	v_bfe_u32 v3, v3, s15, 2
	v_cmp_eq_u32_e64 s[18:19], v35, v25
	v_cmp_eq_u32_e64 s[28:29], 0, v2
	s_and_b64 s[26:27], s[6:7], s[26:27]
	v_and_b32_e32 v37, v4, v33
	v_bfe_u32 v4, v4, s15, 2
	v_cmp_eq_u32_e64 s[22:23], v36, v25
	v_cmp_eq_u32_e64 s[30:31], 0, v3
	;; [unrolled: 1-line block ×5, first 2 shown]
	v_cndmask_b32_e64 v1, 0, 1, s[26:27]
	s_and_b64 s[26:27], s[18:19], s[28:29]
	v_cmp_eq_u32_e64 s[24:25], v37, v25
	v_cmp_eq_u32_e64 s[34:35], 0, v4
	;; [unrolled: 1-line block ×5, first 2 shown]
	v_cndmask_b32_e64 v2, 0, 1, s[26:27]
	s_and_b64 s[26:27], s[22:23], s[30:31]
	v_cmp_eq_u32_e64 s[40:41], 1, v3
	v_cmp_eq_u32_e64 s[48:49], 2, v3
	;; [unrolled: 1-line block ×3, first 2 shown]
	v_cndmask_b32_e64 v3, 0, 1, s[26:27]
	s_and_b64 s[26:27], s[24:25], s[34:35]
	v_cmp_eq_u32_e64 s[42:43], 1, v4
	v_cmp_eq_u32_e64 s[50:51], 2, v4
	;; [unrolled: 1-line block ×3, first 2 shown]
	v_cndmask_b32_e64 v4, 0, 1, s[26:27]
	s_and_b64 s[26:27], s[6:7], s[36:37]
	v_cndmask_b32_e64 v15, 0, 1, s[26:27]
	s_and_b64 s[26:27], s[18:19], s[38:39]
	;; [unrolled: 2-line block ×5, first 2 shown]
	s_and_b64 s[6:7], s[6:7], s[52:53]
	v_cndmask_b32_e64 v38, 0, 1, s[26:27]
	s_and_b64 s[26:27], s[18:19], s[46:47]
	v_cndmask_b32_e64 v42, 0, 1, s[6:7]
	;; [unrolled: 2-line block ×7, first 2 shown]
	v_cndmask_b32_e64 v45, 0, 1, s[6:7]
	v_cmp_ne_u32_e64 s[6:7], 0, v1
	v_cmp_ne_u32_e64 s[18:19], 0, v2
	;; [unrolled: 1-line block ×11, first 2 shown]
	s_bcnt1_i32_b64 s6, s[6:7]
	s_bcnt1_i32_b64 s7, s[18:19]
	;; [unrolled: 1-line block ×8, first 2 shown]
	v_cmp_ne_u32_e64 s[40:41], 0, v40
	v_cmp_ne_u32_e64 s[48:49], 0, v44
	s_bcnt1_i32_b64 s23, s[30:31]
	s_bcnt1_i32_b64 s26, s[38:39]
	;; [unrolled: 1-line block ×3, first 2 shown]
	s_add_i32 s6, s11, s6
	s_add_i32 s10, s10, s19
	;; [unrolled: 1-line block ×4, first 2 shown]
	v_cmp_ne_u32_e64 s[34:35], 0, v37
	v_cmp_ne_u32_e64 s[42:43], 0, v41
	v_cmp_ne_u32_e64 s[50:51], 0, v45
	s_bcnt1_i32_b64 s27, s[40:41]
	s_bcnt1_i32_b64 s31, s[48:49]
	s_add_i32 s6, s6, s7
	s_add_i32 s7, s10, s22
	s_add_i32 s5, s5, s26
	s_add_i32 s3, s3, s30
	s_bcnt1_i32_b64 s24, s[34:35]
	s_bcnt1_i32_b64 s28, s[42:43]
	;; [unrolled: 1-line block ×3, first 2 shown]
	s_add_i32 s6, s6, s17
	s_add_i32 s7, s7, s23
	;; [unrolled: 1-line block ×8, first 2 shown]
	s_or_b64 s[88:89], vcc, s[88:89]
	v_mov_b32_e32 v1, s11
	v_mov_b32_e32 v2, s10
	;; [unrolled: 1-line block ×4, first 2 shown]
	s_andn2_b64 exec, exec, s[88:89]
	s_cbranch_execnz .LBB36_56
; %bb.57:                               ;   in Loop: Header=BB36_6 Depth=1
	s_or_b64 exec, exec, s[88:89]
.LBB36_58:                              ;   in Loop: Header=BB36_6 Depth=1
	s_or_b64 exec, exec, s[86:87]
	v_add_u32_e32 v7, s2, v0
	v_cmp_gt_u32_e32 vcc, s4, v7
	s_and_saveexec_b64 s[28:29], vcc
	s_cbranch_execz .LBB36_62
; %bb.59:                               ;   in Loop: Header=BB36_6 Depth=1
	v_lshlrev_b32_e32 v10, 2, v7
	s_mov_b64 s[30:31], 0
.LBB36_60:                              ;   Parent Loop BB36_6 Depth=1
                                        ; =>  This Inner Loop Header: Depth=2
	ds_read_b32 v15, v10
	v_add_u32_e32 v7, s9, v7
	v_cmp_le_u32_e32 vcc, s4, v7
	v_add_u32_e32 v10, s16, v10
	s_waitcnt lgkmcnt(0)
	v_xor_b32_e32 v15, 0x80000000, v15
	v_and_b32_e32 v35, v15, v33
	v_bfe_u32 v15, v15, s15, 2
	v_cmp_eq_u32_e64 s[6:7], v35, v25
	v_cmp_eq_u32_e64 s[18:19], 0, v15
	;; [unrolled: 1-line block ×3, first 2 shown]
	s_and_b64 s[2:3], s[6:7], s[18:19]
	v_cmp_eq_u32_e64 s[24:25], 2, v15
	v_cmp_eq_u32_e64 s[26:27], 3, v15
	v_cndmask_b32_e64 v15, 0, 1, s[2:3]
	s_and_b64 s[2:3], s[6:7], s[22:23]
	v_cndmask_b32_e64 v35, 0, 1, s[2:3]
	s_and_b64 s[2:3], s[6:7], s[24:25]
	;; [unrolled: 2-line block ×3, first 2 shown]
	v_cndmask_b32_e64 v37, 0, 1, s[2:3]
	v_cmp_ne_u32_e64 s[6:7], 0, v15
	v_cmp_ne_u32_e64 s[18:19], 0, v35
	;; [unrolled: 1-line block ×4, first 2 shown]
	s_bcnt1_i32_b64 s2, s[6:7]
	s_bcnt1_i32_b64 s3, s[18:19]
	;; [unrolled: 1-line block ×4, first 2 shown]
	v_add_u32_e32 v1, s2, v1
	v_add_u32_e32 v2, s3, v2
	v_add_u32_e32 v3, s5, v3
	s_or_b64 s[30:31], vcc, s[30:31]
	v_add_u32_e32 v4, s6, v4
	s_andn2_b64 exec, exec, s[30:31]
	s_cbranch_execnz .LBB36_60
; %bb.61:                               ;   in Loop: Header=BB36_6 Depth=1
	s_or_b64 exec, exec, s[30:31]
.LBB36_62:                              ;   in Loop: Header=BB36_6 Depth=1
	s_or_b64 exec, exec, s[28:29]
	s_lshl_b32 s4, s14, 6
	s_and_saveexec_b64 s[2:3], s[0:1]
	s_cbranch_execnz .LBB36_36
	s_branch .LBB36_37
.LBB36_63:                              ;   in Loop: Header=BB36_6 Depth=1
	v_mov_b32_e32 v1, 0
	s_mov_b32 s2, 0
.LBB36_64:                              ;   in Loop: Header=BB36_6 Depth=1
	v_readlane_b32 s10, v46, 43
	v_readlane_b32 s11, v46, 44
	s_andn2_b64 vcc, exec, s[10:11]
	s_cbranch_vccnz .LBB36_67
; %bb.65:                               ;   in Loop: Header=BB36_6 Depth=1
	s_lshl_b32 s3, s14, 8
	s_lshl_b32 s2, s2, 4
	s_add_i32 s3, s3, s2
	v_add_u32_e32 v2, s3, v32
	v_readlane_b32 s2, v46, 42
.LBB36_66:                              ;   Parent Loop BB36_6 Depth=1
                                        ; =>  This Inner Loop Header: Depth=2
	ds_read_b32 v3, v2
	s_add_i32 s2, s2, -1
	v_add_u32_e32 v2, 16, v2
	s_cmp_lg_u32 s2, 0
	s_waitcnt lgkmcnt(0)
	v_add_u32_e32 v1, v3, v1
	s_cbranch_scc1 .LBB36_66
.LBB36_67:                              ;   in Loop: Header=BB36_6 Depth=1
	v_add_lshl_u32 v2, s4, v20, 2
	ds_write_b32 v2, v1 offset:3072
.LBB36_68:                              ;   in Loop: Header=BB36_6 Depth=1
	s_or_b64 exec, exec, s[6:7]
	s_lshl_b32 s2, s4, 2
	v_mov_b32_e32 v1, s2
	s_waitcnt lgkmcnt(0)
	s_barrier
	ds_read_b128 v[1:4], v1 offset:3072
	v_readlane_b32 s2, v46, 26
	s_lshl_b32 s10, 3, s15
	v_readlane_b32 s3, v46, 27
	s_not_b32 s11, s10
	s_waitcnt lgkmcnt(0)
	v_readfirstlane_b32 s17, v1
	v_readfirstlane_b32 s4, v2
	;; [unrolled: 1-line block ×4, first 2 shown]
	v_cmp_eq_u32_e64 s[18:19], 1, v34
	s_mov_b64 s[34:35], -1
	s_mov_b64 s[22:23], 0
	s_andn2_b64 vcc, exec, s[2:3]
	s_mov_b64 s[26:27], 0
	s_mov_b64 s[24:25], 0
                                        ; implicit-def: $sgpr28_sgpr29
                                        ; implicit-def: $sgpr30_sgpr31
                                        ; implicit-def: $vgpr35
                                        ; implicit-def: $vgpr3
                                        ; implicit-def: $vgpr10
                                        ; implicit-def: $vgpr4
                                        ; implicit-def: $vgpr2
	s_cbranch_vccnz .LBB36_231
; %bb.69:                               ;   in Loop: Header=BB36_6 Depth=1
	s_cmp_eq_u32 s17, 1
	s_cselect_b64 s[2:3], -1, 0
	s_and_b64 s[6:7], s[2:3], s[18:19]
	s_mov_b64 s[38:39], -1
	v_mov_b32_e32 v10, v25
	v_mov_b32_e32 v4, v33
	;; [unrolled: 1-line block ×3, first 2 shown]
                                        ; implicit-def: $sgpr30_sgpr31
                                        ; implicit-def: $sgpr28_sgpr29
	s_and_saveexec_b64 s[24:25], s[6:7]
	s_cbranch_execz .LBB36_98
; %bb.70:                               ;   in Loop: Header=BB36_6 Depth=1
	ds_read_b32 v1, v8 offset:4096
	s_waitcnt lgkmcnt(0)
	s_barrier
	v_readfirstlane_b32 s42, v1
	s_mov_b64 s[2:3], exec
	v_readlane_b32 s26, v46, 36
	v_readlane_b32 s27, v46, 37
	s_and_b64 s[26:27], s[2:3], s[26:27]
	s_mov_b64 exec, s[26:27]
; %bb.71:                               ;   in Loop: Header=BB36_6 Depth=1
	ds_write_b32 v22, v8
; %bb.72:                               ;   in Loop: Header=BB36_6 Depth=1
	s_or_b64 exec, exec, s[2:3]
	v_and_b32_e32 v10, s11, v25
	v_or_b32_e32 v4, s10, v33
	s_mov_b64 s[28:29], -1
	s_mov_b64 s[30:31], 0
	s_cmp_eq_u32 s42, 0
	s_mov_b64 s[26:27], 0
	s_waitcnt lgkmcnt(0)
	s_barrier
                                        ; implicit-def: $vgpr2
	s_cbranch_scc1 .LBB36_86
; %bb.73:                               ;   in Loop: Header=BB36_6 Depth=1
	s_add_i32 s2, s42, s63
	v_readlane_b32 s3, v46, 50
	s_mul_hi_u32 s3, s2, s3
	s_mul_i32 s3, s3, s9
	s_sub_i32 s3, s2, s3
	s_sub_i32 s26, s3, s9
	s_cmp_ge_u32 s3, s9
	s_cselect_b32 s3, s26, s3
	s_sub_i32 s26, s3, s9
	s_cmp_ge_u32 s3, s9
	s_cselect_b32 s3, s26, s3
	s_sub_i32 s43, s2, s3
	v_cmp_gt_u32_e32 vcc, s43, v0
	s_mov_b64 s[34:35], 0
	s_mov_b64 s[26:27], 0
                                        ; implicit-def: $vgpr2
	s_and_saveexec_b64 s[36:37], vcc
	s_cbranch_execz .LBB36_85
; %bb.74:                               ;   in Loop: Header=BB36_6 Depth=1
	v_mov_b32_e32 v3, v19
	v_mov_b32_e32 v7, v0
                                        ; implicit-def: $sgpr38_sgpr39
	s_branch .LBB36_77
.LBB36_75:                              ;   in Loop: Header=BB36_77 Depth=2
	s_or_b64 exec, exec, s[2:3]
	s_waitcnt lgkmcnt(0)
	s_barrier
	ds_read_b64 v[1:2], v8 offset:3072
	s_mov_b64 s[2:3], -1
	s_mov_b64 s[40:41], -1
	s_waitcnt lgkmcnt(0)
	s_barrier
	v_cmp_ne_u32_e32 vcc, 0, v1
	s_cbranch_vccz .LBB36_80
.LBB36_76:                              ;   in Loop: Header=BB36_77 Depth=2
	s_and_b64 s[2:3], exec, s[2:3]
	s_or_b64 s[26:27], s[2:3], s[26:27]
	s_andn2_b64 s[2:3], s[38:39], exec
	s_and_b64 s[38:39], s[40:41], exec
	s_or_b64 s[38:39], s[2:3], s[38:39]
	s_andn2_b64 exec, exec, s[26:27]
	s_cbranch_execz .LBB36_84
.LBB36_77:                              ;   Parent Loop BB36_6 Depth=1
                                        ; =>  This Inner Loop Header: Depth=2
	v_cmp_gt_u32_e32 vcc, s42, v7
	s_and_saveexec_b64 s[2:3], vcc
	s_cbranch_execz .LBB36_75
; %bb.78:                               ;   in Loop: Header=BB36_77 Depth=2
	ds_read_b32 v15, v3
	s_waitcnt lgkmcnt(0)
	v_xor_b32_e32 v1, 0x80000000, v15
	v_and_b32_e32 v1, v1, v4
	v_cmp_eq_u32_e32 vcc, v1, v10
	s_and_b64 exec, exec, vcc
	s_cbranch_execz .LBB36_75
; %bb.79:                               ;   in Loop: Header=BB36_77 Depth=2
	ds_write_b64 v8, v[14:15] offset:3072
	s_branch .LBB36_75
.LBB36_80:                              ;   in Loop: Header=BB36_77 Depth=2
	v_add_u32_e32 v7, s9, v7
	v_cmp_le_u32_e32 vcc, s43, v7
	v_add_u32_e32 v3, s16, v3
	s_mov_b64 s[40:41], 0
	s_orn2_b64 s[2:3], vcc, exec
	s_branch .LBB36_76
.LBB36_81:                              ;   in Loop: Header=BB36_6 Depth=1
	s_or_b64 exec, exec, s[24:25]
	s_waitcnt lgkmcnt(0)
	s_barrier
	s_mov_b64 s[2:3], exec
	v_readlane_b32 s4, v46, 21
	v_readlane_b32 s5, v46, 22
	s_and_b64 s[4:5], s[2:3], s[4:5]
	s_mov_b64 exec, s[4:5]
	s_cbranch_execz .LBB36_83
; %bb.82:                               ;   in Loop: Header=BB36_6 Depth=1
	ds_read_b32 v1, v8 offset:4104
	s_waitcnt lgkmcnt(0)
	ds_write_b32 v8, v1 offset:4096
.LBB36_83:                              ;   in Loop: Header=BB36_6 Depth=1
	s_or_b64 exec, exec, s[2:3]
	s_waitcnt lgkmcnt(0)
	s_barrier
	s_mov_b64 s[6:7], -1
	s_and_b64 vcc, exec, s[22:23]
	s_cbranch_vccnz .LBB36_22
	s_branch .LBB36_31
.LBB36_84:                              ;   in Loop: Header=BB36_6 Depth=1
	s_or_b64 exec, exec, s[26:27]
	s_and_b64 s[26:27], s[38:39], exec
.LBB36_85:                              ;   in Loop: Header=BB36_6 Depth=1
	s_or_b64 exec, exec, s[36:37]
.LBB36_86:                              ;   in Loop: Header=BB36_6 Depth=1
	s_and_b64 vcc, exec, s[34:35]
	s_cbranch_vccz .LBB36_97
; %bb.87:                               ;   in Loop: Header=BB36_6 Depth=1
                                        ; implicit-def: $vgpr2
	s_mov_b64 s[28:29], exec
	v_readlane_b32 s2, v46, 51
	v_readlane_b32 s3, v46, 52
	s_and_b64 s[2:3], s[28:29], s[2:3]
	s_mov_b64 exec, s[2:3]
	s_cbranch_execz .LBB36_96
; %bb.88:                               ;   in Loop: Header=BB36_6 Depth=1
	s_mov_b64 s[30:31], 0
	v_mov_b32_e32 v7, v9
	v_mov_b32_e32 v3, v0
                                        ; implicit-def: $sgpr34_sgpr35
	s_branch .LBB36_91
.LBB36_89:                              ;   in Loop: Header=BB36_91 Depth=2
	s_or_b64 exec, exec, s[36:37]
	s_waitcnt lgkmcnt(0)
	s_barrier
	ds_read_b64 v[1:2], v8 offset:3072
	s_mov_b64 s[2:3], -1
	s_mov_b64 s[36:37], -1
	s_waitcnt lgkmcnt(0)
	s_barrier
	v_cmp_ne_u32_e32 vcc, 0, v1
	s_cbranch_vccz .LBB36_94
.LBB36_90:                              ;   in Loop: Header=BB36_91 Depth=2
	s_and_b64 s[2:3], exec, s[2:3]
	s_or_b64 s[30:31], s[2:3], s[30:31]
	s_andn2_b64 s[2:3], s[34:35], exec
	s_and_b64 s[34:35], s[36:37], exec
	s_or_b64 s[34:35], s[2:3], s[34:35]
	s_andn2_b64 exec, exec, s[30:31]
	s_cbranch_execz .LBB36_95
.LBB36_91:                              ;   Parent Loop BB36_6 Depth=1
                                        ; =>  This Inner Loop Header: Depth=2
	v_cmp_gt_u32_e32 vcc, s60, v3
	s_and_saveexec_b64 s[36:37], vcc
	s_cbranch_execz .LBB36_89
; %bb.92:                               ;   in Loop: Header=BB36_91 Depth=2
	v_lshlrev_b64 v[1:2], 2, v[7:8]
	v_mov_b32_e32 v15, s8
	v_add_co_u32_e32 v1, vcc, s33, v1
	v_addc_co_u32_e32 v2, vcc, v15, v2, vcc
	global_load_dword v15, v[1:2], off
	s_waitcnt vmcnt(0)
	v_xor_b32_e32 v1, 0x80000000, v15
	v_and_b32_e32 v1, v1, v4
	v_cmp_eq_u32_e32 vcc, v1, v10
	s_and_b64 exec, exec, vcc
	s_cbranch_execz .LBB36_89
; %bb.93:                               ;   in Loop: Header=BB36_91 Depth=2
	ds_write_b64 v8, v[14:15] offset:3072
	s_branch .LBB36_89
.LBB36_94:                              ;   in Loop: Header=BB36_91 Depth=2
	v_add_u32_e32 v3, s9, v3
	v_cmp_le_u32_e32 vcc, s85, v3
	v_add_u32_e32 v7, s83, v7
	s_mov_b64 s[36:37], 0
	s_orn2_b64 s[2:3], vcc, exec
	s_branch .LBB36_90
.LBB36_95:                              ;   in Loop: Header=BB36_6 Depth=1
	s_or_b64 exec, exec, s[30:31]
	s_andn2_b64 s[2:3], s[26:27], exec
	s_and_b64 s[26:27], s[34:35], exec
	s_or_b64 s[26:27], s[2:3], s[26:27]
.LBB36_96:                              ;   in Loop: Header=BB36_6 Depth=1
	s_or_b64 exec, exec, s[28:29]
	s_mov_b64 s[28:29], 0
	s_mov_b64 s[30:31], -1
.LBB36_97:                              ;   in Loop: Header=BB36_6 Depth=1
	s_orn2_b64 s[38:39], s[26:27], exec
.LBB36_98:                              ;   in Loop: Header=BB36_6 Depth=1
	s_or_b64 exec, exec, s[24:25]
	s_mov_b64 s[34:35], 0
	s_mov_b64 s[26:27], 0
	;; [unrolled: 1-line block ×3, first 2 shown]
                                        ; implicit-def: $vgpr35
                                        ; implicit-def: $vgpr3
	s_and_saveexec_b64 s[36:37], s[38:39]
	s_cbranch_execz .LBB36_230
; %bb.99:                               ;   in Loop: Header=BB36_6 Depth=1
	s_xor_b64 s[2:3], s[6:7], -1
	s_mov_b64 s[40:41], 0
	v_mov_b32_e32 v35, 1
	v_mov_b32_e32 v3, 1
	s_and_saveexec_b64 s[6:7], s[2:3]
	s_cbranch_execz .LBB36_108
; %bb.100:                              ;   in Loop: Header=BB36_6 Depth=1
	v_cmp_ge_u32_e32 vcc, s17, v34
	s_and_saveexec_b64 s[2:3], vcc
	s_xor_b64 s[24:25], exec, s[2:3]
	s_cbranch_execz .LBB36_105
; %bb.101:                              ;   in Loop: Header=BB36_6 Depth=1
	ds_read_b32 v1, v8 offset:4096
	v_and_b32_e32 v10, s11, v10
	v_or_b32_e32 v4, s10, v4
	s_waitcnt lgkmcnt(0)
	v_cmp_ne_u32_e32 vcc, 0, v1
	s_cbranch_vccnz .LBB36_105
; %bb.102:                              ;   in Loop: Header=BB36_6 Depth=1
	s_mov_b64 s[2:3], exec
	v_readlane_b32 s26, v46, 21
	v_readlane_b32 s27, v46, 22
	s_and_b64 s[26:27], s[2:3], s[26:27]
	s_mov_b64 exec, s[26:27]
; %bb.103:                              ;   in Loop: Header=BB36_6 Depth=1
	v_mov_b32_e32 v1, s17
	ds_write_b32 v8, v1 offset:4100
; %bb.104:                              ;   in Loop: Header=BB36_6 Depth=1
	s_or_b64 exec, exec, s[2:3]
	s_waitcnt lgkmcnt(0)
	s_barrier
.LBB36_105:                             ;   in Loop: Header=BB36_6 Depth=1
	s_or_saveexec_b64 s[24:25], s[24:25]
	s_mov_b64 s[26:27], 0
	v_mov_b32_e32 v3, 8
	v_mov_b32_e32 v35, v34
	s_xor_b64 exec, exec, s[24:25]
; %bb.106:                              ;   in Loop: Header=BB36_6 Depth=1
	s_mov_b64 s[26:27], exec
	v_subrev_u32_e32 v35, s17, v34
	v_mov_b32_e32 v3, 0
; %bb.107:                              ;   in Loop: Header=BB36_6 Depth=1
	s_or_b64 exec, exec, s[24:25]
	s_and_b64 s[40:41], s[26:27], exec
.LBB36_108:                             ;   in Loop: Header=BB36_6 Depth=1
	s_or_b64 exec, exec, s[6:7]
	s_mov_b64 s[38:39], -1
                                        ; implicit-def: $sgpr24_sgpr25
                                        ; implicit-def: $sgpr26_sgpr27
	s_and_saveexec_b64 s[2:3], s[40:41]
	s_xor_b64 s[6:7], exec, s[2:3]
	s_cbranch_execz .LBB36_227
; %bb.109:                              ;   in Loop: Header=BB36_6 Depth=1
	s_cmp_eq_u32 s4, 1
	s_cselect_b64 s[2:3], -1, 0
	v_cmp_eq_u32_e32 vcc, 1, v35
	s_and_b64 s[40:41], s[2:3], vcc
	s_mov_b64 s[42:43], -1
                                        ; implicit-def: $sgpr26_sgpr27
                                        ; implicit-def: $sgpr24_sgpr25
	s_and_saveexec_b64 s[38:39], s[40:41]
	s_cbranch_execz .LBB36_135
; %bb.110:                              ;   in Loop: Header=BB36_6 Depth=1
	ds_read_b32 v1, v8 offset:4096
	s_waitcnt lgkmcnt(0)
	s_barrier
	v_readfirstlane_b32 s52, v1
	s_mov_b64 s[2:3], exec
	v_readlane_b32 s24, v46, 36
	v_readlane_b32 s25, v46, 37
	s_and_b64 s[24:25], s[2:3], s[24:25]
	s_mov_b64 exec, s[24:25]
; %bb.111:                              ;   in Loop: Header=BB36_6 Depth=1
	ds_write_b32 v22, v8
; %bb.112:                              ;   in Loop: Header=BB36_6 Depth=1
	s_or_b64 exec, exec, s[2:3]
	v_and_b32_e32 v1, s11, v10
	v_lshl_or_b32 v10, 1, s15, v1
	v_or_b32_e32 v4, s10, v4
	s_mov_b64 s[24:25], -1
	s_mov_b64 s[26:27], 0
	s_cmp_eq_u32 s52, 0
	s_mov_b64 s[42:43], 0
	s_mov_b64 s[44:45], -1
	s_waitcnt lgkmcnt(0)
	s_barrier
                                        ; implicit-def: $vgpr2
	s_cbranch_scc1 .LBB36_123
; %bb.113:                              ;   in Loop: Header=BB36_6 Depth=1
	s_add_i32 s2, s52, s63
	v_readlane_b32 s3, v46, 50
	s_mul_hi_u32 s3, s2, s3
	s_mul_i32 s3, s3, s9
	s_sub_i32 s3, s2, s3
	s_sub_i32 s42, s3, s9
	s_cmp_ge_u32 s3, s9
	s_cselect_b32 s3, s42, s3
	s_sub_i32 s42, s3, s9
	s_cmp_ge_u32 s3, s9
	s_cselect_b32 s3, s42, s3
	s_sub_i32 s53, s2, s3
	v_cmp_gt_u32_e32 vcc, s53, v0
	s_mov_b64 s[44:45], 0
	s_mov_b64 s[42:43], 0
                                        ; implicit-def: $vgpr2
	s_and_saveexec_b64 s[46:47], vcc
	s_cbranch_execz .LBB36_122
; %bb.114:                              ;   in Loop: Header=BB36_6 Depth=1
	v_mov_b32_e32 v7, v19
	v_mov_b32_e32 v36, v0
                                        ; implicit-def: $sgpr48_sgpr49
	s_branch .LBB36_117
.LBB36_115:                             ;   in Loop: Header=BB36_117 Depth=2
	s_or_b64 exec, exec, s[50:51]
	s_waitcnt lgkmcnt(0)
	s_barrier
	ds_read_b64 v[1:2], v8 offset:3072
	s_mov_b64 s[2:3], -1
	s_mov_b64 s[50:51], -1
	s_waitcnt lgkmcnt(0)
	s_barrier
	v_cmp_ne_u32_e32 vcc, 0, v1
	s_cbranch_vccz .LBB36_120
.LBB36_116:                             ;   in Loop: Header=BB36_117 Depth=2
	s_and_b64 s[2:3], exec, s[2:3]
	s_or_b64 s[42:43], s[2:3], s[42:43]
	s_andn2_b64 s[2:3], s[48:49], exec
	s_and_b64 s[48:49], s[50:51], exec
	s_or_b64 s[48:49], s[2:3], s[48:49]
	s_andn2_b64 exec, exec, s[42:43]
	s_cbranch_execz .LBB36_121
.LBB36_117:                             ;   Parent Loop BB36_6 Depth=1
                                        ; =>  This Inner Loop Header: Depth=2
	v_cmp_gt_u32_e32 vcc, s52, v36
	s_and_saveexec_b64 s[50:51], vcc
	s_cbranch_execz .LBB36_115
; %bb.118:                              ;   in Loop: Header=BB36_117 Depth=2
	ds_read_b32 v15, v7
	s_waitcnt lgkmcnt(0)
	v_xor_b32_e32 v1, 0x80000000, v15
	v_and_b32_e32 v1, v1, v4
	v_cmp_eq_u32_e32 vcc, v1, v10
	s_and_b64 exec, exec, vcc
	s_cbranch_execz .LBB36_115
; %bb.119:                              ;   in Loop: Header=BB36_117 Depth=2
	ds_write_b64 v8, v[14:15] offset:3072
	s_branch .LBB36_115
.LBB36_120:                             ;   in Loop: Header=BB36_117 Depth=2
	v_add_u32_e32 v36, s9, v36
	v_cmp_le_u32_e32 vcc, s53, v36
	v_add_u32_e32 v7, s16, v7
	s_mov_b64 s[50:51], 0
	s_orn2_b64 s[2:3], vcc, exec
	s_branch .LBB36_116
.LBB36_121:                             ;   in Loop: Header=BB36_6 Depth=1
	s_or_b64 exec, exec, s[42:43]
	s_and_b64 s[42:43], s[48:49], exec
.LBB36_122:                             ;   in Loop: Header=BB36_6 Depth=1
	s_or_b64 exec, exec, s[46:47]
.LBB36_123:                             ;   in Loop: Header=BB36_6 Depth=1
	s_and_b64 vcc, exec, s[44:45]
	s_cbranch_vccz .LBB36_134
; %bb.124:                              ;   in Loop: Header=BB36_6 Depth=1
                                        ; implicit-def: $vgpr2
	s_mov_b64 s[24:25], exec
	v_readlane_b32 s2, v46, 51
	v_readlane_b32 s3, v46, 52
	s_and_b64 s[2:3], s[24:25], s[2:3]
	s_mov_b64 exec, s[2:3]
	s_cbranch_execz .LBB36_133
; %bb.125:                              ;   in Loop: Header=BB36_6 Depth=1
	s_mov_b64 s[26:27], 0
	v_mov_b32_e32 v7, v9
	v_mov_b32_e32 v36, v0
                                        ; implicit-def: $sgpr44_sgpr45
	s_branch .LBB36_128
.LBB36_126:                             ;   in Loop: Header=BB36_128 Depth=2
	s_or_b64 exec, exec, s[46:47]
	s_waitcnt lgkmcnt(0)
	s_barrier
	ds_read_b64 v[1:2], v8 offset:3072
	s_mov_b64 s[2:3], -1
	s_mov_b64 s[46:47], -1
	s_waitcnt lgkmcnt(0)
	s_barrier
	v_cmp_eq_u32_e32 vcc, 0, v1
	s_cbranch_vccnz .LBB36_131
.LBB36_127:                             ;   in Loop: Header=BB36_128 Depth=2
	s_and_b64 s[2:3], exec, s[2:3]
	s_or_b64 s[26:27], s[2:3], s[26:27]
	s_andn2_b64 s[2:3], s[44:45], exec
	s_and_b64 s[44:45], s[46:47], exec
	s_or_b64 s[44:45], s[2:3], s[44:45]
	s_andn2_b64 exec, exec, s[26:27]
	s_cbranch_execz .LBB36_132
.LBB36_128:                             ;   Parent Loop BB36_6 Depth=1
                                        ; =>  This Inner Loop Header: Depth=2
	v_cmp_gt_u32_e32 vcc, s60, v36
	s_and_saveexec_b64 s[46:47], vcc
	s_cbranch_execz .LBB36_126
; %bb.129:                              ;   in Loop: Header=BB36_128 Depth=2
	v_lshlrev_b64 v[1:2], 2, v[7:8]
	v_mov_b32_e32 v15, s8
	v_add_co_u32_e32 v1, vcc, s33, v1
	v_addc_co_u32_e32 v2, vcc, v15, v2, vcc
	global_load_dword v15, v[1:2], off
	s_waitcnt vmcnt(0)
	v_xor_b32_e32 v1, 0x80000000, v15
	v_and_b32_e32 v1, v1, v4
	v_cmp_eq_u32_e32 vcc, v1, v10
	s_and_b64 exec, exec, vcc
	s_cbranch_execz .LBB36_126
; %bb.130:                              ;   in Loop: Header=BB36_128 Depth=2
	ds_write_b64 v8, v[14:15] offset:3072
	s_branch .LBB36_126
.LBB36_131:                             ;   in Loop: Header=BB36_128 Depth=2
	v_add_u32_e32 v36, s9, v36
	v_cmp_le_u32_e32 vcc, s85, v36
	v_add_u32_e32 v7, s83, v7
	s_mov_b64 s[46:47], 0
	s_orn2_b64 s[2:3], vcc, exec
	s_branch .LBB36_127
.LBB36_132:                             ;   in Loop: Header=BB36_6 Depth=1
	s_or_b64 exec, exec, s[26:27]
	s_andn2_b64 s[2:3], s[42:43], exec
	s_and_b64 s[26:27], s[44:45], exec
	s_or_b64 s[42:43], s[2:3], s[26:27]
.LBB36_133:                             ;   in Loop: Header=BB36_6 Depth=1
	s_or_b64 exec, exec, s[24:25]
	s_mov_b64 s[24:25], 0
	s_mov_b64 s[26:27], -1
.LBB36_134:                             ;   in Loop: Header=BB36_6 Depth=1
	s_orn2_b64 s[42:43], s[42:43], exec
.LBB36_135:                             ;   in Loop: Header=BB36_6 Depth=1
	s_or_b64 exec, exec, s[38:39]
	s_mov_b64 s[44:45], 0
	s_and_saveexec_b64 s[38:39], s[42:43]
	s_cbranch_execz .LBB36_226
; %bb.136:                              ;   in Loop: Header=BB36_6 Depth=1
	s_xor_b64 s[2:3], s[40:41], -1
	s_mov_b64 s[48:49], 0
	v_mov_b32_e32 v36, 1
	v_mov_b32_e32 v3, 1
	s_and_saveexec_b64 s[40:41], s[2:3]
	s_cbranch_execz .LBB36_145
; %bb.137:                              ;   in Loop: Header=BB36_6 Depth=1
	v_cmp_ge_u32_e32 vcc, s4, v35
	s_and_saveexec_b64 s[2:3], vcc
	s_xor_b64 s[42:43], exec, s[2:3]
	s_cbranch_execz .LBB36_142
; %bb.138:                              ;   in Loop: Header=BB36_6 Depth=1
	ds_read_b32 v1, v8 offset:4096
	v_and_b32_e32 v3, s11, v10
	v_lshl_or_b32 v10, 1, s15, v3
	v_or_b32_e32 v4, s10, v4
	s_waitcnt lgkmcnt(0)
	v_cmp_ne_u32_e32 vcc, 0, v1
	s_cbranch_vccnz .LBB36_142
; %bb.139:                              ;   in Loop: Header=BB36_6 Depth=1
	s_mov_b64 s[2:3], exec
	v_readlane_b32 s44, v46, 21
	v_readlane_b32 s45, v46, 22
	s_and_b64 s[44:45], s[2:3], s[44:45]
	s_mov_b64 exec, s[44:45]
; %bb.140:                              ;   in Loop: Header=BB36_6 Depth=1
	v_mov_b32_e32 v1, s4
	ds_write_b32 v8, v1 offset:4100
; %bb.141:                              ;   in Loop: Header=BB36_6 Depth=1
	s_or_b64 exec, exec, s[2:3]
	s_waitcnt lgkmcnt(0)
	s_barrier
.LBB36_142:                             ;   in Loop: Header=BB36_6 Depth=1
	s_or_saveexec_b64 s[42:43], s[42:43]
	s_mov_b64 s[44:45], 0
	v_mov_b32_e32 v3, 8
	s_xor_b64 exec, exec, s[42:43]
; %bb.143:                              ;   in Loop: Header=BB36_6 Depth=1
	s_mov_b64 s[44:45], exec
	v_subrev_u32_e32 v35, s4, v35
	v_mov_b32_e32 v3, 0
; %bb.144:                              ;   in Loop: Header=BB36_6 Depth=1
	s_or_b64 exec, exec, s[42:43]
	s_and_b64 s[48:49], s[44:45], exec
	v_mov_b32_e32 v36, v35
.LBB36_145:                             ;   in Loop: Header=BB36_6 Depth=1
	s_or_b64 exec, exec, s[40:41]
	s_mov_b64 s[46:47], -1
                                        ; implicit-def: $sgpr42_sgpr43
                                        ; implicit-def: $sgpr44_sgpr45
	s_and_saveexec_b64 s[40:41], s[48:49]
	s_cbranch_execz .LBB36_225
; %bb.146:                              ;   in Loop: Header=BB36_6 Depth=1
	s_cmp_eq_u32 s5, 1
	s_cselect_b64 s[2:3], -1, 0
	v_cmp_eq_u32_e32 vcc, 1, v36
	s_and_b64 s[48:49], s[2:3], vcc
	s_mov_b64 s[50:51], -1
                                        ; implicit-def: $sgpr44_sgpr45
                                        ; implicit-def: $sgpr42_sgpr43
	s_and_saveexec_b64 s[46:47], s[48:49]
	s_cbranch_execz .LBB36_173
; %bb.147:                              ;   in Loop: Header=BB36_6 Depth=1
	ds_read_b32 v1, v8 offset:4096
	s_mov_b32 s87, s63
	s_waitcnt lgkmcnt(0)
	s_barrier
	v_readfirstlane_b32 s63, v1
	s_mov_b64 s[2:3], exec
	v_readlane_b32 s42, v46, 36
	v_readlane_b32 s43, v46, 37
	s_and_b64 s[42:43], s[2:3], s[42:43]
	s_mov_b64 exec, s[42:43]
; %bb.148:                              ;   in Loop: Header=BB36_6 Depth=1
	ds_write_b32 v22, v8
; %bb.149:                              ;   in Loop: Header=BB36_6 Depth=1
	s_or_b64 exec, exec, s[2:3]
	v_and_b32_e32 v1, s11, v10
	v_lshl_or_b32 v10, 2, s15, v1
	v_or_b32_e32 v4, s10, v4
	s_mov_b64 s[42:43], -1
	s_mov_b64 s[44:45], 0
	s_cmp_eq_u32 s63, 0
	s_mov_b64 s[50:51], 0
	s_mov_b64 s[52:53], -1
	s_waitcnt lgkmcnt(0)
	s_barrier
                                        ; implicit-def: $vgpr2
	s_cbranch_scc1 .LBB36_160
; %bb.150:                              ;   in Loop: Header=BB36_6 Depth=1
	s_add_i32 s2, s63, s87
	v_readlane_b32 s3, v46, 50
	s_mul_hi_u32 s3, s2, s3
	s_mul_i32 s3, s3, s9
	s_sub_i32 s3, s2, s3
	s_sub_i32 s50, s3, s9
	s_cmp_ge_u32 s3, s9
	s_cselect_b32 s3, s50, s3
	s_sub_i32 s50, s3, s9
	s_cmp_ge_u32 s3, s9
	s_cselect_b32 s3, s50, s3
	s_sub_i32 s86, s2, s3
	v_cmp_gt_u32_e32 vcc, s86, v0
	s_mov_b64 s[52:53], 0
	s_mov_b64 s[50:51], 0
                                        ; implicit-def: $vgpr2
	s_and_saveexec_b64 s[54:55], vcc
	s_cbranch_execz .LBB36_159
; %bb.151:                              ;   in Loop: Header=BB36_6 Depth=1
	v_mov_b32_e32 v7, v19
	v_mov_b32_e32 v35, v0
                                        ; implicit-def: $sgpr56_sgpr57
	s_branch .LBB36_154
.LBB36_152:                             ;   in Loop: Header=BB36_154 Depth=2
	s_or_b64 exec, exec, s[58:59]
	s_waitcnt lgkmcnt(0)
	s_barrier
	ds_read_b64 v[1:2], v8 offset:3072
	s_mov_b64 s[2:3], -1
	s_mov_b64 s[58:59], -1
	s_waitcnt lgkmcnt(0)
	s_barrier
	v_cmp_ne_u32_e32 vcc, 0, v1
	s_cbranch_vccz .LBB36_157
.LBB36_153:                             ;   in Loop: Header=BB36_154 Depth=2
	s_and_b64 s[2:3], exec, s[2:3]
	s_or_b64 s[50:51], s[2:3], s[50:51]
	s_andn2_b64 s[2:3], s[56:57], exec
	s_and_b64 s[56:57], s[58:59], exec
	s_or_b64 s[56:57], s[2:3], s[56:57]
	s_andn2_b64 exec, exec, s[50:51]
	s_cbranch_execz .LBB36_158
.LBB36_154:                             ;   Parent Loop BB36_6 Depth=1
                                        ; =>  This Inner Loop Header: Depth=2
	v_cmp_gt_u32_e32 vcc, s63, v35
	s_and_saveexec_b64 s[58:59], vcc
	s_cbranch_execz .LBB36_152
; %bb.155:                              ;   in Loop: Header=BB36_154 Depth=2
	ds_read_b32 v15, v7
	s_waitcnt lgkmcnt(0)
	v_xor_b32_e32 v1, 0x80000000, v15
	v_and_b32_e32 v1, v1, v4
	v_cmp_eq_u32_e32 vcc, v1, v10
	s_and_b64 exec, exec, vcc
	s_cbranch_execz .LBB36_152
; %bb.156:                              ;   in Loop: Header=BB36_154 Depth=2
	ds_write_b64 v8, v[14:15] offset:3072
	s_branch .LBB36_152
.LBB36_157:                             ;   in Loop: Header=BB36_154 Depth=2
	v_add_u32_e32 v35, s9, v35
	v_cmp_le_u32_e32 vcc, s86, v35
	v_add_u32_e32 v7, s16, v7
	s_mov_b64 s[58:59], 0
	s_orn2_b64 s[2:3], vcc, exec
	s_branch .LBB36_153
.LBB36_158:                             ;   in Loop: Header=BB36_6 Depth=1
	s_or_b64 exec, exec, s[50:51]
	s_and_b64 s[50:51], s[56:57], exec
.LBB36_159:                             ;   in Loop: Header=BB36_6 Depth=1
	s_or_b64 exec, exec, s[54:55]
.LBB36_160:                             ;   in Loop: Header=BB36_6 Depth=1
	s_and_b64 vcc, exec, s[52:53]
	s_cbranch_vccz .LBB36_169
; %bb.161:                              ;   in Loop: Header=BB36_6 Depth=1
                                        ; implicit-def: $vgpr2
	s_mov_b64 s[42:43], exec
	v_readlane_b32 s2, v46, 51
	v_readlane_b32 s3, v46, 52
	s_and_b64 s[2:3], s[42:43], s[2:3]
	s_mov_b32 s63, s87
	s_mov_b64 exec, s[2:3]
	s_cbranch_execz .LBB36_171
; %bb.162:                              ;   in Loop: Header=BB36_6 Depth=1
	s_mov_b64 s[44:45], 0
	v_mov_b32_e32 v7, v9
	v_mov_b32_e32 v35, v0
                                        ; implicit-def: $sgpr52_sgpr53
	s_branch .LBB36_165
.LBB36_163:                             ;   in Loop: Header=BB36_165 Depth=2
	s_or_b64 exec, exec, s[54:55]
	s_waitcnt lgkmcnt(0)
	s_barrier
	ds_read_b64 v[1:2], v8 offset:3072
	s_mov_b64 s[2:3], -1
	s_mov_b64 s[54:55], -1
	s_waitcnt lgkmcnt(0)
	s_barrier
	v_cmp_eq_u32_e32 vcc, 0, v1
	s_cbranch_vccnz .LBB36_168
.LBB36_164:                             ;   in Loop: Header=BB36_165 Depth=2
	s_and_b64 s[2:3], exec, s[2:3]
	s_or_b64 s[44:45], s[2:3], s[44:45]
	s_andn2_b64 s[2:3], s[52:53], exec
	s_and_b64 s[52:53], s[54:55], exec
	s_or_b64 s[52:53], s[2:3], s[52:53]
	s_andn2_b64 exec, exec, s[44:45]
	s_cbranch_execz .LBB36_170
.LBB36_165:                             ;   Parent Loop BB36_6 Depth=1
                                        ; =>  This Inner Loop Header: Depth=2
	v_cmp_gt_u32_e32 vcc, s60, v35
	s_and_saveexec_b64 s[54:55], vcc
	s_cbranch_execz .LBB36_163
; %bb.166:                              ;   in Loop: Header=BB36_165 Depth=2
	v_lshlrev_b64 v[1:2], 2, v[7:8]
	v_mov_b32_e32 v15, s8
	v_add_co_u32_e32 v1, vcc, s33, v1
	v_addc_co_u32_e32 v2, vcc, v15, v2, vcc
	global_load_dword v15, v[1:2], off
	s_waitcnt vmcnt(0)
	v_xor_b32_e32 v1, 0x80000000, v15
	v_and_b32_e32 v1, v1, v4
	v_cmp_eq_u32_e32 vcc, v1, v10
	s_and_b64 exec, exec, vcc
	s_cbranch_execz .LBB36_163
; %bb.167:                              ;   in Loop: Header=BB36_165 Depth=2
	ds_write_b64 v8, v[14:15] offset:3072
	s_branch .LBB36_163
.LBB36_168:                             ;   in Loop: Header=BB36_165 Depth=2
	v_add_u32_e32 v35, s9, v35
	v_cmp_le_u32_e32 vcc, s85, v35
	v_add_u32_e32 v7, s83, v7
	s_mov_b64 s[54:55], 0
	s_orn2_b64 s[2:3], vcc, exec
	s_branch .LBB36_164
.LBB36_169:                             ;   in Loop: Header=BB36_6 Depth=1
	s_mov_b32 s63, s87
	s_branch .LBB36_172
.LBB36_170:                             ;   in Loop: Header=BB36_6 Depth=1
	s_or_b64 exec, exec, s[44:45]
	s_andn2_b64 s[2:3], s[50:51], exec
	s_and_b64 s[44:45], s[52:53], exec
	s_or_b64 s[50:51], s[2:3], s[44:45]
.LBB36_171:                             ;   in Loop: Header=BB36_6 Depth=1
	s_or_b64 exec, exec, s[42:43]
	s_mov_b64 s[42:43], 0
	s_mov_b64 s[44:45], -1
.LBB36_172:                             ;   in Loop: Header=BB36_6 Depth=1
	s_orn2_b64 s[50:51], s[50:51], exec
.LBB36_173:                             ;   in Loop: Header=BB36_6 Depth=1
	s_or_b64 exec, exec, s[46:47]
	s_mov_b64 s[52:53], 0
	s_and_saveexec_b64 s[46:47], s[50:51]
	s_cbranch_execz .LBB36_224
; %bb.174:                              ;   in Loop: Header=BB36_6 Depth=1
	s_xor_b64 s[2:3], s[48:49], -1
	s_mov_b64 s[56:57], 0
	v_mov_b32_e32 v35, 1
	v_mov_b32_e32 v3, 1
	s_and_saveexec_b64 s[48:49], s[2:3]
	s_cbranch_execz .LBB36_183
; %bb.175:                              ;   in Loop: Header=BB36_6 Depth=1
	v_cmp_ge_u32_e32 vcc, s5, v36
	s_and_saveexec_b64 s[2:3], vcc
	s_xor_b64 s[50:51], exec, s[2:3]
	s_cbranch_execz .LBB36_180
; %bb.176:                              ;   in Loop: Header=BB36_6 Depth=1
	ds_read_b32 v1, v8 offset:4096
	v_and_b32_e32 v3, s11, v10
	v_lshl_or_b32 v10, 2, s15, v3
	v_or_b32_e32 v4, s10, v4
	s_waitcnt lgkmcnt(0)
	v_cmp_ne_u32_e32 vcc, 0, v1
	s_cbranch_vccnz .LBB36_180
; %bb.177:                              ;   in Loop: Header=BB36_6 Depth=1
	s_mov_b64 s[2:3], exec
	v_readlane_b32 s52, v46, 21
	v_readlane_b32 s53, v46, 22
	s_and_b64 s[52:53], s[2:3], s[52:53]
	s_mov_b64 exec, s[52:53]
; %bb.178:                              ;   in Loop: Header=BB36_6 Depth=1
	v_mov_b32_e32 v1, s5
	ds_write_b32 v8, v1 offset:4100
; %bb.179:                              ;   in Loop: Header=BB36_6 Depth=1
	s_or_b64 exec, exec, s[2:3]
	s_waitcnt lgkmcnt(0)
	s_barrier
.LBB36_180:                             ;   in Loop: Header=BB36_6 Depth=1
	s_or_saveexec_b64 s[50:51], s[50:51]
	s_mov_b64 s[52:53], 0
	v_mov_b32_e32 v3, 8
	s_xor_b64 exec, exec, s[50:51]
; %bb.181:                              ;   in Loop: Header=BB36_6 Depth=1
	s_mov_b64 s[52:53], exec
	v_subrev_u32_e32 v36, s5, v36
	v_mov_b32_e32 v3, 0
; %bb.182:                              ;   in Loop: Header=BB36_6 Depth=1
	s_or_b64 exec, exec, s[50:51]
	s_and_b64 s[56:57], s[52:53], exec
	v_mov_b32_e32 v35, v36
.LBB36_183:                             ;   in Loop: Header=BB36_6 Depth=1
	s_or_b64 exec, exec, s[48:49]
	s_mov_b64 s[54:55], -1
                                        ; implicit-def: $sgpr52_sgpr53
                                        ; implicit-def: $sgpr2_sgpr3
                                        ; kill: killed $sgpr2_sgpr3
	s_and_saveexec_b64 s[48:49], s[56:57]
	s_cbranch_execz .LBB36_223
; %bb.184:                              ;   in Loop: Header=BB36_6 Depth=1
	s_cmp_eq_u32 s62, 1
	s_cselect_b64 s[2:3], -1, 0
	v_cmp_eq_u32_e32 vcc, 1, v35
	s_and_b64 s[50:51], s[2:3], vcc
	s_mov_b64 s[58:59], -1
	v_writelane_b32 v46, s50, 55
                                        ; implicit-def: $sgpr52_sgpr53
                                        ; implicit-def: $sgpr2_sgpr3
                                        ; kill: killed $sgpr2_sgpr3
	v_writelane_b32 v46, s51, 56
	s_and_saveexec_b64 s[56:57], s[50:51]
	s_cbranch_execz .LBB36_211
; %bb.185:                              ;   in Loop: Header=BB36_6 Depth=1
	ds_read_b32 v1, v8 offset:4096
	v_writelane_b32 v46, s63, 57
	s_waitcnt lgkmcnt(0)
	s_barrier
	v_readfirstlane_b32 s63, v1
	s_mov_b64 s[2:3], exec
	v_readlane_b32 s50, v46, 36
	v_readlane_b32 s51, v46, 37
	s_and_b64 s[50:51], s[2:3], s[50:51]
	s_mov_b64 exec, s[50:51]
; %bb.186:                              ;   in Loop: Header=BB36_6 Depth=1
	ds_write_b32 v22, v8
; %bb.187:                              ;   in Loop: Header=BB36_6 Depth=1
	s_or_b64 exec, exec, s[2:3]
	s_mov_b64 s[2:3], -1
	v_or_b32_e32 v10, s10, v10
	v_or_b32_e32 v4, s10, v4
	v_writelane_b32 v46, s2, 53
	s_mov_b64 s[52:53], 0
	s_cmp_eq_u32 s63, 0
	s_mov_b64 s[58:59], 0
	s_mov_b64 s[86:87], -1
	s_waitcnt lgkmcnt(0)
	s_barrier
	v_writelane_b32 v46, s3, 54
                                        ; implicit-def: $vgpr2
	s_cbranch_scc1 .LBB36_198
; %bb.188:                              ;   in Loop: Header=BB36_6 Depth=1
	v_readlane_b32 s2, v46, 57
	s_add_i32 s2, s63, s2
	v_readlane_b32 s3, v46, 50
	s_mul_hi_u32 s3, s2, s3
	s_mul_i32 s3, s3, s9
	s_sub_i32 s3, s2, s3
	s_sub_i32 s50, s3, s9
	s_cmp_ge_u32 s3, s9
	s_cselect_b32 s3, s50, s3
	s_sub_i32 s50, s3, s9
	s_cmp_ge_u32 s3, s9
	s_cselect_b32 s3, s50, s3
	s_sub_i32 s50, s2, s3
	v_cmp_gt_u32_e32 vcc, s50, v0
	s_mov_b64 s[86:87], 0
                                        ; implicit-def: $vgpr2
	s_and_saveexec_b64 s[88:89], vcc
	s_cbranch_execz .LBB36_197
; %bb.189:                              ;   in Loop: Header=BB36_6 Depth=1
	v_mov_b32_e32 v7, v19
	v_mov_b32_e32 v36, v0
                                        ; implicit-def: $sgpr90_sgpr91
	s_branch .LBB36_192
.LBB36_190:                             ;   in Loop: Header=BB36_192 Depth=2
	s_or_b64 exec, exec, s[2:3]
	s_waitcnt lgkmcnt(0)
	s_barrier
	ds_read_b64 v[1:2], v8 offset:3072
	s_mov_b64 s[2:3], -1
	s_mov_b64 s[54:55], -1
	s_waitcnt lgkmcnt(0)
	s_barrier
	v_cmp_ne_u32_e32 vcc, 0, v1
	s_cbranch_vccz .LBB36_195
.LBB36_191:                             ;   in Loop: Header=BB36_192 Depth=2
	s_and_b64 s[2:3], exec, s[2:3]
	s_or_b64 s[58:59], s[2:3], s[58:59]
	s_andn2_b64 s[2:3], s[90:91], exec
	s_and_b64 s[54:55], s[54:55], exec
	s_or_b64 s[90:91], s[2:3], s[54:55]
	s_andn2_b64 exec, exec, s[58:59]
	s_cbranch_execz .LBB36_196
.LBB36_192:                             ;   Parent Loop BB36_6 Depth=1
                                        ; =>  This Inner Loop Header: Depth=2
	v_cmp_gt_u32_e32 vcc, s63, v36
	s_and_saveexec_b64 s[2:3], vcc
	s_cbranch_execz .LBB36_190
; %bb.193:                              ;   in Loop: Header=BB36_192 Depth=2
	ds_read_b32 v15, v7
	s_waitcnt lgkmcnt(0)
	v_xor_b32_e32 v1, 0x80000000, v15
	v_and_b32_e32 v1, v1, v4
	v_cmp_eq_u32_e32 vcc, v1, v10
	s_and_b64 exec, exec, vcc
	s_cbranch_execz .LBB36_190
; %bb.194:                              ;   in Loop: Header=BB36_192 Depth=2
	ds_write_b64 v8, v[14:15] offset:3072
	s_branch .LBB36_190
.LBB36_195:                             ;   in Loop: Header=BB36_192 Depth=2
	v_add_u32_e32 v36, s9, v36
	v_cmp_le_u32_e32 vcc, s50, v36
	v_add_u32_e32 v7, s16, v7
	s_mov_b64 s[54:55], 0
	s_orn2_b64 s[2:3], vcc, exec
	s_branch .LBB36_191
.LBB36_196:                             ;   in Loop: Header=BB36_6 Depth=1
	s_or_b64 exec, exec, s[58:59]
	s_and_b64 s[58:59], s[90:91], exec
.LBB36_197:                             ;   in Loop: Header=BB36_6 Depth=1
	s_or_b64 exec, exec, s[88:89]
.LBB36_198:                             ;   in Loop: Header=BB36_6 Depth=1
	s_and_b64 vcc, exec, s[86:87]
	s_cbranch_vccz .LBB36_207
; %bb.199:                              ;   in Loop: Header=BB36_6 Depth=1
                                        ; implicit-def: $vgpr2
	s_mov_b64 s[50:51], exec
	v_readlane_b32 s2, v46, 51
	v_readlane_b32 s3, v46, 52
	s_and_b64 s[2:3], s[50:51], s[2:3]
	v_readlane_b32 s63, v46, 57
	s_mov_b64 exec, s[2:3]
	s_cbranch_execz .LBB36_209
; %bb.200:                              ;   in Loop: Header=BB36_6 Depth=1
	s_mov_b64 s[52:53], 0
	v_mov_b32_e32 v7, v9
	v_mov_b32_e32 v36, v0
                                        ; implicit-def: $sgpr86_sgpr87
	s_branch .LBB36_203
.LBB36_201:                             ;   in Loop: Header=BB36_203 Depth=2
	s_or_b64 exec, exec, s[88:89]
	s_waitcnt lgkmcnt(0)
	s_barrier
	ds_read_b64 v[1:2], v8 offset:3072
	s_mov_b64 s[2:3], -1
	s_mov_b64 s[54:55], -1
	s_waitcnt lgkmcnt(0)
	s_barrier
	v_cmp_eq_u32_e32 vcc, 0, v1
	s_cbranch_vccnz .LBB36_206
.LBB36_202:                             ;   in Loop: Header=BB36_203 Depth=2
	s_and_b64 s[2:3], exec, s[2:3]
	s_or_b64 s[52:53], s[2:3], s[52:53]
	s_andn2_b64 s[2:3], s[86:87], exec
	s_and_b64 s[54:55], s[54:55], exec
	s_or_b64 s[86:87], s[2:3], s[54:55]
	s_andn2_b64 exec, exec, s[52:53]
	s_cbranch_execz .LBB36_208
.LBB36_203:                             ;   Parent Loop BB36_6 Depth=1
                                        ; =>  This Inner Loop Header: Depth=2
	v_cmp_gt_u32_e32 vcc, s60, v36
	s_and_saveexec_b64 s[88:89], vcc
	s_cbranch_execz .LBB36_201
; %bb.204:                              ;   in Loop: Header=BB36_203 Depth=2
	v_lshlrev_b64 v[1:2], 2, v[7:8]
	v_mov_b32_e32 v15, s8
	v_add_co_u32_e32 v1, vcc, s33, v1
	v_addc_co_u32_e32 v2, vcc, v15, v2, vcc
	global_load_dword v15, v[1:2], off
	s_waitcnt vmcnt(0)
	v_xor_b32_e32 v1, 0x80000000, v15
	v_and_b32_e32 v1, v1, v4
	v_cmp_eq_u32_e32 vcc, v1, v10
	s_and_b64 exec, exec, vcc
	s_cbranch_execz .LBB36_201
; %bb.205:                              ;   in Loop: Header=BB36_203 Depth=2
	ds_write_b64 v8, v[14:15] offset:3072
	s_branch .LBB36_201
.LBB36_206:                             ;   in Loop: Header=BB36_203 Depth=2
	v_add_u32_e32 v36, s9, v36
	v_cmp_le_u32_e32 vcc, s85, v36
	v_add_u32_e32 v7, s83, v7
	s_mov_b64 s[54:55], 0
	s_orn2_b64 s[2:3], vcc, exec
	s_branch .LBB36_202
.LBB36_207:                             ;   in Loop: Header=BB36_6 Depth=1
	v_readlane_b32 s63, v46, 57
	s_branch .LBB36_210
.LBB36_208:                             ;   in Loop: Header=BB36_6 Depth=1
	s_or_b64 exec, exec, s[52:53]
	s_andn2_b64 s[2:3], s[58:59], exec
	s_and_b64 s[52:53], s[86:87], exec
	s_or_b64 s[58:59], s[2:3], s[52:53]
.LBB36_209:                             ;   in Loop: Header=BB36_6 Depth=1
	s_or_b64 exec, exec, s[50:51]
	s_mov_b64 s[2:3], 0
	v_writelane_b32 v46, s2, 53
	v_writelane_b32 v46, s3, 54
	s_mov_b64 s[52:53], -1
.LBB36_210:                             ;   in Loop: Header=BB36_6 Depth=1
	s_orn2_b64 s[58:59], s[58:59], exec
.LBB36_211:                             ;   in Loop: Header=BB36_6 Depth=1
	s_or_b64 exec, exec, s[56:57]
	s_mov_b64 s[86:87], 0
	s_and_saveexec_b64 s[56:57], s[58:59]
	s_cbranch_execz .LBB36_222
; %bb.212:                              ;   in Loop: Header=BB36_6 Depth=1
	v_readlane_b32 s2, v46, 55
	v_readlane_b32 s3, v46, 56
	s_xor_b64 s[2:3], s[2:3], -1
	v_mov_b32_e32 v3, 1
	v_mov_b32_e32 v1, 1
	s_and_saveexec_b64 s[54:55], s[2:3]
	s_cbranch_execz .LBB36_221
; %bb.213:                              ;   in Loop: Header=BB36_6 Depth=1
	v_cmp_ge_u32_e32 vcc, s62, v35
	s_and_saveexec_b64 s[2:3], vcc
	s_xor_b64 s[58:59], exec, s[2:3]
	s_cbranch_execz .LBB36_218
; %bb.214:                              ;   in Loop: Header=BB36_6 Depth=1
	ds_read_b32 v1, v8 offset:4096
	v_or_b32_e32 v10, s10, v10
	v_or_b32_e32 v4, s10, v4
	s_waitcnt lgkmcnt(0)
	v_cmp_ne_u32_e32 vcc, 0, v1
	s_cbranch_vccnz .LBB36_218
; %bb.215:                              ;   in Loop: Header=BB36_6 Depth=1
	s_mov_b64 s[2:3], exec
	v_readlane_b32 s50, v46, 21
	v_readlane_b32 s51, v46, 22
	s_and_b64 s[50:51], s[2:3], s[50:51]
	s_mov_b64 exec, s[50:51]
; %bb.216:                              ;   in Loop: Header=BB36_6 Depth=1
	v_mov_b32_e32 v1, s62
	ds_write_b32 v8, v1 offset:4100
; %bb.217:                              ;   in Loop: Header=BB36_6 Depth=1
	s_or_b64 exec, exec, s[2:3]
	s_waitcnt lgkmcnt(0)
	s_barrier
.LBB36_218:                             ;   in Loop: Header=BB36_6 Depth=1
	s_andn2_saveexec_b64 s[2:3], s[58:59]
; %bb.219:                              ;   in Loop: Header=BB36_6 Depth=1
	v_subrev_u32_e32 v35, s62, v35
; %bb.220:                              ;   in Loop: Header=BB36_6 Depth=1
	s_or_b64 exec, exec, s[2:3]
	v_mov_b32_e32 v3, 8
	v_mov_b32_e32 v1, v35
.LBB36_221:                             ;   in Loop: Header=BB36_6 Depth=1
	s_or_b64 exec, exec, s[54:55]
	s_mov_b64 s[86:87], exec
	v_mov_b32_e32 v35, v1
.LBB36_222:                             ;   in Loop: Header=BB36_6 Depth=1
	s_or_b64 exec, exec, s[56:57]
	s_orn2_b64 s[54:55], s[86:87], exec
.LBB36_223:                             ;   in Loop: Header=BB36_6 Depth=1
	s_or_b64 exec, exec, s[48:49]
	s_andn2_b64 s[2:3], s[44:45], exec
	s_and_b64 s[44:45], s[52:53], exec
	s_or_b64 s[44:45], s[2:3], s[44:45]
	s_andn2_b64 s[2:3], s[42:43], exec
	v_readlane_b32 s42, v46, 53
	v_readlane_b32 s43, v46, 54
	s_and_b64 s[42:43], s[42:43], exec
	s_or_b64 s[42:43], s[2:3], s[42:43]
	s_and_b64 s[52:53], s[54:55], exec
	v_mov_b32_e32 v36, v35
.LBB36_224:                             ;   in Loop: Header=BB36_6 Depth=1
	s_or_b64 exec, exec, s[46:47]
	s_orn2_b64 s[46:47], s[52:53], exec
.LBB36_225:                             ;   in Loop: Header=BB36_6 Depth=1
	s_or_b64 exec, exec, s[40:41]
	s_andn2_b64 s[2:3], s[26:27], exec
	s_and_b64 s[26:27], s[44:45], exec
	s_or_b64 s[26:27], s[2:3], s[26:27]
	s_andn2_b64 s[2:3], s[24:25], exec
	s_and_b64 s[24:25], s[42:43], exec
	s_or_b64 s[24:25], s[2:3], s[24:25]
	s_and_b64 s[44:45], s[46:47], exec
	v_mov_b32_e32 v35, v36
.LBB36_226:                             ;   in Loop: Header=BB36_6 Depth=1
	s_or_b64 exec, exec, s[38:39]
	s_orn2_b64 s[38:39], s[44:45], exec
.LBB36_227:                             ;   in Loop: Header=BB36_6 Depth=1
	s_or_b64 exec, exec, s[6:7]
	s_mov_b64 s[6:7], 0
	s_mov_b64 s[40:41], 0
	s_and_saveexec_b64 s[2:3], s[38:39]
	s_xor_b64 s[2:3], exec, s[2:3]
; %bb.228:                              ;   in Loop: Header=BB36_6 Depth=1
	v_cmp_eq_u32_e32 vcc, 8, v3
	v_cmp_ne_u32_e64 s[6:7], 8, v3
	s_and_b64 s[40:41], s[6:7], exec
	s_and_b64 s[6:7], vcc, exec
; %bb.229:                              ;   in Loop: Header=BB36_6 Depth=1
	s_or_b64 exec, exec, s[2:3]
	s_andn2_b64 s[2:3], s[30:31], exec
	s_and_b64 s[26:27], s[26:27], exec
	s_or_b64 s[30:31], s[2:3], s[26:27]
	s_andn2_b64 s[2:3], s[28:29], exec
	s_and_b64 s[24:25], s[24:25], exec
	s_or_b64 s[28:29], s[2:3], s[24:25]
	s_and_b64 s[24:25], s[40:41], exec
	s_and_b64 s[26:27], s[6:7], exec
.LBB36_230:                             ;   in Loop: Header=BB36_6 Depth=1
	s_or_b64 exec, exec, s[36:37]
.LBB36_231:                             ;   in Loop: Header=BB36_6 Depth=1
	s_and_b64 vcc, exec, s[34:35]
	s_cbranch_vccz .LBB36_244
; %bb.232:                              ;   in Loop: Header=BB36_6 Depth=1
	s_cmp_eq_u32 s62, 1
	s_cselect_b64 s[2:3], -1, 0
	s_and_b64 s[6:7], s[2:3], s[18:19]
	s_mov_b64 s[30:31], -1
                                        ; implicit-def: $sgpr18_sgpr19
                                        ; implicit-def: $sgpr22_sgpr23
	s_and_saveexec_b64 s[28:29], s[6:7]
	s_cbranch_execz .LBB36_259
; %bb.233:                              ;   in Loop: Header=BB36_6 Depth=1
	ds_read_b32 v1, v8 offset:4096
	s_waitcnt lgkmcnt(0)
	s_barrier
	v_readfirstlane_b32 s42, v1
	s_mov_b64 s[2:3], exec
	v_readlane_b32 s18, v46, 36
	v_readlane_b32 s19, v46, 37
	s_and_b64 s[18:19], s[2:3], s[18:19]
	s_mov_b64 exec, s[18:19]
; %bb.234:                              ;   in Loop: Header=BB36_6 Depth=1
	ds_write_b32 v22, v8
; %bb.235:                              ;   in Loop: Header=BB36_6 Depth=1
	s_or_b64 exec, exec, s[2:3]
	v_or_b32_e32 v25, s10, v25
	v_or_b32_e32 v33, s10, v33
	s_mov_b64 s[22:23], -1
	s_mov_b64 s[18:19], 0
	s_cmp_eq_u32 s42, 0
	s_mov_b64 s[30:31], 0
	s_mov_b64 s[34:35], -1
	s_waitcnt lgkmcnt(0)
	s_barrier
                                        ; implicit-def: $vgpr11
	s_cbranch_scc1 .LBB36_247
; %bb.236:                              ;   in Loop: Header=BB36_6 Depth=1
	s_add_i32 s2, s42, s63
	v_readlane_b32 s3, v46, 50
	s_mul_hi_u32 s3, s2, s3
	s_mul_i32 s3, s3, s9
	s_sub_i32 s3, s2, s3
	s_sub_i32 s30, s3, s9
	s_cmp_ge_u32 s3, s9
	s_cselect_b32 s3, s30, s3
	s_sub_i32 s30, s3, s9
	s_cmp_ge_u32 s3, s9
	s_cselect_b32 s3, s30, s3
	s_sub_i32 s43, s2, s3
	v_cmp_gt_u32_e32 vcc, s43, v0
	s_mov_b64 s[34:35], 0
	s_mov_b64 s[30:31], 0
                                        ; implicit-def: $vgpr11
	s_and_saveexec_b64 s[36:37], vcc
	s_cbranch_execz .LBB36_246
; %bb.237:                              ;   in Loop: Header=BB36_6 Depth=1
	v_mov_b32_e32 v1, v19
	v_mov_b32_e32 v2, v0
                                        ; implicit-def: $sgpr38_sgpr39
	s_branch .LBB36_240
.LBB36_238:                             ;   in Loop: Header=BB36_240 Depth=2
	s_or_b64 exec, exec, s[40:41]
	s_waitcnt lgkmcnt(0)
	s_barrier
	ds_read_b64 v[10:11], v8 offset:3072
	s_mov_b64 s[2:3], -1
	s_mov_b64 s[40:41], -1
	s_waitcnt lgkmcnt(0)
	s_barrier
	v_cmp_ne_u32_e32 vcc, 0, v10
	s_cbranch_vccz .LBB36_243
.LBB36_239:                             ;   in Loop: Header=BB36_240 Depth=2
	s_and_b64 s[2:3], exec, s[2:3]
	s_or_b64 s[30:31], s[2:3], s[30:31]
	s_andn2_b64 s[2:3], s[38:39], exec
	s_and_b64 s[38:39], s[40:41], exec
	s_or_b64 s[38:39], s[2:3], s[38:39]
	s_andn2_b64 exec, exec, s[30:31]
	s_cbranch_execz .LBB36_245
.LBB36_240:                             ;   Parent Loop BB36_6 Depth=1
                                        ; =>  This Inner Loop Header: Depth=2
	v_cmp_gt_u32_e32 vcc, s42, v2
	s_and_saveexec_b64 s[40:41], vcc
	s_cbranch_execz .LBB36_238
; %bb.241:                              ;   in Loop: Header=BB36_240 Depth=2
	ds_read_b32 v15, v1
	s_waitcnt lgkmcnt(0)
	v_xor_b32_e32 v3, 0x80000000, v15
	v_and_b32_e32 v3, v3, v33
	v_cmp_eq_u32_e32 vcc, v3, v25
	s_and_b64 exec, exec, vcc
	s_cbranch_execz .LBB36_238
; %bb.242:                              ;   in Loop: Header=BB36_240 Depth=2
	ds_write_b64 v8, v[14:15] offset:3072
	s_branch .LBB36_238
.LBB36_243:                             ;   in Loop: Header=BB36_240 Depth=2
	v_add_u32_e32 v2, s9, v2
	v_cmp_le_u32_e32 vcc, s43, v2
	v_add_u32_e32 v1, s16, v1
	s_mov_b64 s[40:41], 0
	s_orn2_b64 s[2:3], vcc, exec
	s_branch .LBB36_239
.LBB36_244:                             ;   in Loop: Header=BB36_6 Depth=1
	s_mov_b64 s[18:19], 0
	v_mov_b32_e32 v25, v10
	v_mov_b32_e32 v33, v4
	;; [unrolled: 1-line block ×3, first 2 shown]
	s_and_saveexec_b64 s[2:3], s[26:27]
	s_cbranch_execnz .LBB36_390
	s_branch .LBB36_391
.LBB36_245:                             ;   in Loop: Header=BB36_6 Depth=1
	s_or_b64 exec, exec, s[30:31]
	s_and_b64 s[30:31], s[38:39], exec
.LBB36_246:                             ;   in Loop: Header=BB36_6 Depth=1
	s_or_b64 exec, exec, s[36:37]
.LBB36_247:                             ;   in Loop: Header=BB36_6 Depth=1
	s_and_b64 vcc, exec, s[34:35]
	s_cbranch_vccz .LBB36_258
; %bb.248:                              ;   in Loop: Header=BB36_6 Depth=1
                                        ; implicit-def: $vgpr11
	s_mov_b64 s[18:19], exec
	v_readlane_b32 s2, v46, 51
	v_readlane_b32 s3, v46, 52
	s_and_b64 s[2:3], s[18:19], s[2:3]
	s_mov_b64 exec, s[2:3]
	s_cbranch_execz .LBB36_257
; %bb.249:                              ;   in Loop: Header=BB36_6 Depth=1
	s_mov_b64 s[22:23], 0
	v_mov_b32_e32 v7, v9
	v_mov_b32_e32 v1, v0
                                        ; implicit-def: $sgpr34_sgpr35
	s_branch .LBB36_252
.LBB36_250:                             ;   in Loop: Header=BB36_252 Depth=2
	s_or_b64 exec, exec, s[36:37]
	s_waitcnt lgkmcnt(0)
	s_barrier
	ds_read_b64 v[10:11], v8 offset:3072
	s_mov_b64 s[2:3], -1
	s_mov_b64 s[36:37], -1
	s_waitcnt lgkmcnt(0)
	s_barrier
	v_cmp_ne_u32_e32 vcc, 0, v10
	s_cbranch_vccz .LBB36_255
.LBB36_251:                             ;   in Loop: Header=BB36_252 Depth=2
	s_and_b64 s[2:3], exec, s[2:3]
	s_or_b64 s[22:23], s[2:3], s[22:23]
	s_andn2_b64 s[2:3], s[34:35], exec
	s_and_b64 s[34:35], s[36:37], exec
	s_or_b64 s[34:35], s[2:3], s[34:35]
	s_andn2_b64 exec, exec, s[22:23]
	s_cbranch_execz .LBB36_256
.LBB36_252:                             ;   Parent Loop BB36_6 Depth=1
                                        ; =>  This Inner Loop Header: Depth=2
	v_cmp_gt_u32_e32 vcc, s60, v1
	s_and_saveexec_b64 s[36:37], vcc
	s_cbranch_execz .LBB36_250
; %bb.253:                              ;   in Loop: Header=BB36_252 Depth=2
	v_lshlrev_b64 v[2:3], 2, v[7:8]
	v_mov_b32_e32 v4, s8
	v_add_co_u32_e32 v2, vcc, s33, v2
	v_addc_co_u32_e32 v3, vcc, v4, v3, vcc
	global_load_dword v15, v[2:3], off
	s_waitcnt vmcnt(0)
	v_xor_b32_e32 v2, 0x80000000, v15
	v_and_b32_e32 v2, v2, v33
	v_cmp_eq_u32_e32 vcc, v2, v25
	s_and_b64 exec, exec, vcc
	s_cbranch_execz .LBB36_250
; %bb.254:                              ;   in Loop: Header=BB36_252 Depth=2
	ds_write_b64 v8, v[14:15] offset:3072
	s_branch .LBB36_250
.LBB36_255:                             ;   in Loop: Header=BB36_252 Depth=2
	v_add_u32_e32 v1, s9, v1
	v_cmp_le_u32_e32 vcc, s85, v1
	v_add_u32_e32 v7, s83, v7
	s_mov_b64 s[36:37], 0
	s_orn2_b64 s[2:3], vcc, exec
	s_branch .LBB36_251
.LBB36_256:                             ;   in Loop: Header=BB36_6 Depth=1
	s_or_b64 exec, exec, s[22:23]
	s_andn2_b64 s[2:3], s[30:31], exec
	s_and_b64 s[22:23], s[34:35], exec
	s_or_b64 s[30:31], s[2:3], s[22:23]
.LBB36_257:                             ;   in Loop: Header=BB36_6 Depth=1
	s_or_b64 exec, exec, s[18:19]
	s_mov_b64 s[22:23], 0
	s_mov_b64 s[18:19], -1
.LBB36_258:                             ;   in Loop: Header=BB36_6 Depth=1
	s_orn2_b64 s[30:31], s[30:31], exec
.LBB36_259:                             ;   in Loop: Header=BB36_6 Depth=1
	s_or_b64 exec, exec, s[28:29]
                                        ; implicit-def: $vgpr35
                                        ; implicit-def: $vgpr3
	s_and_saveexec_b64 s[28:29], s[30:31]
	s_cbranch_execz .LBB36_389
; %bb.260:                              ;   in Loop: Header=BB36_6 Depth=1
	s_xor_b64 s[2:3], s[6:7], -1
	s_mov_b64 s[38:39], 0
	v_mov_b32_e32 v35, 1
	v_mov_b32_e32 v3, 1
	s_and_saveexec_b64 s[6:7], s[2:3]
	s_cbranch_execz .LBB36_269
; %bb.261:                              ;   in Loop: Header=BB36_6 Depth=1
	v_cmp_ge_u32_e32 vcc, s62, v34
	s_and_saveexec_b64 s[2:3], vcc
	s_xor_b64 s[30:31], exec, s[2:3]
	s_cbranch_execz .LBB36_266
; %bb.262:                              ;   in Loop: Header=BB36_6 Depth=1
	ds_read_b32 v1, v8 offset:4096
	v_or_b32_e32 v25, s10, v25
	v_or_b32_e32 v33, s10, v33
	s_waitcnt lgkmcnt(0)
	v_cmp_ne_u32_e32 vcc, 0, v1
	s_cbranch_vccnz .LBB36_266
; %bb.263:                              ;   in Loop: Header=BB36_6 Depth=1
	s_mov_b64 s[2:3], exec
	v_readlane_b32 s34, v46, 21
	v_readlane_b32 s35, v46, 22
	s_and_b64 s[34:35], s[2:3], s[34:35]
	s_mov_b64 exec, s[34:35]
; %bb.264:                              ;   in Loop: Header=BB36_6 Depth=1
	v_mov_b32_e32 v1, s62
	ds_write_b32 v8, v1 offset:4100
; %bb.265:                              ;   in Loop: Header=BB36_6 Depth=1
	s_or_b64 exec, exec, s[2:3]
	s_waitcnt lgkmcnt(0)
	s_barrier
.LBB36_266:                             ;   in Loop: Header=BB36_6 Depth=1
	s_or_saveexec_b64 s[30:31], s[30:31]
	s_mov_b64 s[34:35], 0
	v_mov_b32_e32 v3, 5
	s_xor_b64 exec, exec, s[30:31]
; %bb.267:                              ;   in Loop: Header=BB36_6 Depth=1
	s_mov_b64 s[34:35], exec
	v_subrev_u32_e32 v34, s62, v34
	v_mov_b32_e32 v3, 0
; %bb.268:                              ;   in Loop: Header=BB36_6 Depth=1
	s_or_b64 exec, exec, s[30:31]
	s_and_b64 s[38:39], s[34:35], exec
	v_mov_b32_e32 v35, v34
.LBB36_269:                             ;   in Loop: Header=BB36_6 Depth=1
	s_or_b64 exec, exec, s[6:7]
	s_mov_b64 s[36:37], -1
                                        ; implicit-def: $sgpr30_sgpr31
                                        ; implicit-def: $sgpr34_sgpr35
	s_and_saveexec_b64 s[2:3], s[38:39]
	s_xor_b64 s[6:7], exec, s[2:3]
	s_cbranch_execz .LBB36_386
; %bb.270:                              ;   in Loop: Header=BB36_6 Depth=1
	s_cmp_eq_u32 s5, 1
	s_cselect_b64 s[2:3], -1, 0
	v_cmp_eq_u32_e32 vcc, 1, v35
	s_and_b64 s[38:39], s[2:3], vcc
	s_mov_b64 s[40:41], -1
                                        ; implicit-def: $sgpr34_sgpr35
                                        ; implicit-def: $sgpr30_sgpr31
	s_and_saveexec_b64 s[36:37], s[38:39]
	s_cbranch_execz .LBB36_296
; %bb.271:                              ;   in Loop: Header=BB36_6 Depth=1
	ds_read_b32 v1, v8 offset:4096
	s_waitcnt lgkmcnt(0)
	s_barrier
	v_readfirstlane_b32 s50, v1
	s_mov_b64 s[2:3], exec
	v_readlane_b32 s30, v46, 36
	v_readlane_b32 s31, v46, 37
	s_and_b64 s[30:31], s[2:3], s[30:31]
	s_mov_b64 exec, s[30:31]
; %bb.272:                              ;   in Loop: Header=BB36_6 Depth=1
	ds_write_b32 v22, v8
; %bb.273:                              ;   in Loop: Header=BB36_6 Depth=1
	s_or_b64 exec, exec, s[2:3]
	v_and_b32_e32 v1, s11, v25
	v_lshl_or_b32 v25, 2, s15, v1
	v_or_b32_e32 v33, s10, v33
	s_mov_b64 s[30:31], -1
	s_mov_b64 s[34:35], 0
	s_cmp_eq_u32 s50, 0
	s_mov_b64 s[40:41], 0
	s_mov_b64 s[42:43], -1
	s_waitcnt lgkmcnt(0)
	s_barrier
                                        ; implicit-def: $vgpr11
	s_cbranch_scc1 .LBB36_284
; %bb.274:                              ;   in Loop: Header=BB36_6 Depth=1
	s_add_i32 s2, s50, s63
	v_readlane_b32 s3, v46, 50
	s_mul_hi_u32 s3, s2, s3
	s_mul_i32 s3, s3, s9
	s_sub_i32 s3, s2, s3
	s_sub_i32 s40, s3, s9
	s_cmp_ge_u32 s3, s9
	s_cselect_b32 s3, s40, s3
	s_sub_i32 s40, s3, s9
	s_cmp_ge_u32 s3, s9
	s_cselect_b32 s3, s40, s3
	s_sub_i32 s51, s2, s3
	v_cmp_gt_u32_e32 vcc, s51, v0
	s_mov_b64 s[42:43], 0
	s_mov_b64 s[40:41], 0
                                        ; implicit-def: $vgpr11
	s_and_saveexec_b64 s[44:45], vcc
	s_cbranch_execz .LBB36_283
; %bb.275:                              ;   in Loop: Header=BB36_6 Depth=1
	v_mov_b32_e32 v1, v19
	v_mov_b32_e32 v2, v0
                                        ; implicit-def: $sgpr46_sgpr47
	s_branch .LBB36_278
.LBB36_276:                             ;   in Loop: Header=BB36_278 Depth=2
	s_or_b64 exec, exec, s[48:49]
	s_waitcnt lgkmcnt(0)
	s_barrier
	ds_read_b64 v[10:11], v8 offset:3072
	s_mov_b64 s[2:3], -1
	s_mov_b64 s[48:49], -1
	s_waitcnt lgkmcnt(0)
	s_barrier
	v_cmp_ne_u32_e32 vcc, 0, v10
	s_cbranch_vccz .LBB36_281
.LBB36_277:                             ;   in Loop: Header=BB36_278 Depth=2
	s_and_b64 s[2:3], exec, s[2:3]
	s_or_b64 s[40:41], s[2:3], s[40:41]
	s_andn2_b64 s[2:3], s[46:47], exec
	s_and_b64 s[46:47], s[48:49], exec
	s_or_b64 s[46:47], s[2:3], s[46:47]
	s_andn2_b64 exec, exec, s[40:41]
	s_cbranch_execz .LBB36_282
.LBB36_278:                             ;   Parent Loop BB36_6 Depth=1
                                        ; =>  This Inner Loop Header: Depth=2
	v_cmp_gt_u32_e32 vcc, s50, v2
	s_and_saveexec_b64 s[48:49], vcc
	s_cbranch_execz .LBB36_276
; %bb.279:                              ;   in Loop: Header=BB36_278 Depth=2
	ds_read_b32 v15, v1
	s_waitcnt lgkmcnt(0)
	v_xor_b32_e32 v4, 0x80000000, v15
	v_and_b32_e32 v4, v4, v33
	v_cmp_eq_u32_e32 vcc, v4, v25
	s_and_b64 exec, exec, vcc
	s_cbranch_execz .LBB36_276
; %bb.280:                              ;   in Loop: Header=BB36_278 Depth=2
	ds_write_b64 v8, v[14:15] offset:3072
	s_branch .LBB36_276
.LBB36_281:                             ;   in Loop: Header=BB36_278 Depth=2
	v_add_u32_e32 v2, s9, v2
	v_cmp_le_u32_e32 vcc, s51, v2
	v_add_u32_e32 v1, s16, v1
	s_mov_b64 s[48:49], 0
	s_orn2_b64 s[2:3], vcc, exec
	s_branch .LBB36_277
.LBB36_282:                             ;   in Loop: Header=BB36_6 Depth=1
	s_or_b64 exec, exec, s[40:41]
	s_and_b64 s[40:41], s[46:47], exec
.LBB36_283:                             ;   in Loop: Header=BB36_6 Depth=1
	s_or_b64 exec, exec, s[44:45]
.LBB36_284:                             ;   in Loop: Header=BB36_6 Depth=1
	s_and_b64 vcc, exec, s[42:43]
	s_cbranch_vccz .LBB36_295
; %bb.285:                              ;   in Loop: Header=BB36_6 Depth=1
                                        ; implicit-def: $vgpr11
	s_mov_b64 s[30:31], exec
	v_readlane_b32 s2, v46, 51
	v_readlane_b32 s3, v46, 52
	s_and_b64 s[2:3], s[30:31], s[2:3]
	s_mov_b64 exec, s[2:3]
	s_cbranch_execz .LBB36_294
; %bb.286:                              ;   in Loop: Header=BB36_6 Depth=1
	s_mov_b64 s[34:35], 0
	v_mov_b32_e32 v7, v9
	v_mov_b32_e32 v1, v0
                                        ; implicit-def: $sgpr42_sgpr43
	s_branch .LBB36_289
.LBB36_287:                             ;   in Loop: Header=BB36_289 Depth=2
	s_or_b64 exec, exec, s[44:45]
	s_waitcnt lgkmcnt(0)
	s_barrier
	ds_read_b64 v[10:11], v8 offset:3072
	s_mov_b64 s[2:3], -1
	s_mov_b64 s[44:45], -1
	s_waitcnt lgkmcnt(0)
	s_barrier
	v_cmp_eq_u32_e32 vcc, 0, v10
	s_cbranch_vccnz .LBB36_292
.LBB36_288:                             ;   in Loop: Header=BB36_289 Depth=2
	s_and_b64 s[2:3], exec, s[2:3]
	s_or_b64 s[34:35], s[2:3], s[34:35]
	s_andn2_b64 s[2:3], s[42:43], exec
	s_and_b64 s[42:43], s[44:45], exec
	s_or_b64 s[42:43], s[2:3], s[42:43]
	s_andn2_b64 exec, exec, s[34:35]
	s_cbranch_execz .LBB36_293
.LBB36_289:                             ;   Parent Loop BB36_6 Depth=1
                                        ; =>  This Inner Loop Header: Depth=2
	v_cmp_gt_u32_e32 vcc, s60, v1
	s_and_saveexec_b64 s[44:45], vcc
	s_cbranch_execz .LBB36_287
; %bb.290:                              ;   in Loop: Header=BB36_289 Depth=2
	v_lshlrev_b64 v[10:11], 2, v[7:8]
	v_mov_b32_e32 v2, s8
	v_add_co_u32_e32 v10, vcc, s33, v10
	v_addc_co_u32_e32 v11, vcc, v2, v11, vcc
	global_load_dword v15, v[10:11], off
	s_waitcnt vmcnt(0)
	v_xor_b32_e32 v2, 0x80000000, v15
	v_and_b32_e32 v2, v2, v33
	v_cmp_eq_u32_e32 vcc, v2, v25
	s_and_b64 exec, exec, vcc
	s_cbranch_execz .LBB36_287
; %bb.291:                              ;   in Loop: Header=BB36_289 Depth=2
	ds_write_b64 v8, v[14:15] offset:3072
	s_branch .LBB36_287
.LBB36_292:                             ;   in Loop: Header=BB36_289 Depth=2
	v_add_u32_e32 v1, s9, v1
	v_cmp_le_u32_e32 vcc, s85, v1
	v_add_u32_e32 v7, s83, v7
	s_mov_b64 s[44:45], 0
	s_orn2_b64 s[2:3], vcc, exec
	s_branch .LBB36_288
.LBB36_293:                             ;   in Loop: Header=BB36_6 Depth=1
	s_or_b64 exec, exec, s[34:35]
	s_andn2_b64 s[2:3], s[40:41], exec
	s_and_b64 s[34:35], s[42:43], exec
	s_or_b64 s[40:41], s[2:3], s[34:35]
.LBB36_294:                             ;   in Loop: Header=BB36_6 Depth=1
	s_or_b64 exec, exec, s[30:31]
	s_mov_b64 s[30:31], 0
	s_mov_b64 s[34:35], -1
.LBB36_295:                             ;   in Loop: Header=BB36_6 Depth=1
	s_orn2_b64 s[40:41], s[40:41], exec
.LBB36_296:                             ;   in Loop: Header=BB36_6 Depth=1
	s_or_b64 exec, exec, s[36:37]
	s_mov_b64 s[42:43], 0
	s_and_saveexec_b64 s[36:37], s[40:41]
	s_cbranch_execz .LBB36_385
; %bb.297:                              ;   in Loop: Header=BB36_6 Depth=1
	s_xor_b64 s[2:3], s[38:39], -1
	s_mov_b64 s[46:47], 0
	v_mov_b32_e32 v1, 1
	v_mov_b32_e32 v3, 1
	s_and_saveexec_b64 s[38:39], s[2:3]
	s_cbranch_execz .LBB36_306
; %bb.298:                              ;   in Loop: Header=BB36_6 Depth=1
	v_cmp_ge_u32_e32 vcc, s5, v35
	s_and_saveexec_b64 s[2:3], vcc
	s_xor_b64 s[40:41], exec, s[2:3]
	s_cbranch_execz .LBB36_303
; %bb.299:                              ;   in Loop: Header=BB36_6 Depth=1
	ds_read_b32 v1, v8 offset:4096
	v_and_b32_e32 v2, s11, v25
	v_lshl_or_b32 v25, 2, s15, v2
	v_or_b32_e32 v33, s10, v33
	s_waitcnt lgkmcnt(0)
	v_cmp_ne_u32_e32 vcc, 0, v1
	s_cbranch_vccnz .LBB36_303
; %bb.300:                              ;   in Loop: Header=BB36_6 Depth=1
	s_mov_b64 s[2:3], exec
	v_readlane_b32 s42, v46, 21
	v_readlane_b32 s43, v46, 22
	s_and_b64 s[42:43], s[2:3], s[42:43]
	s_mov_b64 exec, s[42:43]
; %bb.301:                              ;   in Loop: Header=BB36_6 Depth=1
	v_mov_b32_e32 v1, s5
	ds_write_b32 v8, v1 offset:4100
; %bb.302:                              ;   in Loop: Header=BB36_6 Depth=1
	s_or_b64 exec, exec, s[2:3]
	s_waitcnt lgkmcnt(0)
	s_barrier
.LBB36_303:                             ;   in Loop: Header=BB36_6 Depth=1
	s_or_saveexec_b64 s[40:41], s[40:41]
	s_mov_b64 s[42:43], 0
	v_mov_b32_e32 v3, 5
	s_xor_b64 exec, exec, s[40:41]
; %bb.304:                              ;   in Loop: Header=BB36_6 Depth=1
	s_mov_b64 s[42:43], exec
	v_subrev_u32_e32 v35, s5, v35
	v_mov_b32_e32 v3, 0
; %bb.305:                              ;   in Loop: Header=BB36_6 Depth=1
	s_or_b64 exec, exec, s[40:41]
	s_and_b64 s[46:47], s[42:43], exec
	v_mov_b32_e32 v1, v35
.LBB36_306:                             ;   in Loop: Header=BB36_6 Depth=1
	s_or_b64 exec, exec, s[38:39]
	s_mov_b64 s[44:45], -1
                                        ; implicit-def: $sgpr40_sgpr41
                                        ; implicit-def: $sgpr42_sgpr43
	s_and_saveexec_b64 s[38:39], s[46:47]
	s_cbranch_execz .LBB36_384
; %bb.307:                              ;   in Loop: Header=BB36_6 Depth=1
	s_cmp_eq_u32 s4, 1
	s_cselect_b64 s[2:3], -1, 0
	v_cmp_eq_u32_e32 vcc, 1, v1
	s_and_b64 s[46:47], s[2:3], vcc
	s_mov_b64 s[48:49], -1
                                        ; implicit-def: $sgpr42_sgpr43
                                        ; implicit-def: $sgpr40_sgpr41
	s_and_saveexec_b64 s[44:45], s[46:47]
	s_cbranch_execz .LBB36_333
; %bb.308:                              ;   in Loop: Header=BB36_6 Depth=1
	ds_read_b32 v2, v8 offset:4096
	s_waitcnt lgkmcnt(0)
	s_barrier
	v_readfirstlane_b32 s5, v2
	s_mov_b64 s[2:3], exec
	v_readlane_b32 s40, v46, 36
	v_readlane_b32 s41, v46, 37
	s_and_b64 s[40:41], s[2:3], s[40:41]
	s_mov_b64 exec, s[40:41]
; %bb.309:                              ;   in Loop: Header=BB36_6 Depth=1
	ds_write_b32 v22, v8
; %bb.310:                              ;   in Loop: Header=BB36_6 Depth=1
	s_or_b64 exec, exec, s[2:3]
	v_and_b32_e32 v2, s11, v25
	v_lshl_or_b32 v25, 1, s15, v2
	v_or_b32_e32 v33, s10, v33
	s_mov_b64 s[40:41], -1
	s_mov_b64 s[42:43], 0
	s_cmp_eq_u32 s5, 0
	s_mov_b64 s[48:49], 0
	s_mov_b64 s[50:51], -1
	s_waitcnt lgkmcnt(0)
	s_barrier
                                        ; implicit-def: $vgpr11
	s_cbranch_scc1 .LBB36_321
; %bb.311:                              ;   in Loop: Header=BB36_6 Depth=1
	s_add_i32 s2, s5, s63
	v_readlane_b32 s3, v46, 50
	s_mul_hi_u32 s3, s2, s3
	s_mul_i32 s3, s3, s9
	s_sub_i32 s3, s2, s3
	s_sub_i32 s48, s3, s9
	s_cmp_ge_u32 s3, s9
	s_cselect_b32 s3, s48, s3
	s_sub_i32 s48, s3, s9
	s_cmp_ge_u32 s3, s9
	s_cselect_b32 s3, s48, s3
	s_sub_i32 s58, s2, s3
	v_cmp_gt_u32_e32 vcc, s58, v0
	s_mov_b64 s[50:51], 0
	s_mov_b64 s[48:49], 0
                                        ; implicit-def: $vgpr11
	s_and_saveexec_b64 s[52:53], vcc
	s_cbranch_execz .LBB36_320
; %bb.312:                              ;   in Loop: Header=BB36_6 Depth=1
	v_mov_b32_e32 v2, v19
	v_mov_b32_e32 v4, v0
                                        ; implicit-def: $sgpr54_sgpr55
	s_branch .LBB36_315
.LBB36_313:                             ;   in Loop: Header=BB36_315 Depth=2
	s_or_b64 exec, exec, s[56:57]
	s_waitcnt lgkmcnt(0)
	s_barrier
	ds_read_b64 v[10:11], v8 offset:3072
	s_mov_b64 s[2:3], -1
	s_mov_b64 s[56:57], -1
	s_waitcnt lgkmcnt(0)
	s_barrier
	v_cmp_ne_u32_e32 vcc, 0, v10
	s_cbranch_vccz .LBB36_318
.LBB36_314:                             ;   in Loop: Header=BB36_315 Depth=2
	s_and_b64 s[2:3], exec, s[2:3]
	s_or_b64 s[48:49], s[2:3], s[48:49]
	s_andn2_b64 s[2:3], s[54:55], exec
	s_and_b64 s[54:55], s[56:57], exec
	s_or_b64 s[54:55], s[2:3], s[54:55]
	s_andn2_b64 exec, exec, s[48:49]
	s_cbranch_execz .LBB36_319
.LBB36_315:                             ;   Parent Loop BB36_6 Depth=1
                                        ; =>  This Inner Loop Header: Depth=2
	v_cmp_gt_u32_e32 vcc, s5, v4
	s_and_saveexec_b64 s[56:57], vcc
	s_cbranch_execz .LBB36_313
; %bb.316:                              ;   in Loop: Header=BB36_315 Depth=2
	ds_read_b32 v15, v2
	s_waitcnt lgkmcnt(0)
	v_xor_b32_e32 v7, 0x80000000, v15
	v_and_b32_e32 v7, v7, v33
	v_cmp_eq_u32_e32 vcc, v7, v25
	s_and_b64 exec, exec, vcc
	s_cbranch_execz .LBB36_313
; %bb.317:                              ;   in Loop: Header=BB36_315 Depth=2
	ds_write_b64 v8, v[14:15] offset:3072
	s_branch .LBB36_313
.LBB36_318:                             ;   in Loop: Header=BB36_315 Depth=2
	v_add_u32_e32 v4, s9, v4
	v_cmp_le_u32_e32 vcc, s58, v4
	v_add_u32_e32 v2, s16, v2
	s_mov_b64 s[56:57], 0
	s_orn2_b64 s[2:3], vcc, exec
	s_branch .LBB36_314
.LBB36_319:                             ;   in Loop: Header=BB36_6 Depth=1
	s_or_b64 exec, exec, s[48:49]
	s_and_b64 s[48:49], s[54:55], exec
.LBB36_320:                             ;   in Loop: Header=BB36_6 Depth=1
	s_or_b64 exec, exec, s[52:53]
.LBB36_321:                             ;   in Loop: Header=BB36_6 Depth=1
	s_and_b64 vcc, exec, s[50:51]
	s_cbranch_vccz .LBB36_332
; %bb.322:                              ;   in Loop: Header=BB36_6 Depth=1
                                        ; implicit-def: $vgpr11
	s_mov_b64 s[40:41], exec
	v_readlane_b32 s2, v46, 51
	v_readlane_b32 s3, v46, 52
	s_and_b64 s[2:3], s[40:41], s[2:3]
	s_mov_b64 exec, s[2:3]
	s_cbranch_execz .LBB36_331
; %bb.323:                              ;   in Loop: Header=BB36_6 Depth=1
	s_mov_b64 s[42:43], 0
	v_mov_b32_e32 v7, v9
	v_mov_b32_e32 v2, v0
                                        ; implicit-def: $sgpr50_sgpr51
	s_branch .LBB36_326
.LBB36_324:                             ;   in Loop: Header=BB36_326 Depth=2
	s_or_b64 exec, exec, s[52:53]
	s_waitcnt lgkmcnt(0)
	s_barrier
	ds_read_b64 v[10:11], v8 offset:3072
	s_mov_b64 s[2:3], -1
	s_mov_b64 s[52:53], -1
	s_waitcnt lgkmcnt(0)
	s_barrier
	v_cmp_eq_u32_e32 vcc, 0, v10
	s_cbranch_vccnz .LBB36_329
.LBB36_325:                             ;   in Loop: Header=BB36_326 Depth=2
	s_and_b64 s[2:3], exec, s[2:3]
	s_or_b64 s[42:43], s[2:3], s[42:43]
	s_andn2_b64 s[2:3], s[50:51], exec
	s_and_b64 s[50:51], s[52:53], exec
	s_or_b64 s[50:51], s[2:3], s[50:51]
	s_andn2_b64 exec, exec, s[42:43]
	s_cbranch_execz .LBB36_330
.LBB36_326:                             ;   Parent Loop BB36_6 Depth=1
                                        ; =>  This Inner Loop Header: Depth=2
	v_cmp_gt_u32_e32 vcc, s60, v2
	s_and_saveexec_b64 s[52:53], vcc
	s_cbranch_execz .LBB36_324
; %bb.327:                              ;   in Loop: Header=BB36_326 Depth=2
	v_lshlrev_b64 v[10:11], 2, v[7:8]
	v_mov_b32_e32 v4, s8
	v_add_co_u32_e32 v10, vcc, s33, v10
	v_addc_co_u32_e32 v11, vcc, v4, v11, vcc
	global_load_dword v15, v[10:11], off
	s_waitcnt vmcnt(0)
	v_xor_b32_e32 v4, 0x80000000, v15
	v_and_b32_e32 v4, v4, v33
	v_cmp_eq_u32_e32 vcc, v4, v25
	s_and_b64 exec, exec, vcc
	s_cbranch_execz .LBB36_324
; %bb.328:                              ;   in Loop: Header=BB36_326 Depth=2
	ds_write_b64 v8, v[14:15] offset:3072
	s_branch .LBB36_324
.LBB36_329:                             ;   in Loop: Header=BB36_326 Depth=2
	v_add_u32_e32 v2, s9, v2
	v_cmp_le_u32_e32 vcc, s85, v2
	v_add_u32_e32 v7, s83, v7
	s_mov_b64 s[52:53], 0
	s_orn2_b64 s[2:3], vcc, exec
	s_branch .LBB36_325
.LBB36_330:                             ;   in Loop: Header=BB36_6 Depth=1
	s_or_b64 exec, exec, s[42:43]
	s_andn2_b64 s[2:3], s[48:49], exec
	s_and_b64 s[42:43], s[50:51], exec
	s_or_b64 s[48:49], s[2:3], s[42:43]
.LBB36_331:                             ;   in Loop: Header=BB36_6 Depth=1
	s_or_b64 exec, exec, s[40:41]
	s_mov_b64 s[40:41], 0
	s_mov_b64 s[42:43], -1
.LBB36_332:                             ;   in Loop: Header=BB36_6 Depth=1
	s_orn2_b64 s[48:49], s[48:49], exec
.LBB36_333:                             ;   in Loop: Header=BB36_6 Depth=1
	s_or_b64 exec, exec, s[44:45]
	s_mov_b64 s[50:51], 0
	s_and_saveexec_b64 s[44:45], s[48:49]
	s_cbranch_execz .LBB36_383
; %bb.334:                              ;   in Loop: Header=BB36_6 Depth=1
	s_xor_b64 s[2:3], s[46:47], -1
	s_mov_b64 s[54:55], 0
	v_mov_b32_e32 v2, 1
	v_mov_b32_e32 v3, 1
	s_and_saveexec_b64 s[46:47], s[2:3]
	s_cbranch_execz .LBB36_343
; %bb.335:                              ;   in Loop: Header=BB36_6 Depth=1
	v_cmp_ge_u32_e32 vcc, s4, v1
	s_and_saveexec_b64 s[2:3], vcc
	s_xor_b64 s[48:49], exec, s[2:3]
	s_cbranch_execz .LBB36_340
; %bb.336:                              ;   in Loop: Header=BB36_6 Depth=1
	ds_read_b32 v2, v8 offset:4096
	v_and_b32_e32 v3, s11, v25
	v_lshl_or_b32 v25, 1, s15, v3
	v_or_b32_e32 v33, s10, v33
	s_waitcnt lgkmcnt(0)
	v_cmp_ne_u32_e32 vcc, 0, v2
	s_cbranch_vccnz .LBB36_340
; %bb.337:                              ;   in Loop: Header=BB36_6 Depth=1
	s_mov_b64 s[2:3], exec
	v_readlane_b32 s50, v46, 21
	v_readlane_b32 s51, v46, 22
	s_and_b64 s[50:51], s[2:3], s[50:51]
	s_mov_b64 exec, s[50:51]
; %bb.338:                              ;   in Loop: Header=BB36_6 Depth=1
	v_mov_b32_e32 v2, s4
	ds_write_b32 v8, v2 offset:4100
; %bb.339:                              ;   in Loop: Header=BB36_6 Depth=1
	s_or_b64 exec, exec, s[2:3]
	s_waitcnt lgkmcnt(0)
	s_barrier
.LBB36_340:                             ;   in Loop: Header=BB36_6 Depth=1
	s_or_saveexec_b64 s[48:49], s[48:49]
	s_mov_b64 s[50:51], 0
	v_mov_b32_e32 v3, 5
	s_xor_b64 exec, exec, s[48:49]
; %bb.341:                              ;   in Loop: Header=BB36_6 Depth=1
	s_mov_b64 s[50:51], exec
	v_subrev_u32_e32 v1, s4, v1
	v_mov_b32_e32 v3, 0
; %bb.342:                              ;   in Loop: Header=BB36_6 Depth=1
	s_or_b64 exec, exec, s[48:49]
	s_and_b64 s[54:55], s[50:51], exec
	v_mov_b32_e32 v2, v1
.LBB36_343:                             ;   in Loop: Header=BB36_6 Depth=1
	s_or_b64 exec, exec, s[46:47]
	s_mov_b64 s[52:53], -1
                                        ; implicit-def: $sgpr50_sgpr51
                                        ; implicit-def: $sgpr48_sgpr49
	s_and_saveexec_b64 s[46:47], s[54:55]
	s_cbranch_execz .LBB36_382
; %bb.344:                              ;   in Loop: Header=BB36_6 Depth=1
	s_cmp_eq_u32 s17, 1
	s_cselect_b64 s[2:3], -1, 0
	v_cmp_eq_u32_e32 vcc, 1, v2
	s_and_b64 s[52:53], s[2:3], vcc
	s_mov_b64 s[56:57], -1
                                        ; implicit-def: $sgpr50_sgpr51
                                        ; implicit-def: $sgpr48_sgpr49
	s_and_saveexec_b64 s[54:55], s[52:53]
	s_cbranch_execz .LBB36_370
; %bb.345:                              ;   in Loop: Header=BB36_6 Depth=1
	ds_read_b32 v1, v8 offset:4096
	s_waitcnt lgkmcnt(0)
	s_barrier
	v_readfirstlane_b32 s4, v1
	s_mov_b64 s[2:3], exec
	v_readlane_b32 s48, v46, 36
	v_readlane_b32 s49, v46, 37
	s_and_b64 s[48:49], s[2:3], s[48:49]
	s_mov_b64 exec, s[48:49]
; %bb.346:                              ;   in Loop: Header=BB36_6 Depth=1
	ds_write_b32 v22, v8
; %bb.347:                              ;   in Loop: Header=BB36_6 Depth=1
	s_or_b64 exec, exec, s[2:3]
	v_and_b32_e32 v25, s11, v25
	v_or_b32_e32 v33, s10, v33
	s_mov_b64 s[48:49], -1
	s_mov_b64 s[50:51], 0
	s_cmp_eq_u32 s4, 0
	s_mov_b64 s[56:57], 0
	s_mov_b64 s[58:59], -1
	s_waitcnt lgkmcnt(0)
	s_barrier
                                        ; implicit-def: $vgpr11
	s_cbranch_scc1 .LBB36_358
; %bb.348:                              ;   in Loop: Header=BB36_6 Depth=1
	s_add_i32 s2, s4, s63
	v_readlane_b32 s3, v46, 50
	s_mul_hi_u32 s3, s2, s3
	s_mul_i32 s3, s3, s9
	s_sub_i32 s3, s2, s3
	s_sub_i32 s5, s3, s9
	s_cmp_ge_u32 s3, s9
	s_cselect_b32 s3, s5, s3
	s_sub_i32 s5, s3, s9
	s_cmp_ge_u32 s3, s9
	s_cselect_b32 s3, s5, s3
	s_sub_i32 s5, s2, s3
	v_cmp_gt_u32_e32 vcc, s5, v0
	s_mov_b64 s[58:59], 0
                                        ; implicit-def: $vgpr11
	s_and_saveexec_b64 s[86:87], vcc
	s_cbranch_execz .LBB36_357
; %bb.349:                              ;   in Loop: Header=BB36_6 Depth=1
	v_writelane_b32 v46, s52, 53
	v_mov_b32_e32 v1, v19
	v_mov_b32_e32 v4, v0
	v_writelane_b32 v46, s53, 54
                                        ; implicit-def: $sgpr88_sgpr89
	s_branch .LBB36_352
.LBB36_350:                             ;   in Loop: Header=BB36_352 Depth=2
	s_mov_b32 s52, s63
	s_or_b64 exec, exec, s[90:91]
	s_waitcnt lgkmcnt(0)
	s_barrier
	ds_read_b64 v[10:11], v8 offset:3072
	s_mov_b64 s[2:3], -1
	s_mov_b64 s[90:91], -1
	s_waitcnt lgkmcnt(0)
	s_barrier
	v_cmp_ne_u32_e32 vcc, 0, v10
	s_cbranch_vccz .LBB36_355
.LBB36_351:                             ;   in Loop: Header=BB36_352 Depth=2
	s_and_b64 s[2:3], exec, s[2:3]
	s_or_b64 s[56:57], s[2:3], s[56:57]
	s_andn2_b64 s[2:3], s[88:89], exec
	s_and_b64 s[62:63], s[90:91], exec
	s_or_b64 s[88:89], s[2:3], s[62:63]
	s_mov_b32 s63, s52
	s_andn2_b64 exec, exec, s[56:57]
	s_cbranch_execz .LBB36_356
.LBB36_352:                             ;   Parent Loop BB36_6 Depth=1
                                        ; =>  This Inner Loop Header: Depth=2
	v_cmp_gt_u32_e32 vcc, s4, v4
	s_and_saveexec_b64 s[90:91], vcc
	s_cbranch_execz .LBB36_350
; %bb.353:                              ;   in Loop: Header=BB36_352 Depth=2
	ds_read_b32 v15, v1
	s_waitcnt lgkmcnt(0)
	v_xor_b32_e32 v7, 0x80000000, v15
	v_and_b32_e32 v7, v7, v33
	v_cmp_eq_u32_e32 vcc, v7, v25
	s_and_b64 exec, exec, vcc
	s_cbranch_execz .LBB36_350
; %bb.354:                              ;   in Loop: Header=BB36_352 Depth=2
	ds_write_b64 v8, v[14:15] offset:3072
	s_branch .LBB36_350
.LBB36_355:                             ;   in Loop: Header=BB36_352 Depth=2
	v_add_u32_e32 v4, s9, v4
	v_cmp_le_u32_e32 vcc, s5, v4
	v_add_u32_e32 v1, s16, v1
	s_mov_b64 s[90:91], 0
	s_orn2_b64 s[2:3], vcc, exec
	s_branch .LBB36_351
.LBB36_356:                             ;   in Loop: Header=BB36_6 Depth=1
	s_or_b64 exec, exec, s[56:57]
	v_readlane_b32 s52, v46, 53
	s_and_b64 s[56:57], s[88:89], exec
	v_readlane_b32 s53, v46, 54
.LBB36_357:                             ;   in Loop: Header=BB36_6 Depth=1
	s_or_b64 exec, exec, s[86:87]
.LBB36_358:                             ;   in Loop: Header=BB36_6 Depth=1
	s_and_b64 vcc, exec, s[58:59]
	s_cbranch_vccz .LBB36_369
; %bb.359:                              ;   in Loop: Header=BB36_6 Depth=1
                                        ; implicit-def: $vgpr11
	s_mov_b64 s[48:49], exec
	v_readlane_b32 s2, v46, 51
	v_readlane_b32 s3, v46, 52
	s_and_b64 s[2:3], s[48:49], s[2:3]
	s_mov_b64 exec, s[2:3]
	s_cbranch_execz .LBB36_368
; %bb.360:                              ;   in Loop: Header=BB36_6 Depth=1
	s_mov_b64 s[50:51], 0
	v_mov_b32_e32 v7, v9
	v_mov_b32_e32 v1, v0
                                        ; implicit-def: $sgpr58_sgpr59
	s_branch .LBB36_363
.LBB36_361:                             ;   in Loop: Header=BB36_363 Depth=2
	s_or_b64 exec, exec, s[86:87]
	s_waitcnt lgkmcnt(0)
	s_barrier
	ds_read_b64 v[10:11], v8 offset:3072
	s_mov_b64 s[2:3], -1
	s_mov_b64 s[86:87], -1
	s_waitcnt lgkmcnt(0)
	s_barrier
	v_cmp_eq_u32_e32 vcc, 0, v10
	s_cbranch_vccnz .LBB36_366
.LBB36_362:                             ;   in Loop: Header=BB36_363 Depth=2
	s_and_b64 s[2:3], exec, s[2:3]
	s_or_b64 s[50:51], s[2:3], s[50:51]
	s_andn2_b64 s[2:3], s[58:59], exec
	s_and_b64 s[4:5], s[86:87], exec
	s_or_b64 s[58:59], s[2:3], s[4:5]
	s_andn2_b64 exec, exec, s[50:51]
	s_cbranch_execz .LBB36_367
.LBB36_363:                             ;   Parent Loop BB36_6 Depth=1
                                        ; =>  This Inner Loop Header: Depth=2
	v_cmp_gt_u32_e32 vcc, s60, v1
	s_and_saveexec_b64 s[86:87], vcc
	s_cbranch_execz .LBB36_361
; %bb.364:                              ;   in Loop: Header=BB36_363 Depth=2
	v_lshlrev_b64 v[10:11], 2, v[7:8]
	v_mov_b32_e32 v4, s8
	v_add_co_u32_e32 v10, vcc, s33, v10
	v_addc_co_u32_e32 v11, vcc, v4, v11, vcc
	global_load_dword v15, v[10:11], off
	s_waitcnt vmcnt(0)
	v_xor_b32_e32 v4, 0x80000000, v15
	v_and_b32_e32 v4, v4, v33
	v_cmp_eq_u32_e32 vcc, v4, v25
	s_and_b64 exec, exec, vcc
	s_cbranch_execz .LBB36_361
; %bb.365:                              ;   in Loop: Header=BB36_363 Depth=2
	ds_write_b64 v8, v[14:15] offset:3072
	s_branch .LBB36_361
.LBB36_366:                             ;   in Loop: Header=BB36_363 Depth=2
	v_add_u32_e32 v1, s9, v1
	v_cmp_le_u32_e32 vcc, s85, v1
	v_add_u32_e32 v7, s83, v7
	s_mov_b64 s[86:87], 0
	s_orn2_b64 s[2:3], vcc, exec
	s_branch .LBB36_362
.LBB36_367:                             ;   in Loop: Header=BB36_6 Depth=1
	s_or_b64 exec, exec, s[50:51]
	s_andn2_b64 s[2:3], s[56:57], exec
	s_and_b64 s[4:5], s[58:59], exec
	s_or_b64 s[56:57], s[2:3], s[4:5]
.LBB36_368:                             ;   in Loop: Header=BB36_6 Depth=1
	s_or_b64 exec, exec, s[48:49]
	s_mov_b64 s[48:49], 0
	s_mov_b64 s[50:51], -1
.LBB36_369:                             ;   in Loop: Header=BB36_6 Depth=1
	s_orn2_b64 s[56:57], s[56:57], exec
.LBB36_370:                             ;   in Loop: Header=BB36_6 Depth=1
	s_or_b64 exec, exec, s[54:55]
	s_mov_b64 s[58:59], 0
	s_and_saveexec_b64 s[54:55], s[56:57]
	s_cbranch_execz .LBB36_381
; %bb.371:                              ;   in Loop: Header=BB36_6 Depth=1
	s_xor_b64 s[2:3], s[52:53], -1
	v_mov_b32_e32 v3, 1
	v_mov_b32_e32 v1, 1
	s_and_saveexec_b64 s[52:53], s[2:3]
	s_cbranch_execz .LBB36_380
; %bb.372:                              ;   in Loop: Header=BB36_6 Depth=1
	v_cmp_ge_u32_e32 vcc, s17, v2
	s_and_saveexec_b64 s[2:3], vcc
	s_xor_b64 s[56:57], exec, s[2:3]
	s_cbranch_execz .LBB36_377
; %bb.373:                              ;   in Loop: Header=BB36_6 Depth=1
	ds_read_b32 v1, v8 offset:4096
	v_and_b32_e32 v25, s11, v25
	v_or_b32_e32 v33, s10, v33
	s_waitcnt lgkmcnt(0)
	v_cmp_ne_u32_e32 vcc, 0, v1
	s_cbranch_vccnz .LBB36_377
; %bb.374:                              ;   in Loop: Header=BB36_6 Depth=1
	s_mov_b64 s[2:3], exec
	v_readlane_b32 s4, v46, 21
	v_readlane_b32 s5, v46, 22
	s_and_b64 s[4:5], s[2:3], s[4:5]
	s_mov_b64 exec, s[4:5]
; %bb.375:                              ;   in Loop: Header=BB36_6 Depth=1
	v_mov_b32_e32 v1, s17
	ds_write_b32 v8, v1 offset:4100
; %bb.376:                              ;   in Loop: Header=BB36_6 Depth=1
	s_or_b64 exec, exec, s[2:3]
	s_waitcnt lgkmcnt(0)
	s_barrier
.LBB36_377:                             ;   in Loop: Header=BB36_6 Depth=1
	s_andn2_saveexec_b64 s[2:3], s[56:57]
; %bb.378:                              ;   in Loop: Header=BB36_6 Depth=1
	v_subrev_u32_e32 v2, s17, v2
; %bb.379:                              ;   in Loop: Header=BB36_6 Depth=1
	s_or_b64 exec, exec, s[2:3]
	v_mov_b32_e32 v3, 5
	v_mov_b32_e32 v1, v2
.LBB36_380:                             ;   in Loop: Header=BB36_6 Depth=1
	s_or_b64 exec, exec, s[52:53]
	s_mov_b64 s[58:59], exec
	v_mov_b32_e32 v2, v1
.LBB36_381:                             ;   in Loop: Header=BB36_6 Depth=1
	s_or_b64 exec, exec, s[54:55]
	s_orn2_b64 s[52:53], s[58:59], exec
.LBB36_382:                             ;   in Loop: Header=BB36_6 Depth=1
	s_or_b64 exec, exec, s[46:47]
	s_andn2_b64 s[2:3], s[42:43], exec
	s_and_b64 s[4:5], s[50:51], exec
	s_or_b64 s[42:43], s[2:3], s[4:5]
	s_andn2_b64 s[2:3], s[40:41], exec
	s_and_b64 s[4:5], s[48:49], exec
	s_or_b64 s[40:41], s[2:3], s[4:5]
	s_and_b64 s[50:51], s[52:53], exec
	v_mov_b32_e32 v1, v2
.LBB36_383:                             ;   in Loop: Header=BB36_6 Depth=1
	s_or_b64 exec, exec, s[44:45]
	s_orn2_b64 s[44:45], s[50:51], exec
.LBB36_384:                             ;   in Loop: Header=BB36_6 Depth=1
	s_or_b64 exec, exec, s[38:39]
	s_andn2_b64 s[2:3], s[34:35], exec
	s_and_b64 s[4:5], s[42:43], exec
	s_or_b64 s[34:35], s[2:3], s[4:5]
	s_andn2_b64 s[2:3], s[30:31], exec
	s_and_b64 s[4:5], s[40:41], exec
	s_or_b64 s[30:31], s[2:3], s[4:5]
	s_and_b64 s[42:43], s[44:45], exec
	v_mov_b32_e32 v35, v1
.LBB36_385:                             ;   in Loop: Header=BB36_6 Depth=1
	s_or_b64 exec, exec, s[36:37]
	s_orn2_b64 s[36:37], s[42:43], exec
.LBB36_386:                             ;   in Loop: Header=BB36_6 Depth=1
	s_or_b64 exec, exec, s[6:7]
	s_mov_b64 s[6:7], s[26:27]
	s_mov_b64 s[38:39], s[24:25]
	s_and_saveexec_b64 s[2:3], s[36:37]
; %bb.387:                              ;   in Loop: Header=BB36_6 Depth=1
	v_cmp_ne_u32_e64 s[6:7], 5, v3
	v_cmp_eq_u32_e32 vcc, 5, v3
	s_andn2_b64 s[4:5], s[24:25], exec
	s_and_b64 s[6:7], s[6:7], exec
	s_or_b64 s[38:39], s[4:5], s[6:7]
	s_andn2_b64 s[4:5], s[26:27], exec
	s_and_b64 s[6:7], vcc, exec
	s_or_b64 s[6:7], s[4:5], s[6:7]
; %bb.388:                              ;   in Loop: Header=BB36_6 Depth=1
	s_or_b64 exec, exec, s[2:3]
	s_andn2_b64 s[2:3], s[18:19], exec
	s_and_b64 s[4:5], s[34:35], exec
	s_or_b64 s[18:19], s[2:3], s[4:5]
	s_andn2_b64 s[2:3], s[22:23], exec
	s_and_b64 s[4:5], s[30:31], exec
	s_or_b64 s[22:23], s[2:3], s[4:5]
	;; [unrolled: 3-line block ×4, first 2 shown]
.LBB36_389:                             ;   in Loop: Header=BB36_6 Depth=1
	s_or_b64 exec, exec, s[28:29]
	s_mov_b64 s[28:29], 0
	s_mov_b64 s[30:31], 0
	s_and_saveexec_b64 s[2:3], s[26:27]
.LBB36_390:                             ;   in Loop: Header=BB36_6 Depth=1
	v_mov_b32_e32 v3, 0
	s_or_b64 s[24:25], s[24:25], exec
.LBB36_391:                             ;   in Loop: Header=BB36_6 Depth=1
	s_or_b64 exec, exec, s[2:3]
	s_andn2_b64 s[2:3], s[76:77], exec
	s_and_b64 s[4:5], s[18:19], exec
	s_or_b64 s[76:77], s[2:3], s[4:5]
	s_andn2_b64 s[2:3], s[20:21], exec
	s_and_b64 s[4:5], s[22:23], exec
	s_or_b64 s[20:21], s[2:3], s[4:5]
	;; [unrolled: 3-line block ×3, first 2 shown]
	s_andn2_b64 s[2:3], s[68:69], exec
	s_and_b64 s[4:5], s[28:29], exec
	s_mov_b64 s[26:27], -1
	s_andn2_b64 s[78:79], s[78:79], exec
	s_or_b64 s[68:69], s[2:3], s[4:5]
	v_mov_b32_e32 v34, v35
	s_and_saveexec_b64 s[2:3], s[24:25]
	s_xor_b64 s[6:7], exec, s[2:3]
	s_cbranch_execz .LBB36_5
; %bb.392:                              ;   in Loop: Header=BB36_6 Depth=1
	v_cmp_eq_u32_e32 vcc, 0, v3
	s_mov_b64 s[18:19], -1
	s_mov_b64 s[22:23], -1
	s_and_saveexec_b64 s[2:3], vcc
	s_cbranch_execz .LBB36_4
; %bb.393:                              ;   in Loop: Header=BB36_6 Depth=1
	s_xor_b32 s14, s14, 1
	s_add_i32 s10, s15, -2
	s_cmp_eq_u32 s15, 0
	s_cselect_b64 s[4:5], -1, 0
	s_xor_b64 s[22:23], exec, -1
	s_orn2_b64 s[18:19], s[4:5], exec
	s_mov_b32 s15, s10
	s_branch .LBB36_4
.LBB36_394:
	s_or_b64 exec, exec, s[92:93]
	s_xor_b64 s[16:17], s[66:67], -1
	s_xor_b64 s[20:21], s[64:65], -1
	;; [unrolled: 1-line block ×5, first 2 shown]
	s_mov_b64 s[12:13], 0
	s_and_saveexec_b64 s[10:11], s[4:5]
	s_xor_b64 s[10:11], exec, s[10:11]
	s_cbranch_execnz .LBB36_399
; %bb.395:
	s_andn2_saveexec_b64 s[0:1], s[10:11]
	s_cbranch_execnz .LBB36_418
.LBB36_396:
	s_or_b64 exec, exec, s[0:1]
	s_and_saveexec_b64 s[0:1], s[12:13]
.LBB36_397:
	; divergent unreachable
.LBB36_398:
	s_endpgm
.LBB36_399:
	s_mov_b64 s[14:15], 0
	s_and_saveexec_b64 s[4:5], s[2:3]
	s_xor_b64 s[12:13], exec, s[4:5]
	s_cbranch_execz .LBB36_416
; %bb.400:
	s_mov_b64 s[18:19], 0
	s_and_saveexec_b64 s[2:3], s[20:21]
	s_xor_b64 s[14:15], exec, s[2:3]
	s_cbranch_execz .LBB36_414
; %bb.401:
	s_and_saveexec_b64 s[2:3], s[16:17]
	s_xor_b64 s[16:17], exec, s[2:3]
	s_cbranch_execz .LBB36_412
; %bb.402:
	s_and_saveexec_b64 s[2:3], s[6:7]
	s_xor_b64 s[2:3], exec, s[2:3]
; %bb.403:
	v_xor_b32_e32 v11, 0x80000000, v25
; %bb.404:
	s_or_b64 exec, exec, s[2:3]
	s_mov_b64 s[2:3], exec
	v_readlane_b32 s4, v46, 21
	v_readlane_b32 s5, v46, 22
	;; [unrolled: 1-line block ×4, first 2 shown]
	s_and_b64 s[4:5], s[2:3], s[4:5]
	v_readlane_b32 s19, v46, 29
	v_readlane_b32 s43, v46, 25
	s_mov_b64 exec, s[4:5]
; %bb.405:
	v_mov_b32_e32 v1, 0
	ds_write_b32 v1, v1 offset:4108
; %bb.406:
	s_or_b64 exec, exec, s[2:3]
	v_mov_b32_e32 v4, 0
	s_waitcnt lgkmcnt(0)
	s_barrier
	s_mov_b64 s[2:3], exec
	v_readlane_b32 s4, v46, 32
	v_readlane_b32 s5, v46, 33
	s_and_b64 s[4:5], s[2:3], s[4:5]
	s_mov_b64 exec, s[4:5]
	s_cbranch_execz .LBB36_408
; %bb.407:
	global_load_dword v4, v[5:6], off
.LBB36_408:
	s_or_b64 exec, exec, s[2:3]
	v_readlane_b32 s24, v46, 13
	v_readlane_b32 s25, v46, 14
	v_readlane_b32 s7, v46, 15
	s_mul_i32 s2, s7, s25
	v_readlane_b32 s6, v46, 23
	v_readlane_b32 s20, v46, 6
	s_sub_i32 s2, s6, s2
	v_readlane_b32 s22, v46, 8
	s_mul_i32 s2, s2, s22
	v_readlane_b32 s22, v46, 16
	s_mul_i32 s3, s22, s24
	s_add_i32 s34, s60, 63
	s_sub_i32 s3, s7, s3
	s_andn2_b32 s34, s34, 63
	s_add_i32 s4, s22, 1
	s_sub_i32 s5, s3, s24
	s_cmp_ge_u32 s3, s24
	s_cselect_b32 s4, s4, s22
	s_cselect_b32 s3, s5, s3
	s_add_i32 s5, s4, 1
	s_cmp_ge_u32 s3, s24
	s_cselect_b32 s3, s5, s4
	s_mul_i32 s4, s3, s24
	v_readlane_b32 s21, v46, 7
	s_sub_i32 s4, s7, s4
	v_readlane_b32 s23, v46, 9
	s_mul_i32 s4, s4, s21
	v_readlane_b32 s24, v46, 17
	s_add_i32 s2, s4, s2
	s_mul_i32 s3, s3, s20
	v_readlane_b32 s25, v46, 18
	v_readlane_b32 s23, v46, 19
	s_add_i32 s2, s2, s3
	s_mul_i32 s3, s23, s25
	s_sub_i32 s3, s6, s3
	v_readlane_b32 s4, v46, 0
	v_readlane_b32 s6, v46, 2
	v_readlane_b32 s7, v46, 3
	v_readlane_b32 s5, v46, 1
	s_mov_b32 s22, s6
	v_readlane_b32 s7, v46, 20
	s_mov_b64 s[20:21], s[4:5]
	s_mul_i32 s4, s7, s24
	s_sub_i32 s4, s23, s4
	s_add_i32 s5, s7, 1
	s_sub_i32 s6, s4, s24
	s_cmp_ge_u32 s4, s24
	s_cselect_b32 s5, s5, s7
	s_cselect_b32 s4, s6, s4
	s_add_i32 s6, s5, 1
	s_cmp_ge_u32 s4, s24
	s_cselect_b32 s4, s6, s5
	s_mul_i32 s5, s4, s24
	s_sub_i32 s5, s23, s5
	s_mul_i32 s3, s3, s22
	s_mul_i32 s5, s5, s21
	s_add_i32 s3, s5, s3
	s_mul_i32 s4, s4, s20
	s_add_i32 s4, s3, s4
	s_mov_b32 s3, 0
	s_lshl_b64 s[6:7], s[2:3], 2
	v_readlane_b32 s20, v46, 10
	s_load_dword s39, s[18:19], 0x1c8
	s_load_dword s40, s[18:19], 0x2a8
	v_readlane_b32 s21, v46, 11
	s_add_u32 s35, s20, s6
	s_mov_b32 s5, s3
	s_addc_u32 s36, s21, s7
	s_lshl_b64 s[2:3], s[4:5], 3
	v_readlane_b32 s4, v46, 4
	v_readlane_b32 s5, v46, 5
	s_add_u32 s37, s4, s2
	s_addc_u32 s38, s5, s3
	v_cmp_gt_u32_e32 vcc, s34, v0
	s_mov_b64 s[2:3], -1
	s_mov_b64 s[30:31], 0
	s_mov_b64 s[4:5], 0
	s_and_saveexec_b64 s[18:19], vcc
	s_cbranch_execnz .LBB36_419
; %bb.409:
	s_or_b64 exec, exec, s[18:19]
	s_and_saveexec_b64 s[6:7], s[2:3]
	s_cbranch_execnz .LBB36_434
.LBB36_410:
	s_or_b64 exec, exec, s[6:7]
	s_and_saveexec_b64 s[0:1], s[4:5]
	s_xor_b64 s[0:1], exec, s[0:1]
	s_cbranch_execnz .LBB36_457
.LBB36_411:
	s_or_b64 exec, exec, s[0:1]
	s_and_b64 s[18:19], s[30:31], exec
.LBB36_412:
	s_andn2_saveexec_b64 s[0:1], s[16:17]
	s_cbranch_execnz .LBB36_459
.LBB36_413:
	s_or_b64 exec, exec, s[0:1]
	s_and_b64 s[18:19], s[18:19], exec
.LBB36_414:
	s_andn2_saveexec_b64 s[0:1], s[14:15]
	s_cbranch_execnz .LBB36_458
.LBB36_415:
	s_or_b64 exec, exec, s[0:1]
	s_and_b64 s[14:15], s[18:19], exec
.LBB36_416:
	s_andn2_saveexec_b64 s[0:1], s[12:13]
	s_cbranch_execnz .LBB36_453
.LBB36_417:
	s_or_b64 exec, exec, s[0:1]
	s_and_b64 s[12:13], s[14:15], exec
	s_andn2_saveexec_b64 s[0:1], s[10:11]
	s_cbranch_execz .LBB36_396
.LBB36_418:
	s_or_b64 s[12:13], s[12:13], exec
	s_trap 2
	s_or_b64 exec, exec, s[0:1]
	s_and_saveexec_b64 s[0:1], s[12:13]
	s_cbranch_execnz .LBB36_397
	s_branch .LBB36_398
.LBB36_419:
	v_add_u32_e32 v1, s9, v0
	v_readlane_b32 s2, v46, 12
	v_mul_lo_u32 v1, s2, v1
	v_xor_b32_e32 v7, 0x80000000, v11
	s_mov_b64 s[20:21], 0
	v_mov_b32_e32 v2, 0
	v_mov_b32_e32 v3, v0
                                        ; implicit-def: $sgpr22_sgpr23
                                        ; implicit-def: $vgpr9
	s_branch .LBB36_421
.LBB36_420:                             ;   in Loop: Header=BB36_421 Depth=1
	s_or_b64 exec, exec, s[24:25]
	s_xor_b64 s[2:3], s[2:3], -1
	s_and_b64 s[4:5], exec, s[6:7]
	s_or_b64 s[20:21], s[4:5], s[20:21]
	s_andn2_b64 s[4:5], s[22:23], exec
	s_and_b64 s[2:3], s[2:3], exec
	s_or_b64 s[22:23], s[4:5], s[2:3]
	v_mov_b32_e32 v4, v10
	v_mov_b32_e32 v3, v8
	s_andn2_b64 exec, exec, s[20:21]
	s_cbranch_execz .LBB36_433
.LBB36_421:                             ; =>This Inner Loop Header: Depth=1
	v_add_u32_e32 v8, s9, v3
	v_cmp_gt_u32_e64 s[4:5], s60, v8
	v_mov_b32_e32 v10, 0
	s_and_saveexec_b64 s[2:3], s[4:5]
	s_cbranch_execz .LBB36_423
; %bb.422:                              ;   in Loop: Header=BB36_421 Depth=1
	v_lshlrev_b64 v[12:13], 2, v[1:2]
	v_mov_b32_e32 v10, s8
	v_add_co_u32_e64 v12, s[4:5], s33, v12
	v_addc_co_u32_e64 v13, s[4:5], v10, v13, s[4:5]
	global_load_dword v10, v[12:13], off
.LBB36_423:                             ;   in Loop: Header=BB36_421 Depth=1
	s_or_b64 exec, exec, s[2:3]
	s_waitcnt vmcnt(0)
	v_xor_b32_e32 v12, 0x80000000, v4
	v_cmp_gt_u32_e64 s[6:7], v12, v7
	v_cndmask_b32_e64 v13, 0, 1, s[6:7]
	v_cmp_lt_u32_e64 s[6:7], v12, v7
	v_cndmask_b32_e64 v12, 0, 1, s[6:7]
	v_cndmask_b32_e64 v12, v12, v13, s[42:43]
	v_and_b32_e32 v12, 1, v12
	v_cmp_gt_u32_e64 s[4:5], s60, v3
	v_cmp_eq_u32_e64 s[6:7], 1, v12
	s_and_b64 s[26:27], s[4:5], s[6:7]
	v_cndmask_b32_e64 v12, 0, 1, s[26:27]
	v_cmp_ne_u32_e64 s[4:5], 0, v12
	s_cmp_lg_u64 s[4:5], 0
	s_cselect_b64 s[2:3], -1, 0
	s_and_b64 s[2:3], s[0:1], s[2:3]
	s_and_saveexec_b64 s[24:25], s[2:3]
	s_cbranch_execz .LBB36_427
; %bb.424:                              ;   in Loop: Header=BB36_421 Depth=1
	s_mov_b64 s[28:29], exec
	s_waitcnt lgkmcnt(0)
	v_mbcnt_lo_u32_b32 v9, s28, 0
	v_mbcnt_hi_u32_b32 v9, s29, v9
	s_bcnt1_i32_b64 s41, s[4:5]
	v_cmp_eq_u32_e64 s[6:7], 0, v9
                                        ; implicit-def: $vgpr12
	s_and_saveexec_b64 s[2:3], s[6:7]
; %bb.425:                              ;   in Loop: Header=BB36_421 Depth=1
	s_bcnt1_i32_b64 s6, s[28:29]
	s_mul_i32 s6, s41, s6
	v_mov_b32_e32 v12, s6
	ds_add_rtn_u32 v12, v2, v12 offset:4108
; %bb.426:                              ;   in Loop: Header=BB36_421 Depth=1
	s_or_b64 exec, exec, s[2:3]
	s_waitcnt lgkmcnt(0)
	v_readfirstlane_b32 s2, v12
	v_mov_b32_e32 v12, s2
	v_mad_u32_u24 v9, s41, v9, v12
.LBB36_427:                             ;   in Loop: Header=BB36_421 Depth=1
	s_or_b64 exec, exec, s[24:25]
	s_waitcnt lgkmcnt(0)
	ds_bpermute_b32 v9, v16, v9
	s_mov_b64 s[6:7], -1
	s_mov_b64 s[28:29], -1
	s_and_saveexec_b64 s[24:25], s[26:27]
	s_cbranch_execz .LBB36_431
; %bb.428:                              ;   in Loop: Header=BB36_421 Depth=1
	v_and_b32_e32 v13, s4, v18
	v_and_b32_e32 v12, s5, v17
	v_bcnt_u32_b32 v13, v13, 0
	v_bcnt_u32_b32 v12, v12, v13
	s_waitcnt lgkmcnt(0)
	v_add_u32_e32 v12, v9, v12
	v_cmp_gt_u32_e64 s[4:5], s61, v12
	s_mov_b64 s[26:27], 0
	s_and_saveexec_b64 s[28:29], s[4:5]
; %bb.429:                              ;   in Loop: Header=BB36_421 Depth=1
	v_mul_lo_u32 v13, v12, s39
	v_mov_b32_e32 v14, v2
	v_mul_lo_u32 v12, v12, s40
	v_mov_b32_e32 v15, s36
	v_lshlrev_b64 v[13:14], 2, v[13:14]
	s_mov_b64 s[26:27], exec
	v_add_co_u32_e64 v13, s[4:5], s35, v13
	v_addc_co_u32_e64 v14, s[4:5], v15, v14, s[4:5]
	global_store_dword v[13:14], v4, off
	v_mov_b32_e32 v13, v2
	v_lshlrev_b64 v[12:13], 3, v[12:13]
	v_mov_b32_e32 v14, s38
	v_add_co_u32_e64 v12, s[4:5], s37, v12
	v_mov_b32_e32 v4, v2
	v_addc_co_u32_e64 v13, s[4:5], v14, v13, s[4:5]
	global_store_dwordx2 v[12:13], v[3:4], off
; %bb.430:                              ;   in Loop: Header=BB36_421 Depth=1
	s_or_b64 exec, exec, s[28:29]
	s_orn2_b64 s[28:29], s[26:27], exec
.LBB36_431:                             ;   in Loop: Header=BB36_421 Depth=1
	s_or_b64 exec, exec, s[24:25]
	s_mov_b64 s[2:3], -1
	s_and_saveexec_b64 s[24:25], s[28:29]
	s_cbranch_execz .LBB36_420
; %bb.432:                              ;   in Loop: Header=BB36_421 Depth=1
	v_cmp_le_u32_e64 s[4:5], s34, v8
	v_add_u32_e32 v1, s83, v1
	s_xor_b64 s[2:3], exec, -1
	s_orn2_b64 s[6:7], s[4:5], exec
	s_branch .LBB36_420
.LBB36_433:
	s_or_b64 exec, exec, s[20:21]
	s_mov_b64 s[4:5], exec
	s_orn2_b64 s[2:3], s[22:23], exec
	s_or_b64 exec, exec, s[18:19]
	s_and_saveexec_b64 s[6:7], s[2:3]
	s_cbranch_execz .LBB36_410
.LBB36_434:
	v_mov_b32_e32 v1, 0
	s_waitcnt vmcnt(0) lgkmcnt(0)
	s_barrier
	s_mov_b64 s[2:3], exec
	v_readlane_b32 s18, v46, 32
	v_readlane_b32 s19, v46, 33
	s_and_b64 s[18:19], s[2:3], s[18:19]
	s_mov_b64 exec, s[18:19]
	s_cbranch_execz .LBB36_436
; %bb.435:
	global_load_dword v1, v[5:6], off
.LBB36_436:
	s_or_b64 exec, exec, s[2:3]
	s_mov_b64 s[2:3], 0
	s_and_saveexec_b64 s[30:31], vcc
	s_cbranch_execz .LBB36_456
; %bb.437:
	v_add_u32_e32 v2, s9, v0
	v_readlane_b32 s2, v46, 12
	v_mul_lo_u32 v2, s2, v2
	s_mov_b64 s[18:19], 0
	v_mov_b32_e32 v3, 0
                                        ; implicit-def: $sgpr20_sgpr21
                                        ; implicit-def: $vgpr5
	s_branch .LBB36_440
.LBB36_438:                             ;   in Loop: Header=BB36_440 Depth=1
	s_or_b64 exec, exec, s[24:25]
	s_orn2_b64 s[26:27], s[28:29], exec
	s_orn2_b64 s[24:25], s[22:23], exec
.LBB36_439:                             ;   in Loop: Header=BB36_440 Depth=1
	s_or_b64 exec, exec, s[2:3]
	s_xor_b64 s[2:3], s[26:27], -1
	s_and_b64 s[22:23], exec, s[24:25]
	s_or_b64 s[18:19], s[22:23], s[18:19]
	s_andn2_b64 s[20:21], s[20:21], exec
	s_and_b64 s[2:3], s[2:3], exec
	s_or_b64 s[20:21], s[20:21], s[2:3]
	v_mov_b32_e32 v0, v4
	v_mov_b32_e32 v1, v6
	s_andn2_b64 exec, exec, s[18:19]
	s_cbranch_execz .LBB36_454
.LBB36_440:                             ; =>This Inner Loop Header: Depth=1
	v_add_u32_e32 v4, s9, v0
	v_cmp_gt_u32_e32 vcc, s60, v4
	v_mov_b32_e32 v6, 0
	s_and_saveexec_b64 s[2:3], vcc
	s_cbranch_execz .LBB36_442
; %bb.441:                              ;   in Loop: Header=BB36_440 Depth=1
	v_lshlrev_b64 v[6:7], 2, v[2:3]
	v_mov_b32_e32 v8, s8
	v_add_co_u32_e32 v6, vcc, s33, v6
	v_addc_co_u32_e32 v7, vcc, v8, v7, vcc
	global_load_dword v6, v[6:7], off
.LBB36_442:                             ;   in Loop: Header=BB36_440 Depth=1
	s_or_b64 exec, exec, s[2:3]
	v_cmp_gt_u32_e32 vcc, s60, v0
	s_waitcnt vmcnt(0)
	v_cmp_eq_u32_e64 s[2:3], v1, v11
	s_and_b64 s[22:23], vcc, s[2:3]
	v_cndmask_b32_e64 v1, 0, 1, s[22:23]
	v_cmp_ne_u32_e32 vcc, 0, v1
	s_cmp_lg_u64 vcc, 0
	s_cselect_b64 s[2:3], -1, 0
	s_and_b64 s[2:3], s[0:1], s[2:3]
	s_and_saveexec_b64 s[24:25], s[2:3]
	s_cbranch_execz .LBB36_446
; %bb.443:                              ;   in Loop: Header=BB36_440 Depth=1
	s_mov_b64 s[28:29], exec
	v_mbcnt_lo_u32_b32 v1, s28, 0
	v_mbcnt_hi_u32_b32 v1, s29, v1
	s_bcnt1_i32_b64 s41, vcc
	v_cmp_eq_u32_e64 s[2:3], 0, v1
                                        ; implicit-def: $vgpr5
	s_and_saveexec_b64 s[26:27], s[2:3]
; %bb.444:                              ;   in Loop: Header=BB36_440 Depth=1
	s_bcnt1_i32_b64 s2, s[28:29]
	s_mul_i32 s2, s41, s2
	v_mov_b32_e32 v5, s2
	ds_add_rtn_u32 v5, v3, v5 offset:4108
; %bb.445:                              ;   in Loop: Header=BB36_440 Depth=1
	s_or_b64 exec, exec, s[26:27]
	s_waitcnt lgkmcnt(0)
	v_readfirstlane_b32 s2, v5
	v_mov_b32_e32 v5, s2
	v_mad_u32_u24 v5, s41, v1, v5
.LBB36_446:                             ;   in Loop: Header=BB36_440 Depth=1
	s_or_b64 exec, exec, s[24:25]
	ds_bpermute_b32 v5, v16, v5
	s_cmp_eq_u64 vcc, 0
	s_cselect_b64 s[26:27], -1, 0
	s_mov_b64 s[24:25], -1
	s_waitcnt lgkmcnt(0)
	v_cmp_gt_u32_e64 s[2:3], s61, v5
	s_or_b64 s[28:29], s[26:27], s[2:3]
	s_mov_b64 s[26:27], -1
	s_and_saveexec_b64 s[2:3], s[28:29]
	s_cbranch_execz .LBB36_439
; %bb.447:                              ;   in Loop: Header=BB36_440 Depth=1
	v_and_b32_e32 v7, vcc_lo, v18
	v_and_b32_e32 v1, vcc_hi, v17
	v_bcnt_u32_b32 v7, v7, 0
	v_bcnt_u32_b32 v1, v1, v7
	v_sub_u32_e32 v7, s61, v5
	v_cmp_gt_u32_e32 vcc, v7, v1
	s_and_b64 s[42:43], s[22:23], vcc
	s_mov_b64 s[22:23], -1
	s_mov_b64 s[28:29], -1
	s_and_saveexec_b64 s[24:25], s[42:43]
	s_cbranch_execz .LBB36_451
; %bb.448:                              ;   in Loop: Header=BB36_440 Depth=1
	v_add_u32_e32 v1, v5, v1
	v_cmp_gt_u32_e32 vcc, s61, v1
	s_mov_b64 s[26:27], 0
	s_and_saveexec_b64 s[28:29], vcc
; %bb.449:                              ;   in Loop: Header=BB36_440 Depth=1
	v_mul_lo_u32 v7, v1, s39
	v_mov_b32_e32 v8, v3
	v_mul_lo_u32 v9, v1, s40
	v_mov_b32_e32 v1, s36
	v_lshlrev_b64 v[7:8], 2, v[7:8]
	v_mov_b32_e32 v10, v3
	v_add_co_u32_e32 v7, vcc, s35, v7
	v_addc_co_u32_e32 v8, vcc, v1, v8, vcc
	global_store_dword v[7:8], v11, off
	v_lshlrev_b64 v[7:8], 3, v[9:10]
	v_mov_b32_e32 v9, s38
	v_add_co_u32_e32 v7, vcc, s37, v7
	s_mov_b64 s[26:27], exec
	v_mov_b32_e32 v1, v3
	v_addc_co_u32_e32 v8, vcc, v9, v8, vcc
	global_store_dwordx2 v[7:8], v[0:1], off
; %bb.450:                              ;   in Loop: Header=BB36_440 Depth=1
	s_or_b64 exec, exec, s[28:29]
	s_xor_b64 s[28:29], exec, -1
	s_orn2_b64 s[26:27], s[26:27], exec
.LBB36_451:                             ;   in Loop: Header=BB36_440 Depth=1
	s_or_b64 exec, exec, s[24:25]
	s_and_saveexec_b64 s[24:25], s[26:27]
	s_cbranch_execz .LBB36_438
; %bb.452:                              ;   in Loop: Header=BB36_440 Depth=1
	v_cmp_le_u32_e32 vcc, s34, v4
	v_add_u32_e32 v2, s83, v2
	s_or_b64 s[28:29], s[28:29], exec
	s_orn2_b64 s[22:23], vcc, exec
	s_branch .LBB36_438
.LBB36_453:
	s_or_b64 s[14:15], s[14:15], exec
	s_trap 2
	s_branch .LBB36_417
.LBB36_454:
	s_or_b64 exec, exec, s[18:19]
	s_mov_b64 s[0:1], 0
	s_and_saveexec_b64 s[2:3], s[20:21]
	s_xor_b64 s[2:3], exec, s[2:3]
	s_cbranch_execnz .LBB36_460
.LBB36_455:
	s_or_b64 exec, exec, s[2:3]
	s_and_b64 s[2:3], s[0:1], exec
.LBB36_456:
	s_or_b64 exec, exec, s[30:31]
	s_and_b64 s[30:31], s[2:3], exec
	s_andn2_b64 s[4:5], s[4:5], exec
	s_or_b64 exec, exec, s[6:7]
	s_and_saveexec_b64 s[0:1], s[4:5]
	s_xor_b64 s[0:1], exec, s[0:1]
	s_cbranch_execz .LBB36_411
.LBB36_457:
	s_trap 2
	s_or_b64 s[30:31], s[30:31], exec
	s_branch .LBB36_411
.LBB36_458:
	s_or_b64 s[18:19], s[18:19], exec
	s_trap 2
	s_branch .LBB36_415
.LBB36_459:
	s_trap 2
	s_or_b64 s[18:19], s[18:19], exec
	s_branch .LBB36_413
.LBB36_460:
	s_mov_b64 s[0:1], exec
	s_trap 2
	s_branch .LBB36_455
	.section	.rodata,"a",@progbits
	.p2align	6, 0x0
	.amdhsa_kernel _ZN2at6native6sbtopk10gatherTopKIijLi3ELb0EEEvNS_4cuda6detail10TensorInfoIKT_T0_EES8_S8_bS8_S8_NS5_IS6_S8_EES8_NS5_IlS8_EES8_PS6_
		.amdhsa_group_segment_fixed_size 4112
		.amdhsa_private_segment_fixed_size 0
		.amdhsa_kernarg_size 952
		.amdhsa_user_sgpr_count 6
		.amdhsa_user_sgpr_private_segment_buffer 1
		.amdhsa_user_sgpr_dispatch_ptr 0
		.amdhsa_user_sgpr_queue_ptr 0
		.amdhsa_user_sgpr_kernarg_segment_ptr 1
		.amdhsa_user_sgpr_dispatch_id 0
		.amdhsa_user_sgpr_flat_scratch_init 0
		.amdhsa_user_sgpr_private_segment_size 0
		.amdhsa_uses_dynamic_stack 0
		.amdhsa_system_sgpr_private_segment_wavefront_offset 0
		.amdhsa_system_sgpr_workgroup_id_x 1
		.amdhsa_system_sgpr_workgroup_id_y 1
		.amdhsa_system_sgpr_workgroup_id_z 1
		.amdhsa_system_sgpr_workgroup_info 0
		.amdhsa_system_vgpr_workitem_id 0
		.amdhsa_next_free_vgpr 47
		.amdhsa_next_free_sgpr 96
		.amdhsa_reserve_vcc 1
		.amdhsa_reserve_flat_scratch 0
		.amdhsa_float_round_mode_32 0
		.amdhsa_float_round_mode_16_64 0
		.amdhsa_float_denorm_mode_32 3
		.amdhsa_float_denorm_mode_16_64 3
		.amdhsa_dx10_clamp 1
		.amdhsa_ieee_mode 1
		.amdhsa_fp16_overflow 0
		.amdhsa_exception_fp_ieee_invalid_op 0
		.amdhsa_exception_fp_denorm_src 0
		.amdhsa_exception_fp_ieee_div_zero 0
		.amdhsa_exception_fp_ieee_overflow 0
		.amdhsa_exception_fp_ieee_underflow 0
		.amdhsa_exception_fp_ieee_inexact 0
		.amdhsa_exception_int_div_zero 0
	.end_amdhsa_kernel
	.section	.text._ZN2at6native6sbtopk10gatherTopKIijLi3ELb0EEEvNS_4cuda6detail10TensorInfoIKT_T0_EES8_S8_bS8_S8_NS5_IS6_S8_EES8_NS5_IlS8_EES8_PS6_,"axG",@progbits,_ZN2at6native6sbtopk10gatherTopKIijLi3ELb0EEEvNS_4cuda6detail10TensorInfoIKT_T0_EES8_S8_bS8_S8_NS5_IS6_S8_EES8_NS5_IlS8_EES8_PS6_,comdat
.Lfunc_end36:
	.size	_ZN2at6native6sbtopk10gatherTopKIijLi3ELb0EEEvNS_4cuda6detail10TensorInfoIKT_T0_EES8_S8_bS8_S8_NS5_IS6_S8_EES8_NS5_IlS8_EES8_PS6_, .Lfunc_end36-_ZN2at6native6sbtopk10gatherTopKIijLi3ELb0EEEvNS_4cuda6detail10TensorInfoIKT_T0_EES8_S8_bS8_S8_NS5_IS6_S8_EES8_NS5_IlS8_EES8_PS6_
                                        ; -- End function
	.set _ZN2at6native6sbtopk10gatherTopKIijLi3ELb0EEEvNS_4cuda6detail10TensorInfoIKT_T0_EES8_S8_bS8_S8_NS5_IS6_S8_EES8_NS5_IlS8_EES8_PS6_.num_vgpr, 47
	.set _ZN2at6native6sbtopk10gatherTopKIijLi3ELb0EEEvNS_4cuda6detail10TensorInfoIKT_T0_EES8_S8_bS8_S8_NS5_IS6_S8_EES8_NS5_IlS8_EES8_PS6_.num_agpr, 0
	.set _ZN2at6native6sbtopk10gatherTopKIijLi3ELb0EEEvNS_4cuda6detail10TensorInfoIKT_T0_EES8_S8_bS8_S8_NS5_IS6_S8_EES8_NS5_IlS8_EES8_PS6_.numbered_sgpr, 96
	.set _ZN2at6native6sbtopk10gatherTopKIijLi3ELb0EEEvNS_4cuda6detail10TensorInfoIKT_T0_EES8_S8_bS8_S8_NS5_IS6_S8_EES8_NS5_IlS8_EES8_PS6_.num_named_barrier, 0
	.set _ZN2at6native6sbtopk10gatherTopKIijLi3ELb0EEEvNS_4cuda6detail10TensorInfoIKT_T0_EES8_S8_bS8_S8_NS5_IS6_S8_EES8_NS5_IlS8_EES8_PS6_.private_seg_size, 0
	.set _ZN2at6native6sbtopk10gatherTopKIijLi3ELb0EEEvNS_4cuda6detail10TensorInfoIKT_T0_EES8_S8_bS8_S8_NS5_IS6_S8_EES8_NS5_IlS8_EES8_PS6_.uses_vcc, 1
	.set _ZN2at6native6sbtopk10gatherTopKIijLi3ELb0EEEvNS_4cuda6detail10TensorInfoIKT_T0_EES8_S8_bS8_S8_NS5_IS6_S8_EES8_NS5_IlS8_EES8_PS6_.uses_flat_scratch, 0
	.set _ZN2at6native6sbtopk10gatherTopKIijLi3ELb0EEEvNS_4cuda6detail10TensorInfoIKT_T0_EES8_S8_bS8_S8_NS5_IS6_S8_EES8_NS5_IlS8_EES8_PS6_.has_dyn_sized_stack, 0
	.set _ZN2at6native6sbtopk10gatherTopKIijLi3ELb0EEEvNS_4cuda6detail10TensorInfoIKT_T0_EES8_S8_bS8_S8_NS5_IS6_S8_EES8_NS5_IlS8_EES8_PS6_.has_recursion, 0
	.set _ZN2at6native6sbtopk10gatherTopKIijLi3ELb0EEEvNS_4cuda6detail10TensorInfoIKT_T0_EES8_S8_bS8_S8_NS5_IS6_S8_EES8_NS5_IlS8_EES8_PS6_.has_indirect_call, 0
	.section	.AMDGPU.csdata,"",@progbits
; Kernel info:
; codeLenInByte = 15212
; TotalNumSgprs: 100
; NumVgprs: 47
; ScratchSize: 0
; MemoryBound: 0
; FloatMode: 240
; IeeeMode: 1
; LDSByteSize: 4112 bytes/workgroup (compile time only)
; SGPRBlocks: 12
; VGPRBlocks: 11
; NumSGPRsForWavesPerEU: 100
; NumVGPRsForWavesPerEU: 47
; Occupancy: 5
; WaveLimiterHint : 1
; COMPUTE_PGM_RSRC2:SCRATCH_EN: 0
; COMPUTE_PGM_RSRC2:USER_SGPR: 6
; COMPUTE_PGM_RSRC2:TRAP_HANDLER: 0
; COMPUTE_PGM_RSRC2:TGID_X_EN: 1
; COMPUTE_PGM_RSRC2:TGID_Y_EN: 1
; COMPUTE_PGM_RSRC2:TGID_Z_EN: 1
; COMPUTE_PGM_RSRC2:TIDIG_COMP_CNT: 0
	.section	.text._ZN2at6native6mbtopk23computeBlockDigitCountsIijjLin1EEEvNS_4cuda6detail10TensorInfoIKT_T0_EEjPjjS8_iijT1_PSB_Ps,"axG",@progbits,_ZN2at6native6mbtopk23computeBlockDigitCountsIijjLin1EEEvNS_4cuda6detail10TensorInfoIKT_T0_EEjPjjS8_iijT1_PSB_Ps,comdat
	.protected	_ZN2at6native6mbtopk23computeBlockDigitCountsIijjLin1EEEvNS_4cuda6detail10TensorInfoIKT_T0_EEjPjjS8_iijT1_PSB_Ps ; -- Begin function _ZN2at6native6mbtopk23computeBlockDigitCountsIijjLin1EEEvNS_4cuda6detail10TensorInfoIKT_T0_EEjPjjS8_iijT1_PSB_Ps
	.globl	_ZN2at6native6mbtopk23computeBlockDigitCountsIijjLin1EEEvNS_4cuda6detail10TensorInfoIKT_T0_EEjPjjS8_iijT1_PSB_Ps
	.p2align	8
	.type	_ZN2at6native6mbtopk23computeBlockDigitCountsIijjLin1EEEvNS_4cuda6detail10TensorInfoIKT_T0_EEjPjjS8_iijT1_PSB_Ps,@function
_ZN2at6native6mbtopk23computeBlockDigitCountsIijjLin1EEEvNS_4cuda6detail10TensorInfoIKT_T0_EEjPjjS8_iijT1_PSB_Ps: ; @_ZN2at6native6mbtopk23computeBlockDigitCountsIijjLin1EEEvNS_4cuda6detail10TensorInfoIKT_T0_EEjPjjS8_iijT1_PSB_Ps
; %bb.0:
	s_load_dwordx2 s[10:11], s[4:5], 0xf8
	s_load_dwordx4 s[12:15], s[4:5], 0xe8
	s_load_dwordx2 s[0:1], s[4:5], 0x110
	s_mov_b32 s9, 0
	s_waitcnt lgkmcnt(0)
	v_cvt_f32_u32_e32 v1, s10
	s_sub_i32 s2, 0, s10
	s_mul_i32 s1, s1, s8
	s_add_i32 s1, s1, s7
	v_rcp_iflag_f32_e32 v1, v1
	s_mul_i32 s16, s1, s0
	s_add_i32 s16, s16, s6
	v_mul_f32_e32 v1, 0x4f7ffffe, v1
	v_cvt_u32_f32_e32 v1, v1
	v_readfirstlane_b32 s0, v1
	s_mul_i32 s2, s2, s0
	s_mul_hi_u32 s1, s0, s2
	s_add_i32 s0, s0, s1
	s_mul_hi_u32 s0, s16, s0
	s_mul_i32 s1, s0, s10
	s_sub_i32 s1, s16, s1
	s_add_i32 s2, s0, 1
	s_sub_i32 s3, s1, s10
	s_cmp_ge_u32 s1, s10
	s_cselect_b32 s0, s2, s0
	s_cselect_b32 s1, s3, s1
	s_add_i32 s2, s0, 1
	s_cmp_ge_u32 s1, s10
	s_cselect_b32 s8, s2, s0
	s_cmp_ge_u32 s8, s12
	s_cbranch_scc1 .LBB37_30
; %bb.1:
	s_load_dwordx4 s[0:3], s[4:5], 0x100
	s_load_dword s6, s[4:5], 0xd0
	s_lshl_b64 s[18:19], s[8:9], 2
	s_waitcnt lgkmcnt(0)
	s_add_u32 s0, s0, s18
	s_addc_u32 s1, s1, s19
	s_cmp_lt_i32 s6, 2
	s_mov_b32 s19, s8
	s_cbranch_scc1 .LBB37_4
; %bb.2:
	s_add_i32 s20, s6, -1
	s_mov_b32 s21, 0
	s_add_i32 s12, s6, 1
	s_lshl_b64 s[6:7], s[20:21], 2
	s_add_u32 s6, s4, s6
	s_addc_u32 s7, s5, s7
	s_add_u32 s6, s6, 8
	s_addc_u32 s7, s7, 0
	s_mov_b32 s19, s8
	s_mov_b32 s9, s21
.LBB37_3:                               ; =>This Inner Loop Header: Depth=1
	s_load_dword s17, s[6:7], 0x0
	s_load_dword s20, s[6:7], 0x64
	s_mov_b32 s18, s19
	s_waitcnt lgkmcnt(0)
	v_cvt_f32_u32_e32 v1, s17
	s_sub_i32 s19, 0, s17
	v_rcp_iflag_f32_e32 v1, v1
	v_mul_f32_e32 v1, 0x4f7ffffe, v1
	v_cvt_u32_f32_e32 v1, v1
	v_readfirstlane_b32 s21, v1
	s_mul_i32 s19, s19, s21
	s_mul_hi_u32 s19, s21, s19
	s_add_i32 s21, s21, s19
	s_mul_hi_u32 s19, s18, s21
	s_mul_i32 s21, s19, s17
	s_sub_i32 s21, s18, s21
	s_add_i32 s22, s19, 1
	s_sub_i32 s23, s21, s17
	s_cmp_ge_u32 s21, s17
	s_cselect_b32 s19, s22, s19
	s_cselect_b32 s21, s23, s21
	s_add_i32 s22, s19, 1
	s_cmp_ge_u32 s21, s17
	s_cselect_b32 s19, s22, s19
	s_mul_i32 s17, s19, s17
	s_sub_i32 s17, s18, s17
	s_mul_i32 s17, s20, s17
	s_add_i32 s12, s12, -1
	s_add_i32 s9, s17, s9
	s_add_u32 s6, s6, -4
	s_addc_u32 s7, s7, -1
	s_cmp_gt_u32 s12, 2
	s_cbranch_scc1 .LBB37_3
.LBB37_4:
	s_load_dword s12, s[0:1], 0x0
	s_movk_i32 s0, 0x100
	v_cmp_gt_u32_e32 vcc, s0, v0
	v_lshlrev_b32_e32 v3, 2, v0
	s_and_saveexec_b64 s[0:1], vcc
; %bb.5:
	v_mov_b32_e32 v1, 0
	ds_write_b32 v3, v1
; %bb.6:
	s_or_b64 exec, exec, s[0:1]
	s_load_dword s17, s[4:5], 0xd8
	s_mul_i32 s0, s8, s10
	s_sub_i32 s0, s16, s0
	s_add_i32 s6, s0, 1
	s_mul_i32 s0, s15, s0
	s_lshl_b32 s18, s0, 8
	s_waitcnt lgkmcnt(0)
	s_sub_i32 s0, s17, s18
	s_add_u32 s0, s0, 0xff
	s_addc_u32 s1, 0, 0
	s_lshr_b64 s[0:1], s[0:1], 8
	s_cmp_lt_u32 s6, s10
	s_cselect_b32 s10, s15, s0
	s_cmp_lt_i32 s10, 1
	s_mov_b32 s7, 0
	s_barrier
	s_cbranch_scc1 .LBB37_28
; %bb.7:
	s_load_dword s6, s[4:5], 0x6c
	s_load_dwordx2 s[0:1], s[4:5], 0x0
	s_waitcnt lgkmcnt(0)
	s_mul_i32 s4, s6, s19
	s_add_i32 s6, s4, s9
	s_lshl_b64 s[4:5], s[6:7], 2
	s_add_u32 s6, s0, s4
	s_addc_u32 s8, s1, s5
	s_and_b32 s9, s14, 0xff
	s_cmp_lt_u32 s10, 4
	s_cbranch_scc1 .LBB37_22
; %bb.8:
	v_add_u32_e32 v1, s18, v0
	v_add_u32_e32 v2, 0x200, v1
	;; [unrolled: 1-line block ×3, first 2 shown]
	v_mul_lo_u32 v6, s13, v2
	v_add_u32_e32 v2, 0x100, v1
	v_mul_lo_u32 v5, s13, v4
	v_mul_lo_u32 v7, s13, v2
	;; [unrolled: 1-line block ×3, first 2 shown]
	s_and_b32 s7, s10, 0x7ffffffc
	s_lshl_b32 s14, s13, 10
	s_mov_b32 s15, 0
	v_mov_b32_e32 v2, 0
	v_mov_b32_e32 v9, 1
	s_mov_b32 s19, 0
	s_branch .LBB37_10
.LBB37_9:                               ;   in Loop: Header=BB37_10 Depth=1
	s_or_b64 exec, exec, s[4:5]
	s_add_i32 s19, s19, 4
	s_add_i32 s15, s15, s14
	s_cmp_eq_u32 s7, s19
	v_add_u32_e32 v4, 0x400, v4
	s_cbranch_scc1 .LBB37_22
.LBB37_10:                              ; =>This Inner Loop Header: Depth=1
	v_add_u32_e32 v1, 0xfffffd00, v4
	v_cmp_gt_u32_e64 s[0:1], s17, v1
	s_and_saveexec_b64 s[4:5], s[0:1]
	s_cbranch_execz .LBB37_13
; %bb.11:                               ;   in Loop: Header=BB37_10 Depth=1
	v_add_u32_e32 v1, s15, v8
	v_lshlrev_b64 v[10:11], 2, v[1:2]
	v_mov_b32_e32 v1, s8
	v_add_co_u32_e64 v10, s[0:1], s6, v10
	v_addc_co_u32_e64 v11, s[0:1], v1, v11, s[0:1]
	global_load_dword v1, v[10:11], off
	s_waitcnt vmcnt(0)
	v_xor_b32_e32 v1, 0x80000000, v1
	v_xor_b32_e32 v10, s12, v1
	v_and_b32_e32 v10, s11, v10
	v_cmp_eq_u32_e64 s[0:1], 0, v10
	s_and_b64 exec, exec, s[0:1]
; %bb.12:                               ;   in Loop: Header=BB37_10 Depth=1
	v_bfe_u32 v1, v1, s9, 8
	v_lshlrev_b32_e32 v1, 2, v1
	ds_add_u32 v1, v9
.LBB37_13:                              ;   in Loop: Header=BB37_10 Depth=1
	s_or_b64 exec, exec, s[4:5]
	v_add_u32_e32 v1, 0xfffffe00, v4
	v_cmp_gt_u32_e64 s[0:1], s17, v1
	s_and_saveexec_b64 s[4:5], s[0:1]
	s_cbranch_execz .LBB37_16
; %bb.14:                               ;   in Loop: Header=BB37_10 Depth=1
	v_add_u32_e32 v1, s15, v7
	v_lshlrev_b64 v[10:11], 2, v[1:2]
	v_mov_b32_e32 v1, s8
	v_add_co_u32_e64 v10, s[0:1], s6, v10
	v_addc_co_u32_e64 v11, s[0:1], v1, v11, s[0:1]
	global_load_dword v1, v[10:11], off
	s_waitcnt vmcnt(0)
	v_xor_b32_e32 v1, 0x80000000, v1
	v_xor_b32_e32 v10, s12, v1
	v_and_b32_e32 v10, s11, v10
	v_cmp_eq_u32_e64 s[0:1], 0, v10
	s_and_b64 exec, exec, s[0:1]
; %bb.15:                               ;   in Loop: Header=BB37_10 Depth=1
	v_bfe_u32 v1, v1, s9, 8
	v_lshlrev_b32_e32 v1, 2, v1
	ds_add_u32 v1, v9
.LBB37_16:                              ;   in Loop: Header=BB37_10 Depth=1
	s_or_b64 exec, exec, s[4:5]
	;; [unrolled: 23-line block ×3, first 2 shown]
	v_cmp_gt_u32_e64 s[0:1], s17, v4
	s_and_saveexec_b64 s[4:5], s[0:1]
	s_cbranch_execz .LBB37_9
; %bb.20:                               ;   in Loop: Header=BB37_10 Depth=1
	v_add_u32_e32 v1, s15, v5
	v_lshlrev_b64 v[10:11], 2, v[1:2]
	v_mov_b32_e32 v1, s8
	v_add_co_u32_e64 v10, s[0:1], s6, v10
	v_addc_co_u32_e64 v11, s[0:1], v1, v11, s[0:1]
	global_load_dword v1, v[10:11], off
	s_waitcnt vmcnt(0)
	v_xor_b32_e32 v1, 0x80000000, v1
	v_xor_b32_e32 v10, s12, v1
	v_and_b32_e32 v10, s11, v10
	v_cmp_eq_u32_e64 s[0:1], 0, v10
	s_and_b64 exec, exec, s[0:1]
	s_cbranch_execz .LBB37_9
; %bb.21:                               ;   in Loop: Header=BB37_10 Depth=1
	v_bfe_u32 v1, v1, s9, 8
	v_lshlrev_b32_e32 v1, 2, v1
	ds_add_u32 v1, v9
	s_branch .LBB37_9
.LBB37_22:
	s_and_b32 s10, s10, 3
	s_cmp_eq_u32 s10, 0
	s_cbranch_scc1 .LBB37_28
; %bb.23:
	s_lshl_b32 s0, s7, 8
	s_add_i32 s0, s0, s18
	v_add_u32_e32 v4, s0, v0
	v_mul_lo_u32 v1, s13, v4
	s_lshl_b32 s7, s13, 8
	v_mov_b32_e32 v2, 0
	v_mov_b32_e32 v5, 1
	s_branch .LBB37_25
.LBB37_24:                              ;   in Loop: Header=BB37_25 Depth=1
	s_or_b64 exec, exec, s[4:5]
	s_add_i32 s10, s10, -1
	v_add_u32_e32 v1, s7, v1
	s_cmp_lg_u32 s10, 0
	v_add_u32_e32 v4, 0x100, v4
	s_cbranch_scc0 .LBB37_28
.LBB37_25:                              ; =>This Inner Loop Header: Depth=1
	v_cmp_gt_u32_e64 s[0:1], s17, v4
	s_and_saveexec_b64 s[4:5], s[0:1]
	s_cbranch_execz .LBB37_24
; %bb.26:                               ;   in Loop: Header=BB37_25 Depth=1
	v_lshlrev_b64 v[6:7], 2, v[1:2]
	v_mov_b32_e32 v8, s8
	v_add_co_u32_e64 v6, s[0:1], s6, v6
	v_addc_co_u32_e64 v7, s[0:1], v8, v7, s[0:1]
	global_load_dword v6, v[6:7], off
	s_waitcnt vmcnt(0)
	v_xor_b32_e32 v6, 0x80000000, v6
	v_xor_b32_e32 v7, s12, v6
	v_and_b32_e32 v7, s11, v7
	v_cmp_eq_u32_e64 s[0:1], 0, v7
	s_and_b64 exec, exec, s[0:1]
	s_cbranch_execz .LBB37_24
; %bb.27:                               ;   in Loop: Header=BB37_25 Depth=1
	v_bfe_u32 v6, v6, s9, 8
	v_lshlrev_b32_e32 v6, 2, v6
	ds_add_u32 v6, v5
	s_branch .LBB37_24
.LBB37_28:
	s_waitcnt lgkmcnt(0)
	s_barrier
	s_and_saveexec_b64 s[0:1], vcc
	s_cbranch_execz .LBB37_30
; %bb.29:
	v_lshl_or_b32 v0, s16, 8, v0
	v_mov_b32_e32 v1, 0
	ds_read_b32 v3, v3
	v_lshlrev_b64 v[0:1], 1, v[0:1]
	v_mov_b32_e32 v2, s3
	v_add_co_u32_e32 v0, vcc, s2, v0
	v_addc_co_u32_e32 v1, vcc, v2, v1, vcc
	s_waitcnt lgkmcnt(0)
	global_store_short v[0:1], v3, off
.LBB37_30:
	s_endpgm
	.section	.rodata,"a",@progbits
	.p2align	6, 0x0
	.amdhsa_kernel _ZN2at6native6mbtopk23computeBlockDigitCountsIijjLin1EEEvNS_4cuda6detail10TensorInfoIKT_T0_EEjPjjS8_iijT1_PSB_Ps
		.amdhsa_group_segment_fixed_size 1024
		.amdhsa_private_segment_fixed_size 0
		.amdhsa_kernarg_size 528
		.amdhsa_user_sgpr_count 6
		.amdhsa_user_sgpr_private_segment_buffer 1
		.amdhsa_user_sgpr_dispatch_ptr 0
		.amdhsa_user_sgpr_queue_ptr 0
		.amdhsa_user_sgpr_kernarg_segment_ptr 1
		.amdhsa_user_sgpr_dispatch_id 0
		.amdhsa_user_sgpr_flat_scratch_init 0
		.amdhsa_user_sgpr_private_segment_size 0
		.amdhsa_uses_dynamic_stack 0
		.amdhsa_system_sgpr_private_segment_wavefront_offset 0
		.amdhsa_system_sgpr_workgroup_id_x 1
		.amdhsa_system_sgpr_workgroup_id_y 1
		.amdhsa_system_sgpr_workgroup_id_z 1
		.amdhsa_system_sgpr_workgroup_info 0
		.amdhsa_system_vgpr_workitem_id 0
		.amdhsa_next_free_vgpr 12
		.amdhsa_next_free_sgpr 24
		.amdhsa_reserve_vcc 1
		.amdhsa_reserve_flat_scratch 0
		.amdhsa_float_round_mode_32 0
		.amdhsa_float_round_mode_16_64 0
		.amdhsa_float_denorm_mode_32 3
		.amdhsa_float_denorm_mode_16_64 3
		.amdhsa_dx10_clamp 1
		.amdhsa_ieee_mode 1
		.amdhsa_fp16_overflow 0
		.amdhsa_exception_fp_ieee_invalid_op 0
		.amdhsa_exception_fp_denorm_src 0
		.amdhsa_exception_fp_ieee_div_zero 0
		.amdhsa_exception_fp_ieee_overflow 0
		.amdhsa_exception_fp_ieee_underflow 0
		.amdhsa_exception_fp_ieee_inexact 0
		.amdhsa_exception_int_div_zero 0
	.end_amdhsa_kernel
	.section	.text._ZN2at6native6mbtopk23computeBlockDigitCountsIijjLin1EEEvNS_4cuda6detail10TensorInfoIKT_T0_EEjPjjS8_iijT1_PSB_Ps,"axG",@progbits,_ZN2at6native6mbtopk23computeBlockDigitCountsIijjLin1EEEvNS_4cuda6detail10TensorInfoIKT_T0_EEjPjjS8_iijT1_PSB_Ps,comdat
.Lfunc_end37:
	.size	_ZN2at6native6mbtopk23computeBlockDigitCountsIijjLin1EEEvNS_4cuda6detail10TensorInfoIKT_T0_EEjPjjS8_iijT1_PSB_Ps, .Lfunc_end37-_ZN2at6native6mbtopk23computeBlockDigitCountsIijjLin1EEEvNS_4cuda6detail10TensorInfoIKT_T0_EEjPjjS8_iijT1_PSB_Ps
                                        ; -- End function
	.set _ZN2at6native6mbtopk23computeBlockDigitCountsIijjLin1EEEvNS_4cuda6detail10TensorInfoIKT_T0_EEjPjjS8_iijT1_PSB_Ps.num_vgpr, 12
	.set _ZN2at6native6mbtopk23computeBlockDigitCountsIijjLin1EEEvNS_4cuda6detail10TensorInfoIKT_T0_EEjPjjS8_iijT1_PSB_Ps.num_agpr, 0
	.set _ZN2at6native6mbtopk23computeBlockDigitCountsIijjLin1EEEvNS_4cuda6detail10TensorInfoIKT_T0_EEjPjjS8_iijT1_PSB_Ps.numbered_sgpr, 24
	.set _ZN2at6native6mbtopk23computeBlockDigitCountsIijjLin1EEEvNS_4cuda6detail10TensorInfoIKT_T0_EEjPjjS8_iijT1_PSB_Ps.num_named_barrier, 0
	.set _ZN2at6native6mbtopk23computeBlockDigitCountsIijjLin1EEEvNS_4cuda6detail10TensorInfoIKT_T0_EEjPjjS8_iijT1_PSB_Ps.private_seg_size, 0
	.set _ZN2at6native6mbtopk23computeBlockDigitCountsIijjLin1EEEvNS_4cuda6detail10TensorInfoIKT_T0_EEjPjjS8_iijT1_PSB_Ps.uses_vcc, 1
	.set _ZN2at6native6mbtopk23computeBlockDigitCountsIijjLin1EEEvNS_4cuda6detail10TensorInfoIKT_T0_EEjPjjS8_iijT1_PSB_Ps.uses_flat_scratch, 0
	.set _ZN2at6native6mbtopk23computeBlockDigitCountsIijjLin1EEEvNS_4cuda6detail10TensorInfoIKT_T0_EEjPjjS8_iijT1_PSB_Ps.has_dyn_sized_stack, 0
	.set _ZN2at6native6mbtopk23computeBlockDigitCountsIijjLin1EEEvNS_4cuda6detail10TensorInfoIKT_T0_EEjPjjS8_iijT1_PSB_Ps.has_recursion, 0
	.set _ZN2at6native6mbtopk23computeBlockDigitCountsIijjLin1EEEvNS_4cuda6detail10TensorInfoIKT_T0_EEjPjjS8_iijT1_PSB_Ps.has_indirect_call, 0
	.section	.AMDGPU.csdata,"",@progbits
; Kernel info:
; codeLenInByte = 1396
; TotalNumSgprs: 28
; NumVgprs: 12
; ScratchSize: 0
; MemoryBound: 0
; FloatMode: 240
; IeeeMode: 1
; LDSByteSize: 1024 bytes/workgroup (compile time only)
; SGPRBlocks: 3
; VGPRBlocks: 2
; NumSGPRsForWavesPerEU: 28
; NumVGPRsForWavesPerEU: 12
; Occupancy: 10
; WaveLimiterHint : 1
; COMPUTE_PGM_RSRC2:SCRATCH_EN: 0
; COMPUTE_PGM_RSRC2:USER_SGPR: 6
; COMPUTE_PGM_RSRC2:TRAP_HANDLER: 0
; COMPUTE_PGM_RSRC2:TGID_X_EN: 1
; COMPUTE_PGM_RSRC2:TGID_Y_EN: 1
; COMPUTE_PGM_RSRC2:TGID_Z_EN: 1
; COMPUTE_PGM_RSRC2:TIDIG_COMP_CNT: 0
	.section	.text._ZN2at6native6mbtopk10gatherTopKIijLin1EEEvNS_4cuda6detail10TensorInfoIKT_T0_EES8_S8_bjS8_NS5_IS6_S8_EES8_NS5_IlS8_EES8_jjPS6_PjSD_j,"axG",@progbits,_ZN2at6native6mbtopk10gatherTopKIijLin1EEEvNS_4cuda6detail10TensorInfoIKT_T0_EES8_S8_bjS8_NS5_IS6_S8_EES8_NS5_IlS8_EES8_jjPS6_PjSD_j,comdat
	.protected	_ZN2at6native6mbtopk10gatherTopKIijLin1EEEvNS_4cuda6detail10TensorInfoIKT_T0_EES8_S8_bjS8_NS5_IS6_S8_EES8_NS5_IlS8_EES8_jjPS6_PjSD_j ; -- Begin function _ZN2at6native6mbtopk10gatherTopKIijLin1EEEvNS_4cuda6detail10TensorInfoIKT_T0_EES8_S8_bjS8_NS5_IS6_S8_EES8_NS5_IlS8_EES8_jjPS6_PjSD_j
	.globl	_ZN2at6native6mbtopk10gatherTopKIijLin1EEEvNS_4cuda6detail10TensorInfoIKT_T0_EES8_S8_bjS8_NS5_IS6_S8_EES8_NS5_IlS8_EES8_jjPS6_PjSD_j
	.p2align	8
	.type	_ZN2at6native6mbtopk10gatherTopKIijLin1EEEvNS_4cuda6detail10TensorInfoIKT_T0_EES8_S8_bjS8_NS5_IS6_S8_EES8_NS5_IlS8_EES8_jjPS6_PjSD_j,@function
_ZN2at6native6mbtopk10gatherTopKIijLin1EEEvNS_4cuda6detail10TensorInfoIKT_T0_EES8_S8_bjS8_NS5_IS6_S8_EES8_NS5_IlS8_EES8_jjPS6_PjSD_j: ; @_ZN2at6native6mbtopk10gatherTopKIijLin1EEEvNS_4cuda6detail10TensorInfoIKT_T0_EES8_S8_bjS8_NS5_IS6_S8_EES8_NS5_IlS8_EES8_jjPS6_PjSD_j
; %bb.0:
	s_load_dwordx2 s[0:1], s[4:5], 0x2d8
	s_load_dword s2, s[4:5], 0x2d0
	s_waitcnt lgkmcnt(0)
	s_mul_i32 s1, s1, s8
	s_add_i32 s1, s1, s7
	s_mul_i32 s12, s1, s0
	s_add_i32 s12, s12, s6
	s_cmp_ge_u32 s12, s2
	s_cbranch_scc1 .LBB38_49
; %bb.1:
	s_load_dwordx4 s[8:11], s[4:5], 0x2a8
	s_load_dword s0, s[4:5], 0xd0
	s_mov_b32 s7, 0
	s_waitcnt lgkmcnt(0)
	v_cvt_f32_u32_e32 v1, s10
	s_sub_i32 s1, 0, s10
	v_rcp_iflag_f32_e32 v1, v1
	v_mul_f32_e32 v1, 0x4f7ffffe, v1
	v_cvt_u32_f32_e32 v1, v1
	v_readfirstlane_b32 s2, v1
	s_mul_i32 s1, s1, s2
	s_mul_hi_u32 s1, s2, s1
	s_add_i32 s2, s2, s1
	s_mul_hi_u32 s1, s12, s2
	s_mul_i32 s2, s1, s10
	s_sub_i32 s2, s12, s2
	s_add_i32 s3, s1, 1
	s_sub_i32 s6, s2, s10
	s_cmp_ge_u32 s2, s10
	s_cselect_b32 s1, s3, s1
	s_cselect_b32 s2, s6, s2
	s_add_i32 s3, s1, 1
	s_cmp_ge_u32 s2, s10
	s_cselect_b32 s20, s3, s1
	s_cmp_lt_i32 s0, 2
	s_mov_b32 s6, s20
	s_cbranch_scc1 .LBB38_4
; %bb.2:
	s_add_i32 s6, s0, -1
	s_add_i32 s2, s0, 1
	s_lshl_b64 s[0:1], s[6:7], 2
	s_add_u32 s0, s4, s0
	s_addc_u32 s1, s5, s1
	s_add_u32 s0, s0, 8
	s_addc_u32 s1, s1, 0
	s_mov_b32 s6, s20
.LBB38_3:                               ; =>This Inner Loop Header: Depth=1
	s_load_dword s3, s[0:1], 0x0
	s_load_dword s13, s[0:1], 0x64
	s_mov_b32 s11, s6
	s_waitcnt lgkmcnt(0)
	v_cvt_f32_u32_e32 v1, s3
	s_sub_i32 s6, 0, s3
	v_rcp_iflag_f32_e32 v1, v1
	v_mul_f32_e32 v1, 0x4f7ffffe, v1
	v_cvt_u32_f32_e32 v1, v1
	v_readfirstlane_b32 s14, v1
	s_mul_i32 s6, s6, s14
	s_mul_hi_u32 s6, s14, s6
	s_add_i32 s14, s14, s6
	s_mul_hi_u32 s6, s11, s14
	s_mul_i32 s14, s6, s3
	s_sub_i32 s14, s11, s14
	s_add_i32 s15, s6, 1
	s_sub_i32 s16, s14, s3
	s_cmp_ge_u32 s14, s3
	s_cselect_b32 s6, s15, s6
	s_cselect_b32 s14, s16, s14
	s_add_i32 s15, s6, 1
	s_cmp_ge_u32 s14, s3
	s_cselect_b32 s6, s15, s6
	s_mul_i32 s3, s6, s3
	s_sub_i32 s3, s11, s3
	s_mul_i32 s3, s13, s3
	s_add_i32 s2, s2, -1
	s_add_i32 s7, s3, s7
	s_add_u32 s0, s0, -4
	s_addc_u32 s1, s1, -1
	s_cmp_gt_u32 s2, 2
	s_cbranch_scc1 .LBB38_3
.LBB38_4:
	s_load_dword s2, s[4:5], 0x1c0
	s_add_u32 s0, s4, 0xf0
	s_addc_u32 s1, s5, 0
	s_mov_b32 s23, 0
	s_mov_b32 s22, s20
	s_waitcnt lgkmcnt(0)
	s_cmp_lt_i32 s2, 2
	s_cbranch_scc1 .LBB38_7
; %bb.5:
	s_add_i32 s22, s2, -1
	s_add_i32 s11, s2, 1
	s_lshl_b64 s[2:3], s[22:23], 2
	s_add_u32 s2, s0, s2
	s_addc_u32 s3, s1, s3
	s_add_u32 s2, s2, 8
	s_addc_u32 s3, s3, 0
	s_mov_b32 s22, s20
.LBB38_6:                               ; =>This Inner Loop Header: Depth=1
	s_load_dword s13, s[2:3], 0x0
	s_load_dword s15, s[2:3], 0x64
	s_mov_b32 s14, s22
	s_waitcnt lgkmcnt(0)
	v_cvt_f32_u32_e32 v1, s13
	s_sub_i32 s16, 0, s13
	v_rcp_iflag_f32_e32 v1, v1
	v_mul_f32_e32 v1, 0x4f7ffffe, v1
	v_cvt_u32_f32_e32 v1, v1
	v_readfirstlane_b32 s17, v1
	s_mul_i32 s16, s16, s17
	s_mul_hi_u32 s16, s17, s16
	s_add_i32 s17, s17, s16
	s_mul_hi_u32 s16, s22, s17
	s_mul_i32 s17, s16, s13
	s_sub_i32 s17, s22, s17
	s_add_i32 s18, s16, 1
	s_sub_i32 s19, s17, s13
	s_cmp_ge_u32 s17, s13
	s_cselect_b32 s16, s18, s16
	s_cselect_b32 s17, s19, s17
	s_add_i32 s18, s16, 1
	s_cmp_ge_u32 s17, s13
	s_cselect_b32 s22, s18, s16
	s_mul_i32 s13, s22, s13
	s_sub_i32 s13, s14, s13
	s_mul_i32 s13, s15, s13
	s_add_i32 s11, s11, -1
	s_add_i32 s23, s13, s23
	s_add_u32 s2, s2, -4
	s_addc_u32 s3, s3, -1
	s_cmp_gt_u32 s11, 2
	s_cbranch_scc1 .LBB38_6
.LBB38_7:
	s_load_dword s33, s[4:5], 0x6c
	s_load_dword s13, s[4:5], 0x2a0
	s_add_u32 s2, s4, 0x1d0
	s_addc_u32 s3, s5, 0
	s_mov_b32 s25, 0
	s_mov_b32 s24, s20
	s_waitcnt lgkmcnt(0)
	s_cmp_lt_i32 s13, 2
	s_cbranch_scc1 .LBB38_10
; %bb.8:
	s_add_i32 s24, s13, -1
	s_add_i32 s11, s13, 1
	s_lshl_b64 s[14:15], s[24:25], 2
	s_add_u32 s2, s2, s14
	s_addc_u32 s3, s3, s15
	s_add_u32 s2, s2, 8
	s_addc_u32 s3, s3, 0
	s_mov_b32 s24, s20
.LBB38_9:                               ; =>This Inner Loop Header: Depth=1
	s_load_dword s13, s[2:3], 0x0
	s_load_dword s15, s[2:3], 0x64
	s_mov_b32 s14, s24
	s_waitcnt lgkmcnt(0)
	v_cvt_f32_u32_e32 v1, s13
	s_sub_i32 s16, 0, s13
	v_rcp_iflag_f32_e32 v1, v1
	v_mul_f32_e32 v1, 0x4f7ffffe, v1
	v_cvt_u32_f32_e32 v1, v1
	v_readfirstlane_b32 s17, v1
	s_mul_i32 s16, s16, s17
	s_mul_hi_u32 s16, s17, s16
	s_add_i32 s17, s17, s16
	s_mul_hi_u32 s16, s24, s17
	s_mul_i32 s17, s16, s13
	s_sub_i32 s17, s24, s17
	s_add_i32 s18, s16, 1
	s_sub_i32 s19, s17, s13
	s_cmp_ge_u32 s17, s13
	s_cselect_b32 s16, s18, s16
	s_cselect_b32 s17, s19, s17
	s_add_i32 s18, s16, 1
	s_cmp_ge_u32 s17, s13
	s_cselect_b32 s24, s18, s16
	s_mul_i32 s13, s24, s13
	s_sub_i32 s13, s14, s13
	s_mul_i32 s13, s15, s13
	s_add_i32 s11, s11, -1
	s_add_i32 s25, s13, s25
	s_add_u32 s2, s2, -4
	s_addc_u32 s3, s3, -1
	s_cmp_gt_u32 s11, 2
	s_cbranch_scc1 .LBB38_9
.LBB38_10:
	s_mul_i32 s16, s20, s10
	s_sub_i32 s11, s12, s16
	s_load_dwordx4 s[12:15], s[4:5], 0x2b8
	s_load_dwordx2 s[30:31], s[4:5], 0x0
	s_load_dwordx2 s[28:29], s[4:5], 0xf0
	;; [unrolled: 1-line block ×3, first 2 shown]
	s_mov_b32 s21, 0
	s_load_dword s40, s[0:1], 0x6c
	s_lshl_b64 s[0:1], s[20:21], 2
	s_waitcnt lgkmcnt(0)
	s_add_u32 s0, s12, s0
	s_addc_u32 s1, s13, s1
	s_load_dword s20, s[0:1], 0x0
	v_cmp_ne_u32_e64 s[0:1], 0, v0
	v_cmp_eq_u32_e64 s[2:3], 0, v0
	s_and_saveexec_b64 s[12:13], s[2:3]
	s_cbranch_execz .LBB38_26
; %bb.11:
	s_load_dwordx2 s[34:35], s[4:5], 0x2c8
	s_mov_b32 s17, s21
	s_lshl_b64 s[36:37], s[16:17], 2
	s_add_u32 s16, s14, s36
	s_addc_u32 s17, s15, s37
	s_waitcnt lgkmcnt(0)
	s_add_u32 s18, s34, s36
	s_addc_u32 s19, s35, s37
	s_mov_b32 s41, 0
	s_mov_b32 s42, 0
	s_cmp_lt_u32 s10, 4
	s_cbranch_scc1 .LBB38_23
; %bb.12:
	s_mov_b32 s43, 0
.LBB38_13:                              ; =>This Inner Loop Header: Depth=1
	s_add_u32 s38, s14, s36
	s_addc_u32 s39, s15, s37
	s_load_dwordx4 s[16:19], s[38:39], 0x0
	s_add_u32 s38, s34, s36
	s_addc_u32 s39, s35, s37
	s_cmp_ge_u32 s43, s11
	s_cbranch_scc0 .LBB38_20
; %bb.14:                               ;   in Loop: Header=BB38_13 Depth=1
	s_add_i32 s44, s43, 1
	s_cmp_ge_u32 s44, s11
	s_cbranch_scc0 .LBB38_21
.LBB38_15:                              ;   in Loop: Header=BB38_13 Depth=1
	s_add_i32 s44, s44, 1
	s_cmp_ge_u32 s44, s11
	s_cbranch_scc0 .LBB38_22
.LBB38_16:                              ;   in Loop: Header=BB38_13 Depth=1
	s_add_i32 s44, s44, 1
	s_cmp_ge_u32 s44, s11
	s_cbranch_scc1 .LBB38_18
.LBB38_17:                              ;   in Loop: Header=BB38_13 Depth=1
	s_load_dword s38, s[38:39], 0xc
	s_waitcnt lgkmcnt(0)
	s_add_i32 s21, s21, s19
	s_add_i32 s41, s38, s41
.LBB38_18:                              ;   in Loop: Header=BB38_13 Depth=1
	s_waitcnt lgkmcnt(0)
	s_add_i32 s16, s16, s42
	s_add_i32 s16, s16, s17
	;; [unrolled: 1-line block ×4, first 2 shown]
	s_add_u32 s14, s14, 16
	s_addc_u32 s15, s15, 0
	s_add_u32 s34, s34, 16
	s_addc_u32 s35, s35, 0
	s_add_i32 s39, s44, 4
	s_add_u32 s18, s34, s36
	s_addc_u32 s19, s35, s37
	s_add_u32 s16, s14, s36
	s_addc_u32 s17, s15, s37
	s_add_i32 s38, s44, 1
	s_cmp_ge_u32 s39, s10
	s_cbranch_scc1 .LBB38_24
; %bb.19:                               ;   in Loop: Header=BB38_13 Depth=1
	s_mov_b32 s43, s38
	s_branch .LBB38_13
.LBB38_20:                              ;   in Loop: Header=BB38_13 Depth=1
	s_load_dword s44, s[38:39], 0x0
	s_waitcnt lgkmcnt(0)
	s_add_i32 s21, s16, s21
	s_add_i32 s41, s44, s41
	;; [unrolled: 1-line block ×3, first 2 shown]
	s_cmp_ge_u32 s44, s11
	s_cbranch_scc1 .LBB38_15
.LBB38_21:                              ;   in Loop: Header=BB38_13 Depth=1
	s_load_dword s45, s[38:39], 0x4
	s_waitcnt lgkmcnt(0)
	s_add_i32 s21, s21, s17
	s_add_i32 s41, s45, s41
	;; [unrolled: 1-line block ×3, first 2 shown]
	s_cmp_ge_u32 s44, s11
	s_cbranch_scc1 .LBB38_16
.LBB38_22:                              ;   in Loop: Header=BB38_13 Depth=1
	s_load_dword s45, s[38:39], 0x8
	s_waitcnt lgkmcnt(0)
	s_add_i32 s21, s21, s18
	s_add_i32 s41, s45, s41
	;; [unrolled: 1-line block ×3, first 2 shown]
	s_cmp_ge_u32 s44, s11
	s_cbranch_scc0 .LBB38_17
	s_branch .LBB38_18
.LBB38_23:
	s_mov_b32 s14, 0
	s_cmp_ge_u32 s14, s10
	s_cbranch_scc0 .LBB38_47
	s_branch .LBB38_25
.LBB38_24:
	s_add_i32 s14, s43, 4
	s_cmp_ge_u32 s14, s10
	s_cbranch_scc0 .LBB38_47
.LBB38_25:
	v_mov_b32_e32 v1, s41
	v_mov_b32_e32 v2, s42
	;; [unrolled: 1-line block ×4, first 2 shown]
	ds_write_b96 v4, v[1:3] offset:1056
.LBB38_26:
	s_or_b64 exec, exec, s[12:13]
	s_load_dword s16, s[4:5], 0x23c
	s_load_dwordx4 s[12:15], s[4:5], 0xd8
	s_mul_i32 s17, s9, s11
	s_lshl_b32 s34, s17, 8
	s_waitcnt lgkmcnt(0)
	s_add_i32 s15, s11, 1
	s_mov_b32 s11, 0
	s_sub_i32 s17, s12, s34
	s_add_u32 s18, s17, 0xff
	s_addc_u32 s19, 0, 0
	s_lshr_b64 s[18:19], s[18:19], 8
	s_cmp_lt_u32 s15, s10
	s_cselect_b32 s9, s9, s18
	s_cmp_eq_u32 s9, 0
	s_barrier
	s_cbranch_scc1 .LBB38_49
; %bb.27:
	s_mul_i32 s10, s40, s22
	s_mul_i32 s6, s33, s6
	s_add_i32 s18, s10, s23
	s_add_i32 s10, s6, s7
	s_mul_i32 s6, s16, s24
	v_mov_b32_e32 v5, 0
	s_add_i32 s6, s6, s25
	s_lshl_b64 s[16:17], s[10:11], 2
	ds_read_b96 v[1:3], v5 offset:1056
	s_add_u32 s15, s30, s16
	s_mov_b32 s19, s11
	s_addc_u32 s16, s31, s17
	s_lshl_b64 s[18:19], s[18:19], 2
	s_add_u32 s17, s28, s18
	s_mov_b32 s7, s11
	s_addc_u32 s18, s29, s19
	s_lshl_b64 s[6:7], s[6:7], 3
	s_add_u32 s19, s26, s6
	s_waitcnt lgkmcnt(0)
	v_add_u32_e32 v2, v1, v2
	v_lshrrev_b32_e32 v1, 3, v0
	s_addc_u32 s21, s27, s7
	s_xor_b32 s22, s20, 0x80000000
	v_and_b32_e32 v1, 28, v1
	s_bitcmp1_b32 s14, 0
	s_load_dword s10, s[4:5], 0xe8
	s_load_dword s14, s[4:5], 0x1c8
	v_lshl_add_u32 v6, v0, 2, v1
	v_lshrrev_b32_e32 v1, 1, v0
	v_and_b32_e32 v7, 0x7c, v1
	v_add_u32_e32 v1, -1, v0
	v_lshrrev_b32_e32 v4, 3, v1
	v_cmp_gt_u32_e64 s[4:5], 64, v0
	v_lshlrev_b32_e32 v8, 4, v0
	v_and_b32_e32 v4, 0x1ffffffc, v4
	v_add_u32_e32 v0, s34, v0
	v_lshl_add_u32 v9, v1, 2, v4
	s_waitcnt lgkmcnt(0)
	v_mul_lo_u32 v4, s10, v0
	v_mbcnt_lo_u32_b32 v1, -1, 0
	s_cselect_b64 s[6:7], -1, 0
	s_lshl_b32 s23, s10, 8
	v_mbcnt_hi_u32_b32 v10, -1, v1
                                        ; implicit-def: $vgpr11
	s_branch .LBB38_30
.LBB38_28:                              ;   in Loop: Header=BB38_30 Depth=1
	s_or_b64 exec, exec, s[10:11]
	v_add_u32_e32 v2, v14, v2
.LBB38_29:                              ;   in Loop: Header=BB38_30 Depth=1
	s_add_i32 s9, s9, -1
	v_add_u32_e32 v3, v13, v3
	v_add_u32_e32 v4, s23, v4
	s_cmp_lg_u32 s9, 0
	v_add_u32_e32 v0, 0x100, v0
	s_cbranch_scc0 .LBB38_49
.LBB38_30:                              ; =>This Inner Loop Header: Depth=1
	v_cmp_gt_u32_e32 vcc, s12, v0
	v_mov_b32_e32 v1, 0
	v_mov_b32_e32 v12, 0
	s_and_saveexec_b64 s[10:11], vcc
	s_cbranch_execz .LBB38_32
; %bb.31:                               ;   in Loop: Header=BB38_30 Depth=1
	v_lshlrev_b64 v[11:12], 2, v[4:5]
	v_mov_b32_e32 v1, s16
	v_add_co_u32_e32 v11, vcc, s15, v11
	v_addc_co_u32_e32 v12, vcc, v1, v12, vcc
	global_load_dword v11, v[11:12], off
	s_waitcnt vmcnt(0)
	v_xor_b32_e32 v1, 0x80000000, v11
	v_cmp_lt_u32_e32 vcc, s22, v1
	v_cndmask_b32_e64 v12, 0, 1, vcc
	v_cmp_gt_u32_e32 vcc, s22, v1
	v_cndmask_b32_e64 v1, 0, 1, vcc
	v_cndmask_b32_e64 v1, v1, v12, s[6:7]
	v_cmp_eq_u32_e32 vcc, s20, v11
	v_and_b32_e32 v1, 1, v1
	v_cndmask_b32_e64 v12, 0, 1, vcc
.LBB38_32:                              ;   in Loop: Header=BB38_30 Depth=1
	s_or_b64 exec, exec, s[10:11]
	ds_write_b32 v6, v1
	s_waitcnt vmcnt(0) lgkmcnt(0)
	s_barrier
	s_and_saveexec_b64 s[10:11], s[4:5]
	s_cbranch_execz .LBB38_34
; %bb.33:                               ;   in Loop: Header=BB38_30 Depth=1
	v_add_u32_e32 v17, v7, v8
	ds_read2_b32 v[13:14], v17 offset1:1
	ds_read2_b32 v[15:16], v17 offset0:2 offset1:3
	v_and_b32_e32 v18, 15, v10
	v_cmp_ne_u32_e32 vcc, 0, v18
	s_waitcnt lgkmcnt(1)
	v_add_u32_e32 v14, v14, v13
	s_waitcnt lgkmcnt(0)
	v_add3_u32 v14, v14, v15, v16
	v_bfe_i32 v16, v10, 4, 1
	; wave barrier
	s_nop 0
	v_mov_b32_dpp v15, v14 row_shr:1 row_mask:0xf bank_mask:0xf
	v_cndmask_b32_e32 v15, 0, v15, vcc
	v_add_u32_e32 v14, v15, v14
	v_cmp_lt_u32_e32 vcc, 1, v18
	s_nop 0
	v_mov_b32_dpp v15, v14 row_shr:2 row_mask:0xf bank_mask:0xf
	v_cndmask_b32_e32 v15, 0, v15, vcc
	v_add_u32_e32 v14, v14, v15
	v_cmp_lt_u32_e32 vcc, 3, v18
	;; [unrolled: 5-line block ×4, first 2 shown]
	s_nop 0
	v_mov_b32_dpp v15, v14 row_bcast:15 row_mask:0xf bank_mask:0xf
	v_and_b32_e32 v15, v16, v15
	v_add_u32_e32 v14, v14, v15
	v_and_b32_e32 v16, 64, v10
	s_nop 0
	v_mov_b32_dpp v15, v14 row_bcast:31 row_mask:0xf bank_mask:0xf
	v_cndmask_b32_e32 v15, 0, v15, vcc
	v_add_u32_e32 v14, v14, v15
	v_add_u32_e32 v15, -1, v10
	v_cmp_lt_i32_e32 vcc, v15, v16
	v_cndmask_b32_e32 v15, v15, v10, vcc
	v_lshlrev_b32_e32 v15, 2, v15
	ds_bpermute_b32 v14, v15, v14
	s_waitcnt lgkmcnt(0)
	v_add_u32_e32 v13, v14, v13
	v_cndmask_b32_e64 v15, v13, v1, s[2:3]
	ds_write_b32 v17, v15
	; wave barrier
	ds_read2_b32 v[13:14], v17 offset0:1 offset1:2
	ds_read_b32 v16, v17 offset:12
	s_waitcnt lgkmcnt(1)
	v_add_u32_e32 v13, v13, v15
	v_add_u32_e32 v14, v14, v13
	ds_write2_b32 v17, v13, v14 offset0:1 offset1:2
	s_waitcnt lgkmcnt(1)
	v_add_u32_e32 v13, v16, v14
	ds_write_b32 v17, v13 offset:12
.LBB38_34:                              ;   in Loop: Header=BB38_30 Depth=1
	s_or_b64 exec, exec, s[10:11]
	v_mov_b32_e32 v14, 0
	s_waitcnt lgkmcnt(0)
	s_barrier
	s_and_saveexec_b64 s[10:11], s[0:1]
; %bb.35:                               ;   in Loop: Header=BB38_30 Depth=1
	ds_read_b32 v14, v9
; %bb.36:                               ;   in Loop: Header=BB38_30 Depth=1
	s_or_b64 exec, exec, s[10:11]
	ds_read_b32 v13, v5 offset:1048
	v_cmp_ne_u32_e32 vcc, 0, v1
	s_waitcnt lgkmcnt(0)
	s_barrier
	s_and_saveexec_b64 s[10:11], vcc
	s_cbranch_execz .LBB38_38
; %bb.37:                               ;   in Loop: Header=BB38_30 Depth=1
	v_add_u32_e32 v1, v14, v3
	v_mul_lo_u32 v14, v1, s14
	v_mov_b32_e32 v15, v5
	v_mov_b32_e32 v16, s18
	;; [unrolled: 1-line block ×3, first 2 shown]
	v_lshlrev_b64 v[14:15], 2, v[14:15]
	v_add_co_u32_e32 v14, vcc, s17, v14
	v_addc_co_u32_e32 v15, vcc, v16, v15, vcc
	v_mul_lo_u32 v16, v1, s8
	global_store_dword v[14:15], v11, off
	v_mov_b32_e32 v1, v5
	v_lshlrev_b64 v[14:15], 3, v[16:17]
	v_mov_b32_e32 v16, s21
	v_add_co_u32_e32 v14, vcc, s19, v14
	v_addc_co_u32_e32 v15, vcc, v16, v15, vcc
	global_store_dwordx2 v[14:15], v[0:1], off
.LBB38_38:                              ;   in Loop: Header=BB38_30 Depth=1
	s_or_b64 exec, exec, s[10:11]
	v_cmp_le_u32_e32 vcc, s13, v2
	s_cbranch_vccnz .LBB38_29
; %bb.39:                               ;   in Loop: Header=BB38_30 Depth=1
	ds_write_b32 v6, v12
	s_waitcnt vmcnt(0) lgkmcnt(0)
	s_barrier
	s_and_saveexec_b64 s[10:11], s[4:5]
	s_cbranch_execz .LBB38_41
; %bb.40:                               ;   in Loop: Header=BB38_30 Depth=1
	v_add_u32_e32 v1, v7, v8
	ds_read2_b32 v[14:15], v1 offset1:1
	ds_read2_b32 v[16:17], v1 offset0:2 offset1:3
	v_and_b32_e32 v18, 15, v10
	v_cmp_ne_u32_e32 vcc, 0, v18
	s_waitcnt lgkmcnt(1)
	v_add_u32_e32 v15, v15, v14
	s_waitcnt lgkmcnt(0)
	v_add3_u32 v15, v15, v16, v17
	v_bfe_i32 v17, v10, 4, 1
	; wave barrier
	s_nop 0
	v_mov_b32_dpp v16, v15 row_shr:1 row_mask:0xf bank_mask:0xf
	v_cndmask_b32_e32 v16, 0, v16, vcc
	v_add_u32_e32 v15, v16, v15
	v_cmp_lt_u32_e32 vcc, 1, v18
	s_nop 0
	v_mov_b32_dpp v16, v15 row_shr:2 row_mask:0xf bank_mask:0xf
	v_cndmask_b32_e32 v16, 0, v16, vcc
	v_add_u32_e32 v15, v15, v16
	v_cmp_lt_u32_e32 vcc, 3, v18
	s_nop 0
	v_mov_b32_dpp v16, v15 row_shr:4 row_mask:0xf bank_mask:0xf
	v_cndmask_b32_e32 v16, 0, v16, vcc
	v_add_u32_e32 v15, v15, v16
	v_cmp_lt_u32_e32 vcc, 7, v18
	s_nop 0
	v_mov_b32_dpp v16, v15 row_shr:8 row_mask:0xf bank_mask:0xf
	v_cndmask_b32_e32 v16, 0, v16, vcc
	v_add_u32_e32 v15, v15, v16
	v_cmp_lt_u32_e32 vcc, 31, v10
	s_nop 0
	v_mov_b32_dpp v16, v15 row_bcast:15 row_mask:0xf bank_mask:0xf
	v_and_b32_e32 v16, v17, v16
	v_add_u32_e32 v15, v15, v16
	v_and_b32_e32 v17, 64, v10
	s_nop 0
	v_mov_b32_dpp v16, v15 row_bcast:31 row_mask:0xf bank_mask:0xf
	v_cndmask_b32_e32 v16, 0, v16, vcc
	v_add_u32_e32 v15, v15, v16
	v_add_u32_e32 v16, -1, v10
	v_cmp_lt_i32_e32 vcc, v16, v17
	v_cndmask_b32_e32 v16, v16, v10, vcc
	v_lshlrev_b32_e32 v16, 2, v16
	ds_bpermute_b32 v15, v16, v15
	s_waitcnt lgkmcnt(0)
	v_add_u32_e32 v14, v15, v14
	v_cndmask_b32_e64 v16, v14, v12, s[2:3]
	ds_write_b32 v1, v16
	; wave barrier
	ds_read2_b32 v[14:15], v1 offset0:1 offset1:2
	ds_read_b32 v17, v1 offset:12
	s_waitcnt lgkmcnt(1)
	v_add_u32_e32 v14, v14, v16
	v_add_u32_e32 v15, v15, v14
	ds_write2_b32 v1, v14, v15 offset0:1 offset1:2
	s_waitcnt lgkmcnt(1)
	v_add_u32_e32 v14, v17, v15
	ds_write_b32 v1, v14 offset:12
.LBB38_41:                              ;   in Loop: Header=BB38_30 Depth=1
	s_or_b64 exec, exec, s[10:11]
	v_mov_b32_e32 v1, 0
	s_waitcnt lgkmcnt(0)
	s_barrier
	s_and_saveexec_b64 s[10:11], s[0:1]
; %bb.42:                               ;   in Loop: Header=BB38_30 Depth=1
	ds_read_b32 v1, v9
; %bb.43:                               ;   in Loop: Header=BB38_30 Depth=1
	s_or_b64 exec, exec, s[10:11]
	ds_read_b32 v14, v5 offset:1048
	v_cmp_ne_u32_e32 vcc, 0, v12
	s_waitcnt lgkmcnt(0)
	s_barrier
	s_and_saveexec_b64 s[10:11], vcc
	s_cbranch_execz .LBB38_28
; %bb.44:                               ;   in Loop: Header=BB38_30 Depth=1
	v_add_u32_e32 v1, v1, v2
	v_cmp_gt_u32_e32 vcc, s13, v1
	s_and_b64 exec, exec, vcc
	s_cbranch_execz .LBB38_28
; %bb.45:                               ;   in Loop: Header=BB38_30 Depth=1
	v_mul_lo_u32 v15, v1, s14
	v_mov_b32_e32 v16, v5
	v_mul_lo_u32 v17, v1, s8
	v_mov_b32_e32 v12, s18
	v_lshlrev_b64 v[15:16], 2, v[15:16]
	v_mov_b32_e32 v18, v5
	v_add_co_u32_e32 v15, vcc, s17, v15
	v_addc_co_u32_e32 v16, vcc, v12, v16, vcc
	global_store_dword v[15:16], v11, off
	v_lshlrev_b64 v[15:16], 3, v[17:18]
	v_mov_b32_e32 v12, s21
	v_add_co_u32_e32 v15, vcc, s19, v15
	v_mov_b32_e32 v1, v5
	v_addc_co_u32_e32 v16, vcc, v12, v16, vcc
	global_store_dwordx2 v[15:16], v[0:1], off
	s_branch .LBB38_28
.LBB38_46:                              ;   in Loop: Header=BB38_47 Depth=1
	s_add_u32 s16, s16, 4
	s_addc_u32 s17, s17, 0
	s_waitcnt lgkmcnt(0)
	s_add_i32 s42, s15, s42
	s_add_u32 s18, s18, 4
	s_addc_u32 s19, s19, 0
	s_add_i32 s14, s14, 1
	s_cmp_lt_u32 s14, s10
	s_cbranch_scc0 .LBB38_25
.LBB38_47:                              ; =>This Inner Loop Header: Depth=1
	s_load_dword s15, s[16:17], 0x0
	s_cmp_ge_u32 s14, s11
	s_cbranch_scc1 .LBB38_46
; %bb.48:                               ;   in Loop: Header=BB38_47 Depth=1
	s_load_dword s34, s[18:19], 0x0
	s_waitcnt lgkmcnt(0)
	s_add_i32 s21, s15, s21
	s_add_i32 s41, s34, s41
	s_branch .LBB38_46
.LBB38_49:
	s_endpgm
	.section	.rodata,"a",@progbits
	.p2align	6, 0x0
	.amdhsa_kernel _ZN2at6native6mbtopk10gatherTopKIijLin1EEEvNS_4cuda6detail10TensorInfoIKT_T0_EES8_S8_bjS8_NS5_IS6_S8_EES8_NS5_IlS8_EES8_jjPS6_PjSD_j
		.amdhsa_group_segment_fixed_size 1068
		.amdhsa_private_segment_fixed_size 0
		.amdhsa_kernarg_size 984
		.amdhsa_user_sgpr_count 6
		.amdhsa_user_sgpr_private_segment_buffer 1
		.amdhsa_user_sgpr_dispatch_ptr 0
		.amdhsa_user_sgpr_queue_ptr 0
		.amdhsa_user_sgpr_kernarg_segment_ptr 1
		.amdhsa_user_sgpr_dispatch_id 0
		.amdhsa_user_sgpr_flat_scratch_init 0
		.amdhsa_user_sgpr_private_segment_size 0
		.amdhsa_uses_dynamic_stack 0
		.amdhsa_system_sgpr_private_segment_wavefront_offset 0
		.amdhsa_system_sgpr_workgroup_id_x 1
		.amdhsa_system_sgpr_workgroup_id_y 1
		.amdhsa_system_sgpr_workgroup_id_z 1
		.amdhsa_system_sgpr_workgroup_info 0
		.amdhsa_system_vgpr_workitem_id 0
		.amdhsa_next_free_vgpr 19
		.amdhsa_next_free_sgpr 46
		.amdhsa_reserve_vcc 1
		.amdhsa_reserve_flat_scratch 0
		.amdhsa_float_round_mode_32 0
		.amdhsa_float_round_mode_16_64 0
		.amdhsa_float_denorm_mode_32 3
		.amdhsa_float_denorm_mode_16_64 3
		.amdhsa_dx10_clamp 1
		.amdhsa_ieee_mode 1
		.amdhsa_fp16_overflow 0
		.amdhsa_exception_fp_ieee_invalid_op 0
		.amdhsa_exception_fp_denorm_src 0
		.amdhsa_exception_fp_ieee_div_zero 0
		.amdhsa_exception_fp_ieee_overflow 0
		.amdhsa_exception_fp_ieee_underflow 0
		.amdhsa_exception_fp_ieee_inexact 0
		.amdhsa_exception_int_div_zero 0
	.end_amdhsa_kernel
	.section	.text._ZN2at6native6mbtopk10gatherTopKIijLin1EEEvNS_4cuda6detail10TensorInfoIKT_T0_EES8_S8_bjS8_NS5_IS6_S8_EES8_NS5_IlS8_EES8_jjPS6_PjSD_j,"axG",@progbits,_ZN2at6native6mbtopk10gatherTopKIijLin1EEEvNS_4cuda6detail10TensorInfoIKT_T0_EES8_S8_bjS8_NS5_IS6_S8_EES8_NS5_IlS8_EES8_jjPS6_PjSD_j,comdat
.Lfunc_end38:
	.size	_ZN2at6native6mbtopk10gatherTopKIijLin1EEEvNS_4cuda6detail10TensorInfoIKT_T0_EES8_S8_bjS8_NS5_IS6_S8_EES8_NS5_IlS8_EES8_jjPS6_PjSD_j, .Lfunc_end38-_ZN2at6native6mbtopk10gatherTopKIijLin1EEEvNS_4cuda6detail10TensorInfoIKT_T0_EES8_S8_bjS8_NS5_IS6_S8_EES8_NS5_IlS8_EES8_jjPS6_PjSD_j
                                        ; -- End function
	.set _ZN2at6native6mbtopk10gatherTopKIijLin1EEEvNS_4cuda6detail10TensorInfoIKT_T0_EES8_S8_bjS8_NS5_IS6_S8_EES8_NS5_IlS8_EES8_jjPS6_PjSD_j.num_vgpr, 19
	.set _ZN2at6native6mbtopk10gatherTopKIijLin1EEEvNS_4cuda6detail10TensorInfoIKT_T0_EES8_S8_bjS8_NS5_IS6_S8_EES8_NS5_IlS8_EES8_jjPS6_PjSD_j.num_agpr, 0
	.set _ZN2at6native6mbtopk10gatherTopKIijLin1EEEvNS_4cuda6detail10TensorInfoIKT_T0_EES8_S8_bjS8_NS5_IS6_S8_EES8_NS5_IlS8_EES8_jjPS6_PjSD_j.numbered_sgpr, 46
	.set _ZN2at6native6mbtopk10gatherTopKIijLin1EEEvNS_4cuda6detail10TensorInfoIKT_T0_EES8_S8_bjS8_NS5_IS6_S8_EES8_NS5_IlS8_EES8_jjPS6_PjSD_j.num_named_barrier, 0
	.set _ZN2at6native6mbtopk10gatherTopKIijLin1EEEvNS_4cuda6detail10TensorInfoIKT_T0_EES8_S8_bjS8_NS5_IS6_S8_EES8_NS5_IlS8_EES8_jjPS6_PjSD_j.private_seg_size, 0
	.set _ZN2at6native6mbtopk10gatherTopKIijLin1EEEvNS_4cuda6detail10TensorInfoIKT_T0_EES8_S8_bjS8_NS5_IS6_S8_EES8_NS5_IlS8_EES8_jjPS6_PjSD_j.uses_vcc, 1
	.set _ZN2at6native6mbtopk10gatherTopKIijLin1EEEvNS_4cuda6detail10TensorInfoIKT_T0_EES8_S8_bjS8_NS5_IS6_S8_EES8_NS5_IlS8_EES8_jjPS6_PjSD_j.uses_flat_scratch, 0
	.set _ZN2at6native6mbtopk10gatherTopKIijLin1EEEvNS_4cuda6detail10TensorInfoIKT_T0_EES8_S8_bjS8_NS5_IS6_S8_EES8_NS5_IlS8_EES8_jjPS6_PjSD_j.has_dyn_sized_stack, 0
	.set _ZN2at6native6mbtopk10gatherTopKIijLin1EEEvNS_4cuda6detail10TensorInfoIKT_T0_EES8_S8_bjS8_NS5_IS6_S8_EES8_NS5_IlS8_EES8_jjPS6_PjSD_j.has_recursion, 0
	.set _ZN2at6native6mbtopk10gatherTopKIijLin1EEEvNS_4cuda6detail10TensorInfoIKT_T0_EES8_S8_bjS8_NS5_IS6_S8_EES8_NS5_IlS8_EES8_jjPS6_PjSD_j.has_indirect_call, 0
	.section	.AMDGPU.csdata,"",@progbits
; Kernel info:
; codeLenInByte = 2748
; TotalNumSgprs: 50
; NumVgprs: 19
; ScratchSize: 0
; MemoryBound: 0
; FloatMode: 240
; IeeeMode: 1
; LDSByteSize: 1068 bytes/workgroup (compile time only)
; SGPRBlocks: 6
; VGPRBlocks: 4
; NumSGPRsForWavesPerEU: 50
; NumVGPRsForWavesPerEU: 19
; Occupancy: 10
; WaveLimiterHint : 1
; COMPUTE_PGM_RSRC2:SCRATCH_EN: 0
; COMPUTE_PGM_RSRC2:USER_SGPR: 6
; COMPUTE_PGM_RSRC2:TRAP_HANDLER: 0
; COMPUTE_PGM_RSRC2:TGID_X_EN: 1
; COMPUTE_PGM_RSRC2:TGID_Y_EN: 1
; COMPUTE_PGM_RSRC2:TGID_Z_EN: 1
; COMPUTE_PGM_RSRC2:TIDIG_COMP_CNT: 0
	.section	.text._ZN2at6native6sbtopk10gatherTopKIijLin1ELb0EEEvNS_4cuda6detail10TensorInfoIKT_T0_EES8_S8_bS8_S8_NS5_IS6_S8_EES8_NS5_IlS8_EES8_PS6_,"axG",@progbits,_ZN2at6native6sbtopk10gatherTopKIijLin1ELb0EEEvNS_4cuda6detail10TensorInfoIKT_T0_EES8_S8_bS8_S8_NS5_IS6_S8_EES8_NS5_IlS8_EES8_PS6_,comdat
	.protected	_ZN2at6native6sbtopk10gatherTopKIijLin1ELb0EEEvNS_4cuda6detail10TensorInfoIKT_T0_EES8_S8_bS8_S8_NS5_IS6_S8_EES8_NS5_IlS8_EES8_PS6_ ; -- Begin function _ZN2at6native6sbtopk10gatherTopKIijLin1ELb0EEEvNS_4cuda6detail10TensorInfoIKT_T0_EES8_S8_bS8_S8_NS5_IS6_S8_EES8_NS5_IlS8_EES8_PS6_
	.globl	_ZN2at6native6sbtopk10gatherTopKIijLin1ELb0EEEvNS_4cuda6detail10TensorInfoIKT_T0_EES8_S8_bS8_S8_NS5_IS6_S8_EES8_NS5_IlS8_EES8_PS6_
	.p2align	8
	.type	_ZN2at6native6sbtopk10gatherTopKIijLin1ELb0EEEvNS_4cuda6detail10TensorInfoIKT_T0_EES8_S8_bS8_S8_NS5_IS6_S8_EES8_NS5_IlS8_EES8_PS6_,@function
_ZN2at6native6sbtopk10gatherTopKIijLin1ELb0EEEvNS_4cuda6detail10TensorInfoIKT_T0_EES8_S8_bS8_S8_NS5_IS6_S8_EES8_NS5_IlS8_EES8_PS6_: ; @_ZN2at6native6sbtopk10gatherTopKIijLin1ELb0EEEvNS_4cuda6detail10TensorInfoIKT_T0_EES8_S8_bS8_S8_NS5_IS6_S8_EES8_NS5_IlS8_EES8_PS6_
; %bb.0:
	s_load_dwordx2 s[14:15], s[4:5], 0x2b8
	s_load_dwordx4 s[60:63], s[4:5], 0xd8
	s_mov_b64 s[20:21], s[4:5]
	s_add_u32 s12, s20, 0x2b8
	s_addc_u32 s13, s21, 0
	s_waitcnt lgkmcnt(0)
	s_mul_i32 s0, s15, s8
	s_add_i32 s0, s0, s7
	s_mul_i32 s0, s0, s14
	s_add_i32 s74, s0, s6
	s_cmp_ge_u32 s74, s63
	s_cbranch_scc1 .LBB39_407
; %bb.1:
	s_load_dword s2, s[20:21], 0xd0
	s_load_dword s0, s[20:21], 0xe8
                                        ; implicit-def: $vgpr46 : SGPR spill to VGPR lane
	s_mov_b32 s1, 0
	s_waitcnt lgkmcnt(0)
	s_cmp_lt_i32 s2, 2
	v_writelane_b32 v46, s0, 0
	s_mov_b32 s0, s74
	s_cbranch_scc1 .LBB39_4
; %bb.2:
	s_add_i32 s0, s2, -1
	s_add_i32 s4, s2, 1
	s_lshl_b64 s[2:3], s[0:1], 2
	s_add_u32 s0, s20, s2
	s_addc_u32 s3, s21, s3
	s_add_u32 s2, s0, 8
	s_addc_u32 s3, s3, 0
	s_mov_b32 s0, s74
.LBB39_3:                               ; =>This Inner Loop Header: Depth=1
	s_load_dword s5, s[2:3], 0x0
	s_load_dword s8, s[2:3], 0x64
	s_mov_b32 s7, s0
	s_waitcnt lgkmcnt(0)
	v_cvt_f32_u32_e32 v1, s5
	s_sub_i32 s0, 0, s5
	v_rcp_iflag_f32_e32 v1, v1
	v_mul_f32_e32 v1, 0x4f7ffffe, v1
	v_cvt_u32_f32_e32 v1, v1
	v_readfirstlane_b32 s9, v1
	s_mul_i32 s0, s0, s9
	s_mul_hi_u32 s0, s9, s0
	s_add_i32 s9, s9, s0
	s_mul_hi_u32 s0, s7, s9
	s_mul_i32 s9, s0, s5
	s_sub_i32 s9, s7, s9
	s_add_i32 s10, s0, 1
	s_sub_i32 s11, s9, s5
	s_cmp_ge_u32 s9, s5
	s_cselect_b32 s0, s10, s0
	s_cselect_b32 s9, s11, s9
	s_add_i32 s10, s0, 1
	s_cmp_ge_u32 s9, s5
	s_cselect_b32 s0, s10, s0
	s_mul_i32 s5, s0, s5
	s_sub_i32 s5, s7, s5
	s_mul_i32 s5, s8, s5
	s_add_i32 s4, s4, -1
	s_add_i32 s1, s5, s1
	s_add_u32 s2, s2, -4
	s_addc_u32 s3, s3, -1
	s_cmp_gt_u32 s4, 2
	s_cbranch_scc1 .LBB39_3
.LBB39_4:
	s_load_dword s5, s[20:21], 0x1c0
	s_add_u32 s2, s20, 0xf0
	s_addc_u32 s3, s21, 0
	s_mov_b32 s65, 0
	s_mov_b32 s75, s74
	s_waitcnt lgkmcnt(0)
	s_cmp_lt_i32 s5, 2
	s_cbranch_scc1 .LBB39_7
; %bb.5:
	s_add_i32 s64, s5, -1
	s_add_i32 s4, s5, 1
	s_lshl_b64 s[8:9], s[64:65], 2
	s_add_u32 s5, s2, s8
	s_addc_u32 s7, s3, s9
	s_add_u32 s8, s5, 8
	s_addc_u32 s9, s7, 0
	s_mov_b32 s75, s74
.LBB39_6:                               ; =>This Inner Loop Header: Depth=1
	s_load_dword s5, s[8:9], 0x0
	s_load_dword s10, s[8:9], 0x64
	s_mov_b32 s7, s75
	s_waitcnt lgkmcnt(0)
	v_cvt_f32_u32_e32 v1, s5
	s_sub_i32 s11, 0, s5
	v_rcp_iflag_f32_e32 v1, v1
	v_mul_f32_e32 v1, 0x4f7ffffe, v1
	v_cvt_u32_f32_e32 v1, v1
	v_readfirstlane_b32 s15, v1
	s_mul_i32 s11, s11, s15
	s_mul_hi_u32 s11, s15, s11
	s_add_i32 s15, s15, s11
	s_mul_hi_u32 s11, s75, s15
	s_mul_i32 s15, s11, s5
	s_sub_i32 s15, s75, s15
	s_add_i32 s16, s11, 1
	s_sub_i32 s17, s15, s5
	s_cmp_ge_u32 s15, s5
	s_cselect_b32 s11, s16, s11
	s_cselect_b32 s15, s17, s15
	s_add_i32 s16, s11, 1
	s_cmp_ge_u32 s15, s5
	s_cselect_b32 s75, s16, s11
	s_mul_i32 s5, s75, s5
	s_sub_i32 s5, s7, s5
	s_mul_i32 s5, s10, s5
	s_add_i32 s4, s4, -1
	s_add_i32 s65, s5, s65
	s_add_u32 s8, s8, -4
	s_addc_u32 s9, s9, -1
	s_cmp_gt_u32 s4, 2
	s_cbranch_scc1 .LBB39_6
.LBB39_7:
	s_load_dword s4, s[20:21], 0x6c
	s_load_dword s9, s[20:21], 0x2a0
	s_add_u32 s7, s20, 0x1d0
	s_addc_u32 s8, s21, 0
	s_mov_b32 s67, 0
	s_waitcnt lgkmcnt(0)
	s_cmp_lt_i32 s9, 2
	s_cbranch_scc1 .LBB39_10
; %bb.8:
	s_add_i32 s66, s9, -1
	s_add_i32 s5, s9, 1
	s_lshl_b64 s[10:11], s[66:67], 2
	s_add_u32 s7, s7, s10
	s_addc_u32 s9, s8, s11
	s_add_u32 s8, s7, 8
	s_addc_u32 s9, s9, 0
.LBB39_9:                               ; =>This Inner Loop Header: Depth=1
	s_load_dword s7, s[8:9], 0x0
	s_load_dword s11, s[8:9], 0x64
	s_mov_b32 s10, s74
	s_waitcnt lgkmcnt(0)
	v_cvt_f32_u32_e32 v1, s7
	s_sub_i32 s15, 0, s7
	v_rcp_iflag_f32_e32 v1, v1
	v_mul_f32_e32 v1, 0x4f7ffffe, v1
	v_cvt_u32_f32_e32 v1, v1
	v_readfirstlane_b32 s16, v1
	s_mul_i32 s15, s15, s16
	s_mul_hi_u32 s15, s16, s15
	s_add_i32 s16, s16, s15
	s_mul_hi_u32 s15, s74, s16
	s_mul_i32 s16, s15, s7
	s_sub_i32 s16, s74, s16
	s_add_i32 s17, s15, 1
	s_sub_i32 s18, s16, s7
	s_cmp_ge_u32 s16, s7
	s_cselect_b32 s15, s17, s15
	s_cselect_b32 s16, s18, s16
	s_add_i32 s17, s15, 1
	s_cmp_ge_u32 s16, s7
	s_cselect_b32 s74, s17, s15
	s_mul_i32 s7, s74, s7
	s_sub_i32 s7, s10, s7
	s_mul_i32 s7, s11, s7
	s_add_i32 s5, s5, -1
	s_add_i32 s67, s7, s67
	s_add_u32 s8, s8, -4
	s_addc_u32 s9, s9, -1
	s_cmp_gt_u32 s5, 2
	s_cbranch_scc1 .LBB39_9
.LBB39_10:
	s_load_dword s2, s[2:3], 0x6c
	s_mov_b32 s11, 0
	s_waitcnt lgkmcnt(0)
	v_writelane_b32 v46, s2, 1
	s_load_dwordx2 s[2:3], s[20:21], 0x0
	s_load_dwordx2 s[8:9], s[20:21], 0xf0
	s_waitcnt lgkmcnt(0)
	v_writelane_b32 v46, s8, 2
	v_writelane_b32 v46, s9, 3
	s_load_dwordx2 s[8:9], s[20:21], 0x1d0
	s_waitcnt lgkmcnt(0)
	v_writelane_b32 v46, s8, 4
	v_writelane_b32 v46, s9, 5
	v_cmp_eq_u32_e64 s[8:9], 0, v0
	s_mov_b64 s[16:17], exec
	v_writelane_b32 v46, s8, 6
	v_writelane_b32 v46, s9, 7
	s_and_b64 s[8:9], s[16:17], s[8:9]
	s_mov_b64 exec, s[8:9]
; %bb.11:
	v_mov_b32_e32 v1, 0
	v_mov_b32_e32 v2, s60
	;; [unrolled: 1-line block ×3, first 2 shown]
	ds_write_b96 v1, v[1:3] offset:4096
; %bb.12:
	s_or_b64 exec, exec, s[16:17]
	s_mul_i32 s0, s4, s0
	s_add_i32 s10, s0, s1
	s_lshl_b64 s[0:1], s[10:11], 2
	s_add_u32 s64, s2, s0
	s_addc_u32 s66, s3, s1
	s_bitcmp1_b32 s62, 0
	s_cselect_b64 s[2:3], -1, 0
	v_writelane_b32 v46, s2, 8
	v_writelane_b32 v46, s3, 9
	s_xor_b64 s[2:3], s[2:3], -1
	v_writelane_b32 v46, s2, 10
	v_writelane_b32 v46, s3, 11
	;; [unrolled: 1-line block ×3, first 2 shown]
	s_load_dword s7, s[20:21], 0xe8
	s_waitcnt lgkmcnt(0)
	s_barrier
	s_load_dword s0, s[12:13], 0xc
	v_mbcnt_lo_u32_b32 v1, -1, 0
	v_mbcnt_hi_u32_b32 v20, -1, v1
	v_mul_lo_u32 v9, s7, v0
	v_cmp_gt_u32_e32 vcc, 64, v0
	s_waitcnt lgkmcnt(0)
	s_and_b32 s8, s0, 0xffff
	v_cmp_gt_i32_e64 s[2:3], 4, v20
	s_lshl_b32 s16, s8, 2
	s_bfe_u32 s4, s0, 0xa0006
	v_mov_b32_e32 v8, 0
	s_and_b64 s[72:73], vcc, s[2:3]
	s_cmpk_gt_u32 s60, 0x300
	v_mov_b32_e32 v10, v8
	v_writelane_b32 v46, s21, 13
	s_cselect_b64 s[2:3], -1, 0
	v_lshlrev_b64 v[1:2], 2, v[9:10]
	v_writelane_b32 v46, s2, 14
	v_writelane_b32 v46, s3, 15
	v_cmp_gt_u32_e64 s[2:3], s60, v0
	v_mov_b32_e32 v21, s66
	v_add_co_u32_e32 v5, vcc, s64, v1
	v_writelane_b32 v46, s2, 16
	v_addc_co_u32_e32 v6, vcc, v21, v2, vcc
	s_cmp_gt_u32 s8, 63
	v_lshlrev_b64 v[2:3], v20, -1
	v_writelane_b32 v46, s3, 17
	s_cselect_b64 s[2:3], -1, 0
	v_writelane_b32 v46, s2, 18
	v_not_b32_e32 v18, v2
	v_lshrrev_b32_e32 v2, 2, v0
	v_writelane_b32 v46, s3, 19
	v_cmp_gt_u32_e64 s[2:3], 2, v0
	v_and_b32_e32 v2, 0xf0, v2
	v_writelane_b32 v46, s2, 20
	s_add_i32 s63, s8, -1
	v_or_b32_e32 v23, 0xc00, v2
	v_cvt_f32_u32_e32 v2, s16
	v_writelane_b32 v46, s3, 21
	s_add_i32 s2, s63, s60
	s_cmp_lt_u32 s6, s14
	s_cselect_b32 s3, 12, 18
	s_add_u32 s10, s12, s3
	v_rcp_iflag_f32_e32 v2, v2
	s_addc_u32 s11, s13, 0
	s_add_i32 s3, s4, -1
	s_bfe_u32 s5, s8, 0x30006
	s_and_b32 s3, s3, 0xffff
	v_writelane_b32 v46, s10, 22
	s_cmp_gt_u32 s3, 6
	v_writelane_b32 v46, s11, 23
	s_cselect_b64 s[10:11], -1, 0
	v_mul_f32_e32 v2, 0x4f7ffffe, v2
	v_writelane_b32 v46, s10, 24
	s_and_b32 s33, s4, 0x3f8
	v_cvt_u32_f32_e32 v2, v2
	v_writelane_b32 v46, s11, 25
	s_cmp_lg_u32 s5, 0
	v_writelane_b32 v46, s5, 26
	s_cselect_b64 s[4:5], -1, 0
	v_writelane_b32 v46, s4, 27
	v_writelane_b32 v46, s5, 28
	s_sub_i32 s3, 0, s16
	v_readfirstlane_b32 s4, v2
	s_mul_i32 s3, s3, s4
	s_mul_hi_u32 s3, s4, s3
	s_add_i32 s3, s4, s3
	v_writelane_b32 v46, s3, 29
	s_mul_hi_u32 s3, s60, s3
	s_mul_i32 s3, s3, s16
	v_cvt_f32_u32_e32 v2, s8
	s_sub_i32 s3, s60, s3
	s_sub_i32 s4, s3, s16
	s_cmp_ge_u32 s3, s16
	s_cselect_b32 s3, s4, s3
	v_rcp_iflag_f32_e32 v4, v2
	s_sub_i32 s4, s3, s16
	s_cmp_ge_u32 s3, s16
	s_cselect_b32 s3, s4, s3
	v_lshlrev_b32_e32 v19, 2, v0
	s_sub_i32 s76, s60, s3
	v_mul_f32_e32 v4, 0x4f7ffffe, v4
	v_cmp_gt_u32_e64 s[4:5], s76, v19
	v_cvt_u32_f32_e32 v4, v4
	v_add_u32_e32 v24, s76, v0
	v_writelane_b32 v46, s4, 30
	v_writelane_b32 v46, s5, 31
	v_cmp_gt_u32_e64 s[4:5], s60, v24
	v_writelane_b32 v46, s4, 32
	v_writelane_b32 v46, s5, 33
	s_sub_i32 s4, 0, s8
	v_readfirstlane_b32 s5, v4
	s_mul_i32 s4, s4, s5
	v_mul_lo_u32 v7, v24, s7
	s_mul_hi_u32 s4, s5, s4
	s_add_i32 s4, s5, s4
	v_writelane_b32 v46, s4, 34
	s_mul_hi_u32 s4, s2, s4
	s_mul_i32 s4, s4, s8
	v_not_b32_e32 v17, v3
	v_lshlrev_b64 v[2:3], 2, v[7:8]
	s_sub_i32 s4, s2, s4
	s_sub_i32 s5, s4, s8
	v_add_co_u32_e32 v12, vcc, s64, v2
	s_cmp_ge_u32 s4, s8
	v_mul_lo_u32 v2, s7, v19
	s_cselect_b32 s4, s5, s4
	s_sub_i32 s5, s4, s8
	s_cmp_ge_u32 s4, s8
	s_cselect_b32 s4, s5, s4
	v_add_u32_e32 v26, s7, v2
	v_or_b32_e32 v2, 2, v19
	s_sub_i32 s77, s2, s4
	v_mul_lo_u32 v27, s7, v2
	v_or_b32_e32 v2, 3, v19
	s_add_i32 s2, s8, s60
	v_mul_lo_u32 v28, s7, v2
	v_add_u32_e32 v2, s2, v0
	v_subrev_u32_e32 v2, s3, v2
	v_mul_lo_u32 v30, s7, v2
	v_lshlrev_b32_e32 v1, 2, v20
	v_mov_b32_e32 v7, s66
	v_cmp_gt_u32_e64 s[4:5], s77, v0
	s_mul_i32 s9, s7, s8
	v_cmp_eq_u32_e64 s[0:1], 0, v20
	v_add_u32_e32 v22, 0xc00, v19
	v_and_b32_e32 v16, 0x100, v1
	v_addc_co_u32_e32 v13, vcc, v7, v3, vcc
	v_writelane_b32 v46, s4, 35
	s_lshl_b32 s12, s9, 2
	v_lshlrev_b32_e32 v29, 2, v9
	v_lshlrev_b32_e32 v31, 4, v0
	s_lshl_b32 s13, s8, 4
	v_or_b32_e32 v32, 0xc00, v1
	s_mov_b32 s15, 30
	s_mov_b64 s[84:85], 0
	v_readfirstlane_b32 s14, v8
	v_mov_b32_e32 v34, s61
	v_mov_b32_e32 v25, 0
	;; [unrolled: 1-line block ×5, first 2 shown]
	v_writelane_b32 v46, s5, 36
                                        ; implicit-def: $sgpr86_sgpr87
                                        ; implicit-def: $sgpr88_sgpr89
                                        ; implicit-def: $sgpr92_sgpr93
                                        ; implicit-def: $sgpr94_sgpr95
                                        ; implicit-def: $sgpr90_sgpr91
                                        ; implicit-def: $sgpr68_sgpr69
                                        ; implicit-def: $sgpr70_sgpr71
                                        ; implicit-def: $sgpr20_sgpr21
                                        ; implicit-def: $sgpr78_sgpr79
                                        ; implicit-def: $sgpr80_sgpr81
	s_branch .LBB39_15
.LBB39_13:                              ;   in Loop: Header=BB39_15 Depth=1
	s_or_b64 exec, exec, s[22:23]
	s_andn2_b64 s[4:5], s[80:81], exec
	s_and_b64 s[10:11], s[18:19], exec
	s_or_b64 s[80:81], s[4:5], s[10:11]
	s_andn2_b64 s[78:79], s[78:79], exec
	s_andn2_b64 s[20:21], s[20:21], exec
	;; [unrolled: 1-line block ×4, first 2 shown]
	s_orn2_b64 s[6:7], s[6:7], exec
	v_mov_b32_e32 v34, v35
.LBB39_14:                              ;   in Loop: Header=BB39_15 Depth=1
	s_or_b64 exec, exec, s[2:3]
	s_and_b64 s[2:3], exec, s[6:7]
	s_or_b64 s[84:85], s[2:3], s[84:85]
	s_andn2_b64 s[2:3], s[90:91], exec
	s_and_b64 s[4:5], s[80:81], exec
	s_or_b64 s[90:91], s[2:3], s[4:5]
	s_andn2_b64 s[2:3], s[94:95], exec
	s_and_b64 s[4:5], s[78:79], exec
	;; [unrolled: 3-line block ×5, first 2 shown]
	s_or_b64 s[86:87], s[2:3], s[4:5]
	s_andn2_b64 exec, exec, s[84:85]
	s_cbranch_execz .LBB39_403
.LBB39_15:                              ; =>This Loop Header: Depth=1
                                        ;     Child Loop BB39_21 Depth 2
                                        ;     Child Loop BB39_34 Depth 2
	;; [unrolled: 1-line block ×24, first 2 shown]
	ds_read_b64 v[1:2], v8 offset:4096
	s_waitcnt lgkmcnt(0)
	v_readfirstlane_b32 s4, v1
	s_cmp_lg_u32 s4, 0
	s_cbranch_scc1 .LBB39_42
; %bb.16:                               ;   in Loop: Header=BB39_15 Depth=1
	v_readlane_b32 s2, v46, 14
	v_readlane_b32 s3, v46, 15
	s_and_b64 vcc, exec, s[2:3]
	s_cbranch_vccz .LBB39_29
; %bb.17:                               ;   in Loop: Header=BB39_15 Depth=1
	s_movk_i32 s4, 0x301
	v_cmp_gt_u32_e32 vcc, s4, v2
	s_mov_b64 s[2:3], 0
	s_mov_b64 s[6:7], 0
	s_cbranch_vccz .LBB39_30
; %bb.18:                               ;   in Loop: Header=BB39_15 Depth=1
	s_mov_b64 s[22:23], exec
	v_readlane_b32 s4, v46, 16
	v_readlane_b32 s5, v46, 17
	s_and_b64 s[4:5], s[22:23], s[4:5]
	s_mov_b64 exec, s[4:5]
	s_cbranch_execz .LBB39_90
; %bb.19:                               ;   in Loop: Header=BB39_15 Depth=1
	v_readlane_b32 s4, v46, 22
	v_readlane_b32 s5, v46, 23
	s_nop 4
	global_load_ushort v1, v8, s[4:5]
	global_load_dword v2, v[5:6], off
	v_readlane_b32 s4, v46, 12
	v_readlane_b32 s5, v46, 13
	s_load_dword s4, s[4:5], 0xe8
	s_mov_b64 s[24:25], 0
	v_mov_b32_e32 v4, v0
	s_waitcnt vmcnt(1)
	v_add_u32_e32 v3, v0, v1
	s_waitcnt lgkmcnt(0)
	v_mul_lo_u32 v7, s4, v3
	v_mul_lo_u32 v3, s4, v1
	s_branch .LBB39_21
.LBB39_20:                              ;   in Loop: Header=BB39_21 Depth=2
	s_or_b64 exec, exec, s[6:7]
	v_add_u32_e32 v7, v7, v3
	v_mov_b32_e32 v2, v10
	s_andn2_b64 exec, exec, s[24:25]
	s_cbranch_execz .LBB39_90
.LBB39_21:                              ;   Parent Loop BB39_15 Depth=1
                                        ; =>  This Inner Loop Header: Depth=2
	v_add_u32_e32 v4, v4, v1
	v_cmp_gt_u32_e64 s[6:7], s60, v4
	v_cmp_le_u32_e32 vcc, s60, v4
	s_waitcnt lgkmcnt(0)
	v_mov_b32_e32 v15, 0
	v_mov_b32_e32 v10, 0
	s_and_saveexec_b64 s[18:19], s[6:7]
	s_cbranch_execz .LBB39_23
; %bb.22:                               ;   in Loop: Header=BB39_21 Depth=2
	v_lshlrev_b64 v[35:36], 2, v[7:8]
	v_add_co_u32_e64 v35, s[6:7], s64, v35
	v_addc_co_u32_e64 v36, s[6:7], v21, v36, s[6:7]
	global_load_dword v10, v[35:36], off
.LBB39_23:                              ;   in Loop: Header=BB39_21 Depth=2
	s_or_b64 exec, exec, s[18:19]
	s_waitcnt vmcnt(0)
	v_xor_b32_e32 v35, 0x80000000, v2
	v_and_b32_e32 v35, v35, v33
	v_cmp_eq_u32_e64 s[18:19], v35, v25
	s_cmp_lg_u64 s[18:19], 0
	s_cselect_b64 s[4:5], -1, 0
	s_and_b64 s[4:5], s[0:1], s[4:5]
	s_and_saveexec_b64 s[26:27], s[4:5]
	s_cbranch_execz .LBB39_27
; %bb.24:                               ;   in Loop: Header=BB39_21 Depth=2
	s_mov_b64 s[30:31], exec
	v_mbcnt_lo_u32_b32 v15, s30, 0
	v_mbcnt_hi_u32_b32 v15, s31, v15
	s_bcnt1_i32_b64 s4, s[18:19]
	v_cmp_eq_u32_e64 s[6:7], 0, v15
                                        ; implicit-def: $vgpr35
	s_and_saveexec_b64 s[28:29], s[6:7]
; %bb.25:                               ;   in Loop: Header=BB39_21 Depth=2
	s_bcnt1_i32_b64 s5, s[30:31]
	s_mul_i32 s5, s4, s5
	v_mov_b32_e32 v35, s5
	ds_add_rtn_u32 v35, v8, v35 offset:4104
; %bb.26:                               ;   in Loop: Header=BB39_21 Depth=2
	s_or_b64 exec, exec, s[28:29]
	s_waitcnt lgkmcnt(0)
	v_readfirstlane_b32 s5, v35
	v_mov_b32_e32 v35, s5
	v_mad_u32_u24 v15, s4, v15, v35
.LBB39_27:                              ;   in Loop: Header=BB39_21 Depth=2
	s_or_b64 exec, exec, s[26:27]
	ds_bpermute_b32 v15, v16, v15
	s_and_b64 s[4:5], exec, vcc
	s_or_b64 s[24:25], s[4:5], s[24:25]
	s_and_saveexec_b64 s[6:7], s[18:19]
	s_cbranch_execz .LBB39_20
; %bb.28:                               ;   in Loop: Header=BB39_21 Depth=2
	v_and_b32_e32 v36, s18, v18
	v_and_b32_e32 v35, s19, v17
	v_bcnt_u32_b32 v36, v36, 0
	v_bcnt_u32_b32 v35, v35, v36
	v_lshlrev_b32_e32 v35, 2, v35
	s_waitcnt lgkmcnt(0)
	v_lshl_add_u32 v15, v15, 2, v35
	ds_write_b32 v15, v2
	s_branch .LBB39_20
.LBB39_29:                              ;   in Loop: Header=BB39_15 Depth=1
	s_mov_b64 s[2:3], -1
	s_mov_b64 s[6:7], 0
.LBB39_30:                              ;   in Loop: Header=BB39_15 Depth=1
	s_and_b64 vcc, exec, s[2:3]
	s_cbranch_vccz .LBB39_40
.LBB39_31:                              ;   in Loop: Header=BB39_15 Depth=1
	s_mov_b64 s[2:3], exec
	v_readlane_b32 s4, v46, 16
	v_readlane_b32 s5, v46, 17
	s_and_b64 s[4:5], s[2:3], s[4:5]
	s_mov_b64 exec, s[4:5]
	s_cbranch_execz .LBB39_37
; %bb.32:                               ;   in Loop: Header=BB39_15 Depth=1
	v_readlane_b32 s4, v46, 22
	v_readlane_b32 s5, v46, 23
	s_nop 4
	global_load_ushort v1, v8, s[4:5]
	global_load_dword v2, v[5:6], off
	v_mov_b32_e32 v3, v0
	s_waitcnt vmcnt(1)
	v_add_u32_e32 v7, v0, v1
	v_cmp_gt_u32_e32 vcc, s60, v7
	s_and_saveexec_b64 s[6:7], vcc
	s_cbranch_execz .LBB39_36
; %bb.33:                               ;   in Loop: Header=BB39_15 Depth=1
	v_readlane_b32 s4, v46, 12
	v_readlane_b32 s5, v46, 13
	s_load_dword s4, s[4:5], 0xe8
	v_lshlrev_b32_e32 v4, 2, v1
	s_mov_b64 s[18:19], 0
	v_mov_b32_e32 v15, v19
	v_mov_b32_e32 v3, v0
	s_waitcnt lgkmcnt(0)
	v_mul_lo_u32 v7, s4, v7
	v_mul_lo_u32 v10, s4, v1
.LBB39_34:                              ;   Parent Loop BB39_15 Depth=1
                                        ; =>  This Inner Loop Header: Depth=2
	v_lshlrev_b64 v[35:36], 2, v[7:8]
	v_mov_b32_e32 v37, s66
	v_add_co_u32_e32 v35, vcc, s64, v35
	v_addc_co_u32_e32 v36, vcc, v37, v36, vcc
	global_load_dword v35, v[35:36], off
	v_add_u32_e32 v3, v3, v1
	s_waitcnt vmcnt(1)
	ds_write_b32 v15, v2
	v_add_u32_e32 v2, v1, v3
	v_cmp_le_u32_e32 vcc, s60, v2
	v_add_u32_e32 v15, v15, v4
	v_add_u32_e32 v7, v7, v10
	s_or_b64 s[18:19], vcc, s[18:19]
	s_waitcnt vmcnt(0)
	v_mov_b32_e32 v2, v35
	s_andn2_b64 exec, exec, s[18:19]
	s_cbranch_execnz .LBB39_34
; %bb.35:                               ;   in Loop: Header=BB39_15 Depth=1
	s_or_b64 exec, exec, s[18:19]
	v_mov_b32_e32 v2, v35
.LBB39_36:                              ;   in Loop: Header=BB39_15 Depth=1
	s_or_b64 exec, exec, s[6:7]
	v_lshlrev_b32_e32 v1, 2, v3
	s_waitcnt vmcnt(0)
	ds_write_b32 v1, v2
.LBB39_37:                              ;   in Loop: Header=BB39_15 Depth=1
	s_or_b64 exec, exec, s[2:3]
	s_waitcnt lgkmcnt(0)
	s_barrier
	s_mov_b64 s[2:3], exec
	v_readlane_b32 s4, v46, 6
	v_readlane_b32 s5, v46, 7
	s_and_b64 s[4:5], s[2:3], s[4:5]
	s_mov_b64 exec, s[4:5]
; %bb.38:                               ;   in Loop: Header=BB39_15 Depth=1
	v_mov_b32_e32 v1, s60
	ds_write_b32 v8, v1 offset:4096
; %bb.39:                               ;   in Loop: Header=BB39_15 Depth=1
	s_or_b64 exec, exec, s[2:3]
	s_mov_b64 s[6:7], -1
	s_waitcnt lgkmcnt(0)
	s_barrier
.LBB39_40:                              ;   in Loop: Header=BB39_15 Depth=1
	s_mov_b32 s4, 0
	s_and_b64 vcc, exec, s[6:7]
	s_cbranch_vccz .LBB39_42
; %bb.41:                               ;   in Loop: Header=BB39_15 Depth=1
	ds_read_b32 v1, v8 offset:4096
	s_waitcnt lgkmcnt(0)
	v_readfirstlane_b32 s4, v1
.LBB39_42:                              ;   in Loop: Header=BB39_15 Depth=1
	s_cmp_lt_i32 s4, 1
	s_mov_b64 s[2:3], -1
                                        ; implicit-def: $vgpr4
	s_cbranch_scc1 .LBB39_52
; %bb.43:                               ;   in Loop: Header=BB39_15 Depth=1
	s_and_b64 vcc, exec, s[2:3]
	s_cbranch_vccnz .LBB39_63
.LBB39_44:                              ;   in Loop: Header=BB39_15 Depth=1
	s_lshl_b32 s4, s14, 6
	s_and_saveexec_b64 s[2:3], s[0:1]
.LBB39_45:                              ;   in Loop: Header=BB39_15 Depth=1
	v_lshl_add_u32 v7, s4, 2, v23
	ds_write_b128 v7, v[1:4]
.LBB39_46:                              ;   in Loop: Header=BB39_15 Depth=1
	s_or_b64 exec, exec, s[2:3]
	s_waitcnt lgkmcnt(0)
	s_barrier
	s_and_saveexec_b64 s[2:3], s[72:73]
	s_cbranch_execz .LBB39_77
; %bb.47:                               ;   in Loop: Header=BB39_15 Depth=1
	v_readlane_b32 s6, v46, 18
	v_readlane_b32 s7, v46, 19
	s_andn2_b64 vcc, exec, s[6:7]
	v_mov_b32_e32 v1, 0
	s_cbranch_vccnz .LBB39_76
; %bb.48:                               ;   in Loop: Header=BB39_15 Depth=1
	v_readlane_b32 s6, v46, 24
	v_readlane_b32 s7, v46, 25
	s_andn2_b64 vcc, exec, s[6:7]
	s_cbranch_vccnz .LBB39_72
; %bb.49:                               ;   in Loop: Header=BB39_15 Depth=1
	v_lshl_add_u32 v2, s14, 8, v32
	s_mov_b32 s5, 0
	v_mov_b32_e32 v1, 0
.LBB39_50:                              ;   Parent Loop BB39_15 Depth=1
                                        ; =>  This Inner Loop Header: Depth=2
	ds_read2_b32 v[3:4], v2 offset1:4
	ds_read2_b32 v[35:36], v2 offset0:8 offset1:12
	ds_read2_b32 v[37:38], v2 offset0:16 offset1:20
	;; [unrolled: 1-line block ×3, first 2 shown]
	s_add_i32 s5, s5, 8
	s_waitcnt lgkmcnt(3)
	v_add3_u32 v1, v3, v1, v4
	s_waitcnt lgkmcnt(2)
	v_add3_u32 v1, v35, v1, v36
	;; [unrolled: 2-line block ×3, first 2 shown]
	v_add_u32_e32 v2, 0x80, v2
	s_cmp_eq_u32 s33, s5
	s_waitcnt lgkmcnt(0)
	v_add3_u32 v1, v39, v1, v40
	s_cbranch_scc0 .LBB39_50
; %bb.51:                               ;   in Loop: Header=BB39_15 Depth=1
	s_mov_b32 s5, s33
	s_branch .LBB39_73
.LBB39_52:                              ;   in Loop: Header=BB39_15 Depth=1
	v_mov_b32_e32 v1, 0
	v_mov_b32_e32 v2, 0
	;; [unrolled: 1-line block ×4, first 2 shown]
	s_mov_b64 s[48:49], exec
	v_readlane_b32 s2, v46, 30
	v_readlane_b32 s3, v46, 31
	s_and_b64 s[2:3], s[48:49], s[2:3]
	s_mov_b64 exec, s[2:3]
	s_cbranch_execz .LBB39_56
; %bb.53:                               ;   in Loop: Header=BB39_15 Depth=1
	s_mov_b32 s2, 0
	s_mov_b64 s[50:51], 0
	s_mov_b32 s3, 0
	s_mov_b32 s5, 0
	;; [unrolled: 1-line block ×4, first 2 shown]
	v_mov_b32_e32 v10, v19
.LBB39_54:                              ;   Parent Loop BB39_15 Depth=1
                                        ; =>  This Inner Loop Header: Depth=2
	v_add_u32_e32 v7, s2, v29
	v_lshlrev_b64 v[2:3], 2, v[7:8]
	v_add_u32_e32 v7, s2, v26
	v_mov_b32_e32 v1, s66
	v_lshlrev_b64 v[35:36], 2, v[7:8]
	v_add_co_u32_e64 v2, s[6:7], s64, v2
	v_add_u32_e32 v7, s2, v27
	v_addc_co_u32_e64 v3, s[6:7], v1, v3, s[6:7]
	v_lshlrev_b64 v[37:38], 2, v[7:8]
	v_add_co_u32_e64 v35, s[6:7], s64, v35
	v_add_u32_e32 v7, s2, v28
	v_addc_co_u32_e64 v36, s[6:7], v1, v36, s[6:7]
	v_lshlrev_b64 v[39:40], 2, v[7:8]
	global_load_dword v4, v[2:3], off
	global_load_dword v7, v[35:36], off
	v_add_co_u32_e64 v2, s[6:7], s64, v37
	v_addc_co_u32_e64 v3, s[6:7], v1, v38, s[6:7]
	global_load_dword v15, v[2:3], off
	v_add_co_u32_e64 v2, s[6:7], s64, v39
	v_addc_co_u32_e64 v3, s[6:7], v1, v40, s[6:7]
	global_load_dword v1, v[2:3], off
	v_add_u32_e32 v10, s16, v10
	v_cmp_le_u32_e32 vcc, s76, v10
	s_add_i32 s2, s2, s12
	s_waitcnt vmcnt(3)
	v_xor_b32_e32 v2, 0x80000000, v4
	v_and_b32_e32 v4, v2, v33
	v_bfe_u32 v2, v2, s15, 2
	s_waitcnt vmcnt(2)
	v_xor_b32_e32 v3, 0x80000000, v7
	v_cmp_eq_u32_e64 s[6:7], v4, v25
	v_cmp_eq_u32_e64 s[18:19], 0, v2
	v_and_b32_e32 v4, v3, v33
	v_bfe_u32 v3, v3, s15, 2
	v_cmp_eq_u32_e64 s[22:23], 1, v2
	s_and_b64 s[18:19], s[6:7], s[18:19]
	s_waitcnt vmcnt(1)
	v_xor_b32_e32 v7, 0x80000000, v15
	v_cmp_eq_u32_e64 s[24:25], 2, v2
	v_cmp_eq_u32_e64 s[26:27], 3, v2
	;; [unrolled: 1-line block ×6, first 2 shown]
	v_cndmask_b32_e64 v3, 0, 1, s[18:19]
	s_and_b64 s[18:19], s[6:7], s[22:23]
	s_waitcnt vmcnt(0)
	v_xor_b32_e32 v1, 0x80000000, v1
	v_cmp_eq_u32_e64 s[28:29], v4, v25
	v_and_b32_e32 v2, v7, v33
	v_bfe_u32 v4, v7, s15, 2
	v_cndmask_b32_e64 v7, 0, 1, s[18:19]
	s_and_b64 s[18:19], s[6:7], s[24:25]
	s_and_b64 s[6:7], s[6:7], s[26:27]
	v_cndmask_b32_e64 v15, 0, 1, s[18:19]
	v_cndmask_b32_e64 v35, 0, 1, s[6:7]
	v_cmp_eq_u32_e64 s[6:7], v2, v25
	v_and_b32_e32 v2, v1, v33
	v_bfe_u32 v1, v1, s15, 2
	v_cmp_eq_u32_e64 s[18:19], 0, v4
	s_and_b64 s[30:31], s[28:29], s[30:31]
	s_and_b64 s[34:35], s[28:29], s[34:35]
	;; [unrolled: 1-line block ×4, first 2 shown]
	v_cmp_eq_u32_e64 s[22:23], 1, v4
	v_cmp_eq_u32_e64 s[24:25], 2, v4
	;; [unrolled: 1-line block ×3, first 2 shown]
	v_cndmask_b32_e64 v4, 0, 1, s[34:35]
	v_cmp_ne_u32_e64 s[34:35], 0, v15
	v_cndmask_b32_e64 v15, 0, 1, s[28:29]
	v_cmp_eq_u32_e64 s[28:29], v2, v25
	v_cmp_eq_u32_e64 s[38:39], 0, v1
	s_and_b64 s[18:19], s[6:7], s[18:19]
	v_cmp_ne_u32_e64 s[40:41], 0, v3
	v_cndmask_b32_e64 v3, 0, 1, s[30:31]
	v_cmp_ne_u32_e64 s[30:31], 0, v7
	v_cmp_eq_u32_e64 s[42:43], 1, v1
	v_cmp_eq_u32_e64 s[44:45], 2, v1
	v_cmp_eq_u32_e64 s[46:47], 3, v1
	v_cndmask_b32_e64 v1, 0, 1, s[18:19]
	s_and_b64 s[22:23], s[6:7], s[22:23]
	s_and_b64 s[24:25], s[6:7], s[24:25]
	;; [unrolled: 1-line block ×4, first 2 shown]
	v_cndmask_b32_e64 v7, 0, 1, s[36:37]
	v_cmp_ne_u32_e64 s[36:37], 0, v35
	s_bcnt1_i32_b64 s17, s[40:41]
	s_bcnt1_i32_b64 s30, s[30:31]
	v_cmp_ne_u32_e64 s[18:19], 0, v4
	v_cndmask_b32_e64 v2, 0, 1, s[22:23]
	v_cndmask_b32_e64 v4, 0, 1, s[6:7]
	v_cmp_ne_u32_e64 s[6:7], 0, v1
	v_cndmask_b32_e64 v1, 0, 1, s[26:27]
	s_and_b64 s[26:27], s[28:29], s[42:43]
	v_cmp_ne_u32_e64 s[40:41], 0, v3
	s_bcnt1_i32_b64 s31, s[34:35]
	v_cmp_ne_u32_e64 s[22:23], 0, v7
	v_cndmask_b32_e64 v3, 0, 1, s[24:25]
	s_bcnt1_i32_b64 s34, s[36:37]
	s_add_i32 s17, s11, s17
	s_bcnt1_i32_b64 s36, s[18:19]
	v_cmp_ne_u32_e64 s[18:19], 0, v2
	v_cndmask_b32_e64 v2, 0, 1, s[26:27]
	s_add_i32 s26, s10, s30
	s_and_b64 s[10:11], s[28:29], s[44:45]
	v_cmp_ne_u32_e64 s[24:25], 0, v15
	s_bcnt1_i32_b64 s27, s[22:23]
	v_cmp_ne_u32_e64 s[22:23], 0, v3
	v_cndmask_b32_e64 v3, 0, 1, s[10:11]
	s_and_b64 s[10:11], s[28:29], s[46:47]
	s_bcnt1_i32_b64 s35, s[40:41]
	s_add_i32 s5, s5, s31
	s_bcnt1_i32_b64 s30, s[24:25]
	v_cmp_ne_u32_e64 s[24:25], 0, v4
	v_cndmask_b32_e64 v4, 0, 1, s[10:11]
	s_add_i32 s3, s3, s34
	s_bcnt1_i32_b64 s10, s[6:7]
	v_cmp_ne_u32_e64 s[6:7], 0, v1
	s_add_i32 s11, s17, s35
	s_bcnt1_i32_b64 s17, s[18:19]
	v_cmp_ne_u32_e64 s[18:19], 0, v2
	;; [unrolled: 3-line block ×4, first 2 shown]
	s_add_i32 s3, s3, s30
	s_bcnt1_i32_b64 s6, s[6:7]
	s_add_i32 s7, s11, s10
	s_bcnt1_i32_b64 s10, s[18:19]
	;; [unrolled: 2-line block ×4, first 2 shown]
	s_add_i32 s3, s3, s27
	s_add_i32 s11, s7, s6
	;; [unrolled: 1-line block ×5, first 2 shown]
	s_or_b64 s[50:51], vcc, s[50:51]
	v_mov_b32_e32 v1, s11
	v_mov_b32_e32 v2, s10
	;; [unrolled: 1-line block ×4, first 2 shown]
	s_andn2_b64 exec, exec, s[50:51]
	s_cbranch_execnz .LBB39_54
; %bb.55:                               ;   in Loop: Header=BB39_15 Depth=1
	s_or_b64 exec, exec, s[50:51]
.LBB39_56:                              ;   in Loop: Header=BB39_15 Depth=1
	s_or_b64 exec, exec, s[48:49]
	s_mov_b64 s[2:3], exec
	v_readlane_b32 s6, v46, 32
	v_readlane_b32 s7, v46, 33
	s_and_b64 s[6:7], s[2:3], s[6:7]
	s_mov_b64 exec, s[6:7]
	s_cbranch_execz .LBB39_62
; %bb.57:                               ;   in Loop: Header=BB39_15 Depth=1
	global_load_dword v15, v[12:13], off
	s_mov_b64 s[18:19], 0
	v_mov_b32_e32 v7, v30
	v_mov_b32_e32 v10, v24
	s_branch .LBB39_59
.LBB39_58:                              ;   in Loop: Header=BB39_59 Depth=2
	s_or_b64 exec, exec, s[22:23]
	s_waitcnt vmcnt(0)
	v_xor_b32_e32 v15, 0x80000000, v15
	s_and_b64 s[6:7], exec, vcc
	v_and_b32_e32 v36, v15, v33
	v_bfe_u32 v15, v15, s15, 2
	s_or_b64 s[18:19], s[6:7], s[18:19]
	v_cmp_eq_u32_e32 vcc, v36, v25
	v_cmp_eq_u32_e64 s[6:7], 0, v15
	s_and_b64 s[6:7], vcc, s[6:7]
	v_cndmask_b32_e64 v36, 0, 1, s[6:7]
	v_cmp_ne_u32_e64 s[6:7], 0, v36
	s_bcnt1_i32_b64 s5, s[6:7]
	v_cmp_eq_u32_e64 s[6:7], 1, v15
	s_and_b64 s[6:7], vcc, s[6:7]
	v_cndmask_b32_e64 v36, 0, 1, s[6:7]
	v_cmp_ne_u32_e64 s[6:7], 0, v36
	v_add_u32_e32 v1, s5, v1
	s_bcnt1_i32_b64 s5, s[6:7]
	v_cmp_eq_u32_e64 s[6:7], 2, v15
	s_and_b64 s[6:7], vcc, s[6:7]
	v_cndmask_b32_e64 v36, 0, 1, s[6:7]
	v_cmp_ne_u32_e64 s[6:7], 0, v36
	v_add_u32_e32 v2, s5, v2
	s_bcnt1_i32_b64 s5, s[6:7]
	v_cmp_eq_u32_e64 s[6:7], 3, v15
	s_and_b64 s[6:7], vcc, s[6:7]
	v_cndmask_b32_e64 v15, 0, 1, s[6:7]
	v_cmp_ne_u32_e32 vcc, 0, v15
	v_add_u32_e32 v3, s5, v3
	s_bcnt1_i32_b64 s5, vcc
	v_add_u32_e32 v4, s5, v4
	v_add_u32_e32 v7, s9, v7
	v_mov_b32_e32 v15, v35
	s_andn2_b64 exec, exec, s[18:19]
	s_cbranch_execz .LBB39_61
.LBB39_59:                              ;   Parent Loop BB39_15 Depth=1
                                        ; =>  This Inner Loop Header: Depth=2
	v_add_u32_e32 v10, s8, v10
	v_cmp_gt_u32_e64 s[6:7], s60, v10
	v_cmp_le_u32_e32 vcc, s60, v10
	v_mov_b32_e32 v35, 0
	s_and_saveexec_b64 s[22:23], s[6:7]
	s_cbranch_execz .LBB39_58
; %bb.60:                               ;   in Loop: Header=BB39_59 Depth=2
	v_lshlrev_b64 v[35:36], 2, v[7:8]
	v_mov_b32_e32 v37, s66
	v_add_co_u32_e64 v35, s[6:7], s64, v35
	v_addc_co_u32_e64 v36, s[6:7], v37, v36, s[6:7]
	global_load_dword v35, v[35:36], off
	s_branch .LBB39_58
.LBB39_61:                              ;   in Loop: Header=BB39_15 Depth=1
	s_or_b64 exec, exec, s[18:19]
.LBB39_62:                              ;   in Loop: Header=BB39_15 Depth=1
	s_or_b64 exec, exec, s[2:3]
	s_branch .LBB39_44
.LBB39_63:                              ;   in Loop: Header=BB39_15 Depth=1
	v_readlane_b32 s2, v46, 29
	s_mul_hi_u32 s2, s4, s2
	s_mul_i32 s2, s2, s16
	s_sub_i32 s2, s4, s2
	s_sub_i32 s3, s2, s16
	s_cmp_ge_u32 s2, s16
	s_cselect_b32 s2, s3, s2
	s_sub_i32 s3, s2, s16
	s_cmp_ge_u32 s2, s16
	s_cselect_b32 s2, s3, s2
	s_sub_i32 s5, s4, s2
	v_cmp_gt_u32_e32 vcc, s5, v19
	v_mov_b32_e32 v1, 0
	v_mov_b32_e32 v2, 0
	;; [unrolled: 1-line block ×4, first 2 shown]
	s_and_saveexec_b64 s[82:83], vcc
	s_cbranch_execz .LBB39_67
; %bb.64:                               ;   in Loop: Header=BB39_15 Depth=1
	s_mov_b32 s10, 0
	s_mov_b64 s[2:3], 0
	v_mov_b32_e32 v7, v31
	s_mov_b32 s11, 0
	s_mov_b32 s17, 0
	;; [unrolled: 1-line block ×3, first 2 shown]
	v_mov_b32_e32 v10, v19
.LBB39_65:                              ;   Parent Loop BB39_15 Depth=1
                                        ; =>  This Inner Loop Header: Depth=2
	ds_read_b128 v[1:4], v7
	v_add_u32_e32 v10, s16, v10
	v_cmp_le_u32_e32 vcc, s5, v10
	v_add_u32_e32 v7, s13, v7
	s_waitcnt lgkmcnt(0)
	v_xor_b32_e32 v1, 0x80000000, v1
	v_xor_b32_e32 v2, 0x80000000, v2
	v_and_b32_e32 v15, v1, v33
	v_bfe_u32 v1, v1, s15, 2
	v_xor_b32_e32 v3, 0x80000000, v3
	v_and_b32_e32 v35, v2, v33
	v_bfe_u32 v2, v2, s15, 2
	v_cmp_eq_u32_e64 s[6:7], v15, v25
	v_cmp_eq_u32_e64 s[26:27], 0, v1
	v_xor_b32_e32 v4, 0x80000000, v4
	v_and_b32_e32 v36, v3, v33
	v_bfe_u32 v3, v3, s15, 2
	v_cmp_eq_u32_e64 s[18:19], v35, v25
	v_cmp_eq_u32_e64 s[28:29], 0, v2
	s_and_b64 s[26:27], s[6:7], s[26:27]
	v_and_b32_e32 v37, v4, v33
	v_bfe_u32 v4, v4, s15, 2
	v_cmp_eq_u32_e64 s[22:23], v36, v25
	v_cmp_eq_u32_e64 s[30:31], 0, v3
	;; [unrolled: 1-line block ×5, first 2 shown]
	v_cndmask_b32_e64 v1, 0, 1, s[26:27]
	s_and_b64 s[26:27], s[18:19], s[28:29]
	v_cmp_eq_u32_e64 s[24:25], v37, v25
	v_cmp_eq_u32_e64 s[34:35], 0, v4
	;; [unrolled: 1-line block ×5, first 2 shown]
	v_cndmask_b32_e64 v2, 0, 1, s[26:27]
	s_and_b64 s[26:27], s[22:23], s[30:31]
	v_cmp_eq_u32_e64 s[40:41], 1, v3
	v_cmp_eq_u32_e64 s[48:49], 2, v3
	;; [unrolled: 1-line block ×3, first 2 shown]
	v_cndmask_b32_e64 v3, 0, 1, s[26:27]
	s_and_b64 s[26:27], s[24:25], s[34:35]
	v_cmp_eq_u32_e64 s[42:43], 1, v4
	v_cmp_eq_u32_e64 s[50:51], 2, v4
	v_cmp_eq_u32_e64 s[58:59], 3, v4
	v_cndmask_b32_e64 v4, 0, 1, s[26:27]
	s_and_b64 s[26:27], s[6:7], s[36:37]
	v_cndmask_b32_e64 v15, 0, 1, s[26:27]
	s_and_b64 s[26:27], s[18:19], s[38:39]
	;; [unrolled: 2-line block ×5, first 2 shown]
	s_and_b64 s[6:7], s[6:7], s[52:53]
	v_cndmask_b32_e64 v38, 0, 1, s[26:27]
	s_and_b64 s[26:27], s[18:19], s[46:47]
	v_cndmask_b32_e64 v42, 0, 1, s[6:7]
	;; [unrolled: 2-line block ×7, first 2 shown]
	v_cndmask_b32_e64 v45, 0, 1, s[6:7]
	v_cmp_ne_u32_e64 s[6:7], 0, v1
	v_cmp_ne_u32_e64 s[18:19], 0, v2
	;; [unrolled: 1-line block ×11, first 2 shown]
	s_bcnt1_i32_b64 s6, s[6:7]
	s_bcnt1_i32_b64 s7, s[18:19]
	;; [unrolled: 1-line block ×8, first 2 shown]
	v_cmp_ne_u32_e64 s[34:35], 0, v37
	v_cmp_ne_u32_e64 s[40:41], 0, v40
	;; [unrolled: 1-line block ×3, first 2 shown]
	s_bcnt1_i32_b64 s23, s[28:29]
	s_bcnt1_i32_b64 s27, s[38:39]
	;; [unrolled: 1-line block ×3, first 2 shown]
	s_add_i32 s6, s62, s6
	s_add_i32 s17, s17, s22
	s_add_i32 s11, s11, s26
	s_add_i32 s10, s10, s30
	v_cmp_ne_u32_e64 s[42:43], 0, v41
	v_cmp_ne_u32_e64 s[50:51], 0, v45
	s_bcnt1_i32_b64 s25, s[34:35]
	s_bcnt1_i32_b64 s28, s[40:41]
	;; [unrolled: 1-line block ×3, first 2 shown]
	s_add_i32 s6, s6, s7
	s_add_i32 s7, s17, s23
	;; [unrolled: 1-line block ×4, first 2 shown]
	s_bcnt1_i32_b64 s29, s[42:43]
	s_bcnt1_i32_b64 s35, s[50:51]
	s_add_i32 s6, s6, s18
	s_add_i32 s7, s7, s24
	s_add_i32 s11, s11, s28
	s_add_i32 s10, s10, s34
	s_add_i32 s62, s6, s19
	s_add_i32 s17, s7, s25
	s_add_i32 s11, s11, s29
	s_add_i32 s10, s10, s35
	s_or_b64 s[2:3], vcc, s[2:3]
	v_mov_b32_e32 v1, s62
	v_mov_b32_e32 v2, s17
	;; [unrolled: 1-line block ×4, first 2 shown]
	s_andn2_b64 exec, exec, s[2:3]
	s_cbranch_execnz .LBB39_65
; %bb.66:                               ;   in Loop: Header=BB39_15 Depth=1
	s_or_b64 exec, exec, s[2:3]
.LBB39_67:                              ;   in Loop: Header=BB39_15 Depth=1
	s_or_b64 exec, exec, s[82:83]
	v_add_u32_e32 v7, s5, v0
	v_cmp_gt_u32_e32 vcc, s4, v7
	s_and_saveexec_b64 s[2:3], vcc
	s_cbranch_execz .LBB39_71
; %bb.68:                               ;   in Loop: Header=BB39_15 Depth=1
	v_lshlrev_b32_e32 v10, 2, v7
	s_mov_b64 s[28:29], 0
.LBB39_69:                              ;   Parent Loop BB39_15 Depth=1
                                        ; =>  This Inner Loop Header: Depth=2
	ds_read_b32 v15, v10
	v_add_u32_e32 v7, s8, v7
	v_cmp_le_u32_e32 vcc, s4, v7
	v_add_u32_e32 v10, s16, v10
	s_waitcnt lgkmcnt(0)
	v_xor_b32_e32 v15, 0x80000000, v15
	v_and_b32_e32 v35, v15, v33
	v_bfe_u32 v15, v15, s15, 2
	v_cmp_eq_u32_e64 s[6:7], v35, v25
	v_cmp_eq_u32_e64 s[18:19], 0, v15
	;; [unrolled: 1-line block ×3, first 2 shown]
	s_and_b64 s[10:11], s[6:7], s[18:19]
	v_cmp_eq_u32_e64 s[24:25], 2, v15
	v_cmp_eq_u32_e64 s[26:27], 3, v15
	v_cndmask_b32_e64 v15, 0, 1, s[10:11]
	s_and_b64 s[10:11], s[6:7], s[22:23]
	v_cndmask_b32_e64 v35, 0, 1, s[10:11]
	s_and_b64 s[10:11], s[6:7], s[24:25]
	s_and_b64 s[6:7], s[6:7], s[26:27]
	v_cndmask_b32_e64 v36, 0, 1, s[10:11]
	v_cndmask_b32_e64 v37, 0, 1, s[6:7]
	v_cmp_ne_u32_e64 s[6:7], 0, v15
	v_cmp_ne_u32_e64 s[18:19], 0, v35
	;; [unrolled: 1-line block ×4, first 2 shown]
	s_bcnt1_i32_b64 s5, s[6:7]
	s_bcnt1_i32_b64 s6, s[18:19]
	;; [unrolled: 1-line block ×4, first 2 shown]
	v_add_u32_e32 v1, s5, v1
	v_add_u32_e32 v2, s6, v2
	;; [unrolled: 1-line block ×3, first 2 shown]
	s_or_b64 s[28:29], vcc, s[28:29]
	v_add_u32_e32 v4, s10, v4
	s_andn2_b64 exec, exec, s[28:29]
	s_cbranch_execnz .LBB39_69
; %bb.70:                               ;   in Loop: Header=BB39_15 Depth=1
	s_or_b64 exec, exec, s[28:29]
.LBB39_71:                              ;   in Loop: Header=BB39_15 Depth=1
	s_or_b64 exec, exec, s[2:3]
	s_lshl_b32 s4, s14, 6
	s_and_saveexec_b64 s[2:3], s[0:1]
	s_cbranch_execnz .LBB39_45
	s_branch .LBB39_46
.LBB39_72:                              ;   in Loop: Header=BB39_15 Depth=1
	v_mov_b32_e32 v1, 0
	s_mov_b32 s5, 0
.LBB39_73:                              ;   in Loop: Header=BB39_15 Depth=1
	v_readlane_b32 s6, v46, 27
	v_readlane_b32 s7, v46, 28
	s_andn2_b64 vcc, exec, s[6:7]
	s_cbranch_vccnz .LBB39_76
; %bb.74:                               ;   in Loop: Header=BB39_15 Depth=1
	s_lshl_b32 s6, s14, 8
	s_lshl_b32 s5, s5, 4
	s_add_i32 s6, s6, s5
	v_add_u32_e32 v2, s6, v32
	v_readlane_b32 s5, v46, 26
.LBB39_75:                              ;   Parent Loop BB39_15 Depth=1
                                        ; =>  This Inner Loop Header: Depth=2
	ds_read_b32 v3, v2
	s_add_i32 s5, s5, -1
	v_add_u32_e32 v2, 16, v2
	s_cmp_lg_u32 s5, 0
	s_waitcnt lgkmcnt(0)
	v_add_u32_e32 v1, v3, v1
	s_cbranch_scc1 .LBB39_75
.LBB39_76:                              ;   in Loop: Header=BB39_15 Depth=1
	v_add_lshl_u32 v2, s4, v20, 2
	ds_write_b32 v2, v1 offset:3072
.LBB39_77:                              ;   in Loop: Header=BB39_15 Depth=1
	s_or_b64 exec, exec, s[2:3]
	s_lshl_b32 s2, s4, 2
	v_mov_b32_e32 v1, s2
	s_waitcnt lgkmcnt(0)
	s_barrier
	ds_read_b128 v[1:4], v1 offset:3072
	v_readlane_b32 s2, v46, 10
	s_lshl_b32 s10, 3, s15
	v_readlane_b32 s3, v46, 11
	s_not_b32 s11, s10
	s_waitcnt lgkmcnt(0)
	v_readfirstlane_b32 s17, v1
	v_readfirstlane_b32 s4, v2
	;; [unrolled: 1-line block ×4, first 2 shown]
	v_cmp_eq_u32_e64 s[18:19], 1, v34
	s_mov_b64 s[34:35], -1
	s_mov_b64 s[22:23], 0
	s_andn2_b64 vcc, exec, s[2:3]
	s_mov_b64 s[26:27], 0
	s_mov_b64 s[24:25], 0
                                        ; implicit-def: $sgpr28_sgpr29
                                        ; implicit-def: $sgpr30_sgpr31
                                        ; implicit-def: $vgpr35
                                        ; implicit-def: $vgpr3
                                        ; implicit-def: $vgpr10
                                        ; implicit-def: $vgpr4
                                        ; implicit-def: $vgpr2
	s_cbranch_vccnz .LBB39_240
; %bb.78:                               ;   in Loop: Header=BB39_15 Depth=1
	s_cmp_eq_u32 s17, 1
	s_cselect_b64 s[2:3], -1, 0
	s_and_b64 s[6:7], s[2:3], s[18:19]
	s_mov_b64 s[2:3], -1
	v_mov_b32_e32 v10, v25
	v_mov_b32_e32 v4, v33
	;; [unrolled: 1-line block ×3, first 2 shown]
                                        ; implicit-def: $sgpr30_sgpr31
                                        ; implicit-def: $sgpr28_sgpr29
	s_and_saveexec_b64 s[24:25], s[6:7]
	s_cbranch_execz .LBB39_107
; %bb.79:                               ;   in Loop: Header=BB39_15 Depth=1
	ds_read_b32 v1, v8 offset:4096
	s_waitcnt lgkmcnt(0)
	s_barrier
	v_readfirstlane_b32 s42, v1
	s_mov_b64 s[2:3], exec
	v_readlane_b32 s26, v46, 20
	v_readlane_b32 s27, v46, 21
	s_and_b64 s[26:27], s[2:3], s[26:27]
	s_mov_b64 exec, s[26:27]
; %bb.80:                               ;   in Loop: Header=BB39_15 Depth=1
	ds_write_b32 v22, v8
; %bb.81:                               ;   in Loop: Header=BB39_15 Depth=1
	s_or_b64 exec, exec, s[2:3]
	v_and_b32_e32 v10, s11, v25
	v_or_b32_e32 v4, s10, v33
	s_mov_b64 s[28:29], -1
	s_mov_b64 s[30:31], 0
	s_cmp_eq_u32 s42, 0
	s_mov_b64 s[2:3], 0
	s_mov_b64 s[26:27], -1
	s_waitcnt lgkmcnt(0)
	s_barrier
                                        ; implicit-def: $vgpr2
	s_cbranch_scc1 .LBB39_95
; %bb.82:                               ;   in Loop: Header=BB39_15 Depth=1
	s_add_i32 s2, s42, s63
	v_readlane_b32 s3, v46, 34
	s_mul_hi_u32 s3, s2, s3
	s_mul_i32 s3, s3, s8
	s_sub_i32 s3, s2, s3
	s_sub_i32 s26, s3, s8
	s_cmp_ge_u32 s3, s8
	s_cselect_b32 s3, s26, s3
	s_sub_i32 s26, s3, s8
	s_cmp_ge_u32 s3, s8
	s_cselect_b32 s3, s26, s3
	s_sub_i32 s43, s2, s3
	v_cmp_gt_u32_e32 vcc, s43, v0
	s_mov_b64 s[26:27], 0
	s_mov_b64 s[2:3], 0
                                        ; implicit-def: $vgpr2
	s_and_saveexec_b64 s[34:35], vcc
	s_cbranch_execz .LBB39_94
; %bb.83:                               ;   in Loop: Header=BB39_15 Depth=1
	v_mov_b32_e32 v3, v19
	v_mov_b32_e32 v7, v0
                                        ; implicit-def: $sgpr36_sgpr37
	s_branch .LBB39_86
.LBB39_84:                              ;   in Loop: Header=BB39_86 Depth=2
	s_or_b64 exec, exec, s[38:39]
	s_waitcnt lgkmcnt(0)
	s_barrier
	ds_read_b64 v[1:2], v8 offset:3072
	s_mov_b64 s[38:39], -1
	s_mov_b64 s[40:41], -1
	s_waitcnt lgkmcnt(0)
	s_barrier
	v_cmp_ne_u32_e32 vcc, 0, v1
	s_cbranch_vccz .LBB39_89
.LBB39_85:                              ;   in Loop: Header=BB39_86 Depth=2
	s_and_b64 s[38:39], exec, s[38:39]
	s_or_b64 s[2:3], s[38:39], s[2:3]
	s_andn2_b64 s[36:37], s[36:37], exec
	s_and_b64 s[38:39], s[40:41], exec
	s_or_b64 s[36:37], s[36:37], s[38:39]
	s_andn2_b64 exec, exec, s[2:3]
	s_cbranch_execz .LBB39_93
.LBB39_86:                              ;   Parent Loop BB39_15 Depth=1
                                        ; =>  This Inner Loop Header: Depth=2
	v_cmp_gt_u32_e32 vcc, s42, v7
	s_and_saveexec_b64 s[38:39], vcc
	s_cbranch_execz .LBB39_84
; %bb.87:                               ;   in Loop: Header=BB39_86 Depth=2
	ds_read_b32 v15, v3
	s_waitcnt lgkmcnt(0)
	v_xor_b32_e32 v1, 0x80000000, v15
	v_and_b32_e32 v1, v1, v4
	v_cmp_eq_u32_e32 vcc, v1, v10
	s_and_b64 exec, exec, vcc
	s_cbranch_execz .LBB39_84
; %bb.88:                               ;   in Loop: Header=BB39_86 Depth=2
	ds_write_b64 v8, v[14:15] offset:3072
	s_branch .LBB39_84
.LBB39_89:                              ;   in Loop: Header=BB39_86 Depth=2
	v_add_u32_e32 v7, s8, v7
	v_cmp_le_u32_e32 vcc, s43, v7
	v_add_u32_e32 v3, s16, v3
	s_mov_b64 s[40:41], 0
	s_orn2_b64 s[38:39], vcc, exec
	s_branch .LBB39_85
.LBB39_90:                              ;   in Loop: Header=BB39_15 Depth=1
	s_or_b64 exec, exec, s[22:23]
	s_waitcnt lgkmcnt(0)
	s_barrier
	s_mov_b64 s[6:7], exec
	v_readlane_b32 s4, v46, 6
	v_readlane_b32 s5, v46, 7
	s_and_b64 s[4:5], s[6:7], s[4:5]
	s_mov_b64 exec, s[4:5]
	s_cbranch_execz .LBB39_92
; %bb.91:                               ;   in Loop: Header=BB39_15 Depth=1
	ds_read_b32 v1, v8 offset:4104
	s_waitcnt lgkmcnt(0)
	ds_write_b32 v8, v1 offset:4096
.LBB39_92:                              ;   in Loop: Header=BB39_15 Depth=1
	s_or_b64 exec, exec, s[6:7]
	s_waitcnt lgkmcnt(0)
	s_barrier
	s_mov_b64 s[6:7], -1
	s_and_b64 vcc, exec, s[2:3]
	s_cbranch_vccnz .LBB39_31
	s_branch .LBB39_40
.LBB39_93:                              ;   in Loop: Header=BB39_15 Depth=1
	s_or_b64 exec, exec, s[2:3]
	s_and_b64 s[2:3], s[36:37], exec
.LBB39_94:                              ;   in Loop: Header=BB39_15 Depth=1
	s_or_b64 exec, exec, s[34:35]
.LBB39_95:                              ;   in Loop: Header=BB39_15 Depth=1
	s_and_b64 vcc, exec, s[26:27]
	s_cbranch_vccz .LBB39_106
; %bb.96:                               ;   in Loop: Header=BB39_15 Depth=1
                                        ; implicit-def: $vgpr2
	s_mov_b64 s[26:27], exec
	v_readlane_b32 s28, v46, 35
	v_readlane_b32 s29, v46, 36
	s_and_b64 s[28:29], s[26:27], s[28:29]
	s_mov_b64 exec, s[28:29]
	s_cbranch_execz .LBB39_105
; %bb.97:                               ;   in Loop: Header=BB39_15 Depth=1
	s_mov_b64 s[28:29], 0
	v_mov_b32_e32 v7, v9
	v_mov_b32_e32 v3, v0
                                        ; implicit-def: $sgpr30_sgpr31
	s_branch .LBB39_100
.LBB39_98:                              ;   in Loop: Header=BB39_100 Depth=2
	s_or_b64 exec, exec, s[34:35]
	s_waitcnt lgkmcnt(0)
	s_barrier
	ds_read_b64 v[1:2], v8 offset:3072
	s_mov_b64 s[34:35], -1
	s_mov_b64 s[36:37], -1
	s_waitcnt lgkmcnt(0)
	s_barrier
	v_cmp_ne_u32_e32 vcc, 0, v1
	s_cbranch_vccz .LBB39_103
.LBB39_99:                              ;   in Loop: Header=BB39_100 Depth=2
	s_and_b64 s[34:35], exec, s[34:35]
	s_or_b64 s[28:29], s[34:35], s[28:29]
	s_andn2_b64 s[30:31], s[30:31], exec
	s_and_b64 s[34:35], s[36:37], exec
	s_or_b64 s[30:31], s[30:31], s[34:35]
	s_andn2_b64 exec, exec, s[28:29]
	s_cbranch_execz .LBB39_104
.LBB39_100:                             ;   Parent Loop BB39_15 Depth=1
                                        ; =>  This Inner Loop Header: Depth=2
	v_cmp_gt_u32_e32 vcc, s60, v3
	s_and_saveexec_b64 s[34:35], vcc
	s_cbranch_execz .LBB39_98
; %bb.101:                              ;   in Loop: Header=BB39_100 Depth=2
	v_lshlrev_b64 v[1:2], 2, v[7:8]
	v_mov_b32_e32 v15, s66
	v_add_co_u32_e32 v1, vcc, s64, v1
	v_addc_co_u32_e32 v2, vcc, v15, v2, vcc
	global_load_dword v15, v[1:2], off
	s_waitcnt vmcnt(0)
	v_xor_b32_e32 v1, 0x80000000, v15
	v_and_b32_e32 v1, v1, v4
	v_cmp_eq_u32_e32 vcc, v1, v10
	s_and_b64 exec, exec, vcc
	s_cbranch_execz .LBB39_98
; %bb.102:                              ;   in Loop: Header=BB39_100 Depth=2
	ds_write_b64 v8, v[14:15] offset:3072
	s_branch .LBB39_98
.LBB39_103:                             ;   in Loop: Header=BB39_100 Depth=2
	v_add_u32_e32 v3, s8, v3
	v_cmp_le_u32_e32 vcc, s77, v3
	v_add_u32_e32 v7, s9, v7
	s_mov_b64 s[36:37], 0
	s_orn2_b64 s[34:35], vcc, exec
	s_branch .LBB39_99
.LBB39_104:                             ;   in Loop: Header=BB39_15 Depth=1
	s_or_b64 exec, exec, s[28:29]
	s_andn2_b64 s[2:3], s[2:3], exec
	s_and_b64 s[28:29], s[30:31], exec
	s_or_b64 s[2:3], s[2:3], s[28:29]
.LBB39_105:                             ;   in Loop: Header=BB39_15 Depth=1
	s_or_b64 exec, exec, s[26:27]
	s_mov_b64 s[28:29], 0
	s_mov_b64 s[30:31], -1
.LBB39_106:                             ;   in Loop: Header=BB39_15 Depth=1
	s_orn2_b64 s[2:3], s[2:3], exec
.LBB39_107:                             ;   in Loop: Header=BB39_15 Depth=1
	s_or_b64 exec, exec, s[24:25]
	s_mov_b64 s[34:35], 0
	s_mov_b64 s[26:27], 0
	;; [unrolled: 1-line block ×3, first 2 shown]
                                        ; implicit-def: $vgpr35
                                        ; implicit-def: $vgpr3
	s_and_saveexec_b64 s[36:37], s[2:3]
	s_cbranch_execz .LBB39_239
; %bb.108:                              ;   in Loop: Header=BB39_15 Depth=1
	s_xor_b64 s[24:25], s[6:7], -1
	s_mov_b64 s[6:7], 0
	v_mov_b32_e32 v35, 1
	v_mov_b32_e32 v3, 1
	s_and_saveexec_b64 s[2:3], s[24:25]
	s_cbranch_execz .LBB39_117
; %bb.109:                              ;   in Loop: Header=BB39_15 Depth=1
	v_cmp_ge_u32_e32 vcc, s17, v34
	s_and_saveexec_b64 s[6:7], vcc
	s_xor_b64 s[6:7], exec, s[6:7]
	s_cbranch_execz .LBB39_114
; %bb.110:                              ;   in Loop: Header=BB39_15 Depth=1
	ds_read_b32 v1, v8 offset:4096
	v_and_b32_e32 v10, s11, v10
	v_or_b32_e32 v4, s10, v4
	s_waitcnt lgkmcnt(0)
	v_cmp_ne_u32_e32 vcc, 0, v1
	s_cbranch_vccnz .LBB39_114
; %bb.111:                              ;   in Loop: Header=BB39_15 Depth=1
	s_mov_b64 s[24:25], exec
	v_readlane_b32 s26, v46, 6
	v_readlane_b32 s27, v46, 7
	s_and_b64 s[26:27], s[24:25], s[26:27]
	s_mov_b64 exec, s[26:27]
; %bb.112:                              ;   in Loop: Header=BB39_15 Depth=1
	v_mov_b32_e32 v1, s17
	ds_write_b32 v8, v1 offset:4100
; %bb.113:                              ;   in Loop: Header=BB39_15 Depth=1
	s_or_b64 exec, exec, s[24:25]
	s_waitcnt lgkmcnt(0)
	s_barrier
.LBB39_114:                             ;   in Loop: Header=BB39_15 Depth=1
	s_or_saveexec_b64 s[6:7], s[6:7]
	s_mov_b64 s[24:25], 0
	v_mov_b32_e32 v3, 8
	v_mov_b32_e32 v35, v34
	s_xor_b64 exec, exec, s[6:7]
; %bb.115:                              ;   in Loop: Header=BB39_15 Depth=1
	s_mov_b64 s[24:25], exec
	v_subrev_u32_e32 v35, s17, v34
	v_mov_b32_e32 v3, 0
; %bb.116:                              ;   in Loop: Header=BB39_15 Depth=1
	s_or_b64 exec, exec, s[6:7]
	s_and_b64 s[6:7], s[24:25], exec
.LBB39_117:                             ;   in Loop: Header=BB39_15 Depth=1
	s_or_b64 exec, exec, s[2:3]
	s_mov_b64 s[2:3], -1
                                        ; implicit-def: $sgpr24_sgpr25
                                        ; implicit-def: $sgpr26_sgpr27
	s_and_saveexec_b64 s[38:39], s[6:7]
	s_xor_b64 s[6:7], exec, s[38:39]
	s_cbranch_execz .LBB39_236
; %bb.118:                              ;   in Loop: Header=BB39_15 Depth=1
	s_cmp_eq_u32 s4, 1
	s_cselect_b64 s[2:3], -1, 0
	v_cmp_eq_u32_e32 vcc, 1, v35
	s_and_b64 s[40:41], s[2:3], vcc
	s_mov_b64 s[2:3], -1
                                        ; implicit-def: $sgpr26_sgpr27
                                        ; implicit-def: $sgpr24_sgpr25
	s_and_saveexec_b64 s[38:39], s[40:41]
	s_cbranch_execz .LBB39_144
; %bb.119:                              ;   in Loop: Header=BB39_15 Depth=1
	ds_read_b32 v1, v8 offset:4096
	s_waitcnt lgkmcnt(0)
	s_barrier
	v_readfirstlane_b32 s52, v1
	s_mov_b64 s[2:3], exec
	v_readlane_b32 s24, v46, 20
	v_readlane_b32 s25, v46, 21
	s_and_b64 s[24:25], s[2:3], s[24:25]
	s_mov_b64 exec, s[24:25]
; %bb.120:                              ;   in Loop: Header=BB39_15 Depth=1
	ds_write_b32 v22, v8
; %bb.121:                              ;   in Loop: Header=BB39_15 Depth=1
	s_or_b64 exec, exec, s[2:3]
	v_and_b32_e32 v1, s11, v10
	v_lshl_or_b32 v10, 1, s15, v1
	v_or_b32_e32 v4, s10, v4
	s_mov_b64 s[24:25], -1
	s_mov_b64 s[26:27], 0
	s_cmp_eq_u32 s52, 0
	s_mov_b64 s[2:3], 0
	s_mov_b64 s[42:43], -1
	s_waitcnt lgkmcnt(0)
	s_barrier
                                        ; implicit-def: $vgpr2
	s_cbranch_scc1 .LBB39_132
; %bb.122:                              ;   in Loop: Header=BB39_15 Depth=1
	s_add_i32 s2, s52, s63
	v_readlane_b32 s3, v46, 34
	s_mul_hi_u32 s3, s2, s3
	s_mul_i32 s3, s3, s8
	s_sub_i32 s3, s2, s3
	s_sub_i32 s42, s3, s8
	s_cmp_ge_u32 s3, s8
	s_cselect_b32 s3, s42, s3
	s_sub_i32 s42, s3, s8
	s_cmp_ge_u32 s3, s8
	s_cselect_b32 s3, s42, s3
	s_sub_i32 s53, s2, s3
	v_cmp_gt_u32_e32 vcc, s53, v0
	s_mov_b64 s[42:43], 0
	s_mov_b64 s[2:3], 0
                                        ; implicit-def: $vgpr2
	s_and_saveexec_b64 s[44:45], vcc
	s_cbranch_execz .LBB39_131
; %bb.123:                              ;   in Loop: Header=BB39_15 Depth=1
	v_mov_b32_e32 v7, v19
	v_mov_b32_e32 v36, v0
                                        ; implicit-def: $sgpr46_sgpr47
	s_branch .LBB39_126
.LBB39_124:                             ;   in Loop: Header=BB39_126 Depth=2
	s_or_b64 exec, exec, s[48:49]
	s_waitcnt lgkmcnt(0)
	s_barrier
	ds_read_b64 v[1:2], v8 offset:3072
	s_mov_b64 s[48:49], -1
	s_mov_b64 s[50:51], -1
	s_waitcnt lgkmcnt(0)
	s_barrier
	v_cmp_ne_u32_e32 vcc, 0, v1
	s_cbranch_vccz .LBB39_129
.LBB39_125:                             ;   in Loop: Header=BB39_126 Depth=2
	s_and_b64 s[48:49], exec, s[48:49]
	s_or_b64 s[2:3], s[48:49], s[2:3]
	s_andn2_b64 s[46:47], s[46:47], exec
	s_and_b64 s[48:49], s[50:51], exec
	s_or_b64 s[46:47], s[46:47], s[48:49]
	s_andn2_b64 exec, exec, s[2:3]
	s_cbranch_execz .LBB39_130
.LBB39_126:                             ;   Parent Loop BB39_15 Depth=1
                                        ; =>  This Inner Loop Header: Depth=2
	v_cmp_gt_u32_e32 vcc, s52, v36
	s_and_saveexec_b64 s[48:49], vcc
	s_cbranch_execz .LBB39_124
; %bb.127:                              ;   in Loop: Header=BB39_126 Depth=2
	ds_read_b32 v15, v7
	s_waitcnt lgkmcnt(0)
	v_xor_b32_e32 v1, 0x80000000, v15
	v_and_b32_e32 v1, v1, v4
	v_cmp_eq_u32_e32 vcc, v1, v10
	s_and_b64 exec, exec, vcc
	s_cbranch_execz .LBB39_124
; %bb.128:                              ;   in Loop: Header=BB39_126 Depth=2
	ds_write_b64 v8, v[14:15] offset:3072
	s_branch .LBB39_124
.LBB39_129:                             ;   in Loop: Header=BB39_126 Depth=2
	v_add_u32_e32 v36, s8, v36
	v_cmp_le_u32_e32 vcc, s53, v36
	v_add_u32_e32 v7, s16, v7
	s_mov_b64 s[50:51], 0
	s_orn2_b64 s[48:49], vcc, exec
	s_branch .LBB39_125
.LBB39_130:                             ;   in Loop: Header=BB39_15 Depth=1
	s_or_b64 exec, exec, s[2:3]
	s_and_b64 s[2:3], s[46:47], exec
.LBB39_131:                             ;   in Loop: Header=BB39_15 Depth=1
	s_or_b64 exec, exec, s[44:45]
.LBB39_132:                             ;   in Loop: Header=BB39_15 Depth=1
	s_and_b64 vcc, exec, s[42:43]
	s_cbranch_vccz .LBB39_143
; %bb.133:                              ;   in Loop: Header=BB39_15 Depth=1
                                        ; implicit-def: $vgpr2
	s_mov_b64 s[24:25], exec
	v_readlane_b32 s26, v46, 35
	v_readlane_b32 s27, v46, 36
	s_and_b64 s[26:27], s[24:25], s[26:27]
	s_mov_b64 exec, s[26:27]
	s_cbranch_execz .LBB39_142
; %bb.134:                              ;   in Loop: Header=BB39_15 Depth=1
	s_mov_b64 s[26:27], 0
	v_mov_b32_e32 v7, v9
	v_mov_b32_e32 v36, v0
                                        ; implicit-def: $sgpr42_sgpr43
	s_branch .LBB39_137
.LBB39_135:                             ;   in Loop: Header=BB39_137 Depth=2
	s_or_b64 exec, exec, s[44:45]
	s_waitcnt lgkmcnt(0)
	s_barrier
	ds_read_b64 v[1:2], v8 offset:3072
	s_mov_b64 s[44:45], -1
	s_mov_b64 s[46:47], -1
	s_waitcnt lgkmcnt(0)
	s_barrier
	v_cmp_eq_u32_e32 vcc, 0, v1
	s_cbranch_vccnz .LBB39_140
.LBB39_136:                             ;   in Loop: Header=BB39_137 Depth=2
	s_and_b64 s[44:45], exec, s[44:45]
	s_or_b64 s[26:27], s[44:45], s[26:27]
	s_andn2_b64 s[42:43], s[42:43], exec
	s_and_b64 s[44:45], s[46:47], exec
	s_or_b64 s[42:43], s[42:43], s[44:45]
	s_andn2_b64 exec, exec, s[26:27]
	s_cbranch_execz .LBB39_141
.LBB39_137:                             ;   Parent Loop BB39_15 Depth=1
                                        ; =>  This Inner Loop Header: Depth=2
	v_cmp_gt_u32_e32 vcc, s60, v36
	s_and_saveexec_b64 s[44:45], vcc
	s_cbranch_execz .LBB39_135
; %bb.138:                              ;   in Loop: Header=BB39_137 Depth=2
	v_lshlrev_b64 v[1:2], 2, v[7:8]
	v_mov_b32_e32 v15, s66
	v_add_co_u32_e32 v1, vcc, s64, v1
	v_addc_co_u32_e32 v2, vcc, v15, v2, vcc
	global_load_dword v15, v[1:2], off
	s_waitcnt vmcnt(0)
	v_xor_b32_e32 v1, 0x80000000, v15
	v_and_b32_e32 v1, v1, v4
	v_cmp_eq_u32_e32 vcc, v1, v10
	s_and_b64 exec, exec, vcc
	s_cbranch_execz .LBB39_135
; %bb.139:                              ;   in Loop: Header=BB39_137 Depth=2
	ds_write_b64 v8, v[14:15] offset:3072
	s_branch .LBB39_135
.LBB39_140:                             ;   in Loop: Header=BB39_137 Depth=2
	v_add_u32_e32 v36, s8, v36
	v_cmp_le_u32_e32 vcc, s77, v36
	v_add_u32_e32 v7, s9, v7
	s_mov_b64 s[46:47], 0
	s_orn2_b64 s[44:45], vcc, exec
	s_branch .LBB39_136
.LBB39_141:                             ;   in Loop: Header=BB39_15 Depth=1
	s_or_b64 exec, exec, s[26:27]
	s_andn2_b64 s[2:3], s[2:3], exec
	s_and_b64 s[26:27], s[42:43], exec
	s_or_b64 s[2:3], s[2:3], s[26:27]
.LBB39_142:                             ;   in Loop: Header=BB39_15 Depth=1
	s_or_b64 exec, exec, s[24:25]
	s_mov_b64 s[24:25], 0
	s_mov_b64 s[26:27], -1
.LBB39_143:                             ;   in Loop: Header=BB39_15 Depth=1
	s_orn2_b64 s[2:3], s[2:3], exec
.LBB39_144:                             ;   in Loop: Header=BB39_15 Depth=1
	s_or_b64 exec, exec, s[38:39]
	s_mov_b64 s[42:43], 0
	s_and_saveexec_b64 s[38:39], s[2:3]
	s_cbranch_execz .LBB39_235
; %bb.145:                              ;   in Loop: Header=BB39_15 Depth=1
	s_xor_b64 s[40:41], s[40:41], -1
	s_mov_b64 s[46:47], 0
	v_mov_b32_e32 v36, 1
	v_mov_b32_e32 v3, 1
	s_and_saveexec_b64 s[2:3], s[40:41]
	s_cbranch_execz .LBB39_154
; %bb.146:                              ;   in Loop: Header=BB39_15 Depth=1
	v_cmp_ge_u32_e32 vcc, s4, v35
	s_and_saveexec_b64 s[40:41], vcc
	s_xor_b64 s[40:41], exec, s[40:41]
	s_cbranch_execz .LBB39_151
; %bb.147:                              ;   in Loop: Header=BB39_15 Depth=1
	ds_read_b32 v1, v8 offset:4096
	v_and_b32_e32 v3, s11, v10
	v_lshl_or_b32 v10, 1, s15, v3
	v_or_b32_e32 v4, s10, v4
	s_waitcnt lgkmcnt(0)
	v_cmp_ne_u32_e32 vcc, 0, v1
	s_cbranch_vccnz .LBB39_151
; %bb.148:                              ;   in Loop: Header=BB39_15 Depth=1
	s_mov_b64 s[42:43], exec
	v_readlane_b32 s44, v46, 6
	v_readlane_b32 s45, v46, 7
	s_and_b64 s[44:45], s[42:43], s[44:45]
	s_mov_b64 exec, s[44:45]
; %bb.149:                              ;   in Loop: Header=BB39_15 Depth=1
	v_mov_b32_e32 v1, s4
	ds_write_b32 v8, v1 offset:4100
; %bb.150:                              ;   in Loop: Header=BB39_15 Depth=1
	s_or_b64 exec, exec, s[42:43]
	s_waitcnt lgkmcnt(0)
	s_barrier
.LBB39_151:                             ;   in Loop: Header=BB39_15 Depth=1
	s_or_saveexec_b64 s[40:41], s[40:41]
	s_mov_b64 s[42:43], 0
	v_mov_b32_e32 v3, 8
	s_xor_b64 exec, exec, s[40:41]
; %bb.152:                              ;   in Loop: Header=BB39_15 Depth=1
	s_mov_b64 s[42:43], exec
	v_subrev_u32_e32 v35, s4, v35
	v_mov_b32_e32 v3, 0
; %bb.153:                              ;   in Loop: Header=BB39_15 Depth=1
	s_or_b64 exec, exec, s[40:41]
	s_and_b64 s[46:47], s[42:43], exec
	v_mov_b32_e32 v36, v35
.LBB39_154:                             ;   in Loop: Header=BB39_15 Depth=1
	s_or_b64 exec, exec, s[2:3]
	s_mov_b64 s[2:3], -1
                                        ; implicit-def: $sgpr42_sgpr43
                                        ; implicit-def: $sgpr44_sgpr45
	s_and_saveexec_b64 s[40:41], s[46:47]
	s_cbranch_execz .LBB39_234
; %bb.155:                              ;   in Loop: Header=BB39_15 Depth=1
	s_cmp_eq_u32 s5, 1
	s_cselect_b64 s[2:3], -1, 0
	v_cmp_eq_u32_e32 vcc, 1, v36
	s_and_b64 s[48:49], s[2:3], vcc
	s_mov_b64 s[2:3], -1
                                        ; implicit-def: $sgpr44_sgpr45
                                        ; implicit-def: $sgpr42_sgpr43
	s_and_saveexec_b64 s[46:47], s[48:49]
	s_cbranch_execz .LBB39_182
; %bb.156:                              ;   in Loop: Header=BB39_15 Depth=1
	ds_read_b32 v1, v8 offset:4096
	s_mov_b32 s83, s63
	s_waitcnt lgkmcnt(0)
	s_barrier
	v_readfirstlane_b32 s63, v1
	s_mov_b64 s[2:3], exec
	v_readlane_b32 s42, v46, 20
	v_readlane_b32 s43, v46, 21
	s_and_b64 s[42:43], s[2:3], s[42:43]
	s_mov_b64 exec, s[42:43]
; %bb.157:                              ;   in Loop: Header=BB39_15 Depth=1
	ds_write_b32 v22, v8
; %bb.158:                              ;   in Loop: Header=BB39_15 Depth=1
	s_or_b64 exec, exec, s[2:3]
	v_and_b32_e32 v1, s11, v10
	v_lshl_or_b32 v10, 2, s15, v1
	v_or_b32_e32 v4, s10, v4
	s_mov_b64 s[42:43], -1
	s_mov_b64 s[44:45], 0
	s_cmp_eq_u32 s63, 0
	s_mov_b64 s[2:3], 0
	s_mov_b64 s[50:51], -1
	s_waitcnt lgkmcnt(0)
	s_barrier
                                        ; implicit-def: $vgpr2
	s_cbranch_scc1 .LBB39_169
; %bb.159:                              ;   in Loop: Header=BB39_15 Depth=1
	s_add_i32 s2, s63, s83
	v_readlane_b32 s3, v46, 34
	s_mul_hi_u32 s3, s2, s3
	s_mul_i32 s3, s3, s8
	s_sub_i32 s3, s2, s3
	s_sub_i32 s50, s3, s8
	s_cmp_ge_u32 s3, s8
	s_cselect_b32 s3, s50, s3
	s_sub_i32 s50, s3, s8
	s_cmp_ge_u32 s3, s8
	s_cselect_b32 s3, s50, s3
	s_sub_i32 s82, s2, s3
	v_cmp_gt_u32_e32 vcc, s82, v0
	s_mov_b64 s[50:51], 0
	s_mov_b64 s[2:3], 0
                                        ; implicit-def: $vgpr2
	s_and_saveexec_b64 s[52:53], vcc
	s_cbranch_execz .LBB39_168
; %bb.160:                              ;   in Loop: Header=BB39_15 Depth=1
	v_mov_b32_e32 v7, v19
	v_mov_b32_e32 v35, v0
                                        ; implicit-def: $sgpr54_sgpr55
	s_branch .LBB39_163
.LBB39_161:                             ;   in Loop: Header=BB39_163 Depth=2
	s_or_b64 exec, exec, s[56:57]
	s_waitcnt lgkmcnt(0)
	s_barrier
	ds_read_b64 v[1:2], v8 offset:3072
	s_mov_b64 s[56:57], -1
	s_mov_b64 s[58:59], -1
	s_waitcnt lgkmcnt(0)
	s_barrier
	v_cmp_ne_u32_e32 vcc, 0, v1
	s_cbranch_vccz .LBB39_166
.LBB39_162:                             ;   in Loop: Header=BB39_163 Depth=2
	s_and_b64 s[56:57], exec, s[56:57]
	s_or_b64 s[2:3], s[56:57], s[2:3]
	s_andn2_b64 s[54:55], s[54:55], exec
	s_and_b64 s[56:57], s[58:59], exec
	s_or_b64 s[54:55], s[54:55], s[56:57]
	s_andn2_b64 exec, exec, s[2:3]
	s_cbranch_execz .LBB39_167
.LBB39_163:                             ;   Parent Loop BB39_15 Depth=1
                                        ; =>  This Inner Loop Header: Depth=2
	v_cmp_gt_u32_e32 vcc, s63, v35
	s_and_saveexec_b64 s[56:57], vcc
	s_cbranch_execz .LBB39_161
; %bb.164:                              ;   in Loop: Header=BB39_163 Depth=2
	ds_read_b32 v15, v7
	s_waitcnt lgkmcnt(0)
	v_xor_b32_e32 v1, 0x80000000, v15
	v_and_b32_e32 v1, v1, v4
	v_cmp_eq_u32_e32 vcc, v1, v10
	s_and_b64 exec, exec, vcc
	s_cbranch_execz .LBB39_161
; %bb.165:                              ;   in Loop: Header=BB39_163 Depth=2
	ds_write_b64 v8, v[14:15] offset:3072
	s_branch .LBB39_161
.LBB39_166:                             ;   in Loop: Header=BB39_163 Depth=2
	v_add_u32_e32 v35, s8, v35
	v_cmp_le_u32_e32 vcc, s82, v35
	v_add_u32_e32 v7, s16, v7
	s_mov_b64 s[58:59], 0
	s_orn2_b64 s[56:57], vcc, exec
	s_branch .LBB39_162
.LBB39_167:                             ;   in Loop: Header=BB39_15 Depth=1
	s_or_b64 exec, exec, s[2:3]
	s_and_b64 s[2:3], s[54:55], exec
.LBB39_168:                             ;   in Loop: Header=BB39_15 Depth=1
	s_or_b64 exec, exec, s[52:53]
.LBB39_169:                             ;   in Loop: Header=BB39_15 Depth=1
	s_and_b64 vcc, exec, s[50:51]
	s_cbranch_vccz .LBB39_178
; %bb.170:                              ;   in Loop: Header=BB39_15 Depth=1
                                        ; implicit-def: $vgpr2
	s_mov_b64 s[42:43], exec
	v_readlane_b32 s44, v46, 35
	v_readlane_b32 s45, v46, 36
	s_and_b64 s[44:45], s[42:43], s[44:45]
	s_mov_b32 s63, s83
	s_mov_b64 exec, s[44:45]
	s_cbranch_execz .LBB39_180
; %bb.171:                              ;   in Loop: Header=BB39_15 Depth=1
	s_mov_b64 s[44:45], 0
	v_mov_b32_e32 v7, v9
	v_mov_b32_e32 v35, v0
                                        ; implicit-def: $sgpr50_sgpr51
	s_branch .LBB39_174
.LBB39_172:                             ;   in Loop: Header=BB39_174 Depth=2
	s_or_b64 exec, exec, s[52:53]
	s_waitcnt lgkmcnt(0)
	s_barrier
	ds_read_b64 v[1:2], v8 offset:3072
	s_mov_b64 s[52:53], -1
	s_mov_b64 s[54:55], -1
	s_waitcnt lgkmcnt(0)
	s_barrier
	v_cmp_eq_u32_e32 vcc, 0, v1
	s_cbranch_vccnz .LBB39_177
.LBB39_173:                             ;   in Loop: Header=BB39_174 Depth=2
	s_and_b64 s[52:53], exec, s[52:53]
	s_or_b64 s[44:45], s[52:53], s[44:45]
	s_andn2_b64 s[50:51], s[50:51], exec
	s_and_b64 s[52:53], s[54:55], exec
	s_or_b64 s[50:51], s[50:51], s[52:53]
	s_andn2_b64 exec, exec, s[44:45]
	s_cbranch_execz .LBB39_179
.LBB39_174:                             ;   Parent Loop BB39_15 Depth=1
                                        ; =>  This Inner Loop Header: Depth=2
	v_cmp_gt_u32_e32 vcc, s60, v35
	s_and_saveexec_b64 s[52:53], vcc
	s_cbranch_execz .LBB39_172
; %bb.175:                              ;   in Loop: Header=BB39_174 Depth=2
	v_lshlrev_b64 v[1:2], 2, v[7:8]
	v_mov_b32_e32 v15, s66
	v_add_co_u32_e32 v1, vcc, s64, v1
	v_addc_co_u32_e32 v2, vcc, v15, v2, vcc
	global_load_dword v15, v[1:2], off
	s_waitcnt vmcnt(0)
	v_xor_b32_e32 v1, 0x80000000, v15
	v_and_b32_e32 v1, v1, v4
	v_cmp_eq_u32_e32 vcc, v1, v10
	s_and_b64 exec, exec, vcc
	s_cbranch_execz .LBB39_172
; %bb.176:                              ;   in Loop: Header=BB39_174 Depth=2
	ds_write_b64 v8, v[14:15] offset:3072
	s_branch .LBB39_172
.LBB39_177:                             ;   in Loop: Header=BB39_174 Depth=2
	v_add_u32_e32 v35, s8, v35
	v_cmp_le_u32_e32 vcc, s77, v35
	v_add_u32_e32 v7, s9, v7
	s_mov_b64 s[54:55], 0
	s_orn2_b64 s[52:53], vcc, exec
	s_branch .LBB39_173
.LBB39_178:                             ;   in Loop: Header=BB39_15 Depth=1
	s_mov_b32 s63, s83
	s_branch .LBB39_181
.LBB39_179:                             ;   in Loop: Header=BB39_15 Depth=1
	s_or_b64 exec, exec, s[44:45]
	s_andn2_b64 s[2:3], s[2:3], exec
	s_and_b64 s[44:45], s[50:51], exec
	s_or_b64 s[2:3], s[2:3], s[44:45]
.LBB39_180:                             ;   in Loop: Header=BB39_15 Depth=1
	s_or_b64 exec, exec, s[42:43]
	s_mov_b64 s[42:43], 0
	s_mov_b64 s[44:45], -1
.LBB39_181:                             ;   in Loop: Header=BB39_15 Depth=1
	s_orn2_b64 s[2:3], s[2:3], exec
.LBB39_182:                             ;   in Loop: Header=BB39_15 Depth=1
	s_or_b64 exec, exec, s[46:47]
	s_mov_b64 s[50:51], 0
	s_and_saveexec_b64 s[46:47], s[2:3]
	s_cbranch_execz .LBB39_233
; %bb.183:                              ;   in Loop: Header=BB39_15 Depth=1
	s_xor_b64 s[48:49], s[48:49], -1
	s_mov_b64 s[54:55], 0
	v_mov_b32_e32 v35, 1
	v_mov_b32_e32 v3, 1
	s_and_saveexec_b64 s[2:3], s[48:49]
	s_cbranch_execz .LBB39_192
; %bb.184:                              ;   in Loop: Header=BB39_15 Depth=1
	v_cmp_ge_u32_e32 vcc, s5, v36
	s_and_saveexec_b64 s[48:49], vcc
	s_xor_b64 s[48:49], exec, s[48:49]
	s_cbranch_execz .LBB39_189
; %bb.185:                              ;   in Loop: Header=BB39_15 Depth=1
	ds_read_b32 v1, v8 offset:4096
	v_and_b32_e32 v3, s11, v10
	v_lshl_or_b32 v10, 2, s15, v3
	v_or_b32_e32 v4, s10, v4
	s_waitcnt lgkmcnt(0)
	v_cmp_ne_u32_e32 vcc, 0, v1
	s_cbranch_vccnz .LBB39_189
; %bb.186:                              ;   in Loop: Header=BB39_15 Depth=1
	s_mov_b64 s[50:51], exec
	v_readlane_b32 s52, v46, 6
	v_readlane_b32 s53, v46, 7
	s_and_b64 s[52:53], s[50:51], s[52:53]
	s_mov_b64 exec, s[52:53]
; %bb.187:                              ;   in Loop: Header=BB39_15 Depth=1
	v_mov_b32_e32 v1, s5
	ds_write_b32 v8, v1 offset:4100
; %bb.188:                              ;   in Loop: Header=BB39_15 Depth=1
	s_or_b64 exec, exec, s[50:51]
	s_waitcnt lgkmcnt(0)
	s_barrier
.LBB39_189:                             ;   in Loop: Header=BB39_15 Depth=1
	s_or_saveexec_b64 s[48:49], s[48:49]
	s_mov_b64 s[50:51], 0
	v_mov_b32_e32 v3, 8
	s_xor_b64 exec, exec, s[48:49]
; %bb.190:                              ;   in Loop: Header=BB39_15 Depth=1
	s_mov_b64 s[50:51], exec
	v_subrev_u32_e32 v36, s5, v36
	v_mov_b32_e32 v3, 0
; %bb.191:                              ;   in Loop: Header=BB39_15 Depth=1
	s_or_b64 exec, exec, s[48:49]
	s_and_b64 s[54:55], s[50:51], exec
	v_mov_b32_e32 v35, v36
.LBB39_192:                             ;   in Loop: Header=BB39_15 Depth=1
	s_or_b64 exec, exec, s[2:3]
	s_mov_b64 s[2:3], -1
                                        ; implicit-def: $sgpr82_sgpr83
                                        ; implicit-def: $sgpr58_sgpr59
	s_and_saveexec_b64 s[48:49], s[54:55]
	s_cbranch_execz .LBB39_232
; %bb.193:                              ;   in Loop: Header=BB39_15 Depth=1
	s_cmp_eq_u32 s62, 1
	s_cselect_b64 s[2:3], -1, 0
	v_cmp_eq_u32_e32 vcc, 1, v35
	s_mov_b64 s[54:55], -1
	s_and_b64 s[2:3], s[2:3], vcc
                                        ; implicit-def: $sgpr82_sgpr83
                                        ; implicit-def: $sgpr58_sgpr59
	s_mov_b64 s[56:57], exec
	v_writelane_b32 v46, s2, 37
	v_writelane_b32 v46, s3, 38
	s_and_b64 s[2:3], s[56:57], s[2:3]
	s_mov_b64 exec, s[2:3]
	s_cbranch_execz .LBB39_220
; %bb.194:                              ;   in Loop: Header=BB39_15 Depth=1
	ds_read_b32 v1, v8 offset:4096
	s_mov_b32 s83, s63
	s_waitcnt lgkmcnt(0)
	s_barrier
	v_readfirstlane_b32 s63, v1
	s_mov_b64 s[2:3], exec
	v_readlane_b32 s50, v46, 20
	v_readlane_b32 s51, v46, 21
	s_and_b64 s[50:51], s[2:3], s[50:51]
	s_mov_b64 exec, s[50:51]
; %bb.195:                              ;   in Loop: Header=BB39_15 Depth=1
	ds_write_b32 v22, v8
; %bb.196:                              ;   in Loop: Header=BB39_15 Depth=1
	s_or_b64 exec, exec, s[2:3]
	v_or_b32_e32 v10, s10, v10
	v_or_b32_e32 v4, s10, v4
	s_cmp_eq_u32 s63, 0
	s_mov_b64 s[2:3], 0
	s_mov_b64 s[58:59], -1
	s_waitcnt lgkmcnt(0)
	s_barrier
                                        ; implicit-def: $vgpr2
	s_cbranch_scc1 .LBB39_207
; %bb.197:                              ;   in Loop: Header=BB39_15 Depth=1
	s_add_i32 s2, s63, s83
	v_readlane_b32 s3, v46, 34
	s_mul_hi_u32 s3, s2, s3
	s_mul_i32 s3, s3, s8
	s_sub_i32 s3, s2, s3
	s_sub_i32 s50, s3, s8
	s_cmp_ge_u32 s3, s8
	s_cselect_b32 s3, s50, s3
	s_sub_i32 s50, s3, s8
	s_cmp_ge_u32 s3, s8
	s_cselect_b32 s3, s50, s3
	s_sub_i32 s82, s2, s3
	v_cmp_gt_u32_e32 vcc, s82, v0
	s_mov_b64 s[58:59], 0
	s_mov_b64 s[2:3], 0
                                        ; implicit-def: $vgpr2
	s_and_saveexec_b64 s[52:53], vcc
	s_cbranch_execz .LBB39_206
; %bb.198:                              ;   in Loop: Header=BB39_15 Depth=1
	v_writelane_b32 v46, s52, 39
	v_mov_b32_e32 v7, v19
	v_mov_b32_e32 v36, v0
	v_writelane_b32 v46, s53, 40
                                        ; implicit-def: $sgpr54_sgpr55
	s_branch .LBB39_201
.LBB39_199:                             ;   in Loop: Header=BB39_201 Depth=2
	s_or_b64 exec, exec, s[50:51]
	s_waitcnt lgkmcnt(0)
	s_barrier
	ds_read_b64 v[1:2], v8 offset:3072
	s_mov_b64 s[50:51], -1
	s_mov_b64 s[52:53], -1
	s_waitcnt lgkmcnt(0)
	s_barrier
	v_cmp_ne_u32_e32 vcc, 0, v1
	s_cbranch_vccz .LBB39_204
.LBB39_200:                             ;   in Loop: Header=BB39_201 Depth=2
	s_and_b64 s[50:51], exec, s[50:51]
	s_or_b64 s[2:3], s[50:51], s[2:3]
	s_andn2_b64 s[50:51], s[54:55], exec
	s_and_b64 s[52:53], s[52:53], exec
	s_or_b64 s[54:55], s[50:51], s[52:53]
	s_andn2_b64 exec, exec, s[2:3]
	s_cbranch_execz .LBB39_205
.LBB39_201:                             ;   Parent Loop BB39_15 Depth=1
                                        ; =>  This Inner Loop Header: Depth=2
	v_cmp_gt_u32_e32 vcc, s63, v36
	s_and_saveexec_b64 s[50:51], vcc
	s_cbranch_execz .LBB39_199
; %bb.202:                              ;   in Loop: Header=BB39_201 Depth=2
	ds_read_b32 v15, v7
	s_waitcnt lgkmcnt(0)
	v_xor_b32_e32 v1, 0x80000000, v15
	v_and_b32_e32 v1, v1, v4
	v_cmp_eq_u32_e32 vcc, v1, v10
	s_and_b64 exec, exec, vcc
	s_cbranch_execz .LBB39_199
; %bb.203:                              ;   in Loop: Header=BB39_201 Depth=2
	ds_write_b64 v8, v[14:15] offset:3072
	s_branch .LBB39_199
.LBB39_204:                             ;   in Loop: Header=BB39_201 Depth=2
	v_add_u32_e32 v36, s8, v36
	v_cmp_le_u32_e32 vcc, s82, v36
	v_add_u32_e32 v7, s16, v7
	s_mov_b64 s[52:53], 0
	s_orn2_b64 s[50:51], vcc, exec
	s_branch .LBB39_200
.LBB39_205:                             ;   in Loop: Header=BB39_15 Depth=1
	s_or_b64 exec, exec, s[2:3]
	v_readlane_b32 s52, v46, 39
	s_and_b64 s[2:3], s[54:55], exec
	v_readlane_b32 s53, v46, 40
.LBB39_206:                             ;   in Loop: Header=BB39_15 Depth=1
	s_or_b64 exec, exec, s[52:53]
.LBB39_207:                             ;   in Loop: Header=BB39_15 Depth=1
	s_and_b64 vcc, exec, s[58:59]
	s_cbranch_vccz .LBB39_216
; %bb.208:                              ;   in Loop: Header=BB39_15 Depth=1
                                        ; implicit-def: $vgpr2
	s_mov_b64 s[50:51], exec
	v_readlane_b32 s52, v46, 35
	v_readlane_b32 s53, v46, 36
	s_and_b64 s[52:53], s[50:51], s[52:53]
	s_mov_b32 s63, s83
	s_mov_b64 exec, s[52:53]
	s_cbranch_execz .LBB39_218
; %bb.209:                              ;   in Loop: Header=BB39_15 Depth=1
	s_mov_b64 s[52:53], 0
	v_mov_b32_e32 v7, v9
	v_mov_b32_e32 v36, v0
                                        ; implicit-def: $sgpr58_sgpr59
	s_branch .LBB39_212
.LBB39_210:                             ;   in Loop: Header=BB39_212 Depth=2
	s_or_b64 exec, exec, s[54:55]
	s_waitcnt lgkmcnt(0)
	s_barrier
	ds_read_b64 v[1:2], v8 offset:3072
	s_mov_b64 s[54:55], -1
	s_mov_b64 s[82:83], -1
	s_waitcnt lgkmcnt(0)
	s_barrier
	v_cmp_eq_u32_e32 vcc, 0, v1
	s_cbranch_vccnz .LBB39_215
.LBB39_211:                             ;   in Loop: Header=BB39_212 Depth=2
	s_and_b64 s[54:55], exec, s[54:55]
	s_or_b64 s[52:53], s[54:55], s[52:53]
	s_andn2_b64 s[54:55], s[58:59], exec
	s_and_b64 s[58:59], s[82:83], exec
	s_or_b64 s[58:59], s[54:55], s[58:59]
	s_andn2_b64 exec, exec, s[52:53]
	s_cbranch_execz .LBB39_217
.LBB39_212:                             ;   Parent Loop BB39_15 Depth=1
                                        ; =>  This Inner Loop Header: Depth=2
	v_cmp_gt_u32_e32 vcc, s60, v36
	s_and_saveexec_b64 s[54:55], vcc
	s_cbranch_execz .LBB39_210
; %bb.213:                              ;   in Loop: Header=BB39_212 Depth=2
	v_lshlrev_b64 v[1:2], 2, v[7:8]
	v_mov_b32_e32 v15, s66
	v_add_co_u32_e32 v1, vcc, s64, v1
	v_addc_co_u32_e32 v2, vcc, v15, v2, vcc
	global_load_dword v15, v[1:2], off
	s_waitcnt vmcnt(0)
	v_xor_b32_e32 v1, 0x80000000, v15
	v_and_b32_e32 v1, v1, v4
	v_cmp_eq_u32_e32 vcc, v1, v10
	s_and_b64 exec, exec, vcc
	s_cbranch_execz .LBB39_210
; %bb.214:                              ;   in Loop: Header=BB39_212 Depth=2
	ds_write_b64 v8, v[14:15] offset:3072
	s_branch .LBB39_210
.LBB39_215:                             ;   in Loop: Header=BB39_212 Depth=2
	v_add_u32_e32 v36, s8, v36
	v_cmp_le_u32_e32 vcc, s77, v36
	v_add_u32_e32 v7, s9, v7
	s_mov_b64 s[82:83], 0
	s_orn2_b64 s[54:55], vcc, exec
	s_branch .LBB39_211
.LBB39_216:                             ;   in Loop: Header=BB39_15 Depth=1
	s_mov_b32 s63, s83
	s_mov_b64 s[58:59], -1
	s_mov_b64 s[82:83], 0
	s_branch .LBB39_219
.LBB39_217:                             ;   in Loop: Header=BB39_15 Depth=1
	s_or_b64 exec, exec, s[52:53]
	s_andn2_b64 s[2:3], s[2:3], exec
	s_and_b64 s[52:53], s[58:59], exec
	s_or_b64 s[2:3], s[2:3], s[52:53]
.LBB39_218:                             ;   in Loop: Header=BB39_15 Depth=1
	s_or_b64 exec, exec, s[50:51]
	s_mov_b64 s[58:59], 0
	s_mov_b64 s[82:83], -1
.LBB39_219:                             ;   in Loop: Header=BB39_15 Depth=1
	s_orn2_b64 s[54:55], s[2:3], exec
.LBB39_220:                             ;   in Loop: Header=BB39_15 Depth=1
	s_or_b64 exec, exec, s[56:57]
	s_mov_b64 s[56:57], 0
	s_and_saveexec_b64 s[2:3], s[54:55]
	s_cbranch_execz .LBB39_231
; %bb.221:                              ;   in Loop: Header=BB39_15 Depth=1
	v_readlane_b32 s50, v46, 37
	v_readlane_b32 s51, v46, 38
	s_xor_b64 s[50:51], s[50:51], -1
	v_mov_b32_e32 v3, 1
	v_mov_b32_e32 v1, 1
	s_and_saveexec_b64 s[54:55], s[50:51]
	s_cbranch_execz .LBB39_230
; %bb.222:                              ;   in Loop: Header=BB39_15 Depth=1
	v_cmp_ge_u32_e32 vcc, s62, v35
	s_and_saveexec_b64 s[50:51], vcc
	s_xor_b64 s[56:57], exec, s[50:51]
	s_cbranch_execz .LBB39_227
; %bb.223:                              ;   in Loop: Header=BB39_15 Depth=1
	ds_read_b32 v1, v8 offset:4096
	v_or_b32_e32 v10, s10, v10
	v_or_b32_e32 v4, s10, v4
	s_waitcnt lgkmcnt(0)
	v_cmp_ne_u32_e32 vcc, 0, v1
	s_cbranch_vccnz .LBB39_227
; %bb.224:                              ;   in Loop: Header=BB39_15 Depth=1
	s_mov_b64 s[50:51], exec
	v_readlane_b32 s52, v46, 6
	v_readlane_b32 s53, v46, 7
	s_and_b64 s[52:53], s[50:51], s[52:53]
	s_mov_b64 exec, s[52:53]
; %bb.225:                              ;   in Loop: Header=BB39_15 Depth=1
	v_mov_b32_e32 v1, s62
	ds_write_b32 v8, v1 offset:4100
; %bb.226:                              ;   in Loop: Header=BB39_15 Depth=1
	s_or_b64 exec, exec, s[50:51]
	s_waitcnt lgkmcnt(0)
	s_barrier
.LBB39_227:                             ;   in Loop: Header=BB39_15 Depth=1
	s_andn2_saveexec_b64 s[50:51], s[56:57]
; %bb.228:                              ;   in Loop: Header=BB39_15 Depth=1
	v_subrev_u32_e32 v35, s62, v35
; %bb.229:                              ;   in Loop: Header=BB39_15 Depth=1
	s_or_b64 exec, exec, s[50:51]
	v_mov_b32_e32 v3, 8
	v_mov_b32_e32 v1, v35
.LBB39_230:                             ;   in Loop: Header=BB39_15 Depth=1
	s_or_b64 exec, exec, s[54:55]
	s_mov_b64 s[56:57], exec
	v_mov_b32_e32 v35, v1
.LBB39_231:                             ;   in Loop: Header=BB39_15 Depth=1
	s_or_b64 exec, exec, s[2:3]
	s_orn2_b64 s[2:3], s[56:57], exec
.LBB39_232:                             ;   in Loop: Header=BB39_15 Depth=1
	s_or_b64 exec, exec, s[48:49]
	s_andn2_b64 s[44:45], s[44:45], exec
	s_and_b64 s[48:49], s[82:83], exec
	s_or_b64 s[44:45], s[44:45], s[48:49]
	s_andn2_b64 s[42:43], s[42:43], exec
	s_and_b64 s[48:49], s[58:59], exec
	s_or_b64 s[42:43], s[42:43], s[48:49]
	s_and_b64 s[50:51], s[2:3], exec
	v_mov_b32_e32 v36, v35
.LBB39_233:                             ;   in Loop: Header=BB39_15 Depth=1
	s_or_b64 exec, exec, s[46:47]
	s_orn2_b64 s[2:3], s[50:51], exec
.LBB39_234:                             ;   in Loop: Header=BB39_15 Depth=1
	s_or_b64 exec, exec, s[40:41]
	s_andn2_b64 s[26:27], s[26:27], exec
	s_and_b64 s[40:41], s[44:45], exec
	s_or_b64 s[26:27], s[26:27], s[40:41]
	s_andn2_b64 s[24:25], s[24:25], exec
	s_and_b64 s[40:41], s[42:43], exec
	s_or_b64 s[24:25], s[24:25], s[40:41]
	s_and_b64 s[42:43], s[2:3], exec
	v_mov_b32_e32 v35, v36
.LBB39_235:                             ;   in Loop: Header=BB39_15 Depth=1
	s_or_b64 exec, exec, s[38:39]
	s_orn2_b64 s[2:3], s[42:43], exec
.LBB39_236:                             ;   in Loop: Header=BB39_15 Depth=1
	s_or_b64 exec, exec, s[6:7]
	s_mov_b64 s[6:7], 0
	s_mov_b64 s[38:39], 0
	s_and_saveexec_b64 s[40:41], s[2:3]
	s_xor_b64 s[2:3], exec, s[40:41]
; %bb.237:                              ;   in Loop: Header=BB39_15 Depth=1
	v_cmp_eq_u32_e32 vcc, 8, v3
	v_cmp_ne_u32_e64 s[6:7], 8, v3
	s_and_b64 s[38:39], s[6:7], exec
	s_and_b64 s[6:7], vcc, exec
; %bb.238:                              ;   in Loop: Header=BB39_15 Depth=1
	s_or_b64 exec, exec, s[2:3]
	s_andn2_b64 s[2:3], s[30:31], exec
	s_and_b64 s[26:27], s[26:27], exec
	s_or_b64 s[30:31], s[2:3], s[26:27]
	s_andn2_b64 s[2:3], s[28:29], exec
	s_and_b64 s[24:25], s[24:25], exec
	s_or_b64 s[28:29], s[2:3], s[24:25]
	s_and_b64 s[24:25], s[38:39], exec
	s_and_b64 s[26:27], s[6:7], exec
.LBB39_239:                             ;   in Loop: Header=BB39_15 Depth=1
	s_or_b64 exec, exec, s[36:37]
.LBB39_240:                             ;   in Loop: Header=BB39_15 Depth=1
	s_and_b64 vcc, exec, s[34:35]
	s_cbranch_vccz .LBB39_253
; %bb.241:                              ;   in Loop: Header=BB39_15 Depth=1
	s_cmp_eq_u32 s62, 1
	s_cselect_b64 s[2:3], -1, 0
	s_and_b64 s[6:7], s[2:3], s[18:19]
	s_mov_b64 s[2:3], -1
                                        ; implicit-def: $sgpr18_sgpr19
                                        ; implicit-def: $sgpr22_sgpr23
	s_and_saveexec_b64 s[28:29], s[6:7]
	s_cbranch_execz .LBB39_268
; %bb.242:                              ;   in Loop: Header=BB39_15 Depth=1
	ds_read_b32 v1, v8 offset:4096
	s_waitcnt lgkmcnt(0)
	s_barrier
	v_readfirstlane_b32 s42, v1
	s_mov_b64 s[2:3], exec
	v_readlane_b32 s18, v46, 20
	v_readlane_b32 s19, v46, 21
	s_and_b64 s[18:19], s[2:3], s[18:19]
	s_mov_b64 exec, s[18:19]
; %bb.243:                              ;   in Loop: Header=BB39_15 Depth=1
	ds_write_b32 v22, v8
; %bb.244:                              ;   in Loop: Header=BB39_15 Depth=1
	s_or_b64 exec, exec, s[2:3]
	v_or_b32_e32 v25, s10, v25
	v_or_b32_e32 v33, s10, v33
	s_mov_b64 s[22:23], -1
	s_mov_b64 s[18:19], 0
	s_cmp_eq_u32 s42, 0
	s_mov_b64 s[2:3], 0
	s_mov_b64 s[30:31], -1
	s_waitcnt lgkmcnt(0)
	s_barrier
                                        ; implicit-def: $vgpr11
	s_cbranch_scc1 .LBB39_256
; %bb.245:                              ;   in Loop: Header=BB39_15 Depth=1
	s_add_i32 s2, s42, s63
	v_readlane_b32 s3, v46, 34
	s_mul_hi_u32 s3, s2, s3
	s_mul_i32 s3, s3, s8
	s_sub_i32 s3, s2, s3
	s_sub_i32 s30, s3, s8
	s_cmp_ge_u32 s3, s8
	s_cselect_b32 s3, s30, s3
	s_sub_i32 s30, s3, s8
	s_cmp_ge_u32 s3, s8
	s_cselect_b32 s3, s30, s3
	s_sub_i32 s43, s2, s3
	v_cmp_gt_u32_e32 vcc, s43, v0
	s_mov_b64 s[30:31], 0
	s_mov_b64 s[2:3], 0
                                        ; implicit-def: $vgpr11
	s_and_saveexec_b64 s[34:35], vcc
	s_cbranch_execz .LBB39_255
; %bb.246:                              ;   in Loop: Header=BB39_15 Depth=1
	v_mov_b32_e32 v1, v19
	v_mov_b32_e32 v2, v0
                                        ; implicit-def: $sgpr36_sgpr37
	s_branch .LBB39_249
.LBB39_247:                             ;   in Loop: Header=BB39_249 Depth=2
	s_or_b64 exec, exec, s[38:39]
	s_waitcnt lgkmcnt(0)
	s_barrier
	ds_read_b64 v[10:11], v8 offset:3072
	s_mov_b64 s[38:39], -1
	s_mov_b64 s[40:41], -1
	s_waitcnt lgkmcnt(0)
	s_barrier
	v_cmp_ne_u32_e32 vcc, 0, v10
	s_cbranch_vccz .LBB39_252
.LBB39_248:                             ;   in Loop: Header=BB39_249 Depth=2
	s_and_b64 s[38:39], exec, s[38:39]
	s_or_b64 s[2:3], s[38:39], s[2:3]
	s_andn2_b64 s[36:37], s[36:37], exec
	s_and_b64 s[38:39], s[40:41], exec
	s_or_b64 s[36:37], s[36:37], s[38:39]
	s_andn2_b64 exec, exec, s[2:3]
	s_cbranch_execz .LBB39_254
.LBB39_249:                             ;   Parent Loop BB39_15 Depth=1
                                        ; =>  This Inner Loop Header: Depth=2
	v_cmp_gt_u32_e32 vcc, s42, v2
	s_and_saveexec_b64 s[38:39], vcc
	s_cbranch_execz .LBB39_247
; %bb.250:                              ;   in Loop: Header=BB39_249 Depth=2
	ds_read_b32 v15, v1
	s_waitcnt lgkmcnt(0)
	v_xor_b32_e32 v3, 0x80000000, v15
	v_and_b32_e32 v3, v3, v33
	v_cmp_eq_u32_e32 vcc, v3, v25
	s_and_b64 exec, exec, vcc
	s_cbranch_execz .LBB39_247
; %bb.251:                              ;   in Loop: Header=BB39_249 Depth=2
	ds_write_b64 v8, v[14:15] offset:3072
	s_branch .LBB39_247
.LBB39_252:                             ;   in Loop: Header=BB39_249 Depth=2
	v_add_u32_e32 v2, s8, v2
	v_cmp_le_u32_e32 vcc, s43, v2
	v_add_u32_e32 v1, s16, v1
	s_mov_b64 s[40:41], 0
	s_orn2_b64 s[38:39], vcc, exec
	s_branch .LBB39_248
.LBB39_253:                             ;   in Loop: Header=BB39_15 Depth=1
	s_mov_b64 s[18:19], 0
	v_mov_b32_e32 v25, v10
	v_mov_b32_e32 v33, v4
	v_mov_b32_e32 v11, v2
	s_and_saveexec_b64 s[2:3], s[26:27]
	s_cbranch_execnz .LBB39_399
	s_branch .LBB39_400
.LBB39_254:                             ;   in Loop: Header=BB39_15 Depth=1
	s_or_b64 exec, exec, s[2:3]
	s_and_b64 s[2:3], s[36:37], exec
.LBB39_255:                             ;   in Loop: Header=BB39_15 Depth=1
	s_or_b64 exec, exec, s[34:35]
.LBB39_256:                             ;   in Loop: Header=BB39_15 Depth=1
	s_and_b64 vcc, exec, s[30:31]
	s_cbranch_vccz .LBB39_267
; %bb.257:                              ;   in Loop: Header=BB39_15 Depth=1
                                        ; implicit-def: $vgpr11
	s_mov_b64 s[18:19], exec
	v_readlane_b32 s22, v46, 35
	v_readlane_b32 s23, v46, 36
	s_and_b64 s[22:23], s[18:19], s[22:23]
	s_mov_b64 exec, s[22:23]
	s_cbranch_execz .LBB39_266
; %bb.258:                              ;   in Loop: Header=BB39_15 Depth=1
	s_mov_b64 s[22:23], 0
	v_mov_b32_e32 v7, v9
	v_mov_b32_e32 v1, v0
                                        ; implicit-def: $sgpr30_sgpr31
	s_branch .LBB39_261
.LBB39_259:                             ;   in Loop: Header=BB39_261 Depth=2
	s_or_b64 exec, exec, s[34:35]
	s_waitcnt lgkmcnt(0)
	s_barrier
	ds_read_b64 v[10:11], v8 offset:3072
	s_mov_b64 s[34:35], -1
	s_mov_b64 s[36:37], -1
	s_waitcnt lgkmcnt(0)
	s_barrier
	v_cmp_ne_u32_e32 vcc, 0, v10
	s_cbranch_vccz .LBB39_264
.LBB39_260:                             ;   in Loop: Header=BB39_261 Depth=2
	s_and_b64 s[34:35], exec, s[34:35]
	s_or_b64 s[22:23], s[34:35], s[22:23]
	s_andn2_b64 s[30:31], s[30:31], exec
	s_and_b64 s[34:35], s[36:37], exec
	s_or_b64 s[30:31], s[30:31], s[34:35]
	s_andn2_b64 exec, exec, s[22:23]
	s_cbranch_execz .LBB39_265
.LBB39_261:                             ;   Parent Loop BB39_15 Depth=1
                                        ; =>  This Inner Loop Header: Depth=2
	v_cmp_gt_u32_e32 vcc, s60, v1
	s_and_saveexec_b64 s[34:35], vcc
	s_cbranch_execz .LBB39_259
; %bb.262:                              ;   in Loop: Header=BB39_261 Depth=2
	v_lshlrev_b64 v[2:3], 2, v[7:8]
	v_mov_b32_e32 v4, s66
	v_add_co_u32_e32 v2, vcc, s64, v2
	v_addc_co_u32_e32 v3, vcc, v4, v3, vcc
	global_load_dword v15, v[2:3], off
	s_waitcnt vmcnt(0)
	v_xor_b32_e32 v2, 0x80000000, v15
	v_and_b32_e32 v2, v2, v33
	v_cmp_eq_u32_e32 vcc, v2, v25
	s_and_b64 exec, exec, vcc
	s_cbranch_execz .LBB39_259
; %bb.263:                              ;   in Loop: Header=BB39_261 Depth=2
	ds_write_b64 v8, v[14:15] offset:3072
	s_branch .LBB39_259
.LBB39_264:                             ;   in Loop: Header=BB39_261 Depth=2
	v_add_u32_e32 v1, s8, v1
	v_cmp_le_u32_e32 vcc, s77, v1
	v_add_u32_e32 v7, s9, v7
	s_mov_b64 s[36:37], 0
	s_orn2_b64 s[34:35], vcc, exec
	s_branch .LBB39_260
.LBB39_265:                             ;   in Loop: Header=BB39_15 Depth=1
	s_or_b64 exec, exec, s[22:23]
	s_andn2_b64 s[2:3], s[2:3], exec
	s_and_b64 s[22:23], s[30:31], exec
	s_or_b64 s[2:3], s[2:3], s[22:23]
.LBB39_266:                             ;   in Loop: Header=BB39_15 Depth=1
	s_or_b64 exec, exec, s[18:19]
	s_mov_b64 s[22:23], 0
	s_mov_b64 s[18:19], -1
.LBB39_267:                             ;   in Loop: Header=BB39_15 Depth=1
	s_orn2_b64 s[2:3], s[2:3], exec
.LBB39_268:                             ;   in Loop: Header=BB39_15 Depth=1
	s_or_b64 exec, exec, s[28:29]
                                        ; implicit-def: $vgpr35
                                        ; implicit-def: $vgpr3
	s_and_saveexec_b64 s[28:29], s[2:3]
	s_cbranch_execz .LBB39_398
; %bb.269:                              ;   in Loop: Header=BB39_15 Depth=1
	s_xor_b64 s[30:31], s[6:7], -1
	s_mov_b64 s[6:7], 0
	v_mov_b32_e32 v35, 1
	v_mov_b32_e32 v3, 1
	s_and_saveexec_b64 s[2:3], s[30:31]
	s_cbranch_execz .LBB39_278
; %bb.270:                              ;   in Loop: Header=BB39_15 Depth=1
	v_cmp_ge_u32_e32 vcc, s62, v34
	s_and_saveexec_b64 s[6:7], vcc
	s_xor_b64 s[6:7], exec, s[6:7]
	s_cbranch_execz .LBB39_275
; %bb.271:                              ;   in Loop: Header=BB39_15 Depth=1
	ds_read_b32 v1, v8 offset:4096
	v_or_b32_e32 v25, s10, v25
	v_or_b32_e32 v33, s10, v33
	s_waitcnt lgkmcnt(0)
	v_cmp_ne_u32_e32 vcc, 0, v1
	s_cbranch_vccnz .LBB39_275
; %bb.272:                              ;   in Loop: Header=BB39_15 Depth=1
	s_mov_b64 s[30:31], exec
	v_readlane_b32 s34, v46, 6
	v_readlane_b32 s35, v46, 7
	s_and_b64 s[34:35], s[30:31], s[34:35]
	s_mov_b64 exec, s[34:35]
; %bb.273:                              ;   in Loop: Header=BB39_15 Depth=1
	v_mov_b32_e32 v1, s62
	ds_write_b32 v8, v1 offset:4100
; %bb.274:                              ;   in Loop: Header=BB39_15 Depth=1
	s_or_b64 exec, exec, s[30:31]
	s_waitcnt lgkmcnt(0)
	s_barrier
.LBB39_275:                             ;   in Loop: Header=BB39_15 Depth=1
	s_or_saveexec_b64 s[6:7], s[6:7]
	s_mov_b64 s[30:31], 0
	v_mov_b32_e32 v3, 5
	s_xor_b64 exec, exec, s[6:7]
; %bb.276:                              ;   in Loop: Header=BB39_15 Depth=1
	s_mov_b64 s[30:31], exec
	v_subrev_u32_e32 v34, s62, v34
	v_mov_b32_e32 v3, 0
; %bb.277:                              ;   in Loop: Header=BB39_15 Depth=1
	s_or_b64 exec, exec, s[6:7]
	s_and_b64 s[6:7], s[30:31], exec
	v_mov_b32_e32 v35, v34
.LBB39_278:                             ;   in Loop: Header=BB39_15 Depth=1
	s_or_b64 exec, exec, s[2:3]
	s_mov_b64 s[2:3], -1
                                        ; implicit-def: $sgpr30_sgpr31
                                        ; implicit-def: $sgpr34_sgpr35
	s_and_saveexec_b64 s[36:37], s[6:7]
	s_xor_b64 s[6:7], exec, s[36:37]
	s_cbranch_execz .LBB39_395
; %bb.279:                              ;   in Loop: Header=BB39_15 Depth=1
	s_cmp_eq_u32 s5, 1
	s_cselect_b64 s[2:3], -1, 0
	v_cmp_eq_u32_e32 vcc, 1, v35
	s_and_b64 s[38:39], s[2:3], vcc
	s_mov_b64 s[2:3], -1
                                        ; implicit-def: $sgpr34_sgpr35
                                        ; implicit-def: $sgpr30_sgpr31
	s_and_saveexec_b64 s[36:37], s[38:39]
	s_cbranch_execz .LBB39_305
; %bb.280:                              ;   in Loop: Header=BB39_15 Depth=1
	ds_read_b32 v1, v8 offset:4096
	s_waitcnt lgkmcnt(0)
	s_barrier
	v_readfirstlane_b32 s50, v1
	s_mov_b64 s[2:3], exec
	v_readlane_b32 s30, v46, 20
	v_readlane_b32 s31, v46, 21
	s_and_b64 s[30:31], s[2:3], s[30:31]
	s_mov_b64 exec, s[30:31]
; %bb.281:                              ;   in Loop: Header=BB39_15 Depth=1
	ds_write_b32 v22, v8
; %bb.282:                              ;   in Loop: Header=BB39_15 Depth=1
	s_or_b64 exec, exec, s[2:3]
	v_and_b32_e32 v1, s11, v25
	v_lshl_or_b32 v25, 2, s15, v1
	v_or_b32_e32 v33, s10, v33
	s_mov_b64 s[30:31], -1
	s_mov_b64 s[34:35], 0
	s_cmp_eq_u32 s50, 0
	s_mov_b64 s[2:3], 0
	s_mov_b64 s[40:41], -1
	s_waitcnt lgkmcnt(0)
	s_barrier
                                        ; implicit-def: $vgpr11
	s_cbranch_scc1 .LBB39_293
; %bb.283:                              ;   in Loop: Header=BB39_15 Depth=1
	s_add_i32 s2, s50, s63
	v_readlane_b32 s3, v46, 34
	s_mul_hi_u32 s3, s2, s3
	s_mul_i32 s3, s3, s8
	s_sub_i32 s3, s2, s3
	s_sub_i32 s40, s3, s8
	s_cmp_ge_u32 s3, s8
	s_cselect_b32 s3, s40, s3
	s_sub_i32 s40, s3, s8
	s_cmp_ge_u32 s3, s8
	s_cselect_b32 s3, s40, s3
	s_sub_i32 s51, s2, s3
	v_cmp_gt_u32_e32 vcc, s51, v0
	s_mov_b64 s[40:41], 0
	s_mov_b64 s[2:3], 0
                                        ; implicit-def: $vgpr11
	s_and_saveexec_b64 s[42:43], vcc
	s_cbranch_execz .LBB39_292
; %bb.284:                              ;   in Loop: Header=BB39_15 Depth=1
	v_mov_b32_e32 v1, v19
	v_mov_b32_e32 v2, v0
                                        ; implicit-def: $sgpr44_sgpr45
	s_branch .LBB39_287
.LBB39_285:                             ;   in Loop: Header=BB39_287 Depth=2
	s_or_b64 exec, exec, s[46:47]
	s_waitcnt lgkmcnt(0)
	s_barrier
	ds_read_b64 v[10:11], v8 offset:3072
	s_mov_b64 s[46:47], -1
	s_mov_b64 s[48:49], -1
	s_waitcnt lgkmcnt(0)
	s_barrier
	v_cmp_ne_u32_e32 vcc, 0, v10
	s_cbranch_vccz .LBB39_290
.LBB39_286:                             ;   in Loop: Header=BB39_287 Depth=2
	s_and_b64 s[46:47], exec, s[46:47]
	s_or_b64 s[2:3], s[46:47], s[2:3]
	s_andn2_b64 s[44:45], s[44:45], exec
	s_and_b64 s[46:47], s[48:49], exec
	s_or_b64 s[44:45], s[44:45], s[46:47]
	s_andn2_b64 exec, exec, s[2:3]
	s_cbranch_execz .LBB39_291
.LBB39_287:                             ;   Parent Loop BB39_15 Depth=1
                                        ; =>  This Inner Loop Header: Depth=2
	v_cmp_gt_u32_e32 vcc, s50, v2
	s_and_saveexec_b64 s[46:47], vcc
	s_cbranch_execz .LBB39_285
; %bb.288:                              ;   in Loop: Header=BB39_287 Depth=2
	ds_read_b32 v15, v1
	s_waitcnt lgkmcnt(0)
	v_xor_b32_e32 v4, 0x80000000, v15
	v_and_b32_e32 v4, v4, v33
	v_cmp_eq_u32_e32 vcc, v4, v25
	s_and_b64 exec, exec, vcc
	s_cbranch_execz .LBB39_285
; %bb.289:                              ;   in Loop: Header=BB39_287 Depth=2
	ds_write_b64 v8, v[14:15] offset:3072
	s_branch .LBB39_285
.LBB39_290:                             ;   in Loop: Header=BB39_287 Depth=2
	v_add_u32_e32 v2, s8, v2
	v_cmp_le_u32_e32 vcc, s51, v2
	v_add_u32_e32 v1, s16, v1
	s_mov_b64 s[48:49], 0
	s_orn2_b64 s[46:47], vcc, exec
	s_branch .LBB39_286
.LBB39_291:                             ;   in Loop: Header=BB39_15 Depth=1
	s_or_b64 exec, exec, s[2:3]
	s_and_b64 s[2:3], s[44:45], exec
.LBB39_292:                             ;   in Loop: Header=BB39_15 Depth=1
	s_or_b64 exec, exec, s[42:43]
.LBB39_293:                             ;   in Loop: Header=BB39_15 Depth=1
	s_and_b64 vcc, exec, s[40:41]
	s_cbranch_vccz .LBB39_304
; %bb.294:                              ;   in Loop: Header=BB39_15 Depth=1
                                        ; implicit-def: $vgpr11
	s_mov_b64 s[30:31], exec
	v_readlane_b32 s34, v46, 35
	v_readlane_b32 s35, v46, 36
	s_and_b64 s[34:35], s[30:31], s[34:35]
	s_mov_b64 exec, s[34:35]
	s_cbranch_execz .LBB39_303
; %bb.295:                              ;   in Loop: Header=BB39_15 Depth=1
	s_mov_b64 s[34:35], 0
	v_mov_b32_e32 v7, v9
	v_mov_b32_e32 v1, v0
                                        ; implicit-def: $sgpr40_sgpr41
	s_branch .LBB39_298
.LBB39_296:                             ;   in Loop: Header=BB39_298 Depth=2
	s_or_b64 exec, exec, s[42:43]
	s_waitcnt lgkmcnt(0)
	s_barrier
	ds_read_b64 v[10:11], v8 offset:3072
	s_mov_b64 s[42:43], -1
	s_mov_b64 s[44:45], -1
	s_waitcnt lgkmcnt(0)
	s_barrier
	v_cmp_eq_u32_e32 vcc, 0, v10
	s_cbranch_vccnz .LBB39_301
.LBB39_297:                             ;   in Loop: Header=BB39_298 Depth=2
	s_and_b64 s[42:43], exec, s[42:43]
	s_or_b64 s[34:35], s[42:43], s[34:35]
	s_andn2_b64 s[40:41], s[40:41], exec
	s_and_b64 s[42:43], s[44:45], exec
	s_or_b64 s[40:41], s[40:41], s[42:43]
	s_andn2_b64 exec, exec, s[34:35]
	s_cbranch_execz .LBB39_302
.LBB39_298:                             ;   Parent Loop BB39_15 Depth=1
                                        ; =>  This Inner Loop Header: Depth=2
	v_cmp_gt_u32_e32 vcc, s60, v1
	s_and_saveexec_b64 s[42:43], vcc
	s_cbranch_execz .LBB39_296
; %bb.299:                              ;   in Loop: Header=BB39_298 Depth=2
	v_lshlrev_b64 v[10:11], 2, v[7:8]
	v_mov_b32_e32 v2, s66
	v_add_co_u32_e32 v10, vcc, s64, v10
	v_addc_co_u32_e32 v11, vcc, v2, v11, vcc
	global_load_dword v15, v[10:11], off
	s_waitcnt vmcnt(0)
	v_xor_b32_e32 v2, 0x80000000, v15
	v_and_b32_e32 v2, v2, v33
	v_cmp_eq_u32_e32 vcc, v2, v25
	s_and_b64 exec, exec, vcc
	s_cbranch_execz .LBB39_296
; %bb.300:                              ;   in Loop: Header=BB39_298 Depth=2
	ds_write_b64 v8, v[14:15] offset:3072
	s_branch .LBB39_296
.LBB39_301:                             ;   in Loop: Header=BB39_298 Depth=2
	v_add_u32_e32 v1, s8, v1
	v_cmp_le_u32_e32 vcc, s77, v1
	v_add_u32_e32 v7, s9, v7
	s_mov_b64 s[44:45], 0
	s_orn2_b64 s[42:43], vcc, exec
	s_branch .LBB39_297
.LBB39_302:                             ;   in Loop: Header=BB39_15 Depth=1
	s_or_b64 exec, exec, s[34:35]
	s_andn2_b64 s[2:3], s[2:3], exec
	s_and_b64 s[34:35], s[40:41], exec
	s_or_b64 s[2:3], s[2:3], s[34:35]
.LBB39_303:                             ;   in Loop: Header=BB39_15 Depth=1
	s_or_b64 exec, exec, s[30:31]
	s_mov_b64 s[30:31], 0
	s_mov_b64 s[34:35], -1
.LBB39_304:                             ;   in Loop: Header=BB39_15 Depth=1
	s_orn2_b64 s[2:3], s[2:3], exec
.LBB39_305:                             ;   in Loop: Header=BB39_15 Depth=1
	s_or_b64 exec, exec, s[36:37]
	s_mov_b64 s[40:41], 0
	s_and_saveexec_b64 s[36:37], s[2:3]
	s_cbranch_execz .LBB39_394
; %bb.306:                              ;   in Loop: Header=BB39_15 Depth=1
	s_xor_b64 s[38:39], s[38:39], -1
	s_mov_b64 s[44:45], 0
	v_mov_b32_e32 v1, 1
	v_mov_b32_e32 v3, 1
	s_and_saveexec_b64 s[2:3], s[38:39]
	s_cbranch_execz .LBB39_315
; %bb.307:                              ;   in Loop: Header=BB39_15 Depth=1
	v_cmp_ge_u32_e32 vcc, s5, v35
	s_and_saveexec_b64 s[38:39], vcc
	s_xor_b64 s[38:39], exec, s[38:39]
	s_cbranch_execz .LBB39_312
; %bb.308:                              ;   in Loop: Header=BB39_15 Depth=1
	ds_read_b32 v1, v8 offset:4096
	v_and_b32_e32 v2, s11, v25
	v_lshl_or_b32 v25, 2, s15, v2
	v_or_b32_e32 v33, s10, v33
	s_waitcnt lgkmcnt(0)
	v_cmp_ne_u32_e32 vcc, 0, v1
	s_cbranch_vccnz .LBB39_312
; %bb.309:                              ;   in Loop: Header=BB39_15 Depth=1
	s_mov_b64 s[40:41], exec
	v_readlane_b32 s42, v46, 6
	v_readlane_b32 s43, v46, 7
	s_and_b64 s[42:43], s[40:41], s[42:43]
	s_mov_b64 exec, s[42:43]
; %bb.310:                              ;   in Loop: Header=BB39_15 Depth=1
	v_mov_b32_e32 v1, s5
	ds_write_b32 v8, v1 offset:4100
; %bb.311:                              ;   in Loop: Header=BB39_15 Depth=1
	s_or_b64 exec, exec, s[40:41]
	s_waitcnt lgkmcnt(0)
	s_barrier
.LBB39_312:                             ;   in Loop: Header=BB39_15 Depth=1
	s_or_saveexec_b64 s[38:39], s[38:39]
	s_mov_b64 s[40:41], 0
	v_mov_b32_e32 v3, 5
	s_xor_b64 exec, exec, s[38:39]
; %bb.313:                              ;   in Loop: Header=BB39_15 Depth=1
	s_mov_b64 s[40:41], exec
	v_subrev_u32_e32 v35, s5, v35
	v_mov_b32_e32 v3, 0
; %bb.314:                              ;   in Loop: Header=BB39_15 Depth=1
	s_or_b64 exec, exec, s[38:39]
	s_and_b64 s[44:45], s[40:41], exec
	v_mov_b32_e32 v1, v35
.LBB39_315:                             ;   in Loop: Header=BB39_15 Depth=1
	s_or_b64 exec, exec, s[2:3]
	s_mov_b64 s[2:3], -1
                                        ; implicit-def: $sgpr40_sgpr41
                                        ; implicit-def: $sgpr42_sgpr43
	s_and_saveexec_b64 s[38:39], s[44:45]
	s_cbranch_execz .LBB39_393
; %bb.316:                              ;   in Loop: Header=BB39_15 Depth=1
	s_cmp_eq_u32 s4, 1
	s_cselect_b64 s[2:3], -1, 0
	v_cmp_eq_u32_e32 vcc, 1, v1
	s_and_b64 s[46:47], s[2:3], vcc
	s_mov_b64 s[2:3], -1
                                        ; implicit-def: $sgpr42_sgpr43
                                        ; implicit-def: $sgpr40_sgpr41
	s_and_saveexec_b64 s[44:45], s[46:47]
	s_cbranch_execz .LBB39_342
; %bb.317:                              ;   in Loop: Header=BB39_15 Depth=1
	ds_read_b32 v2, v8 offset:4096
	s_waitcnt lgkmcnt(0)
	s_barrier
	v_readfirstlane_b32 s5, v2
	s_mov_b64 s[2:3], exec
	v_readlane_b32 s40, v46, 20
	v_readlane_b32 s41, v46, 21
	s_and_b64 s[40:41], s[2:3], s[40:41]
	s_mov_b64 exec, s[40:41]
; %bb.318:                              ;   in Loop: Header=BB39_15 Depth=1
	ds_write_b32 v22, v8
; %bb.319:                              ;   in Loop: Header=BB39_15 Depth=1
	s_or_b64 exec, exec, s[2:3]
	v_and_b32_e32 v2, s11, v25
	v_lshl_or_b32 v25, 1, s15, v2
	v_or_b32_e32 v33, s10, v33
	s_mov_b64 s[40:41], -1
	s_mov_b64 s[42:43], 0
	s_cmp_eq_u32 s5, 0
	s_mov_b64 s[2:3], 0
	s_mov_b64 s[48:49], -1
	s_waitcnt lgkmcnt(0)
	s_barrier
                                        ; implicit-def: $vgpr11
	s_cbranch_scc1 .LBB39_330
; %bb.320:                              ;   in Loop: Header=BB39_15 Depth=1
	s_add_i32 s2, s5, s63
	v_readlane_b32 s3, v46, 34
	s_mul_hi_u32 s3, s2, s3
	s_mul_i32 s3, s3, s8
	s_sub_i32 s3, s2, s3
	s_sub_i32 s48, s3, s8
	s_cmp_ge_u32 s3, s8
	s_cselect_b32 s3, s48, s3
	s_sub_i32 s48, s3, s8
	s_cmp_ge_u32 s3, s8
	s_cselect_b32 s3, s48, s3
	s_sub_i32 s58, s2, s3
	v_cmp_gt_u32_e32 vcc, s58, v0
	s_mov_b64 s[48:49], 0
	s_mov_b64 s[2:3], 0
                                        ; implicit-def: $vgpr11
	s_and_saveexec_b64 s[50:51], vcc
	s_cbranch_execz .LBB39_329
; %bb.321:                              ;   in Loop: Header=BB39_15 Depth=1
	v_mov_b32_e32 v2, v19
	v_mov_b32_e32 v4, v0
                                        ; implicit-def: $sgpr52_sgpr53
	s_branch .LBB39_324
.LBB39_322:                             ;   in Loop: Header=BB39_324 Depth=2
	s_or_b64 exec, exec, s[54:55]
	s_waitcnt lgkmcnt(0)
	s_barrier
	ds_read_b64 v[10:11], v8 offset:3072
	s_mov_b64 s[54:55], -1
	s_mov_b64 s[56:57], -1
	s_waitcnt lgkmcnt(0)
	s_barrier
	v_cmp_ne_u32_e32 vcc, 0, v10
	s_cbranch_vccz .LBB39_327
.LBB39_323:                             ;   in Loop: Header=BB39_324 Depth=2
	s_and_b64 s[54:55], exec, s[54:55]
	s_or_b64 s[2:3], s[54:55], s[2:3]
	s_andn2_b64 s[52:53], s[52:53], exec
	s_and_b64 s[54:55], s[56:57], exec
	s_or_b64 s[52:53], s[52:53], s[54:55]
	s_andn2_b64 exec, exec, s[2:3]
	s_cbranch_execz .LBB39_328
.LBB39_324:                             ;   Parent Loop BB39_15 Depth=1
                                        ; =>  This Inner Loop Header: Depth=2
	v_cmp_gt_u32_e32 vcc, s5, v4
	s_and_saveexec_b64 s[54:55], vcc
	s_cbranch_execz .LBB39_322
; %bb.325:                              ;   in Loop: Header=BB39_324 Depth=2
	ds_read_b32 v15, v2
	s_waitcnt lgkmcnt(0)
	v_xor_b32_e32 v7, 0x80000000, v15
	v_and_b32_e32 v7, v7, v33
	v_cmp_eq_u32_e32 vcc, v7, v25
	s_and_b64 exec, exec, vcc
	s_cbranch_execz .LBB39_322
; %bb.326:                              ;   in Loop: Header=BB39_324 Depth=2
	ds_write_b64 v8, v[14:15] offset:3072
	s_branch .LBB39_322
.LBB39_327:                             ;   in Loop: Header=BB39_324 Depth=2
	v_add_u32_e32 v4, s8, v4
	v_cmp_le_u32_e32 vcc, s58, v4
	v_add_u32_e32 v2, s16, v2
	s_mov_b64 s[56:57], 0
	s_orn2_b64 s[54:55], vcc, exec
	s_branch .LBB39_323
.LBB39_328:                             ;   in Loop: Header=BB39_15 Depth=1
	s_or_b64 exec, exec, s[2:3]
	s_and_b64 s[2:3], s[52:53], exec
.LBB39_329:                             ;   in Loop: Header=BB39_15 Depth=1
	s_or_b64 exec, exec, s[50:51]
.LBB39_330:                             ;   in Loop: Header=BB39_15 Depth=1
	s_and_b64 vcc, exec, s[48:49]
	s_cbranch_vccz .LBB39_341
; %bb.331:                              ;   in Loop: Header=BB39_15 Depth=1
                                        ; implicit-def: $vgpr11
	s_mov_b64 s[40:41], exec
	v_readlane_b32 s42, v46, 35
	v_readlane_b32 s43, v46, 36
	s_and_b64 s[42:43], s[40:41], s[42:43]
	s_mov_b64 exec, s[42:43]
	s_cbranch_execz .LBB39_340
; %bb.332:                              ;   in Loop: Header=BB39_15 Depth=1
	s_mov_b64 s[42:43], 0
	v_mov_b32_e32 v7, v9
	v_mov_b32_e32 v2, v0
                                        ; implicit-def: $sgpr48_sgpr49
	s_branch .LBB39_335
.LBB39_333:                             ;   in Loop: Header=BB39_335 Depth=2
	s_or_b64 exec, exec, s[50:51]
	s_waitcnt lgkmcnt(0)
	s_barrier
	ds_read_b64 v[10:11], v8 offset:3072
	s_mov_b64 s[50:51], -1
	s_mov_b64 s[52:53], -1
	s_waitcnt lgkmcnt(0)
	s_barrier
	v_cmp_eq_u32_e32 vcc, 0, v10
	s_cbranch_vccnz .LBB39_338
.LBB39_334:                             ;   in Loop: Header=BB39_335 Depth=2
	s_and_b64 s[50:51], exec, s[50:51]
	s_or_b64 s[42:43], s[50:51], s[42:43]
	s_andn2_b64 s[48:49], s[48:49], exec
	s_and_b64 s[50:51], s[52:53], exec
	s_or_b64 s[48:49], s[48:49], s[50:51]
	s_andn2_b64 exec, exec, s[42:43]
	s_cbranch_execz .LBB39_339
.LBB39_335:                             ;   Parent Loop BB39_15 Depth=1
                                        ; =>  This Inner Loop Header: Depth=2
	v_cmp_gt_u32_e32 vcc, s60, v2
	s_and_saveexec_b64 s[50:51], vcc
	s_cbranch_execz .LBB39_333
; %bb.336:                              ;   in Loop: Header=BB39_335 Depth=2
	v_lshlrev_b64 v[10:11], 2, v[7:8]
	v_mov_b32_e32 v4, s66
	v_add_co_u32_e32 v10, vcc, s64, v10
	v_addc_co_u32_e32 v11, vcc, v4, v11, vcc
	global_load_dword v15, v[10:11], off
	s_waitcnt vmcnt(0)
	v_xor_b32_e32 v4, 0x80000000, v15
	v_and_b32_e32 v4, v4, v33
	v_cmp_eq_u32_e32 vcc, v4, v25
	s_and_b64 exec, exec, vcc
	s_cbranch_execz .LBB39_333
; %bb.337:                              ;   in Loop: Header=BB39_335 Depth=2
	ds_write_b64 v8, v[14:15] offset:3072
	s_branch .LBB39_333
.LBB39_338:                             ;   in Loop: Header=BB39_335 Depth=2
	v_add_u32_e32 v2, s8, v2
	v_cmp_le_u32_e32 vcc, s77, v2
	v_add_u32_e32 v7, s9, v7
	s_mov_b64 s[52:53], 0
	s_orn2_b64 s[50:51], vcc, exec
	s_branch .LBB39_334
.LBB39_339:                             ;   in Loop: Header=BB39_15 Depth=1
	s_or_b64 exec, exec, s[42:43]
	s_andn2_b64 s[2:3], s[2:3], exec
	s_and_b64 s[42:43], s[48:49], exec
	s_or_b64 s[2:3], s[2:3], s[42:43]
.LBB39_340:                             ;   in Loop: Header=BB39_15 Depth=1
	s_or_b64 exec, exec, s[40:41]
	s_mov_b64 s[40:41], 0
	s_mov_b64 s[42:43], -1
.LBB39_341:                             ;   in Loop: Header=BB39_15 Depth=1
	s_orn2_b64 s[2:3], s[2:3], exec
.LBB39_342:                             ;   in Loop: Header=BB39_15 Depth=1
	s_or_b64 exec, exec, s[44:45]
	s_mov_b64 s[48:49], 0
	s_and_saveexec_b64 s[44:45], s[2:3]
	s_cbranch_execz .LBB39_392
; %bb.343:                              ;   in Loop: Header=BB39_15 Depth=1
	s_xor_b64 s[46:47], s[46:47], -1
	s_mov_b64 s[52:53], 0
	v_mov_b32_e32 v2, 1
	v_mov_b32_e32 v3, 1
	s_and_saveexec_b64 s[2:3], s[46:47]
	s_cbranch_execz .LBB39_352
; %bb.344:                              ;   in Loop: Header=BB39_15 Depth=1
	v_cmp_ge_u32_e32 vcc, s4, v1
	s_and_saveexec_b64 s[46:47], vcc
	s_xor_b64 s[46:47], exec, s[46:47]
	s_cbranch_execz .LBB39_349
; %bb.345:                              ;   in Loop: Header=BB39_15 Depth=1
	ds_read_b32 v2, v8 offset:4096
	v_and_b32_e32 v3, s11, v25
	v_lshl_or_b32 v25, 1, s15, v3
	v_or_b32_e32 v33, s10, v33
	s_waitcnt lgkmcnt(0)
	v_cmp_ne_u32_e32 vcc, 0, v2
	s_cbranch_vccnz .LBB39_349
; %bb.346:                              ;   in Loop: Header=BB39_15 Depth=1
	s_mov_b64 s[48:49], exec
	v_readlane_b32 s50, v46, 6
	v_readlane_b32 s51, v46, 7
	s_and_b64 s[50:51], s[48:49], s[50:51]
	s_mov_b64 exec, s[50:51]
; %bb.347:                              ;   in Loop: Header=BB39_15 Depth=1
	v_mov_b32_e32 v2, s4
	ds_write_b32 v8, v2 offset:4100
; %bb.348:                              ;   in Loop: Header=BB39_15 Depth=1
	s_or_b64 exec, exec, s[48:49]
	s_waitcnt lgkmcnt(0)
	s_barrier
.LBB39_349:                             ;   in Loop: Header=BB39_15 Depth=1
	s_or_saveexec_b64 s[46:47], s[46:47]
	s_mov_b64 s[48:49], 0
	v_mov_b32_e32 v3, 5
	s_xor_b64 exec, exec, s[46:47]
; %bb.350:                              ;   in Loop: Header=BB39_15 Depth=1
	s_mov_b64 s[48:49], exec
	v_subrev_u32_e32 v1, s4, v1
	v_mov_b32_e32 v3, 0
; %bb.351:                              ;   in Loop: Header=BB39_15 Depth=1
	s_or_b64 exec, exec, s[46:47]
	s_and_b64 s[52:53], s[48:49], exec
	v_mov_b32_e32 v2, v1
.LBB39_352:                             ;   in Loop: Header=BB39_15 Depth=1
	s_or_b64 exec, exec, s[2:3]
	s_mov_b64 s[2:3], -1
                                        ; implicit-def: $sgpr50_sgpr51
                                        ; implicit-def: $sgpr48_sgpr49
	s_and_saveexec_b64 s[46:47], s[52:53]
	s_cbranch_execz .LBB39_391
; %bb.353:                              ;   in Loop: Header=BB39_15 Depth=1
	s_cmp_eq_u32 s17, 1
	s_cselect_b64 s[2:3], -1, 0
	v_cmp_eq_u32_e32 vcc, 1, v2
	s_mov_b64 s[56:57], -1
	s_and_b64 s[2:3], s[2:3], vcc
                                        ; implicit-def: $sgpr50_sgpr51
                                        ; implicit-def: $sgpr48_sgpr49
	s_mov_b64 s[54:55], exec
	v_writelane_b32 v46, s2, 37
	v_writelane_b32 v46, s3, 38
	s_and_b64 s[2:3], s[54:55], s[2:3]
	s_mov_b64 exec, s[2:3]
	s_cbranch_execz .LBB39_379
; %bb.354:                              ;   in Loop: Header=BB39_15 Depth=1
	ds_read_b32 v1, v8 offset:4096
	s_waitcnt lgkmcnt(0)
	s_barrier
	v_readfirstlane_b32 s4, v1
	s_mov_b64 s[2:3], exec
	v_readlane_b32 s48, v46, 20
	v_readlane_b32 s49, v46, 21
	s_and_b64 s[48:49], s[2:3], s[48:49]
	s_mov_b64 exec, s[48:49]
; %bb.355:                              ;   in Loop: Header=BB39_15 Depth=1
	ds_write_b32 v22, v8
; %bb.356:                              ;   in Loop: Header=BB39_15 Depth=1
	s_or_b64 exec, exec, s[2:3]
	v_and_b32_e32 v25, s11, v25
	v_or_b32_e32 v33, s10, v33
	s_mov_b64 s[48:49], -1
	s_mov_b64 s[50:51], 0
	s_cmp_eq_u32 s4, 0
	s_mov_b64 s[2:3], 0
	s_waitcnt lgkmcnt(0)
	s_barrier
                                        ; implicit-def: $vgpr11
	s_cbranch_scc1 .LBB39_367
; %bb.357:                              ;   in Loop: Header=BB39_15 Depth=1
	s_add_i32 s2, s4, s63
	v_readlane_b32 s3, v46, 34
	s_mul_hi_u32 s3, s2, s3
	s_mul_i32 s3, s3, s8
	s_sub_i32 s3, s2, s3
	s_sub_i32 s5, s3, s8
	s_cmp_ge_u32 s3, s8
	s_cselect_b32 s3, s5, s3
	s_sub_i32 s5, s3, s8
	s_cmp_ge_u32 s3, s8
	s_cselect_b32 s3, s5, s3
	s_sub_i32 s5, s2, s3
	v_cmp_gt_u32_e32 vcc, s5, v0
	s_mov_b64 s[56:57], 0
	s_mov_b64 s[2:3], 0
                                        ; implicit-def: $vgpr11
	s_and_saveexec_b64 s[58:59], vcc
	s_cbranch_execz .LBB39_366
; %bb.358:                              ;   in Loop: Header=BB39_15 Depth=1
	v_mov_b32_e32 v1, v19
	v_mov_b32_e32 v4, v0
                                        ; implicit-def: $sgpr82_sgpr83
	s_branch .LBB39_361
.LBB39_359:                             ;   in Loop: Header=BB39_361 Depth=2
	s_or_b64 exec, exec, s[52:53]
	s_waitcnt lgkmcnt(0)
	s_barrier
	ds_read_b64 v[10:11], v8 offset:3072
	s_mov_b64 s[52:53], -1
	s_mov_b64 s[48:49], -1
	s_waitcnt lgkmcnt(0)
	s_barrier
	v_cmp_ne_u32_e32 vcc, 0, v10
	s_cbranch_vccz .LBB39_364
.LBB39_360:                             ;   in Loop: Header=BB39_361 Depth=2
	s_and_b64 s[52:53], exec, s[52:53]
	s_or_b64 s[2:3], s[52:53], s[2:3]
	s_andn2_b64 s[52:53], s[82:83], exec
	s_and_b64 s[48:49], s[48:49], exec
	s_or_b64 s[82:83], s[52:53], s[48:49]
	s_andn2_b64 exec, exec, s[2:3]
	s_cbranch_execz .LBB39_365
.LBB39_361:                             ;   Parent Loop BB39_15 Depth=1
                                        ; =>  This Inner Loop Header: Depth=2
	v_cmp_gt_u32_e32 vcc, s4, v4
	s_and_saveexec_b64 s[52:53], vcc
	s_cbranch_execz .LBB39_359
; %bb.362:                              ;   in Loop: Header=BB39_361 Depth=2
	ds_read_b32 v15, v1
	s_waitcnt lgkmcnt(0)
	v_xor_b32_e32 v7, 0x80000000, v15
	v_and_b32_e32 v7, v7, v33
	v_cmp_eq_u32_e32 vcc, v7, v25
	s_and_b64 exec, exec, vcc
	s_cbranch_execz .LBB39_359
; %bb.363:                              ;   in Loop: Header=BB39_361 Depth=2
	ds_write_b64 v8, v[14:15] offset:3072
	s_branch .LBB39_359
.LBB39_364:                             ;   in Loop: Header=BB39_361 Depth=2
	v_add_u32_e32 v4, s8, v4
	v_cmp_le_u32_e32 vcc, s5, v4
	v_add_u32_e32 v1, s16, v1
	s_mov_b64 s[48:49], 0
	s_orn2_b64 s[52:53], vcc, exec
	s_branch .LBB39_360
.LBB39_365:                             ;   in Loop: Header=BB39_15 Depth=1
	s_or_b64 exec, exec, s[2:3]
	s_and_b64 s[2:3], s[82:83], exec
.LBB39_366:                             ;   in Loop: Header=BB39_15 Depth=1
	s_or_b64 exec, exec, s[58:59]
	s_mov_b64 s[48:49], -1
.LBB39_367:                             ;   in Loop: Header=BB39_15 Depth=1
	s_and_b64 vcc, exec, s[56:57]
	s_cbranch_vccz .LBB39_378
; %bb.368:                              ;   in Loop: Header=BB39_15 Depth=1
                                        ; implicit-def: $vgpr11
	s_mov_b64 s[48:49], exec
	v_readlane_b32 s4, v46, 35
	v_readlane_b32 s5, v46, 36
	s_and_b64 s[4:5], s[48:49], s[4:5]
	s_mov_b64 exec, s[4:5]
	s_cbranch_execz .LBB39_377
; %bb.369:                              ;   in Loop: Header=BB39_15 Depth=1
	s_mov_b64 s[50:51], 0
	v_mov_b32_e32 v7, v9
	v_mov_b32_e32 v1, v0
                                        ; implicit-def: $sgpr56_sgpr57
	s_branch .LBB39_372
.LBB39_370:                             ;   in Loop: Header=BB39_372 Depth=2
	s_or_b64 exec, exec, s[58:59]
	s_waitcnt lgkmcnt(0)
	s_barrier
	ds_read_b64 v[10:11], v8 offset:3072
	s_mov_b64 s[52:53], -1
	s_mov_b64 s[58:59], -1
	s_waitcnt lgkmcnt(0)
	s_barrier
	v_cmp_eq_u32_e32 vcc, 0, v10
	s_cbranch_vccnz .LBB39_375
.LBB39_371:                             ;   in Loop: Header=BB39_372 Depth=2
	s_and_b64 s[4:5], exec, s[52:53]
	s_or_b64 s[50:51], s[4:5], s[50:51]
	s_andn2_b64 s[4:5], s[56:57], exec
	s_and_b64 s[52:53], s[58:59], exec
	s_or_b64 s[56:57], s[4:5], s[52:53]
	s_andn2_b64 exec, exec, s[50:51]
	s_cbranch_execz .LBB39_376
.LBB39_372:                             ;   Parent Loop BB39_15 Depth=1
                                        ; =>  This Inner Loop Header: Depth=2
	v_cmp_gt_u32_e32 vcc, s60, v1
	s_and_saveexec_b64 s[58:59], vcc
	s_cbranch_execz .LBB39_370
; %bb.373:                              ;   in Loop: Header=BB39_372 Depth=2
	v_lshlrev_b64 v[10:11], 2, v[7:8]
	v_mov_b32_e32 v4, s66
	v_add_co_u32_e32 v10, vcc, s64, v10
	v_addc_co_u32_e32 v11, vcc, v4, v11, vcc
	global_load_dword v15, v[10:11], off
	s_waitcnt vmcnt(0)
	v_xor_b32_e32 v4, 0x80000000, v15
	v_and_b32_e32 v4, v4, v33
	v_cmp_eq_u32_e32 vcc, v4, v25
	s_and_b64 exec, exec, vcc
	s_cbranch_execz .LBB39_370
; %bb.374:                              ;   in Loop: Header=BB39_372 Depth=2
	ds_write_b64 v8, v[14:15] offset:3072
	s_branch .LBB39_370
.LBB39_375:                             ;   in Loop: Header=BB39_372 Depth=2
	v_add_u32_e32 v1, s8, v1
	v_cmp_le_u32_e32 vcc, s77, v1
	v_add_u32_e32 v7, s9, v7
	s_mov_b64 s[58:59], 0
	s_orn2_b64 s[52:53], vcc, exec
	s_branch .LBB39_371
.LBB39_376:                             ;   in Loop: Header=BB39_15 Depth=1
	s_or_b64 exec, exec, s[50:51]
	s_andn2_b64 s[2:3], s[2:3], exec
	s_and_b64 s[4:5], s[56:57], exec
	s_or_b64 s[2:3], s[2:3], s[4:5]
.LBB39_377:                             ;   in Loop: Header=BB39_15 Depth=1
	s_or_b64 exec, exec, s[48:49]
	s_mov_b64 s[48:49], 0
	s_mov_b64 s[50:51], -1
.LBB39_378:                             ;   in Loop: Header=BB39_15 Depth=1
	s_orn2_b64 s[56:57], s[2:3], exec
.LBB39_379:                             ;   in Loop: Header=BB39_15 Depth=1
	s_or_b64 exec, exec, s[54:55]
	s_mov_b64 s[54:55], 0
	s_and_saveexec_b64 s[2:3], s[56:57]
	s_cbranch_execz .LBB39_390
; %bb.380:                              ;   in Loop: Header=BB39_15 Depth=1
	v_readlane_b32 s4, v46, 37
	v_readlane_b32 s5, v46, 38
	s_xor_b64 s[4:5], s[4:5], -1
	v_mov_b32_e32 v3, 1
	v_mov_b32_e32 v1, 1
	s_and_saveexec_b64 s[52:53], s[4:5]
	s_cbranch_execz .LBB39_389
; %bb.381:                              ;   in Loop: Header=BB39_15 Depth=1
	s_mov_b64 s[56:57], s[48:49]
	v_cmp_ge_u32_e32 vcc, s17, v2
	s_and_saveexec_b64 s[4:5], vcc
	s_xor_b64 s[54:55], exec, s[4:5]
	s_cbranch_execz .LBB39_386
; %bb.382:                              ;   in Loop: Header=BB39_15 Depth=1
	ds_read_b32 v1, v8 offset:4096
	v_and_b32_e32 v25, s11, v25
	v_or_b32_e32 v33, s10, v33
	s_waitcnt lgkmcnt(0)
	v_cmp_ne_u32_e32 vcc, 0, v1
	s_cbranch_vccnz .LBB39_386
; %bb.383:                              ;   in Loop: Header=BB39_15 Depth=1
	s_mov_b64 s[48:49], exec
	v_readlane_b32 s4, v46, 6
	v_readlane_b32 s5, v46, 7
	s_and_b64 s[4:5], s[48:49], s[4:5]
	s_mov_b64 exec, s[4:5]
; %bb.384:                              ;   in Loop: Header=BB39_15 Depth=1
	v_mov_b32_e32 v1, s17
	ds_write_b32 v8, v1 offset:4100
; %bb.385:                              ;   in Loop: Header=BB39_15 Depth=1
	s_or_b64 exec, exec, s[48:49]
	s_waitcnt lgkmcnt(0)
	s_barrier
.LBB39_386:                             ;   in Loop: Header=BB39_15 Depth=1
	s_andn2_saveexec_b64 s[54:55], s[54:55]
; %bb.387:                              ;   in Loop: Header=BB39_15 Depth=1
	v_subrev_u32_e32 v2, s17, v2
; %bb.388:                              ;   in Loop: Header=BB39_15 Depth=1
	s_or_b64 exec, exec, s[54:55]
	v_mov_b32_e32 v3, 5
	v_mov_b32_e32 v1, v2
	s_mov_b64 s[48:49], s[56:57]
.LBB39_389:                             ;   in Loop: Header=BB39_15 Depth=1
	s_or_b64 exec, exec, s[52:53]
	s_mov_b64 s[54:55], exec
	v_mov_b32_e32 v2, v1
.LBB39_390:                             ;   in Loop: Header=BB39_15 Depth=1
	s_or_b64 exec, exec, s[2:3]
	s_orn2_b64 s[2:3], s[54:55], exec
.LBB39_391:                             ;   in Loop: Header=BB39_15 Depth=1
	s_or_b64 exec, exec, s[46:47]
	s_andn2_b64 s[4:5], s[42:43], exec
	s_and_b64 s[10:11], s[50:51], exec
	s_or_b64 s[42:43], s[4:5], s[10:11]
	s_andn2_b64 s[4:5], s[40:41], exec
	s_and_b64 s[10:11], s[48:49], exec
	s_or_b64 s[40:41], s[4:5], s[10:11]
	s_and_b64 s[48:49], s[2:3], exec
	v_mov_b32_e32 v1, v2
.LBB39_392:                             ;   in Loop: Header=BB39_15 Depth=1
	s_or_b64 exec, exec, s[44:45]
	s_orn2_b64 s[2:3], s[48:49], exec
.LBB39_393:                             ;   in Loop: Header=BB39_15 Depth=1
	s_or_b64 exec, exec, s[38:39]
	s_andn2_b64 s[4:5], s[34:35], exec
	s_and_b64 s[10:11], s[42:43], exec
	s_or_b64 s[34:35], s[4:5], s[10:11]
	s_andn2_b64 s[4:5], s[30:31], exec
	s_and_b64 s[10:11], s[40:41], exec
	s_or_b64 s[30:31], s[4:5], s[10:11]
	s_and_b64 s[40:41], s[2:3], exec
	v_mov_b32_e32 v35, v1
.LBB39_394:                             ;   in Loop: Header=BB39_15 Depth=1
	s_or_b64 exec, exec, s[36:37]
	s_orn2_b64 s[2:3], s[40:41], exec
.LBB39_395:                             ;   in Loop: Header=BB39_15 Depth=1
	s_or_b64 exec, exec, s[6:7]
	s_mov_b64 s[6:7], s[26:27]
	s_mov_b64 s[36:37], s[24:25]
	s_and_saveexec_b64 s[38:39], s[2:3]
; %bb.396:                              ;   in Loop: Header=BB39_15 Depth=1
	v_cmp_ne_u32_e64 s[6:7], 5, v3
	v_cmp_eq_u32_e32 vcc, 5, v3
	s_andn2_b64 s[2:3], s[24:25], exec
	s_and_b64 s[4:5], s[6:7], exec
	s_or_b64 s[36:37], s[2:3], s[4:5]
	s_andn2_b64 s[2:3], s[26:27], exec
	s_and_b64 s[4:5], vcc, exec
	s_or_b64 s[6:7], s[2:3], s[4:5]
; %bb.397:                              ;   in Loop: Header=BB39_15 Depth=1
	s_or_b64 exec, exec, s[38:39]
	s_andn2_b64 s[2:3], s[18:19], exec
	s_and_b64 s[4:5], s[34:35], exec
	s_or_b64 s[18:19], s[2:3], s[4:5]
	s_andn2_b64 s[2:3], s[22:23], exec
	s_and_b64 s[4:5], s[30:31], exec
	s_or_b64 s[22:23], s[2:3], s[4:5]
	;; [unrolled: 3-line block ×4, first 2 shown]
.LBB39_398:                             ;   in Loop: Header=BB39_15 Depth=1
	s_or_b64 exec, exec, s[28:29]
	s_mov_b64 s[28:29], 0
	s_mov_b64 s[30:31], 0
	s_and_saveexec_b64 s[2:3], s[26:27]
.LBB39_399:                             ;   in Loop: Header=BB39_15 Depth=1
	v_mov_b32_e32 v3, 0
	s_or_b64 s[24:25], s[24:25], exec
.LBB39_400:                             ;   in Loop: Header=BB39_15 Depth=1
	s_or_b64 exec, exec, s[2:3]
	s_andn2_b64 s[2:3], s[78:79], exec
	s_and_b64 s[4:5], s[18:19], exec
	s_or_b64 s[78:79], s[2:3], s[4:5]
	s_andn2_b64 s[2:3], s[20:21], exec
	s_and_b64 s[4:5], s[22:23], exec
	s_or_b64 s[20:21], s[2:3], s[4:5]
	;; [unrolled: 3-line block ×3, first 2 shown]
	s_andn2_b64 s[2:3], s[68:69], exec
	s_and_b64 s[4:5], s[28:29], exec
	s_mov_b64 s[6:7], -1
	s_andn2_b64 s[80:81], s[80:81], exec
	s_or_b64 s[68:69], s[2:3], s[4:5]
	v_mov_b32_e32 v34, v35
	s_and_saveexec_b64 s[2:3], s[24:25]
	s_xor_b64 s[2:3], exec, s[2:3]
	s_cbranch_execz .LBB39_14
; %bb.401:                              ;   in Loop: Header=BB39_15 Depth=1
	v_cmp_eq_u32_e32 vcc, 0, v3
	s_mov_b64 s[18:19], -1
	s_and_saveexec_b64 s[22:23], vcc
	s_cbranch_execz .LBB39_13
; %bb.402:                              ;   in Loop: Header=BB39_15 Depth=1
	s_xor_b32 s14, s14, 1
	s_add_i32 s10, s15, -2
	s_cmp_eq_u32 s15, 0
	s_cselect_b64 s[4:5], -1, 0
	s_xor_b64 s[18:19], exec, -1
	s_orn2_b64 s[6:7], s[4:5], exec
	s_mov_b32 s15, s10
	s_branch .LBB39_13
.LBB39_403:
	s_or_b64 exec, exec, s[84:85]
	s_xor_b64 s[6:7], s[94:95], -1
	s_xor_b64 s[18:19], s[92:93], -1
	;; [unrolled: 1-line block ×5, first 2 shown]
	s_mov_b64 s[12:13], 0
	s_and_saveexec_b64 s[10:11], s[4:5]
	s_xor_b64 s[10:11], exec, s[10:11]
	s_cbranch_execnz .LBB39_408
; %bb.404:
	s_andn2_saveexec_b64 s[0:1], s[10:11]
	s_cbranch_execnz .LBB39_427
.LBB39_405:
	s_or_b64 exec, exec, s[0:1]
	s_and_saveexec_b64 s[0:1], s[12:13]
.LBB39_406:
	; divergent unreachable
.LBB39_407:
	s_endpgm
.LBB39_408:
	s_mov_b64 s[14:15], 0
	s_and_saveexec_b64 s[4:5], s[16:17]
	s_xor_b64 s[12:13], exec, s[4:5]
	s_cbranch_execz .LBB39_425
; %bb.409:
	s_mov_b64 s[16:17], 0
	s_and_saveexec_b64 s[4:5], s[18:19]
	s_xor_b64 s[14:15], exec, s[4:5]
	s_cbranch_execz .LBB39_423
; %bb.410:
	;; [unrolled: 5-line block ×3, first 2 shown]
	s_and_saveexec_b64 s[4:5], s[2:3]
	s_xor_b64 s[2:3], exec, s[4:5]
; %bb.412:
	v_xor_b32_e32 v11, 0x80000000, v25
; %bb.413:
	s_or_b64 exec, exec, s[2:3]
	s_mov_b64 s[2:3], exec
	v_readlane_b32 s4, v46, 6
	v_readlane_b32 s5, v46, 7
	;; [unrolled: 1-line block ×4, first 2 shown]
	s_and_b64 s[4:5], s[2:3], s[4:5]
	v_readlane_b32 s7, v46, 13
	v_readlane_b32 s43, v46, 9
	s_mov_b64 exec, s[4:5]
; %bb.414:
	v_mov_b32_e32 v1, 0
	ds_write_b32 v1, v1 offset:4108
; %bb.415:
	s_or_b64 exec, exec, s[2:3]
	v_mov_b32_e32 v4, 0
	s_waitcnt lgkmcnt(0)
	s_barrier
	s_mov_b64 s[2:3], exec
	v_readlane_b32 s4, v46, 16
	v_readlane_b32 s5, v46, 17
	s_and_b64 s[4:5], s[2:3], s[4:5]
	s_mov_b64 exec, s[4:5]
	s_cbranch_execz .LBB39_417
; %bb.416:
	global_load_dword v4, v[5:6], off
.LBB39_417:
	s_or_b64 exec, exec, s[2:3]
	s_load_dword s3, s[6:7], 0x23c
	v_readlane_b32 s2, v46, 1
	s_mul_i32 s2, s2, s75
	s_add_i32 s33, s60, 63
	s_add_i32 s2, s2, s65
	s_waitcnt lgkmcnt(0)
	s_mul_i32 s3, s3, s74
	s_add_i32 s4, s3, s67
	s_mov_b32 s3, 0
	s_andn2_b32 s33, s33, 63
	s_load_dword s34, s[6:7], 0x2a8
	s_load_dword s35, s[6:7], 0x1c8
	s_lshl_b64 s[6:7], s[2:3], 2
	v_readlane_b32 s18, v46, 2
	v_readlane_b32 s19, v46, 3
	s_add_u32 s36, s18, s6
	s_mov_b32 s5, s3
	s_addc_u32 s37, s19, s7
	s_lshl_b64 s[2:3], s[4:5], 3
	v_readlane_b32 s4, v46, 4
	v_readlane_b32 s5, v46, 5
	s_add_u32 s38, s4, s2
	s_addc_u32 s39, s5, s3
	v_cmp_gt_u32_e32 vcc, s33, v0
	s_mov_b64 s[18:19], -1
	s_mov_b64 s[2:3], 0
	s_mov_b64 s[4:5], 0
	s_and_saveexec_b64 s[30:31], vcc
	s_cbranch_execnz .LBB39_428
; %bb.418:
	s_or_b64 exec, exec, s[30:31]
	s_and_saveexec_b64 s[6:7], s[18:19]
	s_cbranch_execnz .LBB39_443
.LBB39_419:
	s_or_b64 exec, exec, s[6:7]
	s_and_saveexec_b64 s[0:1], s[4:5]
	s_xor_b64 s[0:1], exec, s[0:1]
	s_cbranch_execnz .LBB39_466
.LBB39_420:
	s_or_b64 exec, exec, s[0:1]
	s_and_b64 s[18:19], s[2:3], exec
.LBB39_421:
	s_andn2_saveexec_b64 s[0:1], s[16:17]
	s_cbranch_execnz .LBB39_468
.LBB39_422:
	s_or_b64 exec, exec, s[0:1]
	s_and_b64 s[16:17], s[18:19], exec
.LBB39_423:
	s_andn2_saveexec_b64 s[0:1], s[14:15]
	s_cbranch_execnz .LBB39_467
.LBB39_424:
	s_or_b64 exec, exec, s[0:1]
	s_and_b64 s[14:15], s[16:17], exec
.LBB39_425:
	s_andn2_saveexec_b64 s[0:1], s[12:13]
	s_cbranch_execnz .LBB39_462
.LBB39_426:
	s_or_b64 exec, exec, s[0:1]
	s_and_b64 s[12:13], s[14:15], exec
	s_andn2_saveexec_b64 s[0:1], s[10:11]
	s_cbranch_execz .LBB39_405
.LBB39_427:
	s_or_b64 s[12:13], s[12:13], exec
	s_trap 2
	s_or_b64 exec, exec, s[0:1]
	s_and_saveexec_b64 s[0:1], s[12:13]
	s_cbranch_execnz .LBB39_406
	s_branch .LBB39_407
.LBB39_428:
	v_add_u32_e32 v1, s8, v0
	v_readlane_b32 s4, v46, 0
	v_mul_lo_u32 v1, s4, v1
	v_xor_b32_e32 v7, 0x80000000, v11
	s_mov_b64 s[18:19], 0
	v_mov_b32_e32 v2, 0
	v_mov_b32_e32 v3, v0
                                        ; implicit-def: $sgpr20_sgpr21
                                        ; implicit-def: $vgpr9
	s_branch .LBB39_430
.LBB39_429:                             ;   in Loop: Header=BB39_430 Depth=1
	s_or_b64 exec, exec, s[24:25]
	s_xor_b64 s[4:5], s[22:23], -1
	s_and_b64 s[6:7], exec, s[6:7]
	s_or_b64 s[18:19], s[6:7], s[18:19]
	s_andn2_b64 s[6:7], s[20:21], exec
	s_and_b64 s[4:5], s[4:5], exec
	s_or_b64 s[20:21], s[6:7], s[4:5]
	v_mov_b32_e32 v4, v10
	v_mov_b32_e32 v3, v8
	s_andn2_b64 exec, exec, s[18:19]
	s_cbranch_execz .LBB39_442
.LBB39_430:                             ; =>This Inner Loop Header: Depth=1
	v_add_u32_e32 v8, s8, v3
	v_cmp_gt_u32_e64 s[4:5], s60, v8
	v_mov_b32_e32 v10, 0
	s_and_saveexec_b64 s[6:7], s[4:5]
	s_cbranch_execz .LBB39_432
; %bb.431:                              ;   in Loop: Header=BB39_430 Depth=1
	v_lshlrev_b64 v[12:13], 2, v[1:2]
	v_mov_b32_e32 v10, s66
	v_add_co_u32_e64 v12, s[4:5], s64, v12
	v_addc_co_u32_e64 v13, s[4:5], v10, v13, s[4:5]
	global_load_dword v10, v[12:13], off
.LBB39_432:                             ;   in Loop: Header=BB39_430 Depth=1
	s_or_b64 exec, exec, s[6:7]
	s_waitcnt vmcnt(0)
	v_xor_b32_e32 v12, 0x80000000, v4
	v_cmp_gt_u32_e64 s[6:7], v12, v7
	v_cndmask_b32_e64 v13, 0, 1, s[6:7]
	v_cmp_lt_u32_e64 s[6:7], v12, v7
	v_cndmask_b32_e64 v12, 0, 1, s[6:7]
	v_cndmask_b32_e64 v12, v12, v13, s[42:43]
	v_and_b32_e32 v12, 1, v12
	v_cmp_gt_u32_e64 s[4:5], s60, v3
	v_cmp_eq_u32_e64 s[6:7], 1, v12
	s_and_b64 s[24:25], s[4:5], s[6:7]
	v_cndmask_b32_e64 v12, 0, 1, s[24:25]
	v_cmp_ne_u32_e64 s[4:5], 0, v12
	s_cmp_lg_u64 s[4:5], 0
	s_cselect_b64 s[6:7], -1, 0
	s_and_b64 s[6:7], s[0:1], s[6:7]
	s_and_saveexec_b64 s[22:23], s[6:7]
	s_cbranch_execz .LBB39_436
; %bb.433:                              ;   in Loop: Header=BB39_430 Depth=1
	s_mov_b64 s[28:29], exec
	s_waitcnt lgkmcnt(0)
	v_mbcnt_lo_u32_b32 v9, s28, 0
	v_mbcnt_hi_u32_b32 v9, s29, v9
	s_bcnt1_i32_b64 s40, s[4:5]
	v_cmp_eq_u32_e64 s[6:7], 0, v9
                                        ; implicit-def: $vgpr12
	s_and_saveexec_b64 s[26:27], s[6:7]
; %bb.434:                              ;   in Loop: Header=BB39_430 Depth=1
	s_bcnt1_i32_b64 s6, s[28:29]
	s_mul_i32 s6, s40, s6
	v_mov_b32_e32 v12, s6
	ds_add_rtn_u32 v12, v2, v12 offset:4108
; %bb.435:                              ;   in Loop: Header=BB39_430 Depth=1
	s_or_b64 exec, exec, s[26:27]
	s_waitcnt lgkmcnt(0)
	v_readfirstlane_b32 s6, v12
	v_mov_b32_e32 v12, s6
	v_mad_u32_u24 v9, s40, v9, v12
.LBB39_436:                             ;   in Loop: Header=BB39_430 Depth=1
	s_or_b64 exec, exec, s[22:23]
	s_waitcnt lgkmcnt(0)
	ds_bpermute_b32 v9, v16, v9
	s_mov_b64 s[6:7], -1
	s_mov_b64 s[26:27], -1
	s_and_saveexec_b64 s[22:23], s[24:25]
	s_cbranch_execz .LBB39_440
; %bb.437:                              ;   in Loop: Header=BB39_430 Depth=1
	v_and_b32_e32 v13, s4, v18
	v_and_b32_e32 v12, s5, v17
	v_bcnt_u32_b32 v13, v13, 0
	v_bcnt_u32_b32 v12, v12, v13
	s_waitcnt lgkmcnt(0)
	v_add_u32_e32 v12, v9, v12
	v_cmp_gt_u32_e64 s[4:5], s61, v12
	s_mov_b64 s[24:25], 0
	s_and_saveexec_b64 s[26:27], s[4:5]
; %bb.438:                              ;   in Loop: Header=BB39_430 Depth=1
	v_mul_lo_u32 v13, v12, s35
	v_mov_b32_e32 v14, v2
	v_mul_lo_u32 v12, v12, s34
	v_mov_b32_e32 v15, s37
	v_lshlrev_b64 v[13:14], 2, v[13:14]
	s_mov_b64 s[24:25], exec
	v_add_co_u32_e64 v13, s[4:5], s36, v13
	v_addc_co_u32_e64 v14, s[4:5], v15, v14, s[4:5]
	global_store_dword v[13:14], v4, off
	v_mov_b32_e32 v13, v2
	v_lshlrev_b64 v[12:13], 3, v[12:13]
	v_mov_b32_e32 v14, s39
	v_add_co_u32_e64 v12, s[4:5], s38, v12
	v_mov_b32_e32 v4, v2
	v_addc_co_u32_e64 v13, s[4:5], v14, v13, s[4:5]
	global_store_dwordx2 v[12:13], v[3:4], off
; %bb.439:                              ;   in Loop: Header=BB39_430 Depth=1
	s_or_b64 exec, exec, s[26:27]
	s_orn2_b64 s[26:27], s[24:25], exec
.LBB39_440:                             ;   in Loop: Header=BB39_430 Depth=1
	s_or_b64 exec, exec, s[22:23]
	s_mov_b64 s[22:23], -1
	s_and_saveexec_b64 s[24:25], s[26:27]
	s_cbranch_execz .LBB39_429
; %bb.441:                              ;   in Loop: Header=BB39_430 Depth=1
	v_cmp_le_u32_e64 s[4:5], s33, v8
	v_add_u32_e32 v1, s9, v1
	s_xor_b64 s[22:23], exec, -1
	s_orn2_b64 s[6:7], s[4:5], exec
	s_branch .LBB39_429
.LBB39_442:
	s_or_b64 exec, exec, s[18:19]
	s_mov_b64 s[4:5], exec
	s_orn2_b64 s[18:19], s[20:21], exec
	s_or_b64 exec, exec, s[30:31]
	s_and_saveexec_b64 s[6:7], s[18:19]
	s_cbranch_execz .LBB39_419
.LBB39_443:
	v_mov_b32_e32 v1, 0
	s_waitcnt vmcnt(0) lgkmcnt(0)
	s_barrier
	s_mov_b64 s[2:3], exec
	v_readlane_b32 s18, v46, 16
	v_readlane_b32 s19, v46, 17
	s_and_b64 s[18:19], s[2:3], s[18:19]
	s_mov_b64 exec, s[18:19]
	s_cbranch_execz .LBB39_445
; %bb.444:
	global_load_dword v1, v[5:6], off
.LBB39_445:
	s_or_b64 exec, exec, s[2:3]
	s_mov_b64 s[2:3], 0
	s_and_saveexec_b64 s[30:31], vcc
	s_cbranch_execz .LBB39_465
; %bb.446:
	v_add_u32_e32 v2, s8, v0
	v_readlane_b32 s2, v46, 0
	v_mul_lo_u32 v2, s2, v2
	s_mov_b64 s[18:19], 0
	v_mov_b32_e32 v3, 0
                                        ; implicit-def: $sgpr20_sgpr21
                                        ; implicit-def: $vgpr5
	s_branch .LBB39_449
.LBB39_447:                             ;   in Loop: Header=BB39_449 Depth=1
	s_or_b64 exec, exec, s[24:25]
	s_orn2_b64 s[26:27], s[28:29], exec
	s_orn2_b64 s[24:25], s[22:23], exec
.LBB39_448:                             ;   in Loop: Header=BB39_449 Depth=1
	s_or_b64 exec, exec, s[2:3]
	s_xor_b64 s[2:3], s[26:27], -1
	s_and_b64 s[22:23], exec, s[24:25]
	s_or_b64 s[18:19], s[22:23], s[18:19]
	s_andn2_b64 s[20:21], s[20:21], exec
	s_and_b64 s[2:3], s[2:3], exec
	s_or_b64 s[20:21], s[20:21], s[2:3]
	v_mov_b32_e32 v0, v4
	v_mov_b32_e32 v1, v6
	s_andn2_b64 exec, exec, s[18:19]
	s_cbranch_execz .LBB39_463
.LBB39_449:                             ; =>This Inner Loop Header: Depth=1
	v_add_u32_e32 v4, s8, v0
	v_cmp_gt_u32_e32 vcc, s60, v4
	v_mov_b32_e32 v6, 0
	s_and_saveexec_b64 s[2:3], vcc
	s_cbranch_execz .LBB39_451
; %bb.450:                              ;   in Loop: Header=BB39_449 Depth=1
	v_lshlrev_b64 v[6:7], 2, v[2:3]
	v_mov_b32_e32 v8, s66
	v_add_co_u32_e32 v6, vcc, s64, v6
	v_addc_co_u32_e32 v7, vcc, v8, v7, vcc
	global_load_dword v6, v[6:7], off
.LBB39_451:                             ;   in Loop: Header=BB39_449 Depth=1
	s_or_b64 exec, exec, s[2:3]
	v_cmp_gt_u32_e32 vcc, s60, v0
	s_waitcnt vmcnt(0)
	v_cmp_eq_u32_e64 s[2:3], v1, v11
	s_and_b64 s[22:23], vcc, s[2:3]
	v_cndmask_b32_e64 v1, 0, 1, s[22:23]
	v_cmp_ne_u32_e32 vcc, 0, v1
	s_cmp_lg_u64 vcc, 0
	s_cselect_b64 s[2:3], -1, 0
	s_and_b64 s[2:3], s[0:1], s[2:3]
	s_and_saveexec_b64 s[24:25], s[2:3]
	s_cbranch_execz .LBB39_455
; %bb.452:                              ;   in Loop: Header=BB39_449 Depth=1
	s_mov_b64 s[28:29], exec
	v_mbcnt_lo_u32_b32 v1, s28, 0
	v_mbcnt_hi_u32_b32 v1, s29, v1
	s_bcnt1_i32_b64 s40, vcc
	v_cmp_eq_u32_e64 s[2:3], 0, v1
                                        ; implicit-def: $vgpr5
	s_and_saveexec_b64 s[26:27], s[2:3]
; %bb.453:                              ;   in Loop: Header=BB39_449 Depth=1
	s_bcnt1_i32_b64 s2, s[28:29]
	s_mul_i32 s2, s40, s2
	v_mov_b32_e32 v5, s2
	ds_add_rtn_u32 v5, v3, v5 offset:4108
; %bb.454:                              ;   in Loop: Header=BB39_449 Depth=1
	s_or_b64 exec, exec, s[26:27]
	s_waitcnt lgkmcnt(0)
	v_readfirstlane_b32 s2, v5
	v_mov_b32_e32 v5, s2
	v_mad_u32_u24 v5, s40, v1, v5
.LBB39_455:                             ;   in Loop: Header=BB39_449 Depth=1
	s_or_b64 exec, exec, s[24:25]
	ds_bpermute_b32 v5, v16, v5
	s_cmp_eq_u64 vcc, 0
	s_cselect_b64 s[26:27], -1, 0
	s_mov_b64 s[24:25], -1
	s_waitcnt lgkmcnt(0)
	v_cmp_gt_u32_e64 s[2:3], s61, v5
	s_or_b64 s[28:29], s[26:27], s[2:3]
	s_mov_b64 s[26:27], -1
	s_and_saveexec_b64 s[2:3], s[28:29]
	s_cbranch_execz .LBB39_448
; %bb.456:                              ;   in Loop: Header=BB39_449 Depth=1
	v_and_b32_e32 v7, vcc_lo, v18
	v_and_b32_e32 v1, vcc_hi, v17
	v_bcnt_u32_b32 v7, v7, 0
	v_bcnt_u32_b32 v1, v1, v7
	v_sub_u32_e32 v7, s61, v5
	v_cmp_gt_u32_e32 vcc, v7, v1
	s_and_b64 s[40:41], s[22:23], vcc
	s_mov_b64 s[22:23], -1
	s_mov_b64 s[28:29], -1
	s_and_saveexec_b64 s[24:25], s[40:41]
	s_cbranch_execz .LBB39_460
; %bb.457:                              ;   in Loop: Header=BB39_449 Depth=1
	v_add_u32_e32 v1, v5, v1
	v_cmp_gt_u32_e32 vcc, s61, v1
	s_mov_b64 s[26:27], 0
	s_and_saveexec_b64 s[28:29], vcc
; %bb.458:                              ;   in Loop: Header=BB39_449 Depth=1
	v_mul_lo_u32 v7, v1, s35
	v_mov_b32_e32 v8, v3
	v_mul_lo_u32 v9, v1, s34
	v_mov_b32_e32 v1, s37
	v_lshlrev_b64 v[7:8], 2, v[7:8]
	v_mov_b32_e32 v10, v3
	v_add_co_u32_e32 v7, vcc, s36, v7
	v_addc_co_u32_e32 v8, vcc, v1, v8, vcc
	global_store_dword v[7:8], v11, off
	v_lshlrev_b64 v[7:8], 3, v[9:10]
	v_mov_b32_e32 v9, s39
	v_add_co_u32_e32 v7, vcc, s38, v7
	s_mov_b64 s[26:27], exec
	v_mov_b32_e32 v1, v3
	v_addc_co_u32_e32 v8, vcc, v9, v8, vcc
	global_store_dwordx2 v[7:8], v[0:1], off
; %bb.459:                              ;   in Loop: Header=BB39_449 Depth=1
	s_or_b64 exec, exec, s[28:29]
	s_xor_b64 s[28:29], exec, -1
	s_orn2_b64 s[26:27], s[26:27], exec
.LBB39_460:                             ;   in Loop: Header=BB39_449 Depth=1
	s_or_b64 exec, exec, s[24:25]
	s_and_saveexec_b64 s[24:25], s[26:27]
	s_cbranch_execz .LBB39_447
; %bb.461:                              ;   in Loop: Header=BB39_449 Depth=1
	v_cmp_le_u32_e32 vcc, s33, v4
	v_add_u32_e32 v2, s9, v2
	s_or_b64 s[28:29], s[28:29], exec
	s_orn2_b64 s[22:23], vcc, exec
	s_branch .LBB39_447
.LBB39_462:
	s_or_b64 s[14:15], s[14:15], exec
	s_trap 2
	s_branch .LBB39_426
.LBB39_463:
	s_or_b64 exec, exec, s[18:19]
	s_mov_b64 s[0:1], 0
	s_and_saveexec_b64 s[2:3], s[20:21]
	s_xor_b64 s[2:3], exec, s[2:3]
	s_cbranch_execnz .LBB39_469
.LBB39_464:
	s_or_b64 exec, exec, s[2:3]
	s_and_b64 s[2:3], s[0:1], exec
.LBB39_465:
	s_or_b64 exec, exec, s[30:31]
	s_and_b64 s[2:3], s[2:3], exec
	s_andn2_b64 s[4:5], s[4:5], exec
	s_or_b64 exec, exec, s[6:7]
	s_and_saveexec_b64 s[0:1], s[4:5]
	s_xor_b64 s[0:1], exec, s[0:1]
	s_cbranch_execz .LBB39_420
.LBB39_466:
	s_trap 2
	s_or_b64 s[2:3], s[2:3], exec
	s_branch .LBB39_420
.LBB39_467:
	s_or_b64 s[16:17], s[16:17], exec
	s_trap 2
	s_branch .LBB39_424
.LBB39_468:
	s_trap 2
	s_or_b64 s[18:19], s[18:19], exec
	s_branch .LBB39_422
.LBB39_469:
	s_mov_b64 s[0:1], exec
	s_trap 2
	s_branch .LBB39_464
	.section	.rodata,"a",@progbits
	.p2align	6, 0x0
	.amdhsa_kernel _ZN2at6native6sbtopk10gatherTopKIijLin1ELb0EEEvNS_4cuda6detail10TensorInfoIKT_T0_EES8_S8_bS8_S8_NS5_IS6_S8_EES8_NS5_IlS8_EES8_PS6_
		.amdhsa_group_segment_fixed_size 4112
		.amdhsa_private_segment_fixed_size 0
		.amdhsa_kernarg_size 952
		.amdhsa_user_sgpr_count 6
		.amdhsa_user_sgpr_private_segment_buffer 1
		.amdhsa_user_sgpr_dispatch_ptr 0
		.amdhsa_user_sgpr_queue_ptr 0
		.amdhsa_user_sgpr_kernarg_segment_ptr 1
		.amdhsa_user_sgpr_dispatch_id 0
		.amdhsa_user_sgpr_flat_scratch_init 0
		.amdhsa_user_sgpr_private_segment_size 0
		.amdhsa_uses_dynamic_stack 0
		.amdhsa_system_sgpr_private_segment_wavefront_offset 0
		.amdhsa_system_sgpr_workgroup_id_x 1
		.amdhsa_system_sgpr_workgroup_id_y 1
		.amdhsa_system_sgpr_workgroup_id_z 1
		.amdhsa_system_sgpr_workgroup_info 0
		.amdhsa_system_vgpr_workitem_id 0
		.amdhsa_next_free_vgpr 47
		.amdhsa_next_free_sgpr 96
		.amdhsa_reserve_vcc 1
		.amdhsa_reserve_flat_scratch 0
		.amdhsa_float_round_mode_32 0
		.amdhsa_float_round_mode_16_64 0
		.amdhsa_float_denorm_mode_32 3
		.amdhsa_float_denorm_mode_16_64 3
		.amdhsa_dx10_clamp 1
		.amdhsa_ieee_mode 1
		.amdhsa_fp16_overflow 0
		.amdhsa_exception_fp_ieee_invalid_op 0
		.amdhsa_exception_fp_denorm_src 0
		.amdhsa_exception_fp_ieee_div_zero 0
		.amdhsa_exception_fp_ieee_overflow 0
		.amdhsa_exception_fp_ieee_underflow 0
		.amdhsa_exception_fp_ieee_inexact 0
		.amdhsa_exception_int_div_zero 0
	.end_amdhsa_kernel
	.section	.text._ZN2at6native6sbtopk10gatherTopKIijLin1ELb0EEEvNS_4cuda6detail10TensorInfoIKT_T0_EES8_S8_bS8_S8_NS5_IS6_S8_EES8_NS5_IlS8_EES8_PS6_,"axG",@progbits,_ZN2at6native6sbtopk10gatherTopKIijLin1ELb0EEEvNS_4cuda6detail10TensorInfoIKT_T0_EES8_S8_bS8_S8_NS5_IS6_S8_EES8_NS5_IlS8_EES8_PS6_,comdat
.Lfunc_end39:
	.size	_ZN2at6native6sbtopk10gatherTopKIijLin1ELb0EEEvNS_4cuda6detail10TensorInfoIKT_T0_EES8_S8_bS8_S8_NS5_IS6_S8_EES8_NS5_IlS8_EES8_PS6_, .Lfunc_end39-_ZN2at6native6sbtopk10gatherTopKIijLin1ELb0EEEvNS_4cuda6detail10TensorInfoIKT_T0_EES8_S8_bS8_S8_NS5_IS6_S8_EES8_NS5_IlS8_EES8_PS6_
                                        ; -- End function
	.set _ZN2at6native6sbtopk10gatherTopKIijLin1ELb0EEEvNS_4cuda6detail10TensorInfoIKT_T0_EES8_S8_bS8_S8_NS5_IS6_S8_EES8_NS5_IlS8_EES8_PS6_.num_vgpr, 47
	.set _ZN2at6native6sbtopk10gatherTopKIijLin1ELb0EEEvNS_4cuda6detail10TensorInfoIKT_T0_EES8_S8_bS8_S8_NS5_IS6_S8_EES8_NS5_IlS8_EES8_PS6_.num_agpr, 0
	.set _ZN2at6native6sbtopk10gatherTopKIijLin1ELb0EEEvNS_4cuda6detail10TensorInfoIKT_T0_EES8_S8_bS8_S8_NS5_IS6_S8_EES8_NS5_IlS8_EES8_PS6_.numbered_sgpr, 96
	.set _ZN2at6native6sbtopk10gatherTopKIijLin1ELb0EEEvNS_4cuda6detail10TensorInfoIKT_T0_EES8_S8_bS8_S8_NS5_IS6_S8_EES8_NS5_IlS8_EES8_PS6_.num_named_barrier, 0
	.set _ZN2at6native6sbtopk10gatherTopKIijLin1ELb0EEEvNS_4cuda6detail10TensorInfoIKT_T0_EES8_S8_bS8_S8_NS5_IS6_S8_EES8_NS5_IlS8_EES8_PS6_.private_seg_size, 0
	.set _ZN2at6native6sbtopk10gatherTopKIijLin1ELb0EEEvNS_4cuda6detail10TensorInfoIKT_T0_EES8_S8_bS8_S8_NS5_IS6_S8_EES8_NS5_IlS8_EES8_PS6_.uses_vcc, 1
	.set _ZN2at6native6sbtopk10gatherTopKIijLin1ELb0EEEvNS_4cuda6detail10TensorInfoIKT_T0_EES8_S8_bS8_S8_NS5_IS6_S8_EES8_NS5_IlS8_EES8_PS6_.uses_flat_scratch, 0
	.set _ZN2at6native6sbtopk10gatherTopKIijLin1ELb0EEEvNS_4cuda6detail10TensorInfoIKT_T0_EES8_S8_bS8_S8_NS5_IS6_S8_EES8_NS5_IlS8_EES8_PS6_.has_dyn_sized_stack, 0
	.set _ZN2at6native6sbtopk10gatherTopKIijLin1ELb0EEEvNS_4cuda6detail10TensorInfoIKT_T0_EES8_S8_bS8_S8_NS5_IS6_S8_EES8_NS5_IlS8_EES8_PS6_.has_recursion, 0
	.set _ZN2at6native6sbtopk10gatherTopKIijLin1ELb0EEEvNS_4cuda6detail10TensorInfoIKT_T0_EES8_S8_bS8_S8_NS5_IS6_S8_EES8_NS5_IlS8_EES8_PS6_.has_indirect_call, 0
	.section	.AMDGPU.csdata,"",@progbits
; Kernel info:
; codeLenInByte = 14948
; TotalNumSgprs: 100
; NumVgprs: 47
; ScratchSize: 0
; MemoryBound: 0
; FloatMode: 240
; IeeeMode: 1
; LDSByteSize: 4112 bytes/workgroup (compile time only)
; SGPRBlocks: 12
; VGPRBlocks: 11
; NumSGPRsForWavesPerEU: 100
; NumVGPRsForWavesPerEU: 47
; Occupancy: 5
; WaveLimiterHint : 1
; COMPUTE_PGM_RSRC2:SCRATCH_EN: 0
; COMPUTE_PGM_RSRC2:USER_SGPR: 6
; COMPUTE_PGM_RSRC2:TRAP_HANDLER: 0
; COMPUTE_PGM_RSRC2:TGID_X_EN: 1
; COMPUTE_PGM_RSRC2:TGID_Y_EN: 1
; COMPUTE_PGM_RSRC2:TGID_Z_EN: 1
; COMPUTE_PGM_RSRC2:TIDIG_COMP_CNT: 0
	.section	.text._ZN2at6native6mbtopk23computeBlockDigitCountsIljmLi1EEEvNS_4cuda6detail10TensorInfoIKT_T0_EEjPjjS8_iijT1_PSB_Ps,"axG",@progbits,_ZN2at6native6mbtopk23computeBlockDigitCountsIljmLi1EEEvNS_4cuda6detail10TensorInfoIKT_T0_EEjPjjS8_iijT1_PSB_Ps,comdat
	.protected	_ZN2at6native6mbtopk23computeBlockDigitCountsIljmLi1EEEvNS_4cuda6detail10TensorInfoIKT_T0_EEjPjjS8_iijT1_PSB_Ps ; -- Begin function _ZN2at6native6mbtopk23computeBlockDigitCountsIljmLi1EEEvNS_4cuda6detail10TensorInfoIKT_T0_EEjPjjS8_iijT1_PSB_Ps
	.globl	_ZN2at6native6mbtopk23computeBlockDigitCountsIljmLi1EEEvNS_4cuda6detail10TensorInfoIKT_T0_EEjPjjS8_iijT1_PSB_Ps
	.p2align	8
	.type	_ZN2at6native6mbtopk23computeBlockDigitCountsIljmLi1EEEvNS_4cuda6detail10TensorInfoIKT_T0_EEjPjjS8_iijT1_PSB_Ps,@function
_ZN2at6native6mbtopk23computeBlockDigitCountsIljmLi1EEEvNS_4cuda6detail10TensorInfoIKT_T0_EEjPjjS8_iijT1_PSB_Ps: ; @_ZN2at6native6mbtopk23computeBlockDigitCountsIljmLi1EEEvNS_4cuda6detail10TensorInfoIKT_T0_EEjPjjS8_iijT1_PSB_Ps
; %bb.0:
	s_load_dword s20, s[4:5], 0xf8
	s_load_dwordx4 s[12:15], s[4:5], 0xe8
	s_load_dwordx2 s[0:1], s[4:5], 0x118
	s_waitcnt lgkmcnt(0)
	v_cvt_f32_u32_e32 v1, s20
	s_sub_i32 s2, 0, s20
	s_mul_i32 s1, s1, s8
	s_add_i32 s1, s1, s7
	v_rcp_iflag_f32_e32 v1, v1
	s_mul_i32 s18, s1, s0
	s_add_i32 s18, s18, s6
	v_mul_f32_e32 v1, 0x4f7ffffe, v1
	v_cvt_u32_f32_e32 v1, v1
	v_readfirstlane_b32 s0, v1
	s_mul_i32 s2, s2, s0
	s_mul_hi_u32 s1, s0, s2
	s_add_i32 s0, s0, s1
	s_mul_hi_u32 s0, s18, s0
	s_mul_i32 s1, s0, s20
	s_sub_i32 s1, s18, s1
	s_add_i32 s2, s0, 1
	s_sub_i32 s3, s1, s20
	s_cmp_ge_u32 s1, s20
	s_cselect_b32 s0, s2, s0
	s_cselect_b32 s1, s3, s1
	s_add_i32 s2, s0, 1
	s_cmp_ge_u32 s1, s20
	s_cselect_b32 s0, s2, s0
	s_cmp_ge_u32 s0, s12
	s_mov_b32 s1, 0
	s_cbranch_scc1 .LBB40_27
; %bb.1:
	s_load_dwordx4 s[8:11], s[4:5], 0x100
	s_load_dwordx2 s[2:3], s[4:5], 0x110
	s_lshl_b64 s[6:7], s[0:1], 3
	s_movk_i32 s1, 0x100
	v_cmp_gt_u32_e32 vcc, s1, v0
	s_waitcnt lgkmcnt(0)
	s_add_u32 s16, s10, s6
	s_addc_u32 s17, s11, s7
	v_lshlrev_b32_e32 v5, 2, v0
	s_and_saveexec_b64 s[6:7], vcc
; %bb.2:
	v_mov_b32_e32 v1, 0
	ds_write_b32 v5, v1
; %bb.3:
	s_or_b64 exec, exec, s[6:7]
	s_load_dword s12, s[4:5], 0xd8
	s_mul_i32 s1, s0, s20
	s_sub_i32 s1, s18, s1
	s_add_i32 s10, s1, 1
	s_mul_i32 s1, s15, s1
	s_lshl_b32 s19, s1, 8
	s_waitcnt lgkmcnt(0)
	s_sub_i32 s1, s12, s19
	s_add_u32 s6, s1, 0xff
	s_addc_u32 s7, 0, 0
	s_lshr_b64 s[6:7], s[6:7], 8
	s_cmp_lt_u32 s10, s20
	s_cselect_b32 s20, s15, s6
	s_cmp_lt_i32 s20, 1
	s_mov_b32 s11, 0
	s_barrier
	s_cbranch_scc1 .LBB40_25
; %bb.4:
	s_load_dword s1, s[4:5], 0x6c
	s_load_dwordx2 s[22:23], s[4:5], 0x0
	s_load_dwordx2 s[6:7], s[16:17], 0x0
	s_waitcnt lgkmcnt(0)
	s_mul_i32 s10, s1, s0
	s_lshl_b64 s[0:1], s[10:11], 3
	s_add_u32 s10, s22, s0
	s_addc_u32 s15, s23, s1
	s_and_b32 s14, s14, 0xff
	s_cmp_lt_u32 s20, 4
	s_cbranch_scc1 .LBB40_19
; %bb.5:
	v_add_u32_e32 v1, s19, v0
	v_add_u32_e32 v2, 0x200, v1
	;; [unrolled: 1-line block ×3, first 2 shown]
	v_mul_lo_u32 v8, s13, v2
	v_add_u32_e32 v2, 0x100, v1
	v_mul_lo_u32 v7, s13, v6
	v_mul_lo_u32 v9, s13, v2
	;; [unrolled: 1-line block ×3, first 2 shown]
	s_and_b32 s11, s20, 0x7ffffffc
	s_lshl_b32 s16, s13, 10
	s_mov_b32 s17, 0
	v_mov_b32_e32 v2, 0
	v_mov_b32_e32 v11, 1
	;; [unrolled: 1-line block ×3, first 2 shown]
	s_mov_b32 s21, 0
	s_branch .LBB40_7
.LBB40_6:                               ;   in Loop: Header=BB40_7 Depth=1
	s_or_b64 exec, exec, s[4:5]
	s_add_i32 s21, s21, 4
	s_add_i32 s17, s17, s16
	s_cmp_eq_u32 s11, s21
	v_add_u32_e32 v6, 0x400, v6
	s_cbranch_scc1 .LBB40_19
.LBB40_7:                               ; =>This Inner Loop Header: Depth=1
	v_add_u32_e32 v1, 0xfffffd00, v6
	v_cmp_gt_u32_e64 s[0:1], s12, v1
	s_and_saveexec_b64 s[4:5], s[0:1]
	s_cbranch_execz .LBB40_10
; %bb.8:                                ;   in Loop: Header=BB40_7 Depth=1
	v_add_u32_e32 v1, s17, v10
	v_lshlrev_b64 v[3:4], 3, v[1:2]
	v_mov_b32_e32 v1, s15
	v_add_co_u32_e64 v3, s[0:1], s10, v3
	v_addc_co_u32_e64 v4, s[0:1], v1, v4, s[0:1]
	global_load_dwordx2 v[3:4], v[3:4], off
	s_waitcnt vmcnt(0)
	v_xor_b32_e32 v4, 0x80000000, v4
	v_xor_b32_e32 v1, s6, v3
	;; [unrolled: 1-line block ×3, first 2 shown]
	v_and_b32_e32 v14, s9, v13
	v_and_b32_e32 v13, s8, v1
	v_cmp_eq_u64_e64 s[0:1], 0, v[13:14]
	s_and_b64 exec, exec, s[0:1]
; %bb.9:                                ;   in Loop: Header=BB40_7 Depth=1
	v_lshrrev_b64 v[3:4], s14, v[3:4]
	v_lshlrev_b32_sdwa v1, v12, v3 dst_sel:DWORD dst_unused:UNUSED_PAD src0_sel:DWORD src1_sel:BYTE_0
	ds_add_u32 v1, v11
.LBB40_10:                              ;   in Loop: Header=BB40_7 Depth=1
	s_or_b64 exec, exec, s[4:5]
	v_add_u32_e32 v1, 0xfffffe00, v6
	v_cmp_gt_u32_e64 s[0:1], s12, v1
	s_and_saveexec_b64 s[4:5], s[0:1]
	s_cbranch_execz .LBB40_13
; %bb.11:                               ;   in Loop: Header=BB40_7 Depth=1
	v_add_u32_e32 v1, s17, v9
	v_lshlrev_b64 v[3:4], 3, v[1:2]
	v_mov_b32_e32 v1, s15
	v_add_co_u32_e64 v3, s[0:1], s10, v3
	v_addc_co_u32_e64 v4, s[0:1], v1, v4, s[0:1]
	global_load_dwordx2 v[3:4], v[3:4], off
	s_waitcnt vmcnt(0)
	v_xor_b32_e32 v4, 0x80000000, v4
	v_xor_b32_e32 v1, s6, v3
	;; [unrolled: 1-line block ×3, first 2 shown]
	v_and_b32_e32 v14, s9, v13
	v_and_b32_e32 v13, s8, v1
	v_cmp_eq_u64_e64 s[0:1], 0, v[13:14]
	s_and_b64 exec, exec, s[0:1]
; %bb.12:                               ;   in Loop: Header=BB40_7 Depth=1
	v_lshrrev_b64 v[3:4], s14, v[3:4]
	v_lshlrev_b32_sdwa v1, v12, v3 dst_sel:DWORD dst_unused:UNUSED_PAD src0_sel:DWORD src1_sel:BYTE_0
	ds_add_u32 v1, v11
.LBB40_13:                              ;   in Loop: Header=BB40_7 Depth=1
	s_or_b64 exec, exec, s[4:5]
	v_add_u32_e32 v1, 0xffffff00, v6
	v_cmp_gt_u32_e64 s[0:1], s12, v1
	s_and_saveexec_b64 s[4:5], s[0:1]
	s_cbranch_execz .LBB40_16
; %bb.14:                               ;   in Loop: Header=BB40_7 Depth=1
	v_add_u32_e32 v1, s17, v8
	v_lshlrev_b64 v[3:4], 3, v[1:2]
	v_mov_b32_e32 v1, s15
	v_add_co_u32_e64 v3, s[0:1], s10, v3
	v_addc_co_u32_e64 v4, s[0:1], v1, v4, s[0:1]
	global_load_dwordx2 v[3:4], v[3:4], off
	s_waitcnt vmcnt(0)
	v_xor_b32_e32 v4, 0x80000000, v4
	v_xor_b32_e32 v1, s6, v3
	;; [unrolled: 1-line block ×3, first 2 shown]
	v_and_b32_e32 v14, s9, v13
	v_and_b32_e32 v13, s8, v1
	v_cmp_eq_u64_e64 s[0:1], 0, v[13:14]
	s_and_b64 exec, exec, s[0:1]
; %bb.15:                               ;   in Loop: Header=BB40_7 Depth=1
	v_lshrrev_b64 v[3:4], s14, v[3:4]
	v_lshlrev_b32_sdwa v1, v12, v3 dst_sel:DWORD dst_unused:UNUSED_PAD src0_sel:DWORD src1_sel:BYTE_0
	ds_add_u32 v1, v11
.LBB40_16:                              ;   in Loop: Header=BB40_7 Depth=1
	s_or_b64 exec, exec, s[4:5]
	v_cmp_gt_u32_e64 s[0:1], s12, v6
	s_and_saveexec_b64 s[4:5], s[0:1]
	s_cbranch_execz .LBB40_6
; %bb.17:                               ;   in Loop: Header=BB40_7 Depth=1
	v_add_u32_e32 v1, s17, v7
	v_lshlrev_b64 v[3:4], 3, v[1:2]
	v_mov_b32_e32 v1, s15
	v_add_co_u32_e64 v3, s[0:1], s10, v3
	v_addc_co_u32_e64 v4, s[0:1], v1, v4, s[0:1]
	global_load_dwordx2 v[3:4], v[3:4], off
	s_waitcnt vmcnt(0)
	v_xor_b32_e32 v4, 0x80000000, v4
	v_xor_b32_e32 v1, s6, v3
	v_xor_b32_e32 v13, s7, v4
	v_and_b32_e32 v14, s9, v13
	v_and_b32_e32 v13, s8, v1
	v_cmp_eq_u64_e64 s[0:1], 0, v[13:14]
	s_and_b64 exec, exec, s[0:1]
	s_cbranch_execz .LBB40_6
; %bb.18:                               ;   in Loop: Header=BB40_7 Depth=1
	v_lshrrev_b64 v[3:4], s14, v[3:4]
	v_lshlrev_b32_sdwa v1, v12, v3 dst_sel:DWORD dst_unused:UNUSED_PAD src0_sel:DWORD src1_sel:BYTE_0
	ds_add_u32 v1, v11
	s_branch .LBB40_6
.LBB40_19:
	s_and_b32 s16, s20, 3
	s_cmp_eq_u32 s16, 0
	s_cbranch_scc1 .LBB40_25
; %bb.20:
	s_lshl_b32 s0, s11, 8
	s_add_i32 s0, s0, s19
	v_add_u32_e32 v6, s0, v0
	v_mul_lo_u32 v1, s13, v6
	s_lshl_b32 s11, s13, 8
	v_mov_b32_e32 v2, 0
	v_mov_b32_e32 v7, 1
	;; [unrolled: 1-line block ×3, first 2 shown]
	s_branch .LBB40_22
.LBB40_21:                              ;   in Loop: Header=BB40_22 Depth=1
	s_or_b64 exec, exec, s[4:5]
	s_add_i32 s16, s16, -1
	v_add_u32_e32 v1, s11, v1
	s_cmp_lg_u32 s16, 0
	v_add_u32_e32 v6, 0x100, v6
	s_cbranch_scc0 .LBB40_25
.LBB40_22:                              ; =>This Inner Loop Header: Depth=1
	v_cmp_gt_u32_e64 s[0:1], s12, v6
	s_and_saveexec_b64 s[4:5], s[0:1]
	s_cbranch_execz .LBB40_21
; %bb.23:                               ;   in Loop: Header=BB40_22 Depth=1
	v_lshlrev_b64 v[3:4], 3, v[1:2]
	v_mov_b32_e32 v9, s15
	v_add_co_u32_e64 v3, s[0:1], s10, v3
	v_addc_co_u32_e64 v4, s[0:1], v9, v4, s[0:1]
	global_load_dwordx2 v[3:4], v[3:4], off
	s_waitcnt vmcnt(0)
	v_xor_b32_e32 v4, 0x80000000, v4
	v_xor_b32_e32 v9, s6, v3
	;; [unrolled: 1-line block ×3, first 2 shown]
	v_and_b32_e32 v10, s9, v10
	v_and_b32_e32 v9, s8, v9
	v_cmp_eq_u64_e64 s[0:1], 0, v[9:10]
	s_and_b64 exec, exec, s[0:1]
	s_cbranch_execz .LBB40_21
; %bb.24:                               ;   in Loop: Header=BB40_22 Depth=1
	v_lshrrev_b64 v[3:4], s14, v[3:4]
	v_lshlrev_b32_sdwa v3, v8, v3 dst_sel:DWORD dst_unused:UNUSED_PAD src0_sel:DWORD src1_sel:BYTE_0
	ds_add_u32 v3, v7
	s_branch .LBB40_21
.LBB40_25:
	s_waitcnt lgkmcnt(0)
	s_barrier
	s_and_saveexec_b64 s[0:1], vcc
	s_cbranch_execz .LBB40_27
; %bb.26:
	v_lshl_or_b32 v0, s18, 8, v0
	v_mov_b32_e32 v1, 0
	ds_read_b32 v3, v5
	v_lshlrev_b64 v[0:1], 1, v[0:1]
	v_mov_b32_e32 v2, s3
	v_add_co_u32_e32 v0, vcc, s2, v0
	v_addc_co_u32_e32 v1, vcc, v2, v1, vcc
	s_waitcnt lgkmcnt(0)
	global_store_short v[0:1], v3, off
.LBB40_27:
	s_endpgm
	.section	.rodata,"a",@progbits
	.p2align	6, 0x0
	.amdhsa_kernel _ZN2at6native6mbtopk23computeBlockDigitCountsIljmLi1EEEvNS_4cuda6detail10TensorInfoIKT_T0_EEjPjjS8_iijT1_PSB_Ps
		.amdhsa_group_segment_fixed_size 1024
		.amdhsa_private_segment_fixed_size 0
		.amdhsa_kernarg_size 536
		.amdhsa_user_sgpr_count 6
		.amdhsa_user_sgpr_private_segment_buffer 1
		.amdhsa_user_sgpr_dispatch_ptr 0
		.amdhsa_user_sgpr_queue_ptr 0
		.amdhsa_user_sgpr_kernarg_segment_ptr 1
		.amdhsa_user_sgpr_dispatch_id 0
		.amdhsa_user_sgpr_flat_scratch_init 0
		.amdhsa_user_sgpr_private_segment_size 0
		.amdhsa_uses_dynamic_stack 0
		.amdhsa_system_sgpr_private_segment_wavefront_offset 0
		.amdhsa_system_sgpr_workgroup_id_x 1
		.amdhsa_system_sgpr_workgroup_id_y 1
		.amdhsa_system_sgpr_workgroup_id_z 1
		.amdhsa_system_sgpr_workgroup_info 0
		.amdhsa_system_vgpr_workitem_id 0
		.amdhsa_next_free_vgpr 15
		.amdhsa_next_free_sgpr 24
		.amdhsa_reserve_vcc 1
		.amdhsa_reserve_flat_scratch 0
		.amdhsa_float_round_mode_32 0
		.amdhsa_float_round_mode_16_64 0
		.amdhsa_float_denorm_mode_32 3
		.amdhsa_float_denorm_mode_16_64 3
		.amdhsa_dx10_clamp 1
		.amdhsa_ieee_mode 1
		.amdhsa_fp16_overflow 0
		.amdhsa_exception_fp_ieee_invalid_op 0
		.amdhsa_exception_fp_denorm_src 0
		.amdhsa_exception_fp_ieee_div_zero 0
		.amdhsa_exception_fp_ieee_overflow 0
		.amdhsa_exception_fp_ieee_underflow 0
		.amdhsa_exception_fp_ieee_inexact 0
		.amdhsa_exception_int_div_zero 0
	.end_amdhsa_kernel
	.section	.text._ZN2at6native6mbtopk23computeBlockDigitCountsIljmLi1EEEvNS_4cuda6detail10TensorInfoIKT_T0_EEjPjjS8_iijT1_PSB_Ps,"axG",@progbits,_ZN2at6native6mbtopk23computeBlockDigitCountsIljmLi1EEEvNS_4cuda6detail10TensorInfoIKT_T0_EEjPjjS8_iijT1_PSB_Ps,comdat
.Lfunc_end40:
	.size	_ZN2at6native6mbtopk23computeBlockDigitCountsIljmLi1EEEvNS_4cuda6detail10TensorInfoIKT_T0_EEjPjjS8_iijT1_PSB_Ps, .Lfunc_end40-_ZN2at6native6mbtopk23computeBlockDigitCountsIljmLi1EEEvNS_4cuda6detail10TensorInfoIKT_T0_EEjPjjS8_iijT1_PSB_Ps
                                        ; -- End function
	.set _ZN2at6native6mbtopk23computeBlockDigitCountsIljmLi1EEEvNS_4cuda6detail10TensorInfoIKT_T0_EEjPjjS8_iijT1_PSB_Ps.num_vgpr, 15
	.set _ZN2at6native6mbtopk23computeBlockDigitCountsIljmLi1EEEvNS_4cuda6detail10TensorInfoIKT_T0_EEjPjjS8_iijT1_PSB_Ps.num_agpr, 0
	.set _ZN2at6native6mbtopk23computeBlockDigitCountsIljmLi1EEEvNS_4cuda6detail10TensorInfoIKT_T0_EEjPjjS8_iijT1_PSB_Ps.numbered_sgpr, 24
	.set _ZN2at6native6mbtopk23computeBlockDigitCountsIljmLi1EEEvNS_4cuda6detail10TensorInfoIKT_T0_EEjPjjS8_iijT1_PSB_Ps.num_named_barrier, 0
	.set _ZN2at6native6mbtopk23computeBlockDigitCountsIljmLi1EEEvNS_4cuda6detail10TensorInfoIKT_T0_EEjPjjS8_iijT1_PSB_Ps.private_seg_size, 0
	.set _ZN2at6native6mbtopk23computeBlockDigitCountsIljmLi1EEEvNS_4cuda6detail10TensorInfoIKT_T0_EEjPjjS8_iijT1_PSB_Ps.uses_vcc, 1
	.set _ZN2at6native6mbtopk23computeBlockDigitCountsIljmLi1EEEvNS_4cuda6detail10TensorInfoIKT_T0_EEjPjjS8_iijT1_PSB_Ps.uses_flat_scratch, 0
	.set _ZN2at6native6mbtopk23computeBlockDigitCountsIljmLi1EEEvNS_4cuda6detail10TensorInfoIKT_T0_EEjPjjS8_iijT1_PSB_Ps.has_dyn_sized_stack, 0
	.set _ZN2at6native6mbtopk23computeBlockDigitCountsIljmLi1EEEvNS_4cuda6detail10TensorInfoIKT_T0_EEjPjjS8_iijT1_PSB_Ps.has_recursion, 0
	.set _ZN2at6native6mbtopk23computeBlockDigitCountsIljmLi1EEEvNS_4cuda6detail10TensorInfoIKT_T0_EEjPjjS8_iijT1_PSB_Ps.has_indirect_call, 0
	.section	.AMDGPU.csdata,"",@progbits
; Kernel info:
; codeLenInByte = 1264
; TotalNumSgprs: 28
; NumVgprs: 15
; ScratchSize: 0
; MemoryBound: 0
; FloatMode: 240
; IeeeMode: 1
; LDSByteSize: 1024 bytes/workgroup (compile time only)
; SGPRBlocks: 3
; VGPRBlocks: 3
; NumSGPRsForWavesPerEU: 28
; NumVGPRsForWavesPerEU: 15
; Occupancy: 10
; WaveLimiterHint : 1
; COMPUTE_PGM_RSRC2:SCRATCH_EN: 0
; COMPUTE_PGM_RSRC2:USER_SGPR: 6
; COMPUTE_PGM_RSRC2:TRAP_HANDLER: 0
; COMPUTE_PGM_RSRC2:TGID_X_EN: 1
; COMPUTE_PGM_RSRC2:TGID_Y_EN: 1
; COMPUTE_PGM_RSRC2:TGID_Z_EN: 1
; COMPUTE_PGM_RSRC2:TIDIG_COMP_CNT: 0
	.section	.text._ZN2at6native6mbtopk29computeBlockwiseWithinKCountsImlEEvPT_PsPjjibS6_PT0_S6_S4_S6_j,"axG",@progbits,_ZN2at6native6mbtopk29computeBlockwiseWithinKCountsImlEEvPT_PsPjjibS6_PT0_S6_S4_S6_j,comdat
	.protected	_ZN2at6native6mbtopk29computeBlockwiseWithinKCountsImlEEvPT_PsPjjibS6_PT0_S6_S4_S6_j ; -- Begin function _ZN2at6native6mbtopk29computeBlockwiseWithinKCountsImlEEvPT_PsPjjibS6_PT0_S6_S4_S6_j
	.globl	_ZN2at6native6mbtopk29computeBlockwiseWithinKCountsImlEEvPT_PsPjjibS6_PT0_S6_S4_S6_j
	.p2align	8
	.type	_ZN2at6native6mbtopk29computeBlockwiseWithinKCountsImlEEvPT_PsPjjibS6_PT0_S6_S4_S6_j,@function
_ZN2at6native6mbtopk29computeBlockwiseWithinKCountsImlEEvPT_PsPjjibS6_PT0_S6_S4_S6_j: ; @_ZN2at6native6mbtopk29computeBlockwiseWithinKCountsImlEEvPT_PsPjjibS6_PT0_S6_S4_S6_j
; %bb.0:
	s_load_dwordx4 s[16:19], s[4:5], 0x18
	s_load_dword s2, s[4:5], 0x50
	s_load_dwordx2 s[0:1], s[4:5], 0x58
	s_waitcnt lgkmcnt(0)
	v_cvt_f32_u32_e32 v1, s16
	s_mul_i32 s1, s1, s8
	s_add_i32 s1, s1, s7
	v_rcp_iflag_f32_e32 v1, v1
	s_mul_i32 s0, s1, s0
	s_add_i32 s6, s0, s6
	s_cmp_ge_u32 s6, s2
	v_mul_f32_e32 v1, 0x4f7ffffe, v1
	v_cvt_u32_f32_e32 v1, v1
	v_readfirstlane_b32 s0, v1
	s_cbranch_scc1 .LBB41_40
; %bb.1:
	s_sub_i32 s1, 0, s16
	s_mul_i32 s1, s1, s0
	s_mul_hi_u32 s1, s0, s1
	s_add_i32 s0, s0, s1
	s_mul_hi_u32 s2, s6, s0
	s_mul_i32 s3, s2, s16
	s_sub_i32 s3, s6, s3
	s_add_i32 s8, s2, 1
	s_sub_i32 s9, s3, s16
	s_cmp_ge_u32 s3, s16
	s_load_dwordx4 s[20:23], s[4:5], 0x0
	s_load_dwordx2 s[0:1], s[4:5], 0x10
	s_cselect_b32 s2, s8, s2
	s_cselect_b32 s3, s9, s3
	s_add_i32 s8, s2, 1
	s_mov_b32 s7, 0
	s_cmp_ge_u32 s3, s16
	s_cselect_b32 s28, s8, s2
	s_mov_b32 s29, s7
	s_lshl_b64 s[24:25], s[28:29], 2
	s_waitcnt lgkmcnt(0)
	s_add_u32 s0, s0, s24
	s_movk_i32 s2, 0x100
	s_addc_u32 s1, s1, s25
	v_cmp_gt_u32_e64 s[2:3], s2, v0
	s_and_saveexec_b64 s[8:9], s[2:3]
	s_cbranch_execz .LBB41_8
; %bb.2:
	s_mul_i32 s10, s28, s16
	s_lshl_b32 s10, s10, 8
	s_mov_b32 s11, s7
	s_lshl_b64 s[10:11], s[10:11], 1
	s_add_u32 s10, s22, s10
	s_addc_u32 s11, s23, s11
	v_lshlrev_b32_e32 v1, 1, v0
	v_mov_b32_e32 v2, s11
	v_add_co_u32_e32 v1, vcc, s10, v1
	v_mov_b32_e32 v3, 0
	s_cmp_lt_u32 s16, 4
	v_addc_co_u32_e32 v2, vcc, 0, v2, vcc
	s_cbranch_scc1 .LBB41_41
; %bb.3:
	v_mov_b32_e32 v3, 0
	s_mov_b32 s10, 0
.LBB41_4:                               ; =>This Inner Loop Header: Depth=1
	global_load_sshort v4, v[1:2], off
	global_load_sshort v5, v[1:2], off offset:512
	global_load_sshort v6, v[1:2], off offset:1024
	;; [unrolled: 1-line block ×3, first 2 shown]
	s_mov_b32 s11, s10
	v_add_co_u32_e32 v1, vcc, 0x800, v1
	s_add_i32 s10, s10, 4
	s_add_i32 s11, s11, 7
	v_addc_co_u32_e32 v2, vcc, 0, v2, vcc
	s_cmp_ge_u32 s11, s16
	s_waitcnt vmcnt(2)
	v_add3_u32 v3, v3, v4, v5
	s_waitcnt vmcnt(0)
	v_add3_u32 v3, v3, v6, v7
	s_cbranch_scc0 .LBB41_4
; %bb.5:
	s_cmp_ge_u32 s10, s16
	s_cbranch_scc1 .LBB41_7
.LBB41_6:                               ; =>This Inner Loop Header: Depth=1
	global_load_sshort v4, v[1:2], off
	v_add_co_u32_e32 v1, vcc, 0x200, v1
	s_add_i32 s10, s10, 1
	v_addc_co_u32_e32 v2, vcc, 0, v2, vcc
	s_cmp_lt_u32 s10, s16
	s_waitcnt vmcnt(0)
	v_add_u32_e32 v3, v3, v4
	s_cbranch_scc1 .LBB41_6
.LBB41_7:
	v_lshlrev_b32_e32 v1, 2, v0
	ds_write_b32 v1, v3 offset:1056
.LBB41_8:
	s_or_b64 exec, exec, s[8:9]
	s_load_dword s19, s[0:1], 0x0
	v_mov_b32_e32 v2, 0
	s_waitcnt lgkmcnt(0)
	s_barrier
	s_and_saveexec_b64 s[0:1], s[2:3]
; %bb.9:
	v_lshlrev_b32_e32 v1, 2, v0
	ds_read_b32 v2, v1 offset:1056
; %bb.10:
	s_or_b64 exec, exec, s[0:1]
	v_lshrrev_b32_e32 v1, 3, v0
	v_and_b32_e32 v1, 28, v1
	v_lshl_add_u32 v1, v0, 2, v1
	v_cmp_gt_u32_e64 s[0:1], 64, v0
	v_mbcnt_lo_u32_b32 v4, -1, 0
	s_waitcnt lgkmcnt(0)
	ds_write_b32 v1, v2
	s_waitcnt lgkmcnt(0)
	s_barrier
	s_and_saveexec_b64 s[8:9], s[0:1]
	s_cbranch_execz .LBB41_12
; %bb.11:
	v_lshrrev_b32_e32 v3, 1, v0
	v_and_b32_e32 v3, 0x7c, v3
	v_lshl_add_u32 v9, v0, 4, v3
	ds_read2_b32 v[5:6], v9 offset1:1
	ds_read2_b32 v[7:8], v9 offset0:2 offset1:3
	v_mbcnt_hi_u32_b32 v3, -1, v4
	v_and_b32_e32 v10, 15, v3
	v_cmp_ne_u32_e32 vcc, 0, v10
	s_waitcnt lgkmcnt(1)
	v_add_u32_e32 v6, v6, v5
	s_waitcnt lgkmcnt(0)
	v_add3_u32 v6, v6, v7, v8
	v_bfe_i32 v8, v3, 4, 1
	s_nop 0
	v_mov_b32_dpp v7, v6 row_shr:1 row_mask:0xf bank_mask:0xf
	v_cndmask_b32_e32 v7, 0, v7, vcc
	v_add_u32_e32 v6, v7, v6
	v_cmp_lt_u32_e32 vcc, 1, v10
	; wave barrier
	s_nop 0
	v_mov_b32_dpp v7, v6 row_shr:2 row_mask:0xf bank_mask:0xf
	v_cndmask_b32_e32 v7, 0, v7, vcc
	v_add_u32_e32 v6, v6, v7
	v_cmp_lt_u32_e32 vcc, 3, v10
	s_nop 0
	v_mov_b32_dpp v7, v6 row_shr:4 row_mask:0xf bank_mask:0xf
	v_cndmask_b32_e32 v7, 0, v7, vcc
	v_add_u32_e32 v6, v6, v7
	v_cmp_lt_u32_e32 vcc, 7, v10
	;; [unrolled: 5-line block ×3, first 2 shown]
	s_nop 0
	v_mov_b32_dpp v7, v6 row_bcast:15 row_mask:0xf bank_mask:0xf
	v_and_b32_e32 v7, v8, v7
	v_add_u32_e32 v6, v6, v7
	v_and_b32_e32 v8, 64, v3
	s_nop 0
	v_mov_b32_dpp v7, v6 row_bcast:31 row_mask:0xf bank_mask:0xf
	v_cndmask_b32_e32 v7, 0, v7, vcc
	v_add_u32_e32 v6, v6, v7
	v_add_u32_e32 v7, -1, v3
	v_cmp_lt_i32_e32 vcc, v7, v8
	v_cndmask_b32_e32 v3, v7, v3, vcc
	v_lshlrev_b32_e32 v3, 2, v3
	ds_bpermute_b32 v3, v3, v6
	v_cmp_eq_u32_e32 vcc, 0, v0
	s_waitcnt lgkmcnt(0)
	v_add_u32_e32 v3, v3, v5
	v_cndmask_b32_e32 v5, v3, v2, vcc
	ds_write_b32 v9, v5
	; wave barrier
	ds_read2_b32 v[2:3], v9 offset0:1 offset1:2
	ds_read_b32 v6, v9 offset:12
	s_waitcnt lgkmcnt(1)
	v_add_u32_e32 v2, v2, v5
	v_add_u32_e32 v3, v3, v2
	ds_write2_b32 v9, v2, v3 offset0:1 offset1:2
	s_waitcnt lgkmcnt(1)
	v_add_u32_e32 v2, v6, v3
	ds_write_b32 v9, v2 offset:12
.LBB41_12:
	s_or_b64 exec, exec, s[8:9]
	s_waitcnt lgkmcnt(0)
	s_barrier
	ds_read_b32 v1, v1
	s_waitcnt lgkmcnt(0)
	s_barrier
	s_and_saveexec_b64 s[8:9], s[2:3]
; %bb.13:
	v_lshlrev_b32_e32 v2, 2, v0
	ds_write_b32 v2, v1 offset:1056
; %bb.14:
	s_or_b64 exec, exec, s[8:9]
	s_load_dwordx8 s[8:15], s[4:5], 0x28
	s_load_dwordx2 s[26:27], s[4:5], 0x48
	s_waitcnt lgkmcnt(0)
	s_barrier
	s_and_saveexec_b64 s[4:5], s[2:3]
	s_cbranch_execz .LBB41_23
; %bb.15:
	v_mov_b32_e32 v5, 0
	v_cmp_ne_u32_e32 vcc, 0, v0
	s_and_saveexec_b64 s[2:3], vcc
; %bb.16:
	v_lshlrev_b32_e32 v2, 2, v0
	ds_read_b32 v5, v2 offset:1052
; %bb.17:
	s_or_b64 exec, exec, s[2:3]
	s_waitcnt lgkmcnt(0)
	v_cmp_gt_u32_e32 vcc, s19, v5
	v_cmp_le_u32_e64 s[2:3], s19, v1
	s_and_b64 s[2:3], vcc, s[2:3]
	s_and_b64 exec, exec, s[2:3]
	s_cbranch_execz .LBB41_23
; %bb.18:
	s_lshl_b64 s[2:3], s[28:29], 3
	s_add_u32 s20, s20, s2
	s_addc_u32 s21, s21, s3
	v_mov_b32_e32 v1, 0
	global_load_dwordx2 v[2:3], v1, s[20:21]
	s_lshl_b64 s[20:21], 0xff, s17
	v_lshlrev_b64 v[6:7], s17, v[0:1]
	v_not_b32_e32 v8, s20
	v_not_b32_e32 v9, s21
	s_mul_i32 s16, s28, s16
	s_cmp_lg_u32 s6, s16
	s_waitcnt vmcnt(0)
	v_and_b32_e32 v2, v2, v8
	v_and_b32_e32 v3, v3, v9
	v_or_b32_e32 v3, v3, v7
	v_or_b32_e32 v2, v2, v6
	ds_write_b64 v1, v[2:3] offset:2096
	s_cbranch_scc1 .LBB41_23
; %bb.19:
	s_add_u32 s14, s14, s2
	s_addc_u32 s15, s15, s3
	global_store_dwordx2 v1, v[2:3], s[14:15]
	s_cmp_lt_i32 s17, 1
	s_mov_b64 s[14:15], -1
	s_cbranch_scc0 .LBB41_21
; %bb.20:
	s_add_u32 s2, s10, s2
	v_xor_b32_e32 v3, 0x80000000, v3
	s_addc_u32 s3, s11, s3
	v_mov_b32_e32 v1, 0
	global_store_dwordx2 v1, v[2:3], s[2:3]
	s_mov_b64 s[14:15], 0
.LBB41_21:
	s_andn2_b64 vcc, exec, s[14:15]
	s_cbranch_vccnz .LBB41_23
; %bb.22:
	s_add_u32 s2, s12, s24
	v_sub_u32_e32 v1, s19, v5
	s_addc_u32 s3, s13, s25
	v_mov_b32_e32 v2, 0
	global_store_dword v2, v1, s[2:3]
.LBB41_23:
	s_or_b64 exec, exec, s[4:5]
	v_mov_b32_e32 v3, 0
	s_waitcnt vmcnt(0) lgkmcnt(0)
	s_barrier
	ds_read_b64 v[1:2], v3 offset:2096
	s_bitcmp0_b32 s18, 0
	s_waitcnt lgkmcnt(0)
	v_lshrrev_b64 v[1:2], s17, v[1:2]
	v_and_b32_e32 v2, 0xff, v1
	v_mov_b32_e32 v1, v3
	s_cbranch_scc0 .LBB41_25
; %bb.24:
	v_and_b32_e32 v5, 0xc0, v0
	v_mov_b32_e32 v6, v3
	v_cmp_gt_u64_e64 s[10:11], v[2:3], v[5:6]
	v_cmp_gt_u64_e64 s[4:5], v[2:3], v[0:1]
	s_cbranch_execz .LBB41_26
	s_branch .LBB41_27
.LBB41_25:
                                        ; implicit-def: $sgpr4_sgpr5
                                        ; implicit-def: $sgpr10_sgpr11
.LBB41_26:
	v_or_b32_e32 v5, 63, v0
	v_mov_b32_e32 v6, 0
	v_cmp_lt_u64_e64 s[2:3], v[2:3], v[0:1]
	v_cmp_lt_u64_e32 vcc, v[2:3], v[5:6]
	s_andn2_b64 s[4:5], s[4:5], exec
	s_and_b64 s[2:3], s[2:3], exec
	s_or_b64 s[4:5], s[4:5], s[2:3]
	s_andn2_b64 s[2:3], s[10:11], exec
	s_and_b64 s[10:11], vcc, exec
	s_or_b64 s[10:11], s[2:3], s[10:11]
.LBB41_27:
	v_mov_b32_e32 v1, 0
	s_and_saveexec_b64 s[2:3], s[10:11]
	s_cbranch_execz .LBB41_31
; %bb.28:
	v_mov_b32_e32 v1, 0
	s_and_saveexec_b64 s[10:11], s[4:5]
	s_cbranch_execz .LBB41_30
; %bb.29:
	s_lshl_b32 s4, s6, 8
	s_mov_b32 s5, 0
	s_lshl_b64 s[4:5], s[4:5], 1
	s_add_u32 s4, s22, s4
	s_addc_u32 s5, s23, s5
	v_lshlrev_b32_e32 v1, 1, v0
	global_load_sshort v1, v1, s[4:5]
.LBB41_30:
	s_or_b64 exec, exec, s[10:11]
	v_mbcnt_hi_u32_b32 v2, -1, v4
	v_mov_b32_e32 v3, 0x80
	v_lshl_or_b32 v3, v2, 2, v3
	s_waitcnt vmcnt(0)
	ds_bpermute_b32 v3, v3, v1
	v_and_b32_e32 v5, 63, v2
	v_cmp_gt_u32_e32 vcc, 48, v5
	v_cndmask_b32_e64 v6, 0, 16, vcc
	v_cmp_gt_u32_e32 vcc, 56, v5
	s_waitcnt lgkmcnt(0)
	v_add_u32_e32 v1, v3, v1
	v_add_lshl_u32 v3, v6, v2, 2
	ds_bpermute_b32 v3, v3, v1
	v_cndmask_b32_e64 v6, 0, 8, vcc
	v_add_lshl_u32 v6, v6, v2, 2
	v_cmp_gt_u32_e32 vcc, 60, v5
	s_waitcnt lgkmcnt(0)
	v_add_u32_e32 v1, v3, v1
	ds_bpermute_b32 v3, v6, v1
	v_cndmask_b32_e64 v6, 0, 4, vcc
	v_add_lshl_u32 v6, v6, v2, 2
	v_cmp_gt_u32_e32 vcc, 62, v5
	s_waitcnt lgkmcnt(0)
	v_add_u32_e32 v1, v3, v1
	ds_bpermute_b32 v3, v6, v1
	v_cndmask_b32_e64 v6, 0, 2, vcc
	v_add_lshl_u32 v6, v6, v2, 2
	v_cmp_ne_u32_e32 vcc, 63, v5
	v_addc_co_u32_e32 v2, vcc, 0, v2, vcc
	s_waitcnt lgkmcnt(0)
	v_add_u32_e32 v1, v3, v1
	ds_bpermute_b32 v3, v6, v1
	v_lshlrev_b32_e32 v2, 2, v2
	s_waitcnt lgkmcnt(0)
	v_add_u32_e32 v1, v3, v1
	ds_bpermute_b32 v2, v2, v1
	s_waitcnt lgkmcnt(0)
	v_add_u32_e32 v1, v2, v1
.LBB41_31:
	s_or_b64 exec, exec, s[2:3]
	v_and_b32_e32 v2, 63, v0
	v_cmp_eq_u32_e32 vcc, 0, v2
	s_and_saveexec_b64 s[2:3], vcc
; %bb.32:
	v_lshrrev_b32_e32 v2, 4, v0
	v_and_b32_e32 v2, 12, v2
	ds_write_b32 v2, v1 offset:2080
; %bb.33:
	s_or_b64 exec, exec, s[2:3]
	s_waitcnt lgkmcnt(0)
	s_barrier
	s_and_saveexec_b64 s[2:3], s[0:1]
	s_cbranch_execz .LBB41_40
; %bb.34:
	v_cmp_gt_u32_e32 vcc, 4, v0
	v_mov_b32_e32 v1, 0
	s_and_saveexec_b64 s[0:1], vcc
; %bb.35:
	v_lshlrev_b32_e32 v1, 2, v0
	ds_read_b32 v1, v1 offset:2080
; %bb.36:
	s_or_b64 exec, exec, s[0:1]
	v_mbcnt_hi_u32_b32 v2, -1, v4
	v_and_b32_e32 v3, 63, v2
	v_cmp_gt_u32_e32 vcc, 62, v3
	v_cndmask_b32_e64 v4, 0, 2, vcc
	v_add_lshl_u32 v4, v4, v2, 2
	s_waitcnt lgkmcnt(0)
	ds_bpermute_b32 v4, v4, v1
	v_cmp_ne_u32_e32 vcc, 63, v3
	v_addc_co_u32_e32 v2, vcc, 0, v2, vcc
	v_lshlrev_b32_e32 v2, 2, v2
	s_waitcnt lgkmcnt(0)
	v_add_u32_e32 v1, v4, v1
	ds_bpermute_b32 v2, v2, v1
	v_cmp_eq_u32_e32 vcc, 0, v0
	s_and_saveexec_b64 s[0:1], vcc
	s_cbranch_execz .LBB41_38
; %bb.37:
	s_lshl_b64 s[2:3], s[6:7], 2
	s_add_u32 s2, s8, s2
	s_addc_u32 s3, s9, s3
	v_mov_b32_e32 v3, 0
	global_load_dword v4, v3, s[2:3]
	s_waitcnt vmcnt(0) lgkmcnt(0)
	v_add3_u32 v1, v2, v1, v4
	global_store_dword v3, v1, s[2:3]
.LBB41_38:
	s_or_b64 exec, exec, s[0:1]
	v_or_b32_e32 v0, s17, v0
	v_cmp_eq_u32_e32 vcc, 0, v0
	s_and_b64 exec, exec, vcc
	s_cbranch_execz .LBB41_40
; %bb.39:
	v_mov_b32_e32 v0, 0
	ds_read_b32 v1, v0 offset:2096
	s_lshl_b32 s0, s6, 8
	s_mov_b32 s1, 0
	s_lshl_b64 s[0:1], s[0:1], 1
	s_add_u32 s0, s22, s0
	s_waitcnt lgkmcnt(1)
	v_mov_b32_e32 v2, 1
	s_addc_u32 s1, s23, s1
	s_waitcnt lgkmcnt(0)
	v_lshlrev_b32_sdwa v1, v2, v1 dst_sel:DWORD dst_unused:UNUSED_PAD src0_sel:DWORD src1_sel:BYTE_0
	global_load_sshort v1, v1, s[0:1]
	s_lshl_b64 s[0:1], s[6:7], 2
	s_add_u32 s0, s26, s0
	s_addc_u32 s1, s27, s1
	s_waitcnt vmcnt(0)
	global_store_dword v0, v1, s[0:1]
.LBB41_40:
	s_endpgm
.LBB41_41:
	s_mov_b32 s10, s7
	s_cmp_ge_u32 s10, s16
	s_cbranch_scc0 .LBB41_6
	s_branch .LBB41_7
	.section	.rodata,"a",@progbits
	.p2align	6, 0x0
	.amdhsa_kernel _ZN2at6native6mbtopk29computeBlockwiseWithinKCountsImlEEvPT_PsPjjibS6_PT0_S6_S4_S6_j
		.amdhsa_group_segment_fixed_size 2104
		.amdhsa_private_segment_fixed_size 0
		.amdhsa_kernarg_size 344
		.amdhsa_user_sgpr_count 6
		.amdhsa_user_sgpr_private_segment_buffer 1
		.amdhsa_user_sgpr_dispatch_ptr 0
		.amdhsa_user_sgpr_queue_ptr 0
		.amdhsa_user_sgpr_kernarg_segment_ptr 1
		.amdhsa_user_sgpr_dispatch_id 0
		.amdhsa_user_sgpr_flat_scratch_init 0
		.amdhsa_user_sgpr_private_segment_size 0
		.amdhsa_uses_dynamic_stack 0
		.amdhsa_system_sgpr_private_segment_wavefront_offset 0
		.amdhsa_system_sgpr_workgroup_id_x 1
		.amdhsa_system_sgpr_workgroup_id_y 1
		.amdhsa_system_sgpr_workgroup_id_z 1
		.amdhsa_system_sgpr_workgroup_info 0
		.amdhsa_system_vgpr_workitem_id 0
		.amdhsa_next_free_vgpr 11
		.amdhsa_next_free_sgpr 30
		.amdhsa_reserve_vcc 1
		.amdhsa_reserve_flat_scratch 0
		.amdhsa_float_round_mode_32 0
		.amdhsa_float_round_mode_16_64 0
		.amdhsa_float_denorm_mode_32 3
		.amdhsa_float_denorm_mode_16_64 3
		.amdhsa_dx10_clamp 1
		.amdhsa_ieee_mode 1
		.amdhsa_fp16_overflow 0
		.amdhsa_exception_fp_ieee_invalid_op 0
		.amdhsa_exception_fp_denorm_src 0
		.amdhsa_exception_fp_ieee_div_zero 0
		.amdhsa_exception_fp_ieee_overflow 0
		.amdhsa_exception_fp_ieee_underflow 0
		.amdhsa_exception_fp_ieee_inexact 0
		.amdhsa_exception_int_div_zero 0
	.end_amdhsa_kernel
	.section	.text._ZN2at6native6mbtopk29computeBlockwiseWithinKCountsImlEEvPT_PsPjjibS6_PT0_S6_S4_S6_j,"axG",@progbits,_ZN2at6native6mbtopk29computeBlockwiseWithinKCountsImlEEvPT_PsPjjibS6_PT0_S6_S4_S6_j,comdat
.Lfunc_end41:
	.size	_ZN2at6native6mbtopk29computeBlockwiseWithinKCountsImlEEvPT_PsPjjibS6_PT0_S6_S4_S6_j, .Lfunc_end41-_ZN2at6native6mbtopk29computeBlockwiseWithinKCountsImlEEvPT_PsPjjibS6_PT0_S6_S4_S6_j
                                        ; -- End function
	.set _ZN2at6native6mbtopk29computeBlockwiseWithinKCountsImlEEvPT_PsPjjibS6_PT0_S6_S4_S6_j.num_vgpr, 11
	.set _ZN2at6native6mbtopk29computeBlockwiseWithinKCountsImlEEvPT_PsPjjibS6_PT0_S6_S4_S6_j.num_agpr, 0
	.set _ZN2at6native6mbtopk29computeBlockwiseWithinKCountsImlEEvPT_PsPjjibS6_PT0_S6_S4_S6_j.numbered_sgpr, 30
	.set _ZN2at6native6mbtopk29computeBlockwiseWithinKCountsImlEEvPT_PsPjjibS6_PT0_S6_S4_S6_j.num_named_barrier, 0
	.set _ZN2at6native6mbtopk29computeBlockwiseWithinKCountsImlEEvPT_PsPjjibS6_PT0_S6_S4_S6_j.private_seg_size, 0
	.set _ZN2at6native6mbtopk29computeBlockwiseWithinKCountsImlEEvPT_PsPjjibS6_PT0_S6_S4_S6_j.uses_vcc, 1
	.set _ZN2at6native6mbtopk29computeBlockwiseWithinKCountsImlEEvPT_PsPjjibS6_PT0_S6_S4_S6_j.uses_flat_scratch, 0
	.set _ZN2at6native6mbtopk29computeBlockwiseWithinKCountsImlEEvPT_PsPjjibS6_PT0_S6_S4_S6_j.has_dyn_sized_stack, 0
	.set _ZN2at6native6mbtopk29computeBlockwiseWithinKCountsImlEEvPT_PsPjjibS6_PT0_S6_S4_S6_j.has_recursion, 0
	.set _ZN2at6native6mbtopk29computeBlockwiseWithinKCountsImlEEvPT_PsPjjibS6_PT0_S6_S4_S6_j.has_indirect_call, 0
	.section	.AMDGPU.csdata,"",@progbits
; Kernel info:
; codeLenInByte = 1892
; TotalNumSgprs: 34
; NumVgprs: 11
; ScratchSize: 0
; MemoryBound: 0
; FloatMode: 240
; IeeeMode: 1
; LDSByteSize: 2104 bytes/workgroup (compile time only)
; SGPRBlocks: 4
; VGPRBlocks: 2
; NumSGPRsForWavesPerEU: 34
; NumVGPRsForWavesPerEU: 11
; Occupancy: 10
; WaveLimiterHint : 1
; COMPUTE_PGM_RSRC2:SCRATCH_EN: 0
; COMPUTE_PGM_RSRC2:USER_SGPR: 6
; COMPUTE_PGM_RSRC2:TRAP_HANDLER: 0
; COMPUTE_PGM_RSRC2:TGID_X_EN: 1
; COMPUTE_PGM_RSRC2:TGID_Y_EN: 1
; COMPUTE_PGM_RSRC2:TGID_Z_EN: 1
; COMPUTE_PGM_RSRC2:TIDIG_COMP_CNT: 0
	.section	.text._ZN2at6native6mbtopk10gatherTopKIljLi1EEEvNS_4cuda6detail10TensorInfoIKT_T0_EES8_S8_bjS8_NS5_IS6_S8_EES8_NS5_IlS8_EES8_jjPS6_PjSD_j,"axG",@progbits,_ZN2at6native6mbtopk10gatherTopKIljLi1EEEvNS_4cuda6detail10TensorInfoIKT_T0_EES8_S8_bjS8_NS5_IS6_S8_EES8_NS5_IlS8_EES8_jjPS6_PjSD_j,comdat
	.protected	_ZN2at6native6mbtopk10gatherTopKIljLi1EEEvNS_4cuda6detail10TensorInfoIKT_T0_EES8_S8_bjS8_NS5_IS6_S8_EES8_NS5_IlS8_EES8_jjPS6_PjSD_j ; -- Begin function _ZN2at6native6mbtopk10gatherTopKIljLi1EEEvNS_4cuda6detail10TensorInfoIKT_T0_EES8_S8_bjS8_NS5_IS6_S8_EES8_NS5_IlS8_EES8_jjPS6_PjSD_j
	.globl	_ZN2at6native6mbtopk10gatherTopKIljLi1EEEvNS_4cuda6detail10TensorInfoIKT_T0_EES8_S8_bjS8_NS5_IS6_S8_EES8_NS5_IlS8_EES8_jjPS6_PjSD_j
	.p2align	8
	.type	_ZN2at6native6mbtopk10gatherTopKIljLi1EEEvNS_4cuda6detail10TensorInfoIKT_T0_EES8_S8_bjS8_NS5_IS6_S8_EES8_NS5_IlS8_EES8_jjPS6_PjSD_j,@function
_ZN2at6native6mbtopk10gatherTopKIljLi1EEEvNS_4cuda6detail10TensorInfoIKT_T0_EES8_S8_bjS8_NS5_IS6_S8_EES8_NS5_IlS8_EES8_jjPS6_PjSD_j: ; @_ZN2at6native6mbtopk10gatherTopKIljLi1EEEvNS_4cuda6detail10TensorInfoIKT_T0_EES8_S8_bjS8_NS5_IS6_S8_EES8_NS5_IlS8_EES8_jjPS6_PjSD_j
; %bb.0:
	s_load_dwordx2 s[0:1], s[4:5], 0x2d8
	s_load_dword s2, s[4:5], 0x2d0
	s_waitcnt lgkmcnt(0)
	s_mul_i32 s1, s1, s8
	s_add_i32 s1, s1, s7
	s_mul_i32 s0, s1, s0
	s_add_i32 s0, s0, s6
	s_cmp_ge_u32 s0, s2
	s_cbranch_scc1 .LBB42_40
; %bb.1:
	s_load_dwordx8 s[8:15], s[4:5], 0x2a8
	s_mov_b32 s27, 0
	s_load_dwordx2 s[6:7], s[4:5], 0x1d0
	s_load_dwordx2 s[22:23], s[4:5], 0xf0
	;; [unrolled: 1-line block ×3, first 2 shown]
	s_waitcnt lgkmcnt(0)
	v_cvt_f32_u32_e32 v1, s10
	s_sub_i32 s1, 0, s10
	v_rcp_iflag_f32_e32 v1, v1
	v_mul_f32_e32 v1, 0x4f7ffffe, v1
	v_cvt_u32_f32_e32 v1, v1
	v_readfirstlane_b32 s2, v1
	s_mul_i32 s1, s1, s2
	s_mul_hi_u32 s1, s2, s1
	s_add_i32 s2, s2, s1
	s_mul_hi_u32 s1, s0, s2
	s_mul_i32 s2, s1, s10
	s_sub_i32 s2, s0, s2
	s_add_i32 s3, s1, 1
	s_sub_i32 s11, s2, s10
	s_cmp_ge_u32 s2, s10
	s_cselect_b32 s1, s3, s1
	s_cselect_b32 s2, s11, s2
	s_add_i32 s3, s1, 1
	s_cmp_ge_u32 s2, s10
	s_cselect_b32 s26, s3, s1
	s_mul_i32 s16, s26, s10
	s_sub_i32 s11, s0, s16
	s_lshl_b64 s[0:1], s[26:27], 3
	s_add_u32 s0, s12, s0
	s_addc_u32 s1, s13, s1
	s_load_dwordx2 s[20:21], s[0:1], 0x0
	v_cmp_ne_u32_e64 s[0:1], 0, v0
	v_cmp_eq_u32_e64 s[2:3], 0, v0
	s_and_saveexec_b64 s[12:13], s[2:3]
	s_cbranch_execz .LBB42_17
; %bb.2:
	s_load_dwordx2 s[28:29], s[4:5], 0x2c8
	s_mov_b32 s17, s27
	s_lshl_b64 s[30:31], s[16:17], 2
	s_add_u32 s16, s14, s30
	s_addc_u32 s17, s15, s31
	s_waitcnt lgkmcnt(0)
	s_add_u32 s18, s28, s30
	s_addc_u32 s19, s29, s31
	s_cmp_lt_u32 s10, 4
	s_cbranch_scc1 .LBB42_14
; %bb.3:
	s_mov_b32 s33, s27
	s_mov_b32 s36, s27
	s_mov_b32 s37, s27
.LBB42_4:                               ; =>This Inner Loop Header: Depth=1
	s_add_u32 s34, s14, s30
	s_addc_u32 s35, s15, s31
	s_load_dwordx4 s[16:19], s[34:35], 0x0
	s_add_u32 s34, s28, s30
	s_addc_u32 s35, s29, s31
	s_cmp_ge_u32 s37, s11
	s_cbranch_scc0 .LBB42_11
; %bb.5:                                ;   in Loop: Header=BB42_4 Depth=1
	s_add_i32 s38, s37, 1
	s_cmp_ge_u32 s38, s11
	s_cbranch_scc0 .LBB42_12
.LBB42_6:                               ;   in Loop: Header=BB42_4 Depth=1
	s_add_i32 s38, s38, 1
	s_cmp_ge_u32 s38, s11
	s_cbranch_scc0 .LBB42_13
.LBB42_7:                               ;   in Loop: Header=BB42_4 Depth=1
	s_add_i32 s38, s38, 1
	s_cmp_ge_u32 s38, s11
	s_cbranch_scc1 .LBB42_9
.LBB42_8:                               ;   in Loop: Header=BB42_4 Depth=1
	s_load_dword s34, s[34:35], 0xc
	s_waitcnt lgkmcnt(0)
	s_add_i32 s27, s27, s19
	s_add_i32 s33, s34, s33
.LBB42_9:                               ;   in Loop: Header=BB42_4 Depth=1
	s_waitcnt lgkmcnt(0)
	s_add_i32 s16, s16, s36
	s_add_i32 s16, s16, s17
	;; [unrolled: 1-line block ×4, first 2 shown]
	s_add_u32 s14, s14, 16
	s_addc_u32 s15, s15, 0
	s_add_u32 s28, s28, 16
	s_addc_u32 s29, s29, 0
	s_add_i32 s35, s38, 4
	s_add_u32 s18, s28, s30
	s_addc_u32 s19, s29, s31
	s_add_u32 s16, s14, s30
	s_addc_u32 s17, s15, s31
	s_add_i32 s34, s38, 1
	s_cmp_ge_u32 s35, s10
	s_cbranch_scc1 .LBB42_15
; %bb.10:                               ;   in Loop: Header=BB42_4 Depth=1
	s_mov_b32 s37, s34
	s_branch .LBB42_4
.LBB42_11:                              ;   in Loop: Header=BB42_4 Depth=1
	s_load_dword s38, s[34:35], 0x0
	s_waitcnt lgkmcnt(0)
	s_add_i32 s27, s16, s27
	s_add_i32 s33, s38, s33
	;; [unrolled: 1-line block ×3, first 2 shown]
	s_cmp_ge_u32 s38, s11
	s_cbranch_scc1 .LBB42_6
.LBB42_12:                              ;   in Loop: Header=BB42_4 Depth=1
	s_load_dword s39, s[34:35], 0x4
	s_waitcnt lgkmcnt(0)
	s_add_i32 s27, s27, s17
	s_add_i32 s33, s39, s33
	;; [unrolled: 1-line block ×3, first 2 shown]
	s_cmp_ge_u32 s38, s11
	s_cbranch_scc1 .LBB42_7
.LBB42_13:                              ;   in Loop: Header=BB42_4 Depth=1
	s_load_dword s39, s[34:35], 0x8
	s_waitcnt lgkmcnt(0)
	s_add_i32 s27, s27, s18
	s_add_i32 s33, s39, s33
	;; [unrolled: 1-line block ×3, first 2 shown]
	s_cmp_ge_u32 s38, s11
	s_cbranch_scc0 .LBB42_8
	s_branch .LBB42_9
.LBB42_14:
	s_mov_b32 s33, 0
	s_mov_b32 s36, 0
	;; [unrolled: 1-line block ×3, first 2 shown]
	s_cmp_ge_u32 s14, s10
	s_cbranch_scc0 .LBB42_38
	s_branch .LBB42_16
.LBB42_15:
	s_add_i32 s14, s37, 4
	s_cmp_ge_u32 s14, s10
	s_cbranch_scc0 .LBB42_38
.LBB42_16:
	v_mov_b32_e32 v1, s33
	v_mov_b32_e32 v2, s36
	;; [unrolled: 1-line block ×4, first 2 shown]
	ds_write_b96 v4, v[1:3] offset:1056
.LBB42_17:
	s_or_b64 exec, exec, s[12:13]
	s_load_dword s16, s[4:5], 0x23c
	s_load_dword s17, s[4:5], 0x15c
	;; [unrolled: 1-line block ×3, first 2 shown]
	s_load_dwordx4 s[12:15], s[4:5], 0xd8
	s_waitcnt lgkmcnt(0)
	s_mul_i32 s15, s9, s11
	s_lshl_b32 s15, s15, 8
	s_add_i32 s19, s11, 1
	s_mov_b32 s11, 0
	s_sub_i32 s27, s12, s15
	s_add_u32 s28, s27, 0xff
	s_addc_u32 s29, 0, 0
	s_lshr_b64 s[28:29], s[28:29], 8
	s_cmp_lt_u32 s19, s10
	s_cselect_b32 s9, s9, s28
	s_cmp_eq_u32 s9, 0
	s_barrier
	s_cbranch_scc1 .LBB42_40
; %bb.18:
	s_mul_i32 s10, s26, s18
	v_mov_b32_e32 v5, 0
	s_mul_i32 s18, s26, s17
	s_mul_i32 s26, s26, s16
	s_lshl_b64 s[16:17], s[10:11], 3
	ds_read_b96 v[1:3], v5 offset:1056
	s_add_u32 s16, s24, s16
	s_mov_b32 s19, s11
	s_addc_u32 s17, s25, s17
	s_lshl_b64 s[18:19], s[18:19], 3
	s_add_u32 s18, s22, s18
	s_mov_b32 s27, s11
	s_addc_u32 s19, s23, s19
	s_lshl_b64 s[10:11], s[26:27], 3
	s_add_u32 s22, s6, s10
	s_waitcnt lgkmcnt(0)
	v_add_u32_e32 v2, v1, v2
	v_lshrrev_b32_e32 v1, 3, v0
	s_addc_u32 s23, s7, s11
	s_xor_b32 s11, s21, 0x80000000
	v_and_b32_e32 v1, 28, v1
	s_bitcmp1_b32 s14, 0
	s_load_dword s14, s[4:5], 0xe8
	s_load_dword s24, s[4:5], 0x1c8
	v_lshl_add_u32 v8, v0, 2, v1
	v_lshrrev_b32_e32 v1, 1, v0
	v_and_b32_e32 v9, 0x7c, v1
	v_add_u32_e32 v1, -1, v0
	v_lshrrev_b32_e32 v4, 3, v1
	v_cmp_gt_u32_e64 s[4:5], 64, v0
	v_lshlrev_b32_e32 v10, 4, v0
	v_and_b32_e32 v4, 0x1ffffffc, v4
	v_add_u32_e32 v0, s15, v0
	v_lshl_add_u32 v11, v1, 2, v4
	s_waitcnt lgkmcnt(0)
	v_mul_lo_u32 v4, s14, v0
	v_mbcnt_lo_u32_b32 v1, -1, 0
	s_mov_b32 s10, s20
	s_cselect_b64 s[6:7], -1, 0
	s_lshl_b32 s25, s14, 8
	v_mbcnt_hi_u32_b32 v12, -1, v1
                                        ; implicit-def: $vgpr6_vgpr7
	s_branch .LBB42_21
.LBB42_19:                              ;   in Loop: Header=BB42_21 Depth=1
	s_or_b64 exec, exec, s[14:15]
	v_add_u32_e32 v2, v15, v2
.LBB42_20:                              ;   in Loop: Header=BB42_21 Depth=1
	s_add_i32 s9, s9, -1
	v_add_u32_e32 v3, v14, v3
	v_add_u32_e32 v4, s25, v4
	s_cmp_lg_u32 s9, 0
	v_add_u32_e32 v0, 0x100, v0
	s_cbranch_scc0 .LBB42_40
.LBB42_21:                              ; =>This Inner Loop Header: Depth=1
	v_cmp_gt_u32_e32 vcc, s12, v0
	v_mov_b32_e32 v1, 0
	v_mov_b32_e32 v13, 0
	s_and_saveexec_b64 s[14:15], vcc
	s_cbranch_execz .LBB42_23
; %bb.22:                               ;   in Loop: Header=BB42_21 Depth=1
	v_lshlrev_b64 v[6:7], 3, v[4:5]
	v_mov_b32_e32 v1, s17
	v_add_co_u32_e32 v6, vcc, s16, v6
	v_addc_co_u32_e32 v7, vcc, v1, v7, vcc
	global_load_dwordx2 v[6:7], v[6:7], off
	s_waitcnt vmcnt(0)
	v_xor_b32_e32 v14, 0x80000000, v7
	v_mov_b32_e32 v13, v6
	v_cmp_lt_u64_e32 vcc, s[10:11], v[13:14]
	v_cndmask_b32_e64 v1, 0, 1, vcc
	v_cmp_gt_u64_e32 vcc, s[10:11], v[13:14]
	v_cndmask_b32_e64 v13, 0, 1, vcc
	v_cmp_eq_u64_e32 vcc, s[20:21], v[6:7]
	v_cndmask_b32_e64 v1, v13, v1, s[6:7]
	v_and_b32_e32 v1, 1, v1
	v_cndmask_b32_e64 v13, 0, 1, vcc
.LBB42_23:                              ;   in Loop: Header=BB42_21 Depth=1
	s_or_b64 exec, exec, s[14:15]
	ds_write_b32 v8, v1
	s_waitcnt vmcnt(0) lgkmcnt(0)
	s_barrier
	s_and_saveexec_b64 s[14:15], s[4:5]
	s_cbranch_execz .LBB42_25
; %bb.24:                               ;   in Loop: Header=BB42_21 Depth=1
	v_add_u32_e32 v18, v9, v10
	ds_read2_b32 v[14:15], v18 offset1:1
	ds_read2_b32 v[16:17], v18 offset0:2 offset1:3
	v_and_b32_e32 v19, 15, v12
	v_cmp_ne_u32_e32 vcc, 0, v19
	s_waitcnt lgkmcnt(1)
	v_add_u32_e32 v15, v15, v14
	s_waitcnt lgkmcnt(0)
	v_add3_u32 v15, v15, v16, v17
	v_bfe_i32 v17, v12, 4, 1
	; wave barrier
	s_nop 0
	v_mov_b32_dpp v16, v15 row_shr:1 row_mask:0xf bank_mask:0xf
	v_cndmask_b32_e32 v16, 0, v16, vcc
	v_add_u32_e32 v15, v16, v15
	v_cmp_lt_u32_e32 vcc, 1, v19
	s_nop 0
	v_mov_b32_dpp v16, v15 row_shr:2 row_mask:0xf bank_mask:0xf
	v_cndmask_b32_e32 v16, 0, v16, vcc
	v_add_u32_e32 v15, v15, v16
	v_cmp_lt_u32_e32 vcc, 3, v19
	;; [unrolled: 5-line block ×4, first 2 shown]
	s_nop 0
	v_mov_b32_dpp v16, v15 row_bcast:15 row_mask:0xf bank_mask:0xf
	v_and_b32_e32 v16, v17, v16
	v_add_u32_e32 v15, v15, v16
	v_and_b32_e32 v17, 64, v12
	s_nop 0
	v_mov_b32_dpp v16, v15 row_bcast:31 row_mask:0xf bank_mask:0xf
	v_cndmask_b32_e32 v16, 0, v16, vcc
	v_add_u32_e32 v15, v15, v16
	v_add_u32_e32 v16, -1, v12
	v_cmp_lt_i32_e32 vcc, v16, v17
	v_cndmask_b32_e32 v16, v16, v12, vcc
	v_lshlrev_b32_e32 v16, 2, v16
	ds_bpermute_b32 v15, v16, v15
	s_waitcnt lgkmcnt(0)
	v_add_u32_e32 v14, v15, v14
	v_cndmask_b32_e64 v16, v14, v1, s[2:3]
	ds_write_b32 v18, v16
	; wave barrier
	ds_read2_b32 v[14:15], v18 offset0:1 offset1:2
	ds_read_b32 v17, v18 offset:12
	s_waitcnt lgkmcnt(1)
	v_add_u32_e32 v14, v14, v16
	v_add_u32_e32 v15, v15, v14
	ds_write2_b32 v18, v14, v15 offset0:1 offset1:2
	s_waitcnt lgkmcnt(1)
	v_add_u32_e32 v14, v17, v15
	ds_write_b32 v18, v14 offset:12
.LBB42_25:                              ;   in Loop: Header=BB42_21 Depth=1
	s_or_b64 exec, exec, s[14:15]
	v_mov_b32_e32 v15, 0
	s_waitcnt lgkmcnt(0)
	s_barrier
	s_and_saveexec_b64 s[14:15], s[0:1]
; %bb.26:                               ;   in Loop: Header=BB42_21 Depth=1
	ds_read_b32 v15, v11
; %bb.27:                               ;   in Loop: Header=BB42_21 Depth=1
	s_or_b64 exec, exec, s[14:15]
	ds_read_b32 v14, v5 offset:1048
	v_cmp_ne_u32_e32 vcc, 0, v1
	s_waitcnt lgkmcnt(0)
	s_barrier
	s_and_saveexec_b64 s[14:15], vcc
	s_cbranch_execz .LBB42_29
; %bb.28:                               ;   in Loop: Header=BB42_21 Depth=1
	v_add_u32_e32 v1, v15, v3
	v_mul_lo_u32 v15, v1, s24
	v_mov_b32_e32 v16, v5
	v_mov_b32_e32 v17, s19
	;; [unrolled: 1-line block ×3, first 2 shown]
	v_lshlrev_b64 v[15:16], 3, v[15:16]
	v_add_co_u32_e32 v15, vcc, s18, v15
	v_addc_co_u32_e32 v16, vcc, v17, v16, vcc
	v_mul_lo_u32 v17, v1, s8
	global_store_dwordx2 v[15:16], v[6:7], off
	v_mov_b32_e32 v1, v5
	v_lshlrev_b64 v[15:16], 3, v[17:18]
	v_mov_b32_e32 v17, s23
	v_add_co_u32_e32 v15, vcc, s22, v15
	v_addc_co_u32_e32 v16, vcc, v17, v16, vcc
	global_store_dwordx2 v[15:16], v[0:1], off
.LBB42_29:                              ;   in Loop: Header=BB42_21 Depth=1
	s_or_b64 exec, exec, s[14:15]
	v_cmp_le_u32_e32 vcc, s13, v2
	s_cbranch_vccnz .LBB42_20
; %bb.30:                               ;   in Loop: Header=BB42_21 Depth=1
	ds_write_b32 v8, v13
	s_waitcnt vmcnt(0) lgkmcnt(0)
	s_barrier
	s_and_saveexec_b64 s[14:15], s[4:5]
	s_cbranch_execz .LBB42_32
; %bb.31:                               ;   in Loop: Header=BB42_21 Depth=1
	v_add_u32_e32 v1, v9, v10
	ds_read2_b32 v[15:16], v1 offset1:1
	ds_read2_b32 v[17:18], v1 offset0:2 offset1:3
	v_and_b32_e32 v19, 15, v12
	v_cmp_ne_u32_e32 vcc, 0, v19
	s_waitcnt lgkmcnt(1)
	v_add_u32_e32 v16, v16, v15
	s_waitcnt lgkmcnt(0)
	v_add3_u32 v16, v16, v17, v18
	v_bfe_i32 v18, v12, 4, 1
	; wave barrier
	s_nop 0
	v_mov_b32_dpp v17, v16 row_shr:1 row_mask:0xf bank_mask:0xf
	v_cndmask_b32_e32 v17, 0, v17, vcc
	v_add_u32_e32 v16, v17, v16
	v_cmp_lt_u32_e32 vcc, 1, v19
	s_nop 0
	v_mov_b32_dpp v17, v16 row_shr:2 row_mask:0xf bank_mask:0xf
	v_cndmask_b32_e32 v17, 0, v17, vcc
	v_add_u32_e32 v16, v16, v17
	v_cmp_lt_u32_e32 vcc, 3, v19
	;; [unrolled: 5-line block ×4, first 2 shown]
	s_nop 0
	v_mov_b32_dpp v17, v16 row_bcast:15 row_mask:0xf bank_mask:0xf
	v_and_b32_e32 v17, v18, v17
	v_add_u32_e32 v16, v16, v17
	v_and_b32_e32 v18, 64, v12
	s_nop 0
	v_mov_b32_dpp v17, v16 row_bcast:31 row_mask:0xf bank_mask:0xf
	v_cndmask_b32_e32 v17, 0, v17, vcc
	v_add_u32_e32 v16, v16, v17
	v_add_u32_e32 v17, -1, v12
	v_cmp_lt_i32_e32 vcc, v17, v18
	v_cndmask_b32_e32 v17, v17, v12, vcc
	v_lshlrev_b32_e32 v17, 2, v17
	ds_bpermute_b32 v16, v17, v16
	s_waitcnt lgkmcnt(0)
	v_add_u32_e32 v15, v16, v15
	v_cndmask_b32_e64 v17, v15, v13, s[2:3]
	ds_write_b32 v1, v17
	; wave barrier
	ds_read2_b32 v[15:16], v1 offset0:1 offset1:2
	ds_read_b32 v18, v1 offset:12
	s_waitcnt lgkmcnt(1)
	v_add_u32_e32 v15, v15, v17
	v_add_u32_e32 v16, v16, v15
	ds_write2_b32 v1, v15, v16 offset0:1 offset1:2
	s_waitcnt lgkmcnt(1)
	v_add_u32_e32 v15, v18, v16
	ds_write_b32 v1, v15 offset:12
.LBB42_32:                              ;   in Loop: Header=BB42_21 Depth=1
	s_or_b64 exec, exec, s[14:15]
	v_mov_b32_e32 v1, 0
	s_waitcnt lgkmcnt(0)
	s_barrier
	s_and_saveexec_b64 s[14:15], s[0:1]
; %bb.33:                               ;   in Loop: Header=BB42_21 Depth=1
	ds_read_b32 v1, v11
; %bb.34:                               ;   in Loop: Header=BB42_21 Depth=1
	s_or_b64 exec, exec, s[14:15]
	ds_read_b32 v15, v5 offset:1048
	v_cmp_ne_u32_e32 vcc, 0, v13
	s_waitcnt lgkmcnt(0)
	s_barrier
	s_and_saveexec_b64 s[14:15], vcc
	s_cbranch_execz .LBB42_19
; %bb.35:                               ;   in Loop: Header=BB42_21 Depth=1
	v_add_u32_e32 v1, v1, v2
	v_cmp_gt_u32_e32 vcc, s13, v1
	s_and_b64 exec, exec, vcc
	s_cbranch_execz .LBB42_19
; %bb.36:                               ;   in Loop: Header=BB42_21 Depth=1
	v_mul_lo_u32 v16, v1, s24
	v_mov_b32_e32 v17, v5
	v_mul_lo_u32 v18, v1, s8
	v_mov_b32_e32 v13, s19
	v_lshlrev_b64 v[16:17], 3, v[16:17]
	v_mov_b32_e32 v19, v5
	v_add_co_u32_e32 v16, vcc, s18, v16
	v_addc_co_u32_e32 v17, vcc, v13, v17, vcc
	global_store_dwordx2 v[16:17], v[6:7], off
	v_lshlrev_b64 v[16:17], 3, v[18:19]
	v_mov_b32_e32 v13, s23
	v_add_co_u32_e32 v16, vcc, s22, v16
	v_mov_b32_e32 v1, v5
	v_addc_co_u32_e32 v17, vcc, v13, v17, vcc
	global_store_dwordx2 v[16:17], v[0:1], off
	s_branch .LBB42_19
.LBB42_37:                              ;   in Loop: Header=BB42_38 Depth=1
	s_add_u32 s16, s16, 4
	s_addc_u32 s17, s17, 0
	s_waitcnt lgkmcnt(0)
	s_add_i32 s36, s15, s36
	s_add_u32 s18, s18, 4
	s_addc_u32 s19, s19, 0
	s_add_i32 s14, s14, 1
	s_cmp_lt_u32 s14, s10
	s_cbranch_scc0 .LBB42_16
.LBB42_38:                              ; =>This Inner Loop Header: Depth=1
	s_load_dword s15, s[16:17], 0x0
	s_cmp_ge_u32 s14, s11
	s_cbranch_scc1 .LBB42_37
; %bb.39:                               ;   in Loop: Header=BB42_38 Depth=1
	s_load_dword s28, s[18:19], 0x0
	s_waitcnt lgkmcnt(0)
	s_add_i32 s27, s15, s27
	s_add_i32 s33, s28, s33
	s_branch .LBB42_37
.LBB42_40:
	s_endpgm
	.section	.rodata,"a",@progbits
	.p2align	6, 0x0
	.amdhsa_kernel _ZN2at6native6mbtopk10gatherTopKIljLi1EEEvNS_4cuda6detail10TensorInfoIKT_T0_EES8_S8_bjS8_NS5_IS6_S8_EES8_NS5_IlS8_EES8_jjPS6_PjSD_j
		.amdhsa_group_segment_fixed_size 1068
		.amdhsa_private_segment_fixed_size 0
		.amdhsa_kernarg_size 984
		.amdhsa_user_sgpr_count 6
		.amdhsa_user_sgpr_private_segment_buffer 1
		.amdhsa_user_sgpr_dispatch_ptr 0
		.amdhsa_user_sgpr_queue_ptr 0
		.amdhsa_user_sgpr_kernarg_segment_ptr 1
		.amdhsa_user_sgpr_dispatch_id 0
		.amdhsa_user_sgpr_flat_scratch_init 0
		.amdhsa_user_sgpr_private_segment_size 0
		.amdhsa_uses_dynamic_stack 0
		.amdhsa_system_sgpr_private_segment_wavefront_offset 0
		.amdhsa_system_sgpr_workgroup_id_x 1
		.amdhsa_system_sgpr_workgroup_id_y 1
		.amdhsa_system_sgpr_workgroup_id_z 1
		.amdhsa_system_sgpr_workgroup_info 0
		.amdhsa_system_vgpr_workitem_id 0
		.amdhsa_next_free_vgpr 20
		.amdhsa_next_free_sgpr 40
		.amdhsa_reserve_vcc 1
		.amdhsa_reserve_flat_scratch 0
		.amdhsa_float_round_mode_32 0
		.amdhsa_float_round_mode_16_64 0
		.amdhsa_float_denorm_mode_32 3
		.amdhsa_float_denorm_mode_16_64 3
		.amdhsa_dx10_clamp 1
		.amdhsa_ieee_mode 1
		.amdhsa_fp16_overflow 0
		.amdhsa_exception_fp_ieee_invalid_op 0
		.amdhsa_exception_fp_denorm_src 0
		.amdhsa_exception_fp_ieee_div_zero 0
		.amdhsa_exception_fp_ieee_overflow 0
		.amdhsa_exception_fp_ieee_underflow 0
		.amdhsa_exception_fp_ieee_inexact 0
		.amdhsa_exception_int_div_zero 0
	.end_amdhsa_kernel
	.section	.text._ZN2at6native6mbtopk10gatherTopKIljLi1EEEvNS_4cuda6detail10TensorInfoIKT_T0_EES8_S8_bjS8_NS5_IS6_S8_EES8_NS5_IlS8_EES8_jjPS6_PjSD_j,"axG",@progbits,_ZN2at6native6mbtopk10gatherTopKIljLi1EEEvNS_4cuda6detail10TensorInfoIKT_T0_EES8_S8_bjS8_NS5_IS6_S8_EES8_NS5_IlS8_EES8_jjPS6_PjSD_j,comdat
.Lfunc_end42:
	.size	_ZN2at6native6mbtopk10gatherTopKIljLi1EEEvNS_4cuda6detail10TensorInfoIKT_T0_EES8_S8_bjS8_NS5_IS6_S8_EES8_NS5_IlS8_EES8_jjPS6_PjSD_j, .Lfunc_end42-_ZN2at6native6mbtopk10gatherTopKIljLi1EEEvNS_4cuda6detail10TensorInfoIKT_T0_EES8_S8_bjS8_NS5_IS6_S8_EES8_NS5_IlS8_EES8_jjPS6_PjSD_j
                                        ; -- End function
	.set _ZN2at6native6mbtopk10gatherTopKIljLi1EEEvNS_4cuda6detail10TensorInfoIKT_T0_EES8_S8_bjS8_NS5_IS6_S8_EES8_NS5_IlS8_EES8_jjPS6_PjSD_j.num_vgpr, 20
	.set _ZN2at6native6mbtopk10gatherTopKIljLi1EEEvNS_4cuda6detail10TensorInfoIKT_T0_EES8_S8_bjS8_NS5_IS6_S8_EES8_NS5_IlS8_EES8_jjPS6_PjSD_j.num_agpr, 0
	.set _ZN2at6native6mbtopk10gatherTopKIljLi1EEEvNS_4cuda6detail10TensorInfoIKT_T0_EES8_S8_bjS8_NS5_IS6_S8_EES8_NS5_IlS8_EES8_jjPS6_PjSD_j.numbered_sgpr, 40
	.set _ZN2at6native6mbtopk10gatherTopKIljLi1EEEvNS_4cuda6detail10TensorInfoIKT_T0_EES8_S8_bjS8_NS5_IS6_S8_EES8_NS5_IlS8_EES8_jjPS6_PjSD_j.num_named_barrier, 0
	.set _ZN2at6native6mbtopk10gatherTopKIljLi1EEEvNS_4cuda6detail10TensorInfoIKT_T0_EES8_S8_bjS8_NS5_IS6_S8_EES8_NS5_IlS8_EES8_jjPS6_PjSD_j.private_seg_size, 0
	.set _ZN2at6native6mbtopk10gatherTopKIljLi1EEEvNS_4cuda6detail10TensorInfoIKT_T0_EES8_S8_bjS8_NS5_IS6_S8_EES8_NS5_IlS8_EES8_jjPS6_PjSD_j.uses_vcc, 1
	.set _ZN2at6native6mbtopk10gatherTopKIljLi1EEEvNS_4cuda6detail10TensorInfoIKT_T0_EES8_S8_bjS8_NS5_IS6_S8_EES8_NS5_IlS8_EES8_jjPS6_PjSD_j.uses_flat_scratch, 0
	.set _ZN2at6native6mbtopk10gatherTopKIljLi1EEEvNS_4cuda6detail10TensorInfoIKT_T0_EES8_S8_bjS8_NS5_IS6_S8_EES8_NS5_IlS8_EES8_jjPS6_PjSD_j.has_dyn_sized_stack, 0
	.set _ZN2at6native6mbtopk10gatherTopKIljLi1EEEvNS_4cuda6detail10TensorInfoIKT_T0_EES8_S8_bjS8_NS5_IS6_S8_EES8_NS5_IlS8_EES8_jjPS6_PjSD_j.has_recursion, 0
	.set _ZN2at6native6mbtopk10gatherTopKIljLi1EEEvNS_4cuda6detail10TensorInfoIKT_T0_EES8_S8_bjS8_NS5_IS6_S8_EES8_NS5_IlS8_EES8_jjPS6_PjSD_j.has_indirect_call, 0
	.section	.AMDGPU.csdata,"",@progbits
; Kernel info:
; codeLenInByte = 2108
; TotalNumSgprs: 44
; NumVgprs: 20
; ScratchSize: 0
; MemoryBound: 0
; FloatMode: 240
; IeeeMode: 1
; LDSByteSize: 1068 bytes/workgroup (compile time only)
; SGPRBlocks: 5
; VGPRBlocks: 4
; NumSGPRsForWavesPerEU: 44
; NumVGPRsForWavesPerEU: 20
; Occupancy: 10
; WaveLimiterHint : 1
; COMPUTE_PGM_RSRC2:SCRATCH_EN: 0
; COMPUTE_PGM_RSRC2:USER_SGPR: 6
; COMPUTE_PGM_RSRC2:TRAP_HANDLER: 0
; COMPUTE_PGM_RSRC2:TGID_X_EN: 1
; COMPUTE_PGM_RSRC2:TGID_Y_EN: 1
; COMPUTE_PGM_RSRC2:TGID_Z_EN: 1
; COMPUTE_PGM_RSRC2:TIDIG_COMP_CNT: 0
	.section	.text._ZN2at6native6sbtopk10gatherTopKIljLi1ELb0EEEvNS_4cuda6detail10TensorInfoIKT_T0_EES8_S8_bS8_S8_NS5_IS6_S8_EES8_NS5_IlS8_EES8_PS6_,"axG",@progbits,_ZN2at6native6sbtopk10gatherTopKIljLi1ELb0EEEvNS_4cuda6detail10TensorInfoIKT_T0_EES8_S8_bS8_S8_NS5_IS6_S8_EES8_NS5_IlS8_EES8_PS6_,comdat
	.protected	_ZN2at6native6sbtopk10gatherTopKIljLi1ELb0EEEvNS_4cuda6detail10TensorInfoIKT_T0_EES8_S8_bS8_S8_NS5_IS6_S8_EES8_NS5_IlS8_EES8_PS6_ ; -- Begin function _ZN2at6native6sbtopk10gatherTopKIljLi1ELb0EEEvNS_4cuda6detail10TensorInfoIKT_T0_EES8_S8_bS8_S8_NS5_IS6_S8_EES8_NS5_IlS8_EES8_PS6_
	.globl	_ZN2at6native6sbtopk10gatherTopKIljLi1ELb0EEEvNS_4cuda6detail10TensorInfoIKT_T0_EES8_S8_bS8_S8_NS5_IS6_S8_EES8_NS5_IlS8_EES8_PS6_
	.p2align	8
	.type	_ZN2at6native6sbtopk10gatherTopKIljLi1ELb0EEEvNS_4cuda6detail10TensorInfoIKT_T0_EES8_S8_bS8_S8_NS5_IS6_S8_EES8_NS5_IlS8_EES8_PS6_,@function
_ZN2at6native6sbtopk10gatherTopKIljLi1ELb0EEEvNS_4cuda6detail10TensorInfoIKT_T0_EES8_S8_bS8_S8_NS5_IS6_S8_EES8_NS5_IlS8_EES8_PS6_: ; @_ZN2at6native6sbtopk10gatherTopKIljLi1ELb0EEEvNS_4cuda6detail10TensorInfoIKT_T0_EES8_S8_bS8_S8_NS5_IS6_S8_EES8_NS5_IlS8_EES8_PS6_
; %bb.0:
	s_load_dwordx2 s[14:15], s[4:5], 0x2b8
	s_load_dwordx4 s[28:31], s[4:5], 0xd8
	s_add_u32 s12, s4, 0x2b8
	s_addc_u32 s13, s5, 0
	s_waitcnt lgkmcnt(0)
	s_mul_i32 s0, s15, s8
	s_add_i32 s0, s0, s7
	s_mul_i32 s0, s0, s14
	s_add_i32 s10, s0, s6
	s_cmp_ge_u32 s10, s31
	s_cbranch_scc1 .LBB43_396
; %bb.1:
	s_load_dwordx2 s[0:1], s[4:5], 0x1d0
                                        ; implicit-def: $vgpr46 : SGPR spill to VGPR lane
	s_mov_b32 s39, 0
	v_cmp_eq_u32_e64 s[8:9], 0, v0
	s_waitcnt lgkmcnt(0)
	v_writelane_b32 v46, s0, 0
	v_writelane_b32 v46, s1, 1
	s_load_dword s0, s[4:5], 0xe8
	s_waitcnt lgkmcnt(0)
	v_writelane_b32 v46, s0, 2
	s_load_dwordx2 s[0:1], s[4:5], 0xf0
	s_waitcnt lgkmcnt(0)
	v_writelane_b32 v46, s0, 3
	v_writelane_b32 v46, s1, 4
	s_load_dword s7, s[4:5], 0x6c
	s_load_dwordx2 s[0:1], s[4:5], 0x0
	s_mov_b64 s[2:3], exec
	v_writelane_b32 v46, s8, 5
	v_writelane_b32 v46, s9, 6
	s_and_b64 s[8:9], s[2:3], s[8:9]
	s_mov_b64 exec, s[8:9]
; %bb.2:
	v_mov_b32_e32 v1, 0
	v_mov_b32_e32 v2, s28
	;; [unrolled: 1-line block ×3, first 2 shown]
	ds_write_b96 v1, v[1:3] offset:4096
; %bb.3:
	s_or_b64 exec, exec, s[2:3]
	s_waitcnt lgkmcnt(0)
	s_mul_i32 s38, s7, s10
	s_lshl_b64 s[2:3], s[38:39], 3
	s_add_u32 s33, s0, s2
	s_addc_u32 s38, s1, s3
	s_barrier
	s_load_dword s0, s[12:13], 0xc
	s_bitcmp1_b32 s30, 0
	v_writelane_b32 v46, s10, 7
	s_cselect_b64 s[2:3], -1, 0
	v_writelane_b32 v46, s2, 8
	v_writelane_b32 v46, s3, 9
	s_xor_b64 s[2:3], s[2:3], -1
	v_mbcnt_lo_u32_b32 v1, -1, 0
	v_writelane_b32 v46, s2, 10
	v_mbcnt_hi_u32_b32 v29, -1, v1
	v_writelane_b32 v46, s3, 11
	s_waitcnt lgkmcnt(0)
	s_and_b32 s44, s0, 0xffff
	v_cmp_gt_u32_e32 vcc, 64, v0
	v_cmp_gt_i32_e64 s[2:3], 4, v29
	s_lshl_b32 s30, s44, 2
	s_bfe_u32 s7, s0, 0xa0006
	s_and_b64 s[40:41], vcc, s[2:3]
	s_cmpk_gt_u32 s28, 0x180
	s_cselect_b64 s[2:3], -1, 0
	v_writelane_b32 v46, s2, 12
	v_writelane_b32 v46, s3, 13
	;; [unrolled: 1-line block ×3, first 2 shown]
	s_load_dword s8, s[4:5], 0xe8
	v_mov_b32_e32 v14, 0
	v_mov_b32_e32 v13, v14
	v_writelane_b32 v46, s5, 15
	v_cmp_gt_u32_e64 s[2:3], s28, v0
	s_waitcnt lgkmcnt(0)
	v_mul_lo_u32 v12, s8, v0
	v_mov_b32_e32 v3, s38
	v_writelane_b32 v46, s2, 16
	s_cmp_gt_u32 s44, 63
	v_lshlrev_b64 v[1:2], 3, v[12:13]
	v_writelane_b32 v46, s3, 17
	v_add_co_u32_e32 v10, vcc, s33, v1
	v_addc_co_u32_e32 v11, vcc, v3, v2, vcc
	v_lshlrev_b64 v[2:3], v29, -1
	s_cselect_b64 s[2:3], -1, 0
	v_writelane_b32 v46, s2, 18
	v_not_b32_e32 v27, v2
	v_lshrrev_b32_e32 v2, 2, v0
	v_writelane_b32 v46, s3, 19
	v_cmp_gt_u32_e64 s[2:3], 2, v0
	v_and_b32_e32 v2, 0xf0, v2
	v_writelane_b32 v46, s2, 20
	s_add_i32 s4, s44, -1
	v_or_b32_e32 v32, 0xc00, v2
	v_cvt_f32_u32_e32 v2, s30
	v_writelane_b32 v46, s3, 21
	s_add_i32 s2, s4, s28
	s_cmp_lt_u32 s6, s14
	s_cselect_b32 s3, 12, 18
	s_add_u32 s10, s12, s3
	v_rcp_iflag_f32_e32 v2, v2
	s_addc_u32 s11, s13, 0
	s_add_i32 s3, s7, -1
	s_bfe_u32 s6, s44, 0x30006
	s_and_b32 s3, s3, 0xffff
	v_writelane_b32 v46, s10, 22
	s_cmp_gt_u32 s3, 6
	v_writelane_b32 v46, s11, 23
	s_cselect_b64 s[10:11], -1, 0
	v_mul_f32_e32 v2, 0x4f7ffffe, v2
	v_writelane_b32 v46, s10, 24
	s_and_b32 s5, s7, 0x3f8
	v_cvt_u32_f32_e32 v2, v2
	v_writelane_b32 v46, s11, 25
	s_cmp_lg_u32 s6, 0
	v_writelane_b32 v46, s6, 26
	s_cselect_b64 s[6:7], -1, 0
	v_writelane_b32 v46, s6, 27
	v_writelane_b32 v46, s7, 28
	s_sub_i32 s3, 0, s30
	v_readfirstlane_b32 s6, v2
	s_mul_i32 s3, s3, s6
	s_mul_hi_u32 s3, s6, s3
	s_add_i32 s3, s6, s3
	s_mov_b32 s31, s3
	s_mul_hi_u32 s3, s28, s3
	s_mul_i32 s3, s3, s30
	v_cvt_f32_u32_e32 v2, s44
	s_sub_i32 s3, s28, s3
	s_sub_i32 s6, s3, s30
	s_cmp_ge_u32 s3, s30
	s_cselect_b32 s3, s6, s3
	v_rcp_iflag_f32_e32 v4, v2
	s_sub_i32 s6, s3, s30
	s_cmp_ge_u32 s3, s30
	s_cselect_b32 s3, s6, s3
	v_lshlrev_b32_e32 v28, 2, v0
	s_sub_i32 s13, s28, s3
	v_mul_f32_e32 v4, 0x4f7ffffe, v4
	v_cmp_gt_u32_e64 s[6:7], s13, v28
	v_cvt_u32_f32_e32 v4, v4
	v_add_u32_e32 v33, s13, v0
	v_writelane_b32 v46, s6, 29
	v_writelane_b32 v46, s7, 30
	v_cmp_gt_u32_e64 s[6:7], s28, v33
	v_writelane_b32 v46, s6, 31
	v_writelane_b32 v46, s7, 32
	s_sub_i32 s6, 0, s44
	v_readfirstlane_b32 s7, v4
	s_mul_i32 s6, s6, s7
	v_mul_lo_u32 v13, v33, s8
	s_mul_hi_u32 s6, s7, s6
	s_add_i32 s6, s7, s6
	v_writelane_b32 v46, s6, 33
	s_mul_hi_u32 s6, s2, s6
	s_mul_i32 s6, s6, s44
	v_not_b32_e32 v26, v3
	v_lshlrev_b64 v[2:3], 3, v[13:14]
	s_sub_i32 s6, s2, s6
	s_sub_i32 s7, s6, s44
	v_add_co_u32_e32 v15, vcc, s33, v2
	s_cmp_ge_u32 s6, s44
	v_mul_lo_u32 v2, s8, v28
	s_cselect_b32 s6, s7, s6
	s_sub_i32 s7, s6, s44
	s_cmp_ge_u32 s6, s44
	s_cselect_b32 s6, s7, s6
	v_add_u32_e32 v34, s8, v2
	v_or_b32_e32 v2, 2, v28
	s_sub_i32 s14, s2, s6
	v_mul_lo_u32 v35, s8, v2
	v_or_b32_e32 v2, 3, v28
	s_add_i32 s2, s44, s28
	v_mul_lo_u32 v36, s8, v2
	v_add_u32_e32 v2, s2, v0
	v_subrev_u32_e32 v2, s3, v2
	v_mul_lo_u32 v38, s8, v2
	v_mov_b32_e32 v5, s38
	v_lshlrev_b32_e32 v30, 3, v0
	v_lshlrev_b32_e32 v1, 2, v29
	v_addc_co_u32_e32 v16, vcc, v5, v3, vcc
	v_cmp_gt_u32_e64 s[6:7], s14, v0
	s_mul_i32 s45, s8, s44
	v_mov_b32_e32 v17, 0
	v_mov_b32_e32 v19, 0
	v_mov_b32_e32 v3, 0
	v_cmp_eq_u32_e64 s[0:1], 0, v29
	v_add_u32_e32 v31, 0xc00, v30
	v_and_b32_e32 v25, 0x100, v1
	v_writelane_b32 v46, s6, 34
	s_lshl_b32 s15, s45, 2
	v_lshlrev_b32_e32 v37, 2, v12
	v_lshlrev_b32_e32 v39, 5, v0
	s_lshl_b32 s12, s44, 5
	s_lshl_b32 s10, s44, 3
	v_or_b32_e32 v40, 0xc00, v1
	s_mov_b32 s11, 62
	s_mov_b64 s[52:53], 0
	v_mov_b32_e32 v41, s29
	v_mov_b32_e32 v18, 0
	v_mov_b32_e32 v20, 0
	v_mov_b32_e32 v4, 0
	v_mov_b32_e32 v5, 1
	v_writelane_b32 v46, s7, 35
                                        ; implicit-def: $sgpr54_sgpr55
                                        ; implicit-def: $sgpr56_sgpr57
                                        ; implicit-def: $sgpr60_sgpr61
                                        ; implicit-def: $sgpr62_sgpr63
                                        ; implicit-def: $sgpr58_sgpr59
                                        ; implicit-def: $sgpr64_sgpr65
                                        ; implicit-def: $sgpr66_sgpr67
                                        ; implicit-def: $sgpr68_sgpr69
                                        ; implicit-def: $sgpr70_sgpr71
                                        ; implicit-def: $sgpr72_sgpr73
	s_branch .LBB43_6
.LBB43_4:                               ;   in Loop: Header=BB43_6 Depth=1
	s_or_b64 exec, exec, s[16:17]
	s_andn2_b64 s[16:17], s[72:73], exec
	s_and_b64 s[8:9], s[8:9], exec
	s_or_b64 s[72:73], s[16:17], s[8:9]
	s_andn2_b64 s[70:71], s[70:71], exec
	s_andn2_b64 s[68:69], s[68:69], exec
	;; [unrolled: 1-line block ×4, first 2 shown]
	s_orn2_b64 s[6:7], s[6:7], exec
	v_mov_b32_e32 v41, v24
.LBB43_5:                               ;   in Loop: Header=BB43_6 Depth=1
	s_or_b64 exec, exec, s[2:3]
	s_and_b64 s[2:3], exec, s[6:7]
	s_or_b64 s[52:53], s[2:3], s[52:53]
	s_andn2_b64 s[2:3], s[58:59], exec
	s_and_b64 s[6:7], s[72:73], exec
	s_or_b64 s[58:59], s[2:3], s[6:7]
	s_andn2_b64 s[2:3], s[62:63], exec
	s_and_b64 s[6:7], s[70:71], exec
	;; [unrolled: 3-line block ×5, first 2 shown]
	s_or_b64 s[54:55], s[2:3], s[6:7]
	s_andn2_b64 exec, exec, s[52:53]
	s_cbranch_execz .LBB43_392
.LBB43_6:                               ; =>This Loop Header: Depth=1
                                        ;     Child Loop BB43_12 Depth 2
                                        ;     Child Loop BB43_25 Depth 2
	;; [unrolled: 1-line block ×24, first 2 shown]
	ds_read_b64 v[1:2], v14 offset:4096
	s_waitcnt lgkmcnt(0)
	v_readfirstlane_b32 s24, v1
	s_cmp_lg_u32 s24, 0
	s_cbranch_scc1 .LBB43_33
; %bb.7:                                ;   in Loop: Header=BB43_6 Depth=1
	v_readlane_b32 s2, v46, 12
	v_readlane_b32 s3, v46, 13
	s_and_b64 vcc, exec, s[2:3]
	s_cbranch_vccz .LBB43_20
; %bb.8:                                ;   in Loop: Header=BB43_6 Depth=1
	s_movk_i32 s2, 0x181
	v_cmp_gt_u32_e32 vcc, s2, v2
	s_mov_b64 s[20:21], 0
	s_mov_b64 s[2:3], 0
	s_cbranch_vccz .LBB43_21
; %bb.9:                                ;   in Loop: Header=BB43_6 Depth=1
	s_mov_b64 s[22:23], exec
	v_readlane_b32 s2, v46, 16
	v_readlane_b32 s3, v46, 17
	s_and_b64 s[2:3], s[22:23], s[2:3]
	s_mov_b64 exec, s[2:3]
	s_cbranch_execz .LBB43_81
; %bb.10:                               ;   in Loop: Header=BB43_6 Depth=1
	v_readlane_b32 s2, v46, 22
	v_readlane_b32 s3, v46, 23
	s_nop 4
	global_load_ushort v8, v14, s[2:3]
	global_load_dwordx2 v[1:2], v[10:11], off
	v_readlane_b32 s2, v46, 14
	v_readlane_b32 s3, v46, 15
	s_load_dword s2, s[2:3], 0xe8
	v_mov_b32_e32 v21, v0
	s_waitcnt vmcnt(1)
	v_add_u32_e32 v6, v0, v8
	s_waitcnt lgkmcnt(0)
	v_mul_lo_u32 v13, s2, v6
	v_mul_lo_u32 v9, s2, v8
	s_mov_b64 s[2:3], 0
	s_branch .LBB43_12
.LBB43_11:                              ;   in Loop: Header=BB43_12 Depth=2
	s_or_b64 exec, exec, s[6:7]
	v_mov_b32_e32 v1, v6
	v_add_u32_e32 v13, v13, v9
	v_mov_b32_e32 v2, v7
	s_andn2_b64 exec, exec, s[2:3]
	s_cbranch_execz .LBB43_81
.LBB43_12:                              ;   Parent Loop BB43_6 Depth=1
                                        ; =>  This Inner Loop Header: Depth=2
	v_add_u32_e32 v21, v21, v8
	v_mov_b32_e32 v6, 0
	v_cmp_gt_u32_e64 s[6:7], s28, v21
	v_mov_b32_e32 v7, 0
	v_cmp_le_u32_e32 vcc, s28, v21
	s_and_saveexec_b64 s[8:9], s[6:7]
	s_cbranch_execz .LBB43_14
; %bb.13:                               ;   in Loop: Header=BB43_12 Depth=2
	v_lshlrev_b64 v[6:7], 3, v[13:14]
	s_waitcnt lgkmcnt(0)
	v_mov_b32_e32 v22, s38
	v_add_co_u32_e64 v6, s[6:7], s33, v6
	v_addc_co_u32_e64 v7, s[6:7], v22, v7, s[6:7]
	global_load_dwordx2 v[6:7], v[6:7], off
.LBB43_14:                              ;   in Loop: Header=BB43_12 Depth=2
	s_or_b64 exec, exec, s[8:9]
	s_waitcnt vmcnt(0) lgkmcnt(0)
	v_xor_b32_e32 v22, 0x80000000, v2
	v_and_b32_e32 v23, v22, v20
	v_and_b32_e32 v22, v1, v19
	v_cmp_eq_u64_e64 s[18:19], v[22:23], v[17:18]
	v_mov_b32_e32 v22, 0
	s_cmp_lg_u64 s[18:19], 0
	s_cselect_b64 s[6:7], -1, 0
	s_and_b64 s[6:7], s[0:1], s[6:7]
	s_and_saveexec_b64 s[8:9], s[6:7]
	s_cbranch_execz .LBB43_18
; %bb.15:                               ;   in Loop: Header=BB43_12 Depth=2
	s_mov_b64 s[24:25], exec
	v_mbcnt_lo_u32_b32 v22, s24, 0
	v_mbcnt_hi_u32_b32 v22, s25, v22
	s_bcnt1_i32_b64 s26, s[18:19]
	v_cmp_eq_u32_e64 s[6:7], 0, v22
                                        ; implicit-def: $vgpr23
	s_and_saveexec_b64 s[16:17], s[6:7]
; %bb.16:                               ;   in Loop: Header=BB43_12 Depth=2
	s_bcnt1_i32_b64 s6, s[24:25]
	s_mul_i32 s6, s26, s6
	v_mov_b32_e32 v23, s6
	ds_add_rtn_u32 v23, v14, v23 offset:4104
; %bb.17:                               ;   in Loop: Header=BB43_12 Depth=2
	s_or_b64 exec, exec, s[16:17]
	s_waitcnt lgkmcnt(0)
	v_readfirstlane_b32 s6, v23
	v_mov_b32_e32 v23, s6
	v_mad_u32_u24 v22, s26, v22, v23
.LBB43_18:                              ;   in Loop: Header=BB43_12 Depth=2
	s_or_b64 exec, exec, s[8:9]
	ds_bpermute_b32 v22, v25, v22
	s_and_b64 s[6:7], exec, vcc
	s_or_b64 s[2:3], s[6:7], s[2:3]
	s_and_saveexec_b64 s[6:7], s[18:19]
	s_cbranch_execz .LBB43_11
; %bb.19:                               ;   in Loop: Header=BB43_12 Depth=2
	v_and_b32_e32 v24, s18, v27
	v_and_b32_e32 v23, s19, v26
	v_bcnt_u32_b32 v24, v24, 0
	v_bcnt_u32_b32 v23, v23, v24
	v_lshlrev_b32_e32 v23, 3, v23
	s_waitcnt lgkmcnt(0)
	v_lshl_add_u32 v22, v22, 3, v23
	ds_write_b64 v22, v[1:2]
	s_branch .LBB43_11
.LBB43_20:                              ;   in Loop: Header=BB43_6 Depth=1
	s_mov_b64 s[20:21], -1
	s_mov_b64 s[2:3], 0
.LBB43_21:                              ;   in Loop: Header=BB43_6 Depth=1
	s_and_b64 vcc, exec, s[20:21]
	s_cbranch_vccz .LBB43_31
.LBB43_22:                              ;   in Loop: Header=BB43_6 Depth=1
	s_mov_b64 s[2:3], exec
	v_readlane_b32 s6, v46, 16
	v_readlane_b32 s7, v46, 17
	s_and_b64 s[6:7], s[2:3], s[6:7]
	s_mov_b64 exec, s[6:7]
	s_cbranch_execz .LBB43_28
; %bb.23:                               ;   in Loop: Header=BB43_6 Depth=1
	v_readlane_b32 s6, v46, 22
	v_readlane_b32 s7, v46, 23
	s_nop 4
	global_load_ushort v8, v14, s[6:7]
	global_load_dwordx2 v[1:2], v[10:11], off
	v_mov_b32_e32 v9, v0
	s_waitcnt vmcnt(1)
	v_add_u32_e32 v6, v0, v8
	v_cmp_gt_u32_e32 vcc, s28, v6
	s_and_saveexec_b64 s[6:7], vcc
	s_cbranch_execz .LBB43_27
; %bb.24:                               ;   in Loop: Header=BB43_6 Depth=1
	v_readlane_b32 s8, v46, 14
	v_readlane_b32 s9, v46, 15
	s_load_dword s8, s[8:9], 0xe8
	v_lshlrev_b32_e32 v21, 3, v8
	v_mov_b32_e32 v23, v30
	v_mov_b32_e32 v9, v0
	s_waitcnt lgkmcnt(0)
	v_mul_lo_u32 v13, s8, v6
	v_mul_lo_u32 v22, s8, v8
	s_mov_b64 s[8:9], 0
.LBB43_25:                              ;   Parent Loop BB43_6 Depth=1
                                        ; =>  This Inner Loop Header: Depth=2
	v_lshlrev_b64 v[6:7], 3, v[13:14]
	v_mov_b32_e32 v24, s38
	v_add_co_u32_e32 v6, vcc, s33, v6
	v_addc_co_u32_e32 v7, vcc, v24, v7, vcc
	global_load_dwordx2 v[6:7], v[6:7], off
	v_add_u32_e32 v9, v9, v8
	s_waitcnt vmcnt(1)
	ds_write_b64 v23, v[1:2]
	v_add_u32_e32 v1, v8, v9
	v_cmp_le_u32_e32 vcc, s28, v1
	v_add_u32_e32 v23, v23, v21
	v_add_u32_e32 v13, v13, v22
	s_or_b64 s[8:9], vcc, s[8:9]
	s_waitcnt vmcnt(0)
	v_mov_b32_e32 v1, v6
	v_mov_b32_e32 v2, v7
	s_andn2_b64 exec, exec, s[8:9]
	s_cbranch_execnz .LBB43_25
; %bb.26:                               ;   in Loop: Header=BB43_6 Depth=1
	s_or_b64 exec, exec, s[8:9]
	v_mov_b32_e32 v1, v6
	v_mov_b32_e32 v2, v7
.LBB43_27:                              ;   in Loop: Header=BB43_6 Depth=1
	s_or_b64 exec, exec, s[6:7]
	v_lshlrev_b32_e32 v6, 3, v9
	s_waitcnt vmcnt(0)
	ds_write_b64 v6, v[1:2]
.LBB43_28:                              ;   in Loop: Header=BB43_6 Depth=1
	s_or_b64 exec, exec, s[2:3]
	s_waitcnt lgkmcnt(0)
	s_barrier
	s_mov_b64 s[2:3], exec
	v_readlane_b32 s6, v46, 5
	v_readlane_b32 s7, v46, 6
	s_and_b64 s[6:7], s[2:3], s[6:7]
	s_mov_b64 exec, s[6:7]
; %bb.29:                               ;   in Loop: Header=BB43_6 Depth=1
	v_mov_b32_e32 v1, s28
	ds_write_b32 v14, v1 offset:4096
; %bb.30:                               ;   in Loop: Header=BB43_6 Depth=1
	s_or_b64 exec, exec, s[2:3]
	s_mov_b64 s[2:3], -1
	s_waitcnt lgkmcnt(0)
	s_barrier
.LBB43_31:                              ;   in Loop: Header=BB43_6 Depth=1
	s_mov_b32 s24, 0
	s_and_b64 vcc, exec, s[2:3]
	s_cbranch_vccz .LBB43_33
; %bb.32:                               ;   in Loop: Header=BB43_6 Depth=1
	ds_read_b32 v1, v14 offset:4096
	s_waitcnt lgkmcnt(0)
	v_readfirstlane_b32 s24, v1
.LBB43_33:                              ;   in Loop: Header=BB43_6 Depth=1
	s_cmp_lt_i32 s24, 1
	s_mov_b64 s[2:3], -1
                                        ; implicit-def: $vgpr6
	s_cbranch_scc1 .LBB43_43
; %bb.34:                               ;   in Loop: Header=BB43_6 Depth=1
	s_and_b64 vcc, exec, s[2:3]
	s_cbranch_vccnz .LBB43_54
.LBB43_35:                              ;   in Loop: Header=BB43_6 Depth=1
	s_lshl_b32 s6, s39, 6
	s_and_saveexec_b64 s[2:3], s[0:1]
.LBB43_36:                              ;   in Loop: Header=BB43_6 Depth=1
	v_lshl_add_u32 v1, s6, 2, v32
	ds_write_b128 v1, v[6:9]
.LBB43_37:                              ;   in Loop: Header=BB43_6 Depth=1
	s_or_b64 exec, exec, s[2:3]
	s_waitcnt lgkmcnt(0)
	s_barrier
	s_and_saveexec_b64 s[2:3], s[40:41]
	s_cbranch_execz .LBB43_68
; %bb.38:                               ;   in Loop: Header=BB43_6 Depth=1
	v_readlane_b32 s8, v46, 18
	v_readlane_b32 s9, v46, 19
	s_andn2_b64 vcc, exec, s[8:9]
	v_mov_b32_e32 v1, 0
	s_cbranch_vccnz .LBB43_67
; %bb.39:                               ;   in Loop: Header=BB43_6 Depth=1
	v_readlane_b32 s8, v46, 24
	v_readlane_b32 s9, v46, 25
	s_andn2_b64 vcc, exec, s[8:9]
	s_cbranch_vccnz .LBB43_63
; %bb.40:                               ;   in Loop: Header=BB43_6 Depth=1
	v_lshl_add_u32 v2, s39, 8, v40
	s_mov_b32 s7, 0
	v_mov_b32_e32 v1, 0
.LBB43_41:                              ;   Parent Loop BB43_6 Depth=1
                                        ; =>  This Inner Loop Header: Depth=2
	ds_read2_b32 v[6:7], v2 offset1:4
	ds_read2_b32 v[8:9], v2 offset0:8 offset1:12
	ds_read2_b32 v[21:22], v2 offset0:16 offset1:20
	ds_read2_b32 v[23:24], v2 offset0:24 offset1:28
	s_add_i32 s7, s7, 8
	s_waitcnt lgkmcnt(3)
	v_add3_u32 v1, v6, v1, v7
	s_waitcnt lgkmcnt(2)
	v_add3_u32 v1, v8, v1, v9
	;; [unrolled: 2-line block ×3, first 2 shown]
	v_add_u32_e32 v2, 0x80, v2
	s_cmp_eq_u32 s5, s7
	s_waitcnt lgkmcnt(0)
	v_add3_u32 v1, v23, v1, v24
	s_cbranch_scc0 .LBB43_41
; %bb.42:                               ;   in Loop: Header=BB43_6 Depth=1
	s_mov_b32 s7, s5
	s_branch .LBB43_64
.LBB43_43:                              ;   in Loop: Header=BB43_6 Depth=1
	v_mov_b32_e32 v6, 0
	v_mov_b32_e32 v7, 0
	;; [unrolled: 1-line block ×4, first 2 shown]
	s_mov_b64 s[26:27], exec
	v_readlane_b32 s2, v46, 29
	v_readlane_b32 s3, v46, 30
	s_and_b64 s[2:3], s[26:27], s[2:3]
	s_mov_b64 exec, s[2:3]
	s_cbranch_execz .LBB43_47
; %bb.44:                               ;   in Loop: Header=BB43_6 Depth=1
	s_mov_b32 s2, 0
	s_mov_b64 s[74:75], 0
	s_mov_b32 s3, 0
	s_mov_b32 s8, 0
	;; [unrolled: 1-line block ×4, first 2 shown]
	v_mov_b32_e32 v21, v28
.LBB43_45:                              ;   Parent Loop BB43_6 Depth=1
                                        ; =>  This Inner Loop Header: Depth=2
	v_add_u32_e32 v13, s2, v37
	v_lshlrev_b64 v[1:2], 3, v[13:14]
	v_add_u32_e32 v13, s2, v34
	v_add_co_u32_e32 v1, vcc, s33, v1
	v_mov_b32_e32 v24, s38
	v_lshlrev_b64 v[6:7], 3, v[13:14]
	v_addc_co_u32_e32 v2, vcc, v24, v2, vcc
	v_add_co_u32_e32 v6, vcc, s33, v6
	v_addc_co_u32_e32 v7, vcc, v24, v7, vcc
	v_add_u32_e32 v13, s2, v35
	global_load_dwordx2 v[1:2], v[1:2], off
	v_add_u32_e32 v21, s30, v21
	global_load_dwordx2 v[22:23], v[6:7], off
	v_lshlrev_b64 v[6:7], 3, v[13:14]
	v_add_u32_e32 v13, s2, v36
	v_add_co_u32_e32 v6, vcc, s33, v6
	v_addc_co_u32_e32 v7, vcc, v24, v7, vcc
	global_load_dwordx2 v[8:9], v[6:7], off
	v_lshlrev_b64 v[6:7], 3, v[13:14]
	s_add_i32 s2, s2, s15
	v_add_co_u32_e32 v6, vcc, s33, v6
	v_addc_co_u32_e32 v7, vcc, v24, v7, vcc
	global_load_dwordx2 v[6:7], v[6:7], off
	s_waitcnt vmcnt(3)
	v_xor_b32_e32 v2, 0x80000000, v2
	v_and_b32_e32 v43, v2, v20
	v_and_b32_e32 v42, v1, v19
	v_lshrrev_b64 v[1:2], s11, v[1:2]
	s_waitcnt vmcnt(2)
	v_xor_b32_e32 v23, 0x80000000, v23
	v_and_b32_e32 v13, 3, v1
	v_lshrrev_b64 v[1:2], s11, v[22:23]
	v_cmp_eq_u64_e32 vcc, v[42:43], v[17:18]
	v_and_b32_e32 v43, v23, v20
	s_waitcnt vmcnt(1)
	v_xor_b32_e32 v9, 0x80000000, v9
	v_and_b32_e32 v42, v22, v19
	v_cmp_eq_u64_e64 s[6:7], 0, v[13:14]
	v_cmp_eq_u64_e64 s[18:19], v[42:43], v[17:18]
	v_and_b32_e32 v43, v9, v20
	v_and_b32_e32 v42, v8, v19
	v_and_b32_e32 v1, 3, v1
	v_mov_b32_e32 v2, v14
	v_lshrrev_b64 v[8:9], s11, v[8:9]
	s_waitcnt vmcnt(0)
	v_xor_b32_e32 v7, 0x80000000, v7
	s_and_b64 s[34:35], vcc, s[6:7]
	v_cmp_eq_u64_e64 s[6:7], 0, v[1:2]
	v_cmp_eq_u64_e64 s[20:21], v[42:43], v[17:18]
	v_and_b32_e32 v43, v7, v20
	v_and_b32_e32 v42, v6, v19
	;; [unrolled: 1-line block ×3, first 2 shown]
	v_mov_b32_e32 v9, v14
	v_lshrrev_b64 v[6:7], s11, v[6:7]
	s_and_b64 s[36:37], s[18:19], s[6:7]
	v_cmp_eq_u64_e64 s[6:7], 0, v[8:9]
	v_and_b32_e32 v6, 3, v6
	v_mov_b32_e32 v7, v14
	v_cmp_eq_u64_e64 s[22:23], v[42:43], v[17:18]
	s_and_b64 s[42:43], s[20:21], s[6:7]
	v_cmp_eq_u64_e64 s[6:7], 0, v[6:7]
	v_cndmask_b32_e64 v22, 0, 1, s[34:35]
	s_and_b64 s[46:47], s[22:23], s[6:7]
	v_cmp_ne_u32_e64 s[6:7], 0, v22
	v_cndmask_b32_e64 v22, 0, 1, s[36:37]
	s_bcnt1_i32_b64 s17, s[6:7]
	v_cmp_ne_u32_e64 s[6:7], 0, v22
	v_cndmask_b32_e64 v22, 0, 1, s[42:43]
	s_bcnt1_i32_b64 s25, s[6:7]
	;; [unrolled: 3-line block ×3, first 2 shown]
	v_cmp_ne_u32_e64 s[6:7], 0, v22
	s_bcnt1_i32_b64 s6, s[6:7]
	s_add_i32 s7, s16, s17
	s_add_i32 s7, s7, s25
	s_add_i32 s7, s7, s34
	s_add_i32 s16, s7, s6
	v_cmp_eq_u64_e64 s[6:7], 1, v[13:14]
	s_and_b64 s[34:35], vcc, s[6:7]
	v_cmp_eq_u64_e64 s[6:7], 1, v[1:2]
	v_cndmask_b32_e64 v22, 0, 1, s[34:35]
	s_and_b64 s[36:37], s[18:19], s[6:7]
	v_cmp_eq_u64_e64 s[6:7], 1, v[8:9]
	s_and_b64 s[42:43], s[20:21], s[6:7]
	v_cmp_eq_u64_e64 s[6:7], 1, v[6:7]
	s_and_b64 s[46:47], s[22:23], s[6:7]
	v_cmp_ne_u32_e64 s[6:7], 0, v22
	v_cndmask_b32_e64 v22, 0, 1, s[36:37]
	s_bcnt1_i32_b64 s17, s[6:7]
	v_cmp_ne_u32_e64 s[6:7], 0, v22
	v_cndmask_b32_e64 v22, 0, 1, s[42:43]
	s_bcnt1_i32_b64 s25, s[6:7]
	;; [unrolled: 3-line block ×3, first 2 shown]
	v_cmp_ne_u32_e64 s[6:7], 0, v22
	s_bcnt1_i32_b64 s6, s[6:7]
	s_add_i32 s7, s9, s17
	s_add_i32 s7, s7, s25
	;; [unrolled: 1-line block ×4, first 2 shown]
	v_cmp_eq_u64_e64 s[6:7], 2, v[13:14]
	s_and_b64 s[34:35], vcc, s[6:7]
	v_cmp_eq_u64_e64 s[6:7], 2, v[1:2]
	v_cndmask_b32_e64 v22, 0, 1, s[34:35]
	s_and_b64 s[36:37], s[18:19], s[6:7]
	v_cmp_eq_u64_e64 s[6:7], 2, v[8:9]
	s_and_b64 s[42:43], s[20:21], s[6:7]
	v_cmp_eq_u64_e64 s[6:7], 2, v[6:7]
	s_and_b64 s[46:47], s[22:23], s[6:7]
	v_cmp_ne_u32_e64 s[6:7], 0, v22
	v_cndmask_b32_e64 v22, 0, 1, s[36:37]
	s_bcnt1_i32_b64 s17, s[6:7]
	v_cmp_ne_u32_e64 s[6:7], 0, v22
	v_cndmask_b32_e64 v22, 0, 1, s[42:43]
	s_bcnt1_i32_b64 s25, s[6:7]
	;; [unrolled: 3-line block ×3, first 2 shown]
	v_cmp_ne_u32_e64 s[6:7], 0, v22
	s_bcnt1_i32_b64 s6, s[6:7]
	s_add_i32 s7, s8, s17
	s_add_i32 s7, s7, s25
	;; [unrolled: 1-line block ×4, first 2 shown]
	v_cmp_eq_u64_e64 s[6:7], 3, v[13:14]
	s_and_b64 s[6:7], vcc, s[6:7]
	v_cmp_eq_u64_e32 vcc, 3, v[1:2]
	v_cndmask_b32_e64 v1, 0, 1, s[6:7]
	s_and_b64 s[18:19], s[18:19], vcc
	v_cmp_eq_u64_e32 vcc, 3, v[8:9]
	v_mov_b32_e32 v8, s8
	s_and_b64 s[20:21], s[20:21], vcc
	v_cmp_eq_u64_e32 vcc, 3, v[6:7]
	v_mov_b32_e32 v6, s16
	s_and_b64 s[22:23], s[22:23], vcc
	v_cmp_ne_u32_e32 vcc, 0, v1
	v_cndmask_b32_e64 v1, 0, 1, s[18:19]
	s_bcnt1_i32_b64 s6, vcc
	v_cmp_ne_u32_e32 vcc, 0, v1
	v_cndmask_b32_e64 v1, 0, 1, s[20:21]
	s_bcnt1_i32_b64 s7, vcc
	v_cmp_ne_u32_e32 vcc, 0, v1
	v_cndmask_b32_e64 v1, 0, 1, s[22:23]
	s_add_i32 s3, s3, s6
	s_bcnt1_i32_b64 s17, vcc
	v_cmp_ne_u32_e32 vcc, 0, v1
	s_add_i32 s3, s3, s7
	s_bcnt1_i32_b64 s18, vcc
	s_add_i32 s3, s3, s17
	s_add_i32 s3, s3, s18
	v_cmp_le_u32_e32 vcc, s13, v21
	s_or_b64 s[74:75], vcc, s[74:75]
	v_mov_b32_e32 v7, s9
	v_mov_b32_e32 v9, s3
	s_andn2_b64 exec, exec, s[74:75]
	s_cbranch_execnz .LBB43_45
; %bb.46:                               ;   in Loop: Header=BB43_6 Depth=1
	s_or_b64 exec, exec, s[74:75]
.LBB43_47:                              ;   in Loop: Header=BB43_6 Depth=1
	s_or_b64 exec, exec, s[26:27]
	s_mov_b64 s[2:3], exec
	v_readlane_b32 s6, v46, 31
	v_readlane_b32 s7, v46, 32
	s_and_b64 s[6:7], s[2:3], s[6:7]
	s_mov_b64 exec, s[6:7]
	s_cbranch_execz .LBB43_53
; %bb.48:                               ;   in Loop: Header=BB43_6 Depth=1
	global_load_dwordx2 v[23:24], v[15:16], off
	s_mov_b64 s[16:17], 0
	v_mov_b32_e32 v1, v38
	v_mov_b32_e32 v42, v33
	s_branch .LBB43_50
.LBB43_49:                              ;   in Loop: Header=BB43_50 Depth=2
	s_or_b64 exec, exec, s[8:9]
	s_waitcnt vmcnt(0)
	v_xor_b32_e32 v24, 0x80000000, v24
	v_and_b32_e32 v44, v24, v20
	v_and_b32_e32 v43, v23, v19
	v_lshrrev_b64 v[23:24], s11, v[23:24]
	s_and_b64 s[8:9], exec, vcc
	v_and_b32_e32 v13, 3, v23
	v_cmp_eq_u64_e32 vcc, v[43:44], v[17:18]
	v_cmp_eq_u64_e64 s[6:7], 0, v[13:14]
	s_or_b64 s[16:17], s[8:9], s[16:17]
	s_and_b64 s[6:7], vcc, s[6:7]
	v_cndmask_b32_e64 v2, 0, 1, s[6:7]
	v_cmp_ne_u32_e64 s[6:7], 0, v2
	s_bcnt1_i32_b64 s8, s[6:7]
	v_cmp_eq_u64_e64 s[6:7], 1, v[13:14]
	v_add_u32_e32 v6, s8, v6
	s_and_b64 s[6:7], vcc, s[6:7]
	v_cndmask_b32_e64 v2, 0, 1, s[6:7]
	v_cmp_ne_u32_e64 s[6:7], 0, v2
	s_bcnt1_i32_b64 s8, s[6:7]
	v_cmp_eq_u64_e64 s[6:7], 2, v[13:14]
	v_add_u32_e32 v7, s8, v7
	s_and_b64 s[6:7], vcc, s[6:7]
	v_cndmask_b32_e64 v2, 0, 1, s[6:7]
	v_cmp_ne_u32_e64 s[6:7], 0, v2
	s_bcnt1_i32_b64 s8, s[6:7]
	v_cmp_eq_u64_e64 s[6:7], 3, v[13:14]
	v_mov_b32_e32 v24, v22
	s_and_b64 s[6:7], vcc, s[6:7]
	v_cndmask_b32_e64 v2, 0, 1, s[6:7]
	v_cmp_ne_u32_e32 vcc, 0, v2
	s_bcnt1_i32_b64 s6, vcc
	v_add_u32_e32 v8, s8, v8
	v_add_u32_e32 v9, s6, v9
	;; [unrolled: 1-line block ×3, first 2 shown]
	v_mov_b32_e32 v23, v21
	s_andn2_b64 exec, exec, s[16:17]
	s_cbranch_execz .LBB43_52
.LBB43_50:                              ;   Parent Loop BB43_6 Depth=1
                                        ; =>  This Inner Loop Header: Depth=2
	v_add_u32_e32 v42, s44, v42
	v_mov_b32_e32 v21, 0
	v_cmp_gt_u32_e64 s[6:7], s28, v42
	v_mov_b32_e32 v22, 0
	v_cmp_le_u32_e32 vcc, s28, v42
	s_and_saveexec_b64 s[8:9], s[6:7]
	s_cbranch_execz .LBB43_49
; %bb.51:                               ;   in Loop: Header=BB43_50 Depth=2
	v_mov_b32_e32 v2, v14
	v_lshlrev_b64 v[21:22], 3, v[1:2]
	v_mov_b32_e32 v2, s38
	v_add_co_u32_e64 v21, s[6:7], s33, v21
	v_addc_co_u32_e64 v22, s[6:7], v2, v22, s[6:7]
	global_load_dwordx2 v[21:22], v[21:22], off
	s_branch .LBB43_49
.LBB43_52:                              ;   in Loop: Header=BB43_6 Depth=1
	s_or_b64 exec, exec, s[16:17]
.LBB43_53:                              ;   in Loop: Header=BB43_6 Depth=1
	s_or_b64 exec, exec, s[2:3]
	s_branch .LBB43_35
.LBB43_54:                              ;   in Loop: Header=BB43_6 Depth=1
	s_mul_hi_u32 s2, s24, s31
	s_mul_i32 s2, s2, s30
	s_sub_i32 s2, s24, s2
	s_sub_i32 s3, s2, s30
	s_cmp_ge_u32 s2, s30
	s_cselect_b32 s2, s3, s2
	s_sub_i32 s3, s2, s30
	s_cmp_ge_u32 s2, s30
	s_cselect_b32 s2, s3, s2
	s_sub_i32 s2, s24, s2
	v_cmp_gt_u32_e32 vcc, s2, v28
	v_mov_b32_e32 v6, 0
	v_mov_b32_e32 v7, 0
	;; [unrolled: 1-line block ×4, first 2 shown]
	s_and_saveexec_b64 s[26:27], vcc
	s_cbranch_execz .LBB43_58
; %bb.55:                               ;   in Loop: Header=BB43_6 Depth=1
	s_mov_b32 s3, 0
	s_mov_b64 s[74:75], 0
	v_mov_b32_e32 v21, v39
	s_mov_b32 s8, 0
	s_mov_b32 s9, 0
	;; [unrolled: 1-line block ×3, first 2 shown]
	v_mov_b32_e32 v22, v28
.LBB43_56:                              ;   Parent Loop BB43_6 Depth=1
                                        ; =>  This Inner Loop Header: Depth=2
	ds_read_b128 v[42:45], v21
	ds_read_b128 v[6:9], v21 offset:16
	v_add_u32_e32 v22, s30, v22
	v_add_u32_e32 v21, s12, v21
	s_waitcnt lgkmcnt(1)
	v_xor_b32_e32 v43, 0x80000000, v43
	v_xor_b32_e32 v45, 0x80000000, v45
	v_and_b32_e32 v2, v43, v20
	v_and_b32_e32 v1, v42, v19
	s_waitcnt lgkmcnt(0)
	v_xor_b32_e32 v7, 0x80000000, v7
	v_cmp_eq_u64_e32 vcc, v[1:2], v[17:18]
	v_and_b32_e32 v2, v45, v20
	v_and_b32_e32 v1, v44, v19
	v_xor_b32_e32 v9, 0x80000000, v9
	v_cmp_eq_u64_e64 s[18:19], v[1:2], v[17:18]
	v_and_b32_e32 v2, v7, v20
	v_and_b32_e32 v1, v6, v19
	v_cmp_eq_u64_e64 s[20:21], v[1:2], v[17:18]
	v_and_b32_e32 v2, v9, v20
	v_and_b32_e32 v1, v8, v19
	v_cmp_eq_u64_e64 s[22:23], v[1:2], v[17:18]
	v_lshrrev_b64 v[1:2], s11, v[42:43]
	v_lshrrev_b64 v[6:7], s11, v[6:7]
	v_and_b32_e32 v13, 3, v1
	v_lshrrev_b64 v[1:2], s11, v[44:45]
	v_cmp_eq_u64_e64 s[6:7], 0, v[13:14]
	v_and_b32_e32 v1, 3, v1
	v_mov_b32_e32 v2, v14
	s_and_b64 s[34:35], vcc, s[6:7]
	v_cmp_eq_u64_e64 s[6:7], 0, v[1:2]
	v_and_b32_e32 v6, 3, v6
	v_mov_b32_e32 v7, v14
	v_lshrrev_b64 v[8:9], s11, v[8:9]
	s_and_b64 s[36:37], s[18:19], s[6:7]
	v_cmp_eq_u64_e64 s[6:7], 0, v[6:7]
	v_and_b32_e32 v8, 3, v8
	v_mov_b32_e32 v9, v14
	s_and_b64 s[42:43], s[20:21], s[6:7]
	v_cmp_eq_u64_e64 s[6:7], 0, v[8:9]
	v_cndmask_b32_e64 v23, 0, 1, s[34:35]
	s_and_b64 s[46:47], s[22:23], s[6:7]
	v_cmp_ne_u32_e64 s[6:7], 0, v23
	v_cndmask_b32_e64 v23, 0, 1, s[36:37]
	s_bcnt1_i32_b64 s17, s[6:7]
	v_cmp_ne_u32_e64 s[6:7], 0, v23
	v_cndmask_b32_e64 v23, 0, 1, s[42:43]
	s_bcnt1_i32_b64 s25, s[6:7]
	;; [unrolled: 3-line block ×3, first 2 shown]
	v_cmp_ne_u32_e64 s[6:7], 0, v23
	s_bcnt1_i32_b64 s6, s[6:7]
	s_add_i32 s7, s16, s17
	s_add_i32 s7, s7, s25
	;; [unrolled: 1-line block ×4, first 2 shown]
	v_cmp_eq_u64_e64 s[6:7], 1, v[13:14]
	s_and_b64 s[34:35], vcc, s[6:7]
	v_cmp_eq_u64_e64 s[6:7], 1, v[1:2]
	v_cndmask_b32_e64 v23, 0, 1, s[34:35]
	s_and_b64 s[36:37], s[18:19], s[6:7]
	v_cmp_eq_u64_e64 s[6:7], 1, v[6:7]
	s_and_b64 s[42:43], s[20:21], s[6:7]
	v_cmp_eq_u64_e64 s[6:7], 1, v[8:9]
	s_and_b64 s[46:47], s[22:23], s[6:7]
	v_cmp_ne_u32_e64 s[6:7], 0, v23
	v_cndmask_b32_e64 v23, 0, 1, s[36:37]
	s_bcnt1_i32_b64 s17, s[6:7]
	v_cmp_ne_u32_e64 s[6:7], 0, v23
	v_cndmask_b32_e64 v23, 0, 1, s[42:43]
	s_bcnt1_i32_b64 s25, s[6:7]
	;; [unrolled: 3-line block ×3, first 2 shown]
	v_cmp_ne_u32_e64 s[6:7], 0, v23
	s_bcnt1_i32_b64 s6, s[6:7]
	s_add_i32 s7, s9, s17
	s_add_i32 s7, s7, s25
	;; [unrolled: 1-line block ×4, first 2 shown]
	v_cmp_eq_u64_e64 s[6:7], 2, v[13:14]
	s_and_b64 s[34:35], vcc, s[6:7]
	v_cmp_eq_u64_e64 s[6:7], 2, v[1:2]
	v_cndmask_b32_e64 v23, 0, 1, s[34:35]
	s_and_b64 s[36:37], s[18:19], s[6:7]
	v_cmp_eq_u64_e64 s[6:7], 2, v[6:7]
	s_and_b64 s[42:43], s[20:21], s[6:7]
	v_cmp_eq_u64_e64 s[6:7], 2, v[8:9]
	s_and_b64 s[46:47], s[22:23], s[6:7]
	v_cmp_ne_u32_e64 s[6:7], 0, v23
	v_cndmask_b32_e64 v23, 0, 1, s[36:37]
	s_bcnt1_i32_b64 s17, s[6:7]
	v_cmp_ne_u32_e64 s[6:7], 0, v23
	v_cndmask_b32_e64 v23, 0, 1, s[42:43]
	s_bcnt1_i32_b64 s25, s[6:7]
	;; [unrolled: 3-line block ×3, first 2 shown]
	v_cmp_ne_u32_e64 s[6:7], 0, v23
	s_bcnt1_i32_b64 s6, s[6:7]
	s_add_i32 s7, s8, s17
	s_add_i32 s7, s7, s25
	;; [unrolled: 1-line block ×4, first 2 shown]
	v_cmp_eq_u64_e64 s[6:7], 3, v[13:14]
	s_and_b64 s[6:7], vcc, s[6:7]
	v_cmp_eq_u64_e32 vcc, 3, v[1:2]
	v_cndmask_b32_e64 v1, 0, 1, s[6:7]
	s_and_b64 s[18:19], s[18:19], vcc
	v_cmp_eq_u64_e32 vcc, 3, v[6:7]
	v_mov_b32_e32 v6, s16
	s_and_b64 s[20:21], s[20:21], vcc
	v_cmp_eq_u64_e32 vcc, 3, v[8:9]
	v_mov_b32_e32 v7, s9
	s_and_b64 s[22:23], s[22:23], vcc
	v_cmp_ne_u32_e32 vcc, 0, v1
	v_cndmask_b32_e64 v1, 0, 1, s[18:19]
	s_bcnt1_i32_b64 s6, vcc
	v_cmp_ne_u32_e32 vcc, 0, v1
	v_cndmask_b32_e64 v1, 0, 1, s[20:21]
	s_bcnt1_i32_b64 s7, vcc
	v_cmp_ne_u32_e32 vcc, 0, v1
	v_cndmask_b32_e64 v1, 0, 1, s[22:23]
	s_add_i32 s3, s3, s6
	s_bcnt1_i32_b64 s17, vcc
	v_cmp_ne_u32_e32 vcc, 0, v1
	s_add_i32 s3, s3, s7
	s_bcnt1_i32_b64 s18, vcc
	s_add_i32 s3, s3, s17
	s_add_i32 s3, s3, s18
	v_cmp_le_u32_e32 vcc, s2, v22
	s_or_b64 s[74:75], vcc, s[74:75]
	v_mov_b32_e32 v8, s8
	v_mov_b32_e32 v9, s3
	s_andn2_b64 exec, exec, s[74:75]
	s_cbranch_execnz .LBB43_56
; %bb.57:                               ;   in Loop: Header=BB43_6 Depth=1
	s_or_b64 exec, exec, s[74:75]
.LBB43_58:                              ;   in Loop: Header=BB43_6 Depth=1
	s_or_b64 exec, exec, s[26:27]
	v_add_u32_e32 v1, s2, v0
	v_cmp_gt_u32_e32 vcc, s24, v1
	s_and_saveexec_b64 s[2:3], vcc
	s_cbranch_execz .LBB43_62
; %bb.59:                               ;   in Loop: Header=BB43_6 Depth=1
	v_lshlrev_b32_e32 v2, 3, v1
	s_mov_b64 s[16:17], 0
.LBB43_60:                              ;   Parent Loop BB43_6 Depth=1
                                        ; =>  This Inner Loop Header: Depth=2
	ds_read_b64 v[21:22], v2
	v_add_u32_e32 v1, s44, v1
	v_cmp_le_u32_e32 vcc, s24, v1
	v_add_u32_e32 v2, s10, v2
	s_waitcnt lgkmcnt(0)
	v_xor_b32_e32 v22, 0x80000000, v22
	v_and_b32_e32 v23, v21, v19
	v_and_b32_e32 v24, v22, v20
	v_lshrrev_b64 v[21:22], s11, v[21:22]
	v_cmp_eq_u64_e64 s[6:7], v[23:24], v[17:18]
	v_and_b32_e32 v13, 3, v21
	v_cmp_eq_u64_e64 s[18:19], 0, v[13:14]
	v_cmp_eq_u64_e64 s[20:21], 1, v[13:14]
	;; [unrolled: 1-line block ×4, first 2 shown]
	s_and_b64 s[8:9], s[6:7], s[18:19]
	v_cndmask_b32_e64 v13, 0, 1, s[8:9]
	s_and_b64 s[8:9], s[6:7], s[20:21]
	v_cndmask_b32_e64 v21, 0, 1, s[8:9]
	s_and_b64 s[8:9], s[6:7], s[22:23]
	s_and_b64 s[6:7], s[6:7], s[26:27]
	v_cndmask_b32_e64 v22, 0, 1, s[8:9]
	v_cndmask_b32_e64 v23, 0, 1, s[6:7]
	v_cmp_ne_u32_e64 s[6:7], 0, v13
	v_cmp_ne_u32_e64 s[18:19], 0, v21
	;; [unrolled: 1-line block ×4, first 2 shown]
	s_bcnt1_i32_b64 s6, s[6:7]
	s_bcnt1_i32_b64 s7, s[18:19]
	s_bcnt1_i32_b64 s8, s[20:21]
	s_bcnt1_i32_b64 s9, s[22:23]
	v_add_u32_e32 v6, s6, v6
	v_add_u32_e32 v7, s7, v7
	;; [unrolled: 1-line block ×3, first 2 shown]
	s_or_b64 s[16:17], vcc, s[16:17]
	v_add_u32_e32 v9, s9, v9
	s_andn2_b64 exec, exec, s[16:17]
	s_cbranch_execnz .LBB43_60
; %bb.61:                               ;   in Loop: Header=BB43_6 Depth=1
	s_or_b64 exec, exec, s[16:17]
.LBB43_62:                              ;   in Loop: Header=BB43_6 Depth=1
	s_or_b64 exec, exec, s[2:3]
	s_lshl_b32 s6, s39, 6
	s_and_saveexec_b64 s[2:3], s[0:1]
	s_cbranch_execnz .LBB43_36
	s_branch .LBB43_37
.LBB43_63:                              ;   in Loop: Header=BB43_6 Depth=1
	v_mov_b32_e32 v1, 0
	s_mov_b32 s7, 0
.LBB43_64:                              ;   in Loop: Header=BB43_6 Depth=1
	v_readlane_b32 s8, v46, 27
	v_readlane_b32 s9, v46, 28
	s_andn2_b64 vcc, exec, s[8:9]
	s_cbranch_vccnz .LBB43_67
; %bb.65:                               ;   in Loop: Header=BB43_6 Depth=1
	s_lshl_b32 s8, s39, 8
	s_lshl_b32 s7, s7, 4
	s_add_i32 s8, s8, s7
	v_add_u32_e32 v2, s8, v40
	v_readlane_b32 s7, v46, 26
.LBB43_66:                              ;   Parent Loop BB43_6 Depth=1
                                        ; =>  This Inner Loop Header: Depth=2
	ds_read_b32 v6, v2
	s_add_i32 s7, s7, -1
	v_add_u32_e32 v2, 16, v2
	s_cmp_lg_u32 s7, 0
	s_waitcnt lgkmcnt(0)
	v_add_u32_e32 v1, v6, v1
	s_cbranch_scc1 .LBB43_66
.LBB43_67:                              ;   in Loop: Header=BB43_6 Depth=1
	v_add_lshl_u32 v2, s6, v29, 2
	ds_write_b32 v2, v1 offset:3072
.LBB43_68:                              ;   in Loop: Header=BB43_6 Depth=1
	s_or_b64 exec, exec, s[2:3]
	s_lshl_b32 s2, s6, 2
	v_mov_b32_e32 v1, s2
	s_waitcnt lgkmcnt(0)
	s_barrier
	ds_read_b128 v[6:9], v1 offset:3072
	v_readlane_b32 s2, v46, 10
	s_lshl_b64 s[22:23], 3, s11
	v_readlane_b32 s3, v46, 11
	s_not_b64 s[26:27], s[22:23]
	s_waitcnt lgkmcnt(0)
	v_readfirstlane_b32 s90, v6
	v_readfirstlane_b32 s91, v7
	;; [unrolled: 1-line block ×4, first 2 shown]
	v_cmp_eq_u32_e64 s[18:19], 1, v41
	s_mov_b64 s[82:83], -1
	s_mov_b64 s[20:21], 0
	s_andn2_b64 vcc, exec, s[2:3]
	s_mov_b64 s[76:77], 0
	s_mov_b64 s[74:75], 0
                                        ; implicit-def: $sgpr78_sgpr79
                                        ; implicit-def: $sgpr80_sgpr81
                                        ; implicit-def: $vgpr24
                                        ; implicit-def: $vgpr23
                                        ; implicit-def: $vgpr1_vgpr2
                                        ; implicit-def: $vgpr21_vgpr22
                                        ; implicit-def: $vgpr8_vgpr9
	s_cbranch_vccnz .LBB43_229
; %bb.69:                               ;   in Loop: Header=BB43_6 Depth=1
	s_cmp_eq_u32 s90, 1
	s_cselect_b64 s[2:3], -1, 0
	v_mov_b32_e32 v1, v17
	v_mov_b32_e32 v22, v20
	;; [unrolled: 1-line block ×3, first 2 shown]
	s_and_b64 s[6:7], s[2:3], s[18:19]
	s_mov_b64 s[2:3], -1
	v_mov_b32_e32 v2, v18
	v_mov_b32_e32 v21, v19
	;; [unrolled: 1-line block ×3, first 2 shown]
                                        ; implicit-def: $sgpr80_sgpr81
                                        ; implicit-def: $sgpr78_sgpr79
	s_and_saveexec_b64 s[24:25], s[6:7]
	s_cbranch_execz .LBB43_98
; %bb.70:                               ;   in Loop: Header=BB43_6 Depth=1
	ds_read_b32 v1, v14 offset:4096
	s_waitcnt lgkmcnt(0)
	s_barrier
	v_readfirstlane_b32 s46, v1
	s_mov_b64 s[2:3], exec
	v_readlane_b32 s8, v46, 20
	v_readlane_b32 s9, v46, 21
	s_and_b64 s[8:9], s[2:3], s[8:9]
	s_mov_b64 exec, s[8:9]
; %bb.71:                               ;   in Loop: Header=BB43_6 Depth=1
	v_mov_b32_e32 v13, v14
	ds_write_b64 v31, v[13:14]
; %bb.72:                               ;   in Loop: Header=BB43_6 Depth=1
	s_or_b64 exec, exec, s[2:3]
	v_and_b32_e32 v2, s27, v18
	v_and_b32_e32 v1, s26, v17
	v_or_b32_e32 v22, s23, v20
	v_or_b32_e32 v21, s22, v19
	s_mov_b64 s[78:79], -1
	s_mov_b64 s[80:81], 0
	s_cmp_eq_u32 s46, 0
	s_mov_b64 s[34:35], 0
	s_mov_b64 s[36:37], -1
	s_waitcnt lgkmcnt(0)
	s_barrier
                                        ; implicit-def: $vgpr8_vgpr9
	s_cbranch_scc1 .LBB43_86
; %bb.73:                               ;   in Loop: Header=BB43_6 Depth=1
	s_add_i32 s2, s46, s4
	v_readlane_b32 s3, v46, 33
	s_mul_hi_u32 s3, s2, s3
	s_mul_i32 s3, s3, s44
	s_sub_i32 s3, s2, s3
	s_sub_i32 s8, s3, s44
	s_cmp_ge_u32 s3, s44
	s_cselect_b32 s3, s8, s3
	s_sub_i32 s8, s3, s44
	s_cmp_ge_u32 s3, s44
	s_cselect_b32 s3, s8, s3
	s_sub_i32 s47, s2, s3
	v_cmp_gt_u32_e32 vcc, s47, v0
	s_mov_b64 s[36:37], 0
                                        ; implicit-def: $vgpr8_vgpr9
	s_and_saveexec_b64 s[2:3], vcc
	s_cbranch_execz .LBB43_85
; %bb.74:                               ;   in Loop: Header=BB43_6 Depth=1
	s_mov_b64 s[16:17], 0
	v_mov_b32_e32 v13, v30
	v_mov_b32_e32 v23, v0
                                        ; implicit-def: $sgpr8_sgpr9
	s_branch .LBB43_77
.LBB43_75:                              ;   in Loop: Header=BB43_77 Depth=2
	s_or_b64 exec, exec, s[34:35]
	s_waitcnt lgkmcnt(0)
	s_barrier
	ds_read_b128 v[6:9], v14 offset:3072
	s_mov_b64 s[34:35], -1
	s_mov_b64 s[42:43], -1
	s_waitcnt lgkmcnt(0)
	s_barrier
	v_cmp_ne_u64_e32 vcc, 0, v[6:7]
	s_cbranch_vccz .LBB43_80
.LBB43_76:                              ;   in Loop: Header=BB43_77 Depth=2
	s_and_b64 s[34:35], exec, s[34:35]
	s_or_b64 s[16:17], s[34:35], s[16:17]
	s_andn2_b64 s[8:9], s[8:9], exec
	s_and_b64 s[34:35], s[42:43], exec
	s_or_b64 s[8:9], s[8:9], s[34:35]
	s_andn2_b64 exec, exec, s[16:17]
	s_cbranch_execz .LBB43_84
.LBB43_77:                              ;   Parent Loop BB43_6 Depth=1
                                        ; =>  This Inner Loop Header: Depth=2
	v_cmp_gt_u32_e32 vcc, s46, v23
	s_and_saveexec_b64 s[34:35], vcc
	s_cbranch_execz .LBB43_75
; %bb.78:                               ;   in Loop: Header=BB43_77 Depth=2
	ds_read_b64 v[7:8], v13
	s_waitcnt lgkmcnt(0)
	v_xor_b32_e32 v6, 0x80000000, v8
	v_and_b32_e32 v43, v6, v22
	v_and_b32_e32 v42, v7, v21
	v_cmp_eq_u64_e32 vcc, v[42:43], v[1:2]
	s_and_b64 exec, exec, vcc
	s_cbranch_execz .LBB43_75
; %bb.79:                               ;   in Loop: Header=BB43_77 Depth=2
	v_mov_b32_e32 v6, v14
	ds_write_b128 v14, v[5:8] offset:3072
	s_branch .LBB43_75
.LBB43_80:                              ;   in Loop: Header=BB43_77 Depth=2
	v_add_u32_e32 v23, s44, v23
	v_cmp_le_u32_e32 vcc, s47, v23
	v_add_u32_e32 v13, s10, v13
	s_mov_b64 s[42:43], 0
	s_orn2_b64 s[34:35], vcc, exec
	s_branch .LBB43_76
.LBB43_81:                              ;   in Loop: Header=BB43_6 Depth=1
	s_or_b64 exec, exec, s[22:23]
	s_waitcnt lgkmcnt(0)
	s_barrier
	s_mov_b64 s[2:3], exec
	v_readlane_b32 s6, v46, 5
	v_readlane_b32 s7, v46, 6
	s_and_b64 s[6:7], s[2:3], s[6:7]
	s_mov_b64 exec, s[6:7]
	s_cbranch_execz .LBB43_83
; %bb.82:                               ;   in Loop: Header=BB43_6 Depth=1
	ds_read_b32 v1, v14 offset:4104
	s_waitcnt lgkmcnt(0)
	ds_write_b32 v14, v1 offset:4096
.LBB43_83:                              ;   in Loop: Header=BB43_6 Depth=1
	s_or_b64 exec, exec, s[2:3]
	s_waitcnt lgkmcnt(0)
	s_barrier
	s_mov_b64 s[2:3], -1
	s_and_b64 vcc, exec, s[20:21]
	s_cbranch_vccnz .LBB43_22
	s_branch .LBB43_31
.LBB43_84:                              ;   in Loop: Header=BB43_6 Depth=1
	s_or_b64 exec, exec, s[16:17]
	s_and_b64 s[34:35], s[8:9], exec
.LBB43_85:                              ;   in Loop: Header=BB43_6 Depth=1
	s_or_b64 exec, exec, s[2:3]
.LBB43_86:                              ;   in Loop: Header=BB43_6 Depth=1
	s_and_b64 vcc, exec, s[36:37]
	s_cbranch_vccz .LBB43_97
; %bb.87:                               ;   in Loop: Header=BB43_6 Depth=1
                                        ; implicit-def: $vgpr8_vgpr9
	s_mov_b64 s[2:3], exec
	v_readlane_b32 s8, v46, 34
	v_readlane_b32 s9, v46, 35
	s_and_b64 s[8:9], s[2:3], s[8:9]
	s_mov_b64 exec, s[8:9]
	s_cbranch_execz .LBB43_96
; %bb.88:                               ;   in Loop: Header=BB43_6 Depth=1
	s_mov_b64 s[36:37], 0
	v_mov_b32_e32 v13, v12
	v_mov_b32_e32 v23, v0
                                        ; implicit-def: $sgpr16_sgpr17
	s_branch .LBB43_91
.LBB43_89:                              ;   in Loop: Header=BB43_91 Depth=2
	s_or_b64 exec, exec, s[8:9]
	s_waitcnt lgkmcnt(0)
	s_barrier
	ds_read_b128 v[6:9], v14 offset:3072
	s_mov_b64 s[8:9], -1
	s_mov_b64 s[42:43], -1
	s_waitcnt lgkmcnt(0)
	s_barrier
	v_cmp_ne_u64_e32 vcc, 0, v[6:7]
	s_cbranch_vccz .LBB43_94
.LBB43_90:                              ;   in Loop: Header=BB43_91 Depth=2
	s_and_b64 s[8:9], exec, s[8:9]
	s_or_b64 s[36:37], s[8:9], s[36:37]
	s_andn2_b64 s[8:9], s[16:17], exec
	s_and_b64 s[16:17], s[42:43], exec
	s_or_b64 s[16:17], s[8:9], s[16:17]
	s_andn2_b64 exec, exec, s[36:37]
	s_cbranch_execz .LBB43_95
.LBB43_91:                              ;   Parent Loop BB43_6 Depth=1
                                        ; =>  This Inner Loop Header: Depth=2
	v_cmp_gt_u32_e32 vcc, s28, v23
	s_and_saveexec_b64 s[8:9], vcc
	s_cbranch_execz .LBB43_89
; %bb.92:                               ;   in Loop: Header=BB43_91 Depth=2
	v_lshlrev_b64 v[6:7], 3, v[13:14]
	v_mov_b32_e32 v8, s38
	v_add_co_u32_e32 v6, vcc, s33, v6
	v_addc_co_u32_e32 v7, vcc, v8, v7, vcc
	global_load_dwordx2 v[7:8], v[6:7], off
	s_waitcnt vmcnt(0)
	v_xor_b32_e32 v6, 0x80000000, v8
	v_and_b32_e32 v43, v6, v22
	v_and_b32_e32 v42, v7, v21
	v_cmp_eq_u64_e32 vcc, v[42:43], v[1:2]
	s_and_b64 exec, exec, vcc
	s_cbranch_execz .LBB43_89
; %bb.93:                               ;   in Loop: Header=BB43_91 Depth=2
	v_mov_b32_e32 v6, v14
	ds_write_b128 v14, v[5:8] offset:3072
	s_branch .LBB43_89
.LBB43_94:                              ;   in Loop: Header=BB43_91 Depth=2
	v_add_u32_e32 v23, s44, v23
	v_cmp_le_u32_e32 vcc, s14, v23
	v_add_u32_e32 v13, s45, v13
	s_mov_b64 s[42:43], 0
	s_orn2_b64 s[8:9], vcc, exec
	s_branch .LBB43_90
.LBB43_95:                              ;   in Loop: Header=BB43_6 Depth=1
	s_or_b64 exec, exec, s[36:37]
	s_andn2_b64 s[8:9], s[34:35], exec
	s_and_b64 s[16:17], s[16:17], exec
	s_or_b64 s[34:35], s[8:9], s[16:17]
.LBB43_96:                              ;   in Loop: Header=BB43_6 Depth=1
	s_or_b64 exec, exec, s[2:3]
	s_mov_b64 s[78:79], 0
	s_mov_b64 s[80:81], -1
.LBB43_97:                              ;   in Loop: Header=BB43_6 Depth=1
	s_orn2_b64 s[2:3], s[34:35], exec
.LBB43_98:                              ;   in Loop: Header=BB43_6 Depth=1
	s_or_b64 exec, exec, s[24:25]
	s_mov_b64 s[82:83], 0
	s_mov_b64 s[76:77], 0
	;; [unrolled: 1-line block ×3, first 2 shown]
                                        ; implicit-def: $vgpr24
                                        ; implicit-def: $vgpr23
	s_and_saveexec_b64 s[84:85], s[2:3]
	s_cbranch_execz .LBB43_228
; %bb.99:                               ;   in Loop: Header=BB43_6 Depth=1
	s_xor_b64 s[8:9], s[6:7], -1
	s_mov_b64 s[6:7], 0
	v_mov_b32_e32 v24, 1
	v_mov_b32_e32 v23, 1
	s_and_saveexec_b64 s[2:3], s[8:9]
	s_cbranch_execz .LBB43_108
; %bb.100:                              ;   in Loop: Header=BB43_6 Depth=1
	v_cmp_ge_u32_e32 vcc, s90, v41
	s_and_saveexec_b64 s[6:7], vcc
	s_xor_b64 s[6:7], exec, s[6:7]
	s_cbranch_execz .LBB43_105
; %bb.101:                              ;   in Loop: Header=BB43_6 Depth=1
	ds_read_b32 v6, v14 offset:4096
	v_and_b32_e32 v2, s27, v2
	v_and_b32_e32 v1, s26, v1
	v_or_b32_e32 v22, s23, v22
	v_or_b32_e32 v21, s22, v21
	s_waitcnt lgkmcnt(0)
	v_cmp_ne_u32_e32 vcc, 0, v6
	s_cbranch_vccnz .LBB43_105
; %bb.102:                              ;   in Loop: Header=BB43_6 Depth=1
	s_mov_b64 s[8:9], exec
	v_readlane_b32 s16, v46, 5
	v_readlane_b32 s17, v46, 6
	s_and_b64 s[16:17], s[8:9], s[16:17]
	s_mov_b64 exec, s[16:17]
; %bb.103:                              ;   in Loop: Header=BB43_6 Depth=1
	v_mov_b32_e32 v6, s90
	ds_write_b32 v14, v6 offset:4100
; %bb.104:                              ;   in Loop: Header=BB43_6 Depth=1
	s_or_b64 exec, exec, s[8:9]
	s_waitcnt lgkmcnt(0)
	s_barrier
.LBB43_105:                             ;   in Loop: Header=BB43_6 Depth=1
	s_or_saveexec_b64 s[6:7], s[6:7]
	s_mov_b64 s[8:9], 0
	v_mov_b32_e32 v23, 8
	v_mov_b32_e32 v24, v41
	s_xor_b64 exec, exec, s[6:7]
; %bb.106:                              ;   in Loop: Header=BB43_6 Depth=1
	s_mov_b64 s[8:9], exec
	v_subrev_u32_e32 v24, s90, v41
	v_mov_b32_e32 v23, 0
; %bb.107:                              ;   in Loop: Header=BB43_6 Depth=1
	s_or_b64 exec, exec, s[6:7]
	s_and_b64 s[6:7], s[8:9], exec
.LBB43_108:                             ;   in Loop: Header=BB43_6 Depth=1
	s_or_b64 exec, exec, s[2:3]
	s_mov_b64 s[2:3], -1
                                        ; implicit-def: $sgpr74_sgpr75
                                        ; implicit-def: $sgpr76_sgpr77
	s_and_saveexec_b64 s[8:9], s[6:7]
	s_xor_b64 s[6:7], exec, s[8:9]
	s_cbranch_execz .LBB43_225
; %bb.109:                              ;   in Loop: Header=BB43_6 Depth=1
	s_cmp_eq_u32 s91, 1
	s_cselect_b64 s[2:3], -1, 0
	v_cmp_eq_u32_e32 vcc, 1, v24
	s_and_b64 s[34:35], s[2:3], vcc
	s_mov_b64 s[2:3], -1
                                        ; implicit-def: $sgpr76_sgpr77
                                        ; implicit-def: $sgpr74_sgpr75
	s_and_saveexec_b64 s[24:25], s[34:35]
	s_cbranch_execz .LBB43_135
; %bb.110:                              ;   in Loop: Header=BB43_6 Depth=1
	ds_read_b32 v6, v14 offset:4096
	s_waitcnt lgkmcnt(0)
	s_barrier
	v_readfirstlane_b32 s50, v6
	s_mov_b64 s[2:3], exec
	v_readlane_b32 s8, v46, 20
	v_readlane_b32 s9, v46, 21
	s_and_b64 s[8:9], s[2:3], s[8:9]
	s_mov_b64 exec, s[8:9]
; %bb.111:                              ;   in Loop: Header=BB43_6 Depth=1
	v_mov_b32_e32 v13, v14
	ds_write_b64 v31, v[13:14]
; %bb.112:                              ;   in Loop: Header=BB43_6 Depth=1
	s_or_b64 exec, exec, s[2:3]
	s_lshl_b64 s[2:3], 1, s11
	v_and_b32_e32 v2, s27, v2
	v_and_b32_e32 v1, s26, v1
	v_or_b32_e32 v2, s3, v2
	v_or_b32_e32 v1, s2, v1
	v_or_b32_e32 v22, s23, v22
	v_or_b32_e32 v21, s22, v21
	s_mov_b64 s[74:75], -1
	s_mov_b64 s[76:77], 0
	s_cmp_eq_u32 s50, 0
	s_mov_b64 s[36:37], 0
	s_mov_b64 s[46:47], -1
	s_waitcnt lgkmcnt(0)
	s_barrier
                                        ; implicit-def: $vgpr8_vgpr9
	s_cbranch_scc1 .LBB43_123
; %bb.113:                              ;   in Loop: Header=BB43_6 Depth=1
	s_add_i32 s2, s50, s4
	v_readlane_b32 s3, v46, 33
	s_mul_hi_u32 s3, s2, s3
	s_mul_i32 s3, s3, s44
	s_sub_i32 s3, s2, s3
	s_sub_i32 s8, s3, s44
	s_cmp_ge_u32 s3, s44
	s_cselect_b32 s3, s8, s3
	s_sub_i32 s8, s3, s44
	s_cmp_ge_u32 s3, s44
	s_cselect_b32 s3, s8, s3
	s_sub_i32 s51, s2, s3
	v_cmp_gt_u32_e32 vcc, s51, v0
	s_mov_b64 s[46:47], 0
                                        ; implicit-def: $vgpr8_vgpr9
	s_and_saveexec_b64 s[2:3], vcc
	s_cbranch_execz .LBB43_122
; %bb.114:                              ;   in Loop: Header=BB43_6 Depth=1
	s_mov_b64 s[16:17], 0
	v_mov_b32_e32 v13, v30
	v_mov_b32_e32 v42, v0
                                        ; implicit-def: $sgpr36_sgpr37
	s_branch .LBB43_117
.LBB43_115:                             ;   in Loop: Header=BB43_117 Depth=2
	s_or_b64 exec, exec, s[8:9]
	s_waitcnt lgkmcnt(0)
	s_barrier
	ds_read_b128 v[6:9], v14 offset:3072
	s_mov_b64 s[8:9], -1
	s_mov_b64 s[42:43], -1
	s_waitcnt lgkmcnt(0)
	s_barrier
	v_cmp_ne_u64_e32 vcc, 0, v[6:7]
	s_cbranch_vccz .LBB43_120
.LBB43_116:                             ;   in Loop: Header=BB43_117 Depth=2
	s_and_b64 s[8:9], exec, s[8:9]
	s_or_b64 s[16:17], s[8:9], s[16:17]
	s_andn2_b64 s[8:9], s[36:37], exec
	s_and_b64 s[36:37], s[42:43], exec
	s_or_b64 s[36:37], s[8:9], s[36:37]
	s_andn2_b64 exec, exec, s[16:17]
	s_cbranch_execz .LBB43_121
.LBB43_117:                             ;   Parent Loop BB43_6 Depth=1
                                        ; =>  This Inner Loop Header: Depth=2
	v_cmp_gt_u32_e32 vcc, s50, v42
	s_and_saveexec_b64 s[8:9], vcc
	s_cbranch_execz .LBB43_115
; %bb.118:                              ;   in Loop: Header=BB43_117 Depth=2
	ds_read_b64 v[7:8], v13
	s_waitcnt lgkmcnt(0)
	v_xor_b32_e32 v6, 0x80000000, v8
	v_and_b32_e32 v44, v6, v22
	v_and_b32_e32 v43, v7, v21
	v_cmp_eq_u64_e32 vcc, v[43:44], v[1:2]
	s_and_b64 exec, exec, vcc
	s_cbranch_execz .LBB43_115
; %bb.119:                              ;   in Loop: Header=BB43_117 Depth=2
	v_mov_b32_e32 v6, v14
	ds_write_b128 v14, v[5:8] offset:3072
	s_branch .LBB43_115
.LBB43_120:                             ;   in Loop: Header=BB43_117 Depth=2
	v_add_u32_e32 v42, s44, v42
	v_cmp_le_u32_e32 vcc, s51, v42
	v_add_u32_e32 v13, s10, v13
	s_mov_b64 s[42:43], 0
	s_orn2_b64 s[8:9], vcc, exec
	s_branch .LBB43_116
.LBB43_121:                             ;   in Loop: Header=BB43_6 Depth=1
	s_or_b64 exec, exec, s[16:17]
	s_and_b64 s[36:37], s[36:37], exec
.LBB43_122:                             ;   in Loop: Header=BB43_6 Depth=1
	s_or_b64 exec, exec, s[2:3]
.LBB43_123:                             ;   in Loop: Header=BB43_6 Depth=1
	s_and_b64 vcc, exec, s[46:47]
	s_cbranch_vccz .LBB43_134
; %bb.124:                              ;   in Loop: Header=BB43_6 Depth=1
                                        ; implicit-def: $vgpr8_vgpr9
	s_mov_b64 s[2:3], exec
	v_readlane_b32 s8, v46, 34
	v_readlane_b32 s9, v46, 35
	s_and_b64 s[8:9], s[2:3], s[8:9]
	s_mov_b64 exec, s[8:9]
	s_cbranch_execz .LBB43_133
; %bb.125:                              ;   in Loop: Header=BB43_6 Depth=1
	s_mov_b64 s[16:17], 0
	v_mov_b32_e32 v13, v12
	v_mov_b32_e32 v42, v0
                                        ; implicit-def: $sgpr46_sgpr47
	s_branch .LBB43_128
.LBB43_126:                             ;   in Loop: Header=BB43_128 Depth=2
	s_or_b64 exec, exec, s[8:9]
	s_waitcnt lgkmcnt(0)
	s_barrier
	ds_read_b128 v[6:9], v14 offset:3072
	s_mov_b64 s[8:9], -1
	s_mov_b64 s[42:43], -1
	s_waitcnt lgkmcnt(0)
	s_barrier
	v_cmp_eq_u64_e32 vcc, 0, v[6:7]
	s_cbranch_vccnz .LBB43_131
.LBB43_127:                             ;   in Loop: Header=BB43_128 Depth=2
	s_and_b64 s[8:9], exec, s[8:9]
	s_or_b64 s[16:17], s[8:9], s[16:17]
	s_andn2_b64 s[8:9], s[46:47], exec
	s_and_b64 s[42:43], s[42:43], exec
	s_or_b64 s[46:47], s[8:9], s[42:43]
	s_andn2_b64 exec, exec, s[16:17]
	s_cbranch_execz .LBB43_132
.LBB43_128:                             ;   Parent Loop BB43_6 Depth=1
                                        ; =>  This Inner Loop Header: Depth=2
	v_cmp_gt_u32_e32 vcc, s28, v42
	s_and_saveexec_b64 s[8:9], vcc
	s_cbranch_execz .LBB43_126
; %bb.129:                              ;   in Loop: Header=BB43_128 Depth=2
	v_lshlrev_b64 v[6:7], 3, v[13:14]
	v_mov_b32_e32 v8, s38
	v_add_co_u32_e32 v6, vcc, s33, v6
	v_addc_co_u32_e32 v7, vcc, v8, v7, vcc
	global_load_dwordx2 v[7:8], v[6:7], off
	s_waitcnt vmcnt(0)
	v_xor_b32_e32 v6, 0x80000000, v8
	v_and_b32_e32 v44, v6, v22
	v_and_b32_e32 v43, v7, v21
	v_cmp_eq_u64_e32 vcc, v[43:44], v[1:2]
	s_and_b64 exec, exec, vcc
	s_cbranch_execz .LBB43_126
; %bb.130:                              ;   in Loop: Header=BB43_128 Depth=2
	v_mov_b32_e32 v6, v14
	ds_write_b128 v14, v[5:8] offset:3072
	s_branch .LBB43_126
.LBB43_131:                             ;   in Loop: Header=BB43_128 Depth=2
	v_add_u32_e32 v42, s44, v42
	v_cmp_le_u32_e32 vcc, s14, v42
	v_add_u32_e32 v13, s45, v13
	s_mov_b64 s[42:43], 0
	s_orn2_b64 s[8:9], vcc, exec
	s_branch .LBB43_127
.LBB43_132:                             ;   in Loop: Header=BB43_6 Depth=1
	s_or_b64 exec, exec, s[16:17]
	s_andn2_b64 s[8:9], s[36:37], exec
	s_and_b64 s[16:17], s[46:47], exec
	s_or_b64 s[36:37], s[8:9], s[16:17]
.LBB43_133:                             ;   in Loop: Header=BB43_6 Depth=1
	s_or_b64 exec, exec, s[2:3]
	s_mov_b64 s[74:75], 0
	s_mov_b64 s[76:77], -1
.LBB43_134:                             ;   in Loop: Header=BB43_6 Depth=1
	s_orn2_b64 s[2:3], s[36:37], exec
.LBB43_135:                             ;   in Loop: Header=BB43_6 Depth=1
	s_or_b64 exec, exec, s[24:25]
	s_mov_b64 s[8:9], 0
	s_and_saveexec_b64 s[86:87], s[2:3]
	s_cbranch_execz .LBB43_224
; %bb.136:                              ;   in Loop: Header=BB43_6 Depth=1
	s_xor_b64 s[2:3], s[34:35], -1
	v_mov_b32_e32 v42, 1
	v_mov_b32_e32 v23, 1
	s_and_saveexec_b64 s[24:25], s[2:3]
	s_cbranch_execz .LBB43_145
; %bb.137:                              ;   in Loop: Header=BB43_6 Depth=1
	v_cmp_ge_u32_e32 vcc, s91, v24
	s_and_saveexec_b64 s[2:3], vcc
	s_xor_b64 s[2:3], exec, s[2:3]
	s_cbranch_execz .LBB43_142
; %bb.138:                              ;   in Loop: Header=BB43_6 Depth=1
	ds_read_b32 v6, v14 offset:4096
	s_lshl_b64 s[8:9], 1, s11
	v_and_b32_e32 v2, s27, v2
	v_and_b32_e32 v1, s26, v1
	v_or_b32_e32 v2, s9, v2
	s_waitcnt lgkmcnt(0)
	v_cmp_ne_u32_e32 vcc, 0, v6
	v_or_b32_e32 v1, s8, v1
	v_or_b32_e32 v22, s23, v22
	;; [unrolled: 1-line block ×3, first 2 shown]
	s_cbranch_vccnz .LBB43_142
; %bb.139:                              ;   in Loop: Header=BB43_6 Depth=1
	s_mov_b64 s[8:9], exec
	v_readlane_b32 s16, v46, 5
	v_readlane_b32 s17, v46, 6
	s_and_b64 s[16:17], s[8:9], s[16:17]
	s_mov_b64 exec, s[16:17]
; %bb.140:                              ;   in Loop: Header=BB43_6 Depth=1
	v_mov_b32_e32 v6, s91
	ds_write_b32 v14, v6 offset:4100
; %bb.141:                              ;   in Loop: Header=BB43_6 Depth=1
	s_or_b64 exec, exec, s[8:9]
	s_waitcnt lgkmcnt(0)
	s_barrier
.LBB43_142:                             ;   in Loop: Header=BB43_6 Depth=1
	s_or_saveexec_b64 s[2:3], s[2:3]
	s_mov_b64 s[8:9], 0
	v_mov_b32_e32 v23, 8
	s_xor_b64 exec, exec, s[2:3]
; %bb.143:                              ;   in Loop: Header=BB43_6 Depth=1
	s_mov_b64 s[8:9], exec
	v_subrev_u32_e32 v24, s91, v24
	v_mov_b32_e32 v23, 0
; %bb.144:                              ;   in Loop: Header=BB43_6 Depth=1
	s_or_b64 exec, exec, s[2:3]
	s_and_b64 s[8:9], s[8:9], exec
	v_mov_b32_e32 v42, v24
.LBB43_145:                             ;   in Loop: Header=BB43_6 Depth=1
	s_or_b64 exec, exec, s[24:25]
	s_mov_b64 s[2:3], -1
                                        ; implicit-def: $sgpr42_sgpr43
                                        ; implicit-def: $sgpr92_sgpr93
	s_and_saveexec_b64 s[88:89], s[8:9]
	s_cbranch_execz .LBB43_223
; %bb.146:                              ;   in Loop: Header=BB43_6 Depth=1
	s_cmp_eq_u32 s48, 1
	s_cselect_b64 s[2:3], -1, 0
	v_cmp_eq_u32_e32 vcc, 1, v42
	s_and_b64 s[34:35], s[2:3], vcc
	s_mov_b64 s[2:3], -1
                                        ; implicit-def: $sgpr92_sgpr93
                                        ; implicit-def: $sgpr42_sgpr43
	s_and_saveexec_b64 s[24:25], s[34:35]
	s_cbranch_execz .LBB43_172
; %bb.147:                              ;   in Loop: Header=BB43_6 Depth=1
	ds_read_b32 v6, v14 offset:4096
	s_waitcnt lgkmcnt(0)
	s_barrier
	v_readfirstlane_b32 s50, v6
	s_mov_b64 s[2:3], exec
	v_readlane_b32 s8, v46, 20
	v_readlane_b32 s9, v46, 21
	s_and_b64 s[8:9], s[2:3], s[8:9]
	s_mov_b64 exec, s[8:9]
; %bb.148:                              ;   in Loop: Header=BB43_6 Depth=1
	v_mov_b32_e32 v13, v14
	ds_write_b64 v31, v[13:14]
; %bb.149:                              ;   in Loop: Header=BB43_6 Depth=1
	s_or_b64 exec, exec, s[2:3]
	s_lshl_b64 s[2:3], 2, s11
	v_and_b32_e32 v2, s27, v2
	v_and_b32_e32 v1, s26, v1
	v_or_b32_e32 v2, s3, v2
	v_or_b32_e32 v1, s2, v1
	;; [unrolled: 1-line block ×4, first 2 shown]
	s_mov_b64 s[42:43], -1
	s_mov_b64 s[92:93], 0
	s_cmp_eq_u32 s50, 0
	s_mov_b64 s[36:37], 0
	s_mov_b64 s[46:47], -1
	s_waitcnt lgkmcnt(0)
	s_barrier
                                        ; implicit-def: $vgpr8_vgpr9
	s_cbranch_scc1 .LBB43_160
; %bb.150:                              ;   in Loop: Header=BB43_6 Depth=1
	s_add_i32 s2, s50, s4
	v_readlane_b32 s3, v46, 33
	s_mul_hi_u32 s3, s2, s3
	s_mul_i32 s3, s3, s44
	s_sub_i32 s3, s2, s3
	s_sub_i32 s8, s3, s44
	s_cmp_ge_u32 s3, s44
	s_cselect_b32 s3, s8, s3
	s_sub_i32 s8, s3, s44
	s_cmp_ge_u32 s3, s44
	s_cselect_b32 s3, s8, s3
	s_sub_i32 s51, s2, s3
	v_cmp_gt_u32_e32 vcc, s51, v0
	s_mov_b64 s[46:47], 0
                                        ; implicit-def: $vgpr8_vgpr9
	s_and_saveexec_b64 s[2:3], vcc
	s_cbranch_execz .LBB43_159
; %bb.151:                              ;   in Loop: Header=BB43_6 Depth=1
	s_mov_b64 s[16:17], 0
	v_mov_b32_e32 v13, v30
	v_mov_b32_e32 v24, v0
                                        ; implicit-def: $sgpr36_sgpr37
	s_branch .LBB43_154
.LBB43_152:                             ;   in Loop: Header=BB43_154 Depth=2
	s_or_b64 exec, exec, s[8:9]
	s_waitcnt lgkmcnt(0)
	s_barrier
	ds_read_b128 v[6:9], v14 offset:3072
	s_mov_b64 s[8:9], -1
	s_mov_b64 s[42:43], -1
	s_waitcnt lgkmcnt(0)
	s_barrier
	v_cmp_ne_u64_e32 vcc, 0, v[6:7]
	s_cbranch_vccz .LBB43_157
.LBB43_153:                             ;   in Loop: Header=BB43_154 Depth=2
	s_and_b64 s[8:9], exec, s[8:9]
	s_or_b64 s[16:17], s[8:9], s[16:17]
	s_andn2_b64 s[8:9], s[36:37], exec
	s_and_b64 s[36:37], s[42:43], exec
	s_or_b64 s[36:37], s[8:9], s[36:37]
	s_andn2_b64 exec, exec, s[16:17]
	s_cbranch_execz .LBB43_158
.LBB43_154:                             ;   Parent Loop BB43_6 Depth=1
                                        ; =>  This Inner Loop Header: Depth=2
	v_cmp_gt_u32_e32 vcc, s50, v24
	s_and_saveexec_b64 s[8:9], vcc
	s_cbranch_execz .LBB43_152
; %bb.155:                              ;   in Loop: Header=BB43_154 Depth=2
	ds_read_b64 v[7:8], v13
	s_waitcnt lgkmcnt(0)
	v_xor_b32_e32 v6, 0x80000000, v8
	v_and_b32_e32 v44, v6, v22
	v_and_b32_e32 v43, v7, v21
	v_cmp_eq_u64_e32 vcc, v[43:44], v[1:2]
	s_and_b64 exec, exec, vcc
	s_cbranch_execz .LBB43_152
; %bb.156:                              ;   in Loop: Header=BB43_154 Depth=2
	v_mov_b32_e32 v6, v14
	ds_write_b128 v14, v[5:8] offset:3072
	s_branch .LBB43_152
.LBB43_157:                             ;   in Loop: Header=BB43_154 Depth=2
	v_add_u32_e32 v24, s44, v24
	v_cmp_le_u32_e32 vcc, s51, v24
	v_add_u32_e32 v13, s10, v13
	s_mov_b64 s[42:43], 0
	s_orn2_b64 s[8:9], vcc, exec
	s_branch .LBB43_153
.LBB43_158:                             ;   in Loop: Header=BB43_6 Depth=1
	s_or_b64 exec, exec, s[16:17]
	s_and_b64 s[36:37], s[36:37], exec
	s_mov_b64 s[42:43], -1
.LBB43_159:                             ;   in Loop: Header=BB43_6 Depth=1
	s_or_b64 exec, exec, s[2:3]
.LBB43_160:                             ;   in Loop: Header=BB43_6 Depth=1
	s_and_b64 vcc, exec, s[46:47]
	s_cbranch_vccz .LBB43_171
; %bb.161:                              ;   in Loop: Header=BB43_6 Depth=1
                                        ; implicit-def: $vgpr8_vgpr9
	s_mov_b64 s[2:3], exec
	v_readlane_b32 s8, v46, 34
	v_readlane_b32 s9, v46, 35
	s_and_b64 s[8:9], s[2:3], s[8:9]
	s_mov_b64 exec, s[8:9]
	s_cbranch_execz .LBB43_170
; %bb.162:                              ;   in Loop: Header=BB43_6 Depth=1
	s_mov_b64 s[16:17], 0
	v_mov_b32_e32 v13, v12
	v_mov_b32_e32 v24, v0
                                        ; implicit-def: $sgpr46_sgpr47
	s_branch .LBB43_165
.LBB43_163:                             ;   in Loop: Header=BB43_165 Depth=2
	s_or_b64 exec, exec, s[8:9]
	s_waitcnt lgkmcnt(0)
	s_barrier
	ds_read_b128 v[6:9], v14 offset:3072
	s_mov_b64 s[8:9], -1
	s_mov_b64 s[42:43], -1
	s_waitcnt lgkmcnt(0)
	s_barrier
	v_cmp_eq_u64_e32 vcc, 0, v[6:7]
	s_cbranch_vccnz .LBB43_168
.LBB43_164:                             ;   in Loop: Header=BB43_165 Depth=2
	s_and_b64 s[8:9], exec, s[8:9]
	s_or_b64 s[16:17], s[8:9], s[16:17]
	s_andn2_b64 s[8:9], s[46:47], exec
	s_and_b64 s[42:43], s[42:43], exec
	s_or_b64 s[46:47], s[8:9], s[42:43]
	s_andn2_b64 exec, exec, s[16:17]
	s_cbranch_execz .LBB43_169
.LBB43_165:                             ;   Parent Loop BB43_6 Depth=1
                                        ; =>  This Inner Loop Header: Depth=2
	v_cmp_gt_u32_e32 vcc, s28, v24
	s_and_saveexec_b64 s[8:9], vcc
	s_cbranch_execz .LBB43_163
; %bb.166:                              ;   in Loop: Header=BB43_165 Depth=2
	v_lshlrev_b64 v[6:7], 3, v[13:14]
	v_mov_b32_e32 v8, s38
	v_add_co_u32_e32 v6, vcc, s33, v6
	v_addc_co_u32_e32 v7, vcc, v8, v7, vcc
	global_load_dwordx2 v[7:8], v[6:7], off
	s_waitcnt vmcnt(0)
	v_xor_b32_e32 v6, 0x80000000, v8
	v_and_b32_e32 v44, v6, v22
	v_and_b32_e32 v43, v7, v21
	v_cmp_eq_u64_e32 vcc, v[43:44], v[1:2]
	s_and_b64 exec, exec, vcc
	s_cbranch_execz .LBB43_163
; %bb.167:                              ;   in Loop: Header=BB43_165 Depth=2
	v_mov_b32_e32 v6, v14
	ds_write_b128 v14, v[5:8] offset:3072
	s_branch .LBB43_163
.LBB43_168:                             ;   in Loop: Header=BB43_165 Depth=2
	v_add_u32_e32 v24, s44, v24
	v_cmp_le_u32_e32 vcc, s14, v24
	v_add_u32_e32 v13, s45, v13
	s_mov_b64 s[42:43], 0
	s_orn2_b64 s[8:9], vcc, exec
	s_branch .LBB43_164
.LBB43_169:                             ;   in Loop: Header=BB43_6 Depth=1
	s_or_b64 exec, exec, s[16:17]
	s_andn2_b64 s[8:9], s[36:37], exec
	s_and_b64 s[16:17], s[46:47], exec
	s_or_b64 s[36:37], s[8:9], s[16:17]
.LBB43_170:                             ;   in Loop: Header=BB43_6 Depth=1
	s_or_b64 exec, exec, s[2:3]
	s_mov_b64 s[42:43], 0
	s_mov_b64 s[92:93], -1
.LBB43_171:                             ;   in Loop: Header=BB43_6 Depth=1
	s_orn2_b64 s[2:3], s[36:37], exec
.LBB43_172:                             ;   in Loop: Header=BB43_6 Depth=1
	s_or_b64 exec, exec, s[24:25]
	s_mov_b64 s[8:9], 0
	s_and_saveexec_b64 s[94:95], s[2:3]
	s_cbranch_execz .LBB43_222
; %bb.173:                              ;   in Loop: Header=BB43_6 Depth=1
	s_xor_b64 s[2:3], s[34:35], -1
	v_mov_b32_e32 v24, 1
	v_mov_b32_e32 v23, 1
	s_and_saveexec_b64 s[24:25], s[2:3]
	s_cbranch_execz .LBB43_182
; %bb.174:                              ;   in Loop: Header=BB43_6 Depth=1
	v_cmp_ge_u32_e32 vcc, s48, v42
	s_and_saveexec_b64 s[2:3], vcc
	s_xor_b64 s[2:3], exec, s[2:3]
	s_cbranch_execz .LBB43_179
; %bb.175:                              ;   in Loop: Header=BB43_6 Depth=1
	ds_read_b32 v6, v14 offset:4096
	s_lshl_b64 s[8:9], 2, s11
	v_and_b32_e32 v2, s27, v2
	v_and_b32_e32 v1, s26, v1
	v_or_b32_e32 v2, s9, v2
	s_waitcnt lgkmcnt(0)
	v_cmp_ne_u32_e32 vcc, 0, v6
	v_or_b32_e32 v1, s8, v1
	v_or_b32_e32 v22, s23, v22
	;; [unrolled: 1-line block ×3, first 2 shown]
	s_cbranch_vccnz .LBB43_179
; %bb.176:                              ;   in Loop: Header=BB43_6 Depth=1
	s_mov_b64 s[8:9], exec
	v_readlane_b32 s16, v46, 5
	v_readlane_b32 s17, v46, 6
	s_and_b64 s[16:17], s[8:9], s[16:17]
	s_mov_b64 exec, s[16:17]
; %bb.177:                              ;   in Loop: Header=BB43_6 Depth=1
	v_mov_b32_e32 v6, s48
	ds_write_b32 v14, v6 offset:4100
; %bb.178:                              ;   in Loop: Header=BB43_6 Depth=1
	s_or_b64 exec, exec, s[8:9]
	s_waitcnt lgkmcnt(0)
	s_barrier
.LBB43_179:                             ;   in Loop: Header=BB43_6 Depth=1
	s_or_saveexec_b64 s[2:3], s[2:3]
	s_mov_b64 s[8:9], 0
	v_mov_b32_e32 v23, 8
	s_xor_b64 exec, exec, s[2:3]
; %bb.180:                              ;   in Loop: Header=BB43_6 Depth=1
	s_mov_b64 s[8:9], exec
	v_subrev_u32_e32 v42, s48, v42
	v_mov_b32_e32 v23, 0
; %bb.181:                              ;   in Loop: Header=BB43_6 Depth=1
	s_or_b64 exec, exec, s[2:3]
	s_and_b64 s[8:9], s[8:9], exec
	v_mov_b32_e32 v24, v42
.LBB43_182:                             ;   in Loop: Header=BB43_6 Depth=1
	s_or_b64 exec, exec, s[24:25]
	s_mov_b64 s[2:3], -1
                                        ; implicit-def: $sgpr24_sgpr25
                                        ; implicit-def: $sgpr50_sgpr51
	s_and_saveexec_b64 s[34:35], s[8:9]
	s_cbranch_execz .LBB43_221
; %bb.183:                              ;   in Loop: Header=BB43_6 Depth=1
	s_cmp_eq_u32 s49, 1
	s_cselect_b64 s[2:3], -1, 0
	v_cmp_eq_u32_e32 vcc, 1, v24
	s_and_b64 s[36:37], s[2:3], vcc
	s_mov_b64 s[8:9], -1
                                        ; implicit-def: $sgpr24_sgpr25
                                        ; implicit-def: $sgpr50_sgpr51
	s_and_saveexec_b64 s[46:47], s[36:37]
	s_cbranch_execz .LBB43_209
; %bb.184:                              ;   in Loop: Header=BB43_6 Depth=1
	ds_read_b32 v6, v14 offset:4096
	s_waitcnt lgkmcnt(0)
	s_barrier
	v_readfirstlane_b32 s16, v6
	s_mov_b64 s[2:3], exec
	v_readlane_b32 s8, v46, 20
	v_readlane_b32 s9, v46, 21
	s_and_b64 s[8:9], s[2:3], s[8:9]
	s_mov_b64 exec, s[8:9]
; %bb.185:                              ;   in Loop: Header=BB43_6 Depth=1
	v_mov_b32_e32 v13, v14
	ds_write_b64 v31, v[13:14]
; %bb.186:                              ;   in Loop: Header=BB43_6 Depth=1
	s_or_b64 exec, exec, s[2:3]
	s_mov_b64 s[2:3], -1
	v_writelane_b32 v46, s2, 36
	v_or_b32_e32 v2, s23, v2
	v_or_b32_e32 v1, s22, v1
	;; [unrolled: 1-line block ×4, first 2 shown]
	v_writelane_b32 v46, s3, 37
	s_mov_b64 s[24:25], 0
	s_cmp_eq_u32 s16, 0
	s_mov_b64 s[50:51], 0
	s_mov_b64 s[2:3], -1
	s_waitcnt lgkmcnt(0)
	s_barrier
                                        ; implicit-def: $vgpr8_vgpr9
	s_cbranch_scc1 .LBB43_197
; %bb.187:                              ;   in Loop: Header=BB43_6 Depth=1
	s_add_i32 s2, s16, s4
	v_readlane_b32 s3, v46, 33
	s_mul_hi_u32 s3, s2, s3
	s_mul_i32 s3, s3, s44
	s_sub_i32 s3, s2, s3
	s_sub_i32 s8, s3, s44
	s_cmp_ge_u32 s3, s44
	s_cselect_b32 s3, s8, s3
	s_sub_i32 s8, s3, s44
	s_cmp_ge_u32 s3, s44
	s_cselect_b32 s3, s8, s3
	s_sub_i32 s17, s2, s3
	s_mov_b64 s[2:3], 0
	v_cmp_gt_u32_e32 vcc, s17, v0
                                        ; implicit-def: $vgpr8_vgpr9
	s_mov_b64 s[8:9], exec
	v_writelane_b32 v46, s8, 38
	v_writelane_b32 v46, s9, 39
	s_and_b64 s[8:9], s[8:9], vcc
	s_mov_b64 exec, s[8:9]
	s_cbranch_execz .LBB43_196
; %bb.188:                              ;   in Loop: Header=BB43_6 Depth=1
	v_writelane_b32 v46, s36, 40
	v_writelane_b32 v46, s37, 41
	;; [unrolled: 1-line block ×3, first 2 shown]
	v_mov_b32_e32 v13, v30
	v_mov_b32_e32 v42, v0
	v_writelane_b32 v46, s43, 43
                                        ; implicit-def: $sgpr8_sgpr9
	s_branch .LBB43_191
.LBB43_189:                             ;   in Loop: Header=BB43_191 Depth=2
	s_or_b64 exec, exec, s[42:43]
	s_waitcnt lgkmcnt(0)
	s_barrier
	ds_read_b128 v[6:9], v14 offset:3072
	s_mov_b64 s[42:43], -1
	s_mov_b64 s[36:37], -1
	s_waitcnt lgkmcnt(0)
	s_barrier
	v_cmp_ne_u64_e32 vcc, 0, v[6:7]
	s_cbranch_vccz .LBB43_194
.LBB43_190:                             ;   in Loop: Header=BB43_191 Depth=2
	s_and_b64 s[42:43], exec, s[42:43]
	s_or_b64 s[50:51], s[42:43], s[50:51]
	s_andn2_b64 s[8:9], s[8:9], exec
	s_and_b64 s[36:37], s[36:37], exec
	s_or_b64 s[8:9], s[8:9], s[36:37]
	s_andn2_b64 exec, exec, s[50:51]
	s_cbranch_execz .LBB43_195
.LBB43_191:                             ;   Parent Loop BB43_6 Depth=1
                                        ; =>  This Inner Loop Header: Depth=2
	v_cmp_gt_u32_e32 vcc, s16, v42
	s_and_saveexec_b64 s[42:43], vcc
	s_cbranch_execz .LBB43_189
; %bb.192:                              ;   in Loop: Header=BB43_191 Depth=2
	ds_read_b64 v[7:8], v13
	s_waitcnt lgkmcnt(0)
	v_xor_b32_e32 v6, 0x80000000, v8
	v_and_b32_e32 v44, v6, v22
	v_and_b32_e32 v43, v7, v21
	v_cmp_eq_u64_e32 vcc, v[43:44], v[1:2]
	s_and_b64 exec, exec, vcc
	s_cbranch_execz .LBB43_189
; %bb.193:                              ;   in Loop: Header=BB43_191 Depth=2
	v_mov_b32_e32 v6, v14
	ds_write_b128 v14, v[5:8] offset:3072
	s_branch .LBB43_189
.LBB43_194:                             ;   in Loop: Header=BB43_191 Depth=2
	v_add_u32_e32 v42, s44, v42
	v_cmp_le_u32_e32 vcc, s17, v42
	v_add_u32_e32 v13, s10, v13
	s_mov_b64 s[36:37], 0
	s_orn2_b64 s[42:43], vcc, exec
	s_branch .LBB43_190
.LBB43_195:                             ;   in Loop: Header=BB43_6 Depth=1
	s_or_b64 exec, exec, s[50:51]
	v_readlane_b32 s42, v46, 42
	v_readlane_b32 s36, v46, 40
	s_and_b64 s[50:51], s[8:9], exec
	v_readlane_b32 s43, v46, 43
	v_readlane_b32 s37, v46, 41
.LBB43_196:                             ;   in Loop: Header=BB43_6 Depth=1
	v_readlane_b32 s8, v46, 38
	v_readlane_b32 s9, v46, 39
	s_or_b64 exec, exec, s[8:9]
.LBB43_197:                             ;   in Loop: Header=BB43_6 Depth=1
	s_and_b64 vcc, exec, s[2:3]
	s_cbranch_vccz .LBB43_208
; %bb.198:                              ;   in Loop: Header=BB43_6 Depth=1
                                        ; implicit-def: $vgpr8_vgpr9
	s_mov_b64 s[2:3], exec
	v_readlane_b32 s8, v46, 34
	v_readlane_b32 s9, v46, 35
	s_and_b64 s[8:9], s[2:3], s[8:9]
	s_mov_b64 exec, s[8:9]
	s_cbranch_execz .LBB43_207
; %bb.199:                              ;   in Loop: Header=BB43_6 Depth=1
	v_writelane_b32 v46, s36, 40
	s_mov_b64 s[16:17], 0
	v_mov_b32_e32 v13, v12
	v_mov_b32_e32 v42, v0
	v_writelane_b32 v46, s37, 41
                                        ; implicit-def: $sgpr24_sgpr25
	s_branch .LBB43_202
.LBB43_200:                             ;   in Loop: Header=BB43_202 Depth=2
	s_or_b64 exec, exec, s[8:9]
	s_waitcnt lgkmcnt(0)
	s_barrier
	ds_read_b128 v[6:9], v14 offset:3072
	s_mov_b64 s[8:9], -1
	s_mov_b64 s[36:37], -1
	s_waitcnt lgkmcnt(0)
	s_barrier
	v_cmp_eq_u64_e32 vcc, 0, v[6:7]
	s_cbranch_vccnz .LBB43_205
.LBB43_201:                             ;   in Loop: Header=BB43_202 Depth=2
	s_and_b64 s[8:9], exec, s[8:9]
	s_or_b64 s[16:17], s[8:9], s[16:17]
	s_andn2_b64 s[8:9], s[24:25], exec
	s_and_b64 s[24:25], s[36:37], exec
	s_or_b64 s[24:25], s[8:9], s[24:25]
	s_andn2_b64 exec, exec, s[16:17]
	s_cbranch_execz .LBB43_206
.LBB43_202:                             ;   Parent Loop BB43_6 Depth=1
                                        ; =>  This Inner Loop Header: Depth=2
	v_cmp_gt_u32_e32 vcc, s28, v42
	s_and_saveexec_b64 s[8:9], vcc
	s_cbranch_execz .LBB43_200
; %bb.203:                              ;   in Loop: Header=BB43_202 Depth=2
	v_lshlrev_b64 v[6:7], 3, v[13:14]
	v_mov_b32_e32 v8, s38
	v_add_co_u32_e32 v6, vcc, s33, v6
	v_addc_co_u32_e32 v7, vcc, v8, v7, vcc
	global_load_dwordx2 v[7:8], v[6:7], off
	s_waitcnt vmcnt(0)
	v_xor_b32_e32 v6, 0x80000000, v8
	v_and_b32_e32 v44, v6, v22
	v_and_b32_e32 v43, v7, v21
	v_cmp_eq_u64_e32 vcc, v[43:44], v[1:2]
	s_and_b64 exec, exec, vcc
	s_cbranch_execz .LBB43_200
; %bb.204:                              ;   in Loop: Header=BB43_202 Depth=2
	v_mov_b32_e32 v6, v14
	ds_write_b128 v14, v[5:8] offset:3072
	s_branch .LBB43_200
.LBB43_205:                             ;   in Loop: Header=BB43_202 Depth=2
	v_add_u32_e32 v42, s44, v42
	v_cmp_le_u32_e32 vcc, s14, v42
	v_add_u32_e32 v13, s45, v13
	s_mov_b64 s[36:37], 0
	s_orn2_b64 s[8:9], vcc, exec
	s_branch .LBB43_201
.LBB43_206:                             ;   in Loop: Header=BB43_6 Depth=1
	s_or_b64 exec, exec, s[16:17]
	s_andn2_b64 s[8:9], s[50:51], exec
	s_and_b64 s[16:17], s[24:25], exec
	v_readlane_b32 s36, v46, 40
	s_or_b64 s[50:51], s[8:9], s[16:17]
	v_readlane_b32 s37, v46, 41
.LBB43_207:                             ;   in Loop: Header=BB43_6 Depth=1
	s_or_b64 exec, exec, s[2:3]
	s_mov_b64 s[2:3], 0
	v_writelane_b32 v46, s2, 36
	s_mov_b64 s[24:25], -1
	v_writelane_b32 v46, s3, 37
.LBB43_208:                             ;   in Loop: Header=BB43_6 Depth=1
	s_orn2_b64 s[8:9], s[50:51], exec
	v_readlane_b32 s50, v46, 36
	v_readlane_b32 s51, v46, 37
.LBB43_209:                             ;   in Loop: Header=BB43_6 Depth=1
	s_or_b64 exec, exec, s[46:47]
	s_mov_b64 s[16:17], 0
	s_and_saveexec_b64 s[2:3], s[8:9]
	s_cbranch_execz .LBB43_220
; %bb.210:                              ;   in Loop: Header=BB43_6 Depth=1
	s_xor_b64 s[8:9], s[36:37], -1
	v_mov_b32_e32 v23, 1
	v_mov_b32_e32 v6, 1
	s_and_saveexec_b64 s[16:17], s[8:9]
	s_cbranch_execz .LBB43_219
; %bb.211:                              ;   in Loop: Header=BB43_6 Depth=1
	v_cmp_ge_u32_e32 vcc, s49, v24
	s_and_saveexec_b64 s[8:9], vcc
	s_xor_b64 s[8:9], exec, s[8:9]
	s_cbranch_execz .LBB43_216
; %bb.212:                              ;   in Loop: Header=BB43_6 Depth=1
	ds_read_b32 v6, v14 offset:4096
	v_or_b32_e32 v2, s23, v2
	v_or_b32_e32 v1, s22, v1
	v_or_b32_e32 v22, s23, v22
	v_or_b32_e32 v21, s22, v21
	s_waitcnt lgkmcnt(0)
	v_cmp_ne_u32_e32 vcc, 0, v6
	s_cbranch_vccnz .LBB43_216
; %bb.213:                              ;   in Loop: Header=BB43_6 Depth=1
	s_mov_b64 s[46:47], s[42:43]
	s_mov_b64 s[36:37], exec
	v_readlane_b32 s42, v46, 5
	v_readlane_b32 s43, v46, 6
	s_and_b64 s[42:43], s[36:37], s[42:43]
	s_mov_b64 exec, s[42:43]
; %bb.214:                              ;   in Loop: Header=BB43_6 Depth=1
	v_mov_b32_e32 v6, s49
	ds_write_b32 v14, v6 offset:4100
; %bb.215:                              ;   in Loop: Header=BB43_6 Depth=1
	s_or_b64 exec, exec, s[36:37]
	s_mov_b64 s[42:43], s[46:47]
	s_waitcnt lgkmcnt(0)
	s_barrier
.LBB43_216:                             ;   in Loop: Header=BB43_6 Depth=1
	s_andn2_saveexec_b64 s[8:9], s[8:9]
; %bb.217:                              ;   in Loop: Header=BB43_6 Depth=1
	v_subrev_u32_e32 v24, s49, v24
; %bb.218:                              ;   in Loop: Header=BB43_6 Depth=1
	s_or_b64 exec, exec, s[8:9]
	v_mov_b32_e32 v23, 8
	v_mov_b32_e32 v6, v24
.LBB43_219:                             ;   in Loop: Header=BB43_6 Depth=1
	s_or_b64 exec, exec, s[16:17]
	s_mov_b64 s[16:17], exec
	v_mov_b32_e32 v24, v6
.LBB43_220:                             ;   in Loop: Header=BB43_6 Depth=1
	s_or_b64 exec, exec, s[2:3]
	s_orn2_b64 s[2:3], s[16:17], exec
.LBB43_221:                             ;   in Loop: Header=BB43_6 Depth=1
	s_or_b64 exec, exec, s[34:35]
	s_andn2_b64 s[8:9], s[92:93], exec
	s_and_b64 s[16:17], s[24:25], exec
	s_or_b64 s[92:93], s[8:9], s[16:17]
	s_andn2_b64 s[8:9], s[42:43], exec
	s_and_b64 s[16:17], s[50:51], exec
	s_or_b64 s[42:43], s[8:9], s[16:17]
	s_and_b64 s[8:9], s[2:3], exec
	v_mov_b32_e32 v42, v24
.LBB43_222:                             ;   in Loop: Header=BB43_6 Depth=1
	s_or_b64 exec, exec, s[94:95]
	s_orn2_b64 s[2:3], s[8:9], exec
.LBB43_223:                             ;   in Loop: Header=BB43_6 Depth=1
	s_or_b64 exec, exec, s[88:89]
	s_andn2_b64 s[8:9], s[76:77], exec
	s_and_b64 s[16:17], s[92:93], exec
	s_or_b64 s[76:77], s[8:9], s[16:17]
	s_andn2_b64 s[8:9], s[74:75], exec
	s_and_b64 s[16:17], s[42:43], exec
	s_or_b64 s[74:75], s[8:9], s[16:17]
	s_and_b64 s[8:9], s[2:3], exec
	v_mov_b32_e32 v24, v42
.LBB43_224:                             ;   in Loop: Header=BB43_6 Depth=1
	s_or_b64 exec, exec, s[86:87]
	s_orn2_b64 s[2:3], s[8:9], exec
.LBB43_225:                             ;   in Loop: Header=BB43_6 Depth=1
	s_or_b64 exec, exec, s[6:7]
	s_mov_b64 s[6:7], 0
	s_mov_b64 s[8:9], 0
	s_and_saveexec_b64 s[16:17], s[2:3]
	s_xor_b64 s[2:3], exec, s[16:17]
; %bb.226:                              ;   in Loop: Header=BB43_6 Depth=1
	v_cmp_eq_u32_e32 vcc, 8, v23
	v_cmp_ne_u32_e64 s[6:7], 8, v23
	s_and_b64 s[8:9], s[6:7], exec
	s_and_b64 s[6:7], vcc, exec
; %bb.227:                              ;   in Loop: Header=BB43_6 Depth=1
	s_or_b64 exec, exec, s[2:3]
	s_andn2_b64 s[2:3], s[80:81], exec
	s_and_b64 s[16:17], s[76:77], exec
	s_or_b64 s[80:81], s[2:3], s[16:17]
	s_andn2_b64 s[2:3], s[78:79], exec
	s_and_b64 s[16:17], s[74:75], exec
	s_or_b64 s[78:79], s[2:3], s[16:17]
	s_and_b64 s[74:75], s[8:9], exec
	s_and_b64 s[76:77], s[6:7], exec
.LBB43_228:                             ;   in Loop: Header=BB43_6 Depth=1
	s_or_b64 exec, exec, s[84:85]
.LBB43_229:                             ;   in Loop: Header=BB43_6 Depth=1
	s_and_b64 vcc, exec, s[82:83]
	s_cbranch_vccz .LBB43_242
; %bb.230:                              ;   in Loop: Header=BB43_6 Depth=1
	s_cmp_eq_u32 s49, 1
	s_cselect_b64 s[2:3], -1, 0
	s_and_b64 s[6:7], s[2:3], s[18:19]
	s_mov_b64 s[2:3], -1
                                        ; implicit-def: $sgpr18_sgpr19
                                        ; implicit-def: $sgpr20_sgpr21
	s_and_saveexec_b64 s[24:25], s[6:7]
	s_cbranch_execz .LBB43_257
; %bb.231:                              ;   in Loop: Header=BB43_6 Depth=1
	ds_read_b32 v1, v14 offset:4096
	s_waitcnt lgkmcnt(0)
	s_barrier
	v_readfirstlane_b32 s46, v1
	s_mov_b64 s[2:3], exec
	v_readlane_b32 s8, v46, 20
	v_readlane_b32 s9, v46, 21
	s_and_b64 s[8:9], s[2:3], s[8:9]
	s_mov_b64 exec, s[8:9]
; %bb.232:                              ;   in Loop: Header=BB43_6 Depth=1
	v_mov_b32_e32 v13, v14
	ds_write_b64 v31, v[13:14]
; %bb.233:                              ;   in Loop: Header=BB43_6 Depth=1
	s_or_b64 exec, exec, s[2:3]
	v_or_b32_e32 v18, s23, v18
	v_or_b32_e32 v17, s22, v17
	;; [unrolled: 1-line block ×4, first 2 shown]
	s_mov_b64 s[20:21], -1
	s_mov_b64 s[18:19], 0
	s_cmp_eq_u32 s46, 0
	s_mov_b64 s[34:35], 0
	s_mov_b64 s[2:3], -1
	s_waitcnt lgkmcnt(0)
	s_barrier
                                        ; implicit-def: $vgpr3_vgpr4
	s_cbranch_scc1 .LBB43_245
; %bb.234:                              ;   in Loop: Header=BB43_6 Depth=1
	s_add_i32 s2, s46, s4
	v_readlane_b32 s3, v46, 33
	s_mul_hi_u32 s3, s2, s3
	s_mul_i32 s3, s3, s44
	s_sub_i32 s3, s2, s3
	s_sub_i32 s8, s3, s44
	s_cmp_ge_u32 s3, s44
	s_cselect_b32 s3, s8, s3
	s_sub_i32 s8, s3, s44
	s_cmp_ge_u32 s3, s44
	s_cselect_b32 s3, s8, s3
	s_sub_i32 s47, s2, s3
	v_cmp_gt_u32_e32 vcc, s47, v0
	s_mov_b64 s[2:3], 0
                                        ; implicit-def: $vgpr3_vgpr4
	s_and_saveexec_b64 s[36:37], vcc
	s_cbranch_execz .LBB43_244
; %bb.235:                              ;   in Loop: Header=BB43_6 Depth=1
	s_mov_b64 s[16:17], 0
	v_mov_b32_e32 v9, v30
	v_mov_b32_e32 v13, v0
                                        ; implicit-def: $sgpr34_sgpr35
	s_branch .LBB43_238
.LBB43_236:                             ;   in Loop: Header=BB43_238 Depth=2
	s_or_b64 exec, exec, s[8:9]
	s_waitcnt lgkmcnt(0)
	s_barrier
	ds_read_b128 v[1:4], v14 offset:3072
	s_mov_b64 s[8:9], -1
	s_mov_b64 s[42:43], -1
	s_waitcnt lgkmcnt(0)
	s_barrier
	v_cmp_ne_u64_e32 vcc, 0, v[1:2]
	s_cbranch_vccz .LBB43_241
.LBB43_237:                             ;   in Loop: Header=BB43_238 Depth=2
	s_and_b64 s[8:9], exec, s[8:9]
	s_or_b64 s[16:17], s[8:9], s[16:17]
	s_andn2_b64 s[8:9], s[34:35], exec
	s_and_b64 s[34:35], s[42:43], exec
	s_or_b64 s[34:35], s[8:9], s[34:35]
	s_andn2_b64 exec, exec, s[16:17]
	s_cbranch_execz .LBB43_243
.LBB43_238:                             ;   Parent Loop BB43_6 Depth=1
                                        ; =>  This Inner Loop Header: Depth=2
	v_cmp_gt_u32_e32 vcc, s46, v13
	s_and_saveexec_b64 s[8:9], vcc
	s_cbranch_execz .LBB43_236
; %bb.239:                              ;   in Loop: Header=BB43_238 Depth=2
	ds_read_b64 v[7:8], v9
	s_waitcnt lgkmcnt(0)
	v_xor_b32_e32 v1, 0x80000000, v8
	v_and_b32_e32 v2, v1, v20
	v_and_b32_e32 v1, v7, v19
	v_cmp_eq_u64_e32 vcc, v[1:2], v[17:18]
	s_and_b64 exec, exec, vcc
	s_cbranch_execz .LBB43_236
; %bb.240:                              ;   in Loop: Header=BB43_238 Depth=2
	v_mov_b32_e32 v6, v14
	ds_write_b128 v14, v[5:8] offset:3072
	s_branch .LBB43_236
.LBB43_241:                             ;   in Loop: Header=BB43_238 Depth=2
	v_add_u32_e32 v13, s44, v13
	v_cmp_le_u32_e32 vcc, s47, v13
	v_add_u32_e32 v9, s10, v9
	s_mov_b64 s[42:43], 0
	s_orn2_b64 s[8:9], vcc, exec
	s_branch .LBB43_237
.LBB43_242:                             ;   in Loop: Header=BB43_6 Depth=1
	v_mov_b32_e32 v18, v2
	v_mov_b32_e32 v19, v21
	;; [unrolled: 1-line block ×3, first 2 shown]
	s_mov_b64 s[18:19], 0
	v_mov_b32_e32 v17, v1
	v_mov_b32_e32 v20, v22
	v_mov_b32_e32 v4, v9
	s_and_saveexec_b64 s[2:3], s[76:77]
	s_cbranch_execnz .LBB43_388
	s_branch .LBB43_389
.LBB43_243:                             ;   in Loop: Header=BB43_6 Depth=1
	s_or_b64 exec, exec, s[16:17]
	s_and_b64 s[34:35], s[34:35], exec
.LBB43_244:                             ;   in Loop: Header=BB43_6 Depth=1
	s_or_b64 exec, exec, s[36:37]
.LBB43_245:                             ;   in Loop: Header=BB43_6 Depth=1
	s_and_b64 vcc, exec, s[2:3]
	s_cbranch_vccz .LBB43_256
; %bb.246:                              ;   in Loop: Header=BB43_6 Depth=1
                                        ; implicit-def: $vgpr3_vgpr4
	s_mov_b64 s[2:3], exec
	v_readlane_b32 s8, v46, 34
	v_readlane_b32 s9, v46, 35
	s_and_b64 s[8:9], s[2:3], s[8:9]
	s_mov_b64 exec, s[8:9]
	s_cbranch_execz .LBB43_255
; %bb.247:                              ;   in Loop: Header=BB43_6 Depth=1
	s_mov_b64 s[18:19], 0
	v_mov_b32_e32 v13, v12
	v_mov_b32_e32 v9, v0
                                        ; implicit-def: $sgpr16_sgpr17
	s_branch .LBB43_250
.LBB43_248:                             ;   in Loop: Header=BB43_250 Depth=2
	s_or_b64 exec, exec, s[8:9]
	s_waitcnt lgkmcnt(0)
	s_barrier
	ds_read_b128 v[1:4], v14 offset:3072
	s_mov_b64 s[8:9], -1
	s_mov_b64 s[20:21], -1
	s_waitcnt lgkmcnt(0)
	s_barrier
	v_cmp_ne_u64_e32 vcc, 0, v[1:2]
	s_cbranch_vccz .LBB43_253
.LBB43_249:                             ;   in Loop: Header=BB43_250 Depth=2
	s_and_b64 s[8:9], exec, s[8:9]
	s_or_b64 s[18:19], s[8:9], s[18:19]
	s_andn2_b64 s[8:9], s[16:17], exec
	s_and_b64 s[16:17], s[20:21], exec
	s_or_b64 s[16:17], s[8:9], s[16:17]
	s_andn2_b64 exec, exec, s[18:19]
	s_cbranch_execz .LBB43_254
.LBB43_250:                             ;   Parent Loop BB43_6 Depth=1
                                        ; =>  This Inner Loop Header: Depth=2
	v_cmp_gt_u32_e32 vcc, s28, v9
	s_and_saveexec_b64 s[8:9], vcc
	s_cbranch_execz .LBB43_248
; %bb.251:                              ;   in Loop: Header=BB43_250 Depth=2
	v_lshlrev_b64 v[1:2], 3, v[13:14]
	v_mov_b32_e32 v3, s38
	v_add_co_u32_e32 v1, vcc, s33, v1
	v_addc_co_u32_e32 v2, vcc, v3, v2, vcc
	global_load_dwordx2 v[7:8], v[1:2], off
	s_waitcnt vmcnt(0)
	v_xor_b32_e32 v1, 0x80000000, v8
	v_and_b32_e32 v2, v1, v20
	v_and_b32_e32 v1, v7, v19
	v_cmp_eq_u64_e32 vcc, v[1:2], v[17:18]
	s_and_b64 exec, exec, vcc
	s_cbranch_execz .LBB43_248
; %bb.252:                              ;   in Loop: Header=BB43_250 Depth=2
	v_mov_b32_e32 v6, v14
	ds_write_b128 v14, v[5:8] offset:3072
	s_branch .LBB43_248
.LBB43_253:                             ;   in Loop: Header=BB43_250 Depth=2
	v_add_u32_e32 v9, s44, v9
	v_cmp_le_u32_e32 vcc, s14, v9
	v_add_u32_e32 v13, s45, v13
	s_mov_b64 s[20:21], 0
	s_orn2_b64 s[8:9], vcc, exec
	s_branch .LBB43_249
.LBB43_254:                             ;   in Loop: Header=BB43_6 Depth=1
	s_or_b64 exec, exec, s[18:19]
	s_andn2_b64 s[8:9], s[34:35], exec
	s_and_b64 s[16:17], s[16:17], exec
	s_or_b64 s[34:35], s[8:9], s[16:17]
.LBB43_255:                             ;   in Loop: Header=BB43_6 Depth=1
	s_or_b64 exec, exec, s[2:3]
	s_mov_b64 s[20:21], 0
	s_mov_b64 s[18:19], -1
.LBB43_256:                             ;   in Loop: Header=BB43_6 Depth=1
	s_orn2_b64 s[2:3], s[34:35], exec
.LBB43_257:                             ;   in Loop: Header=BB43_6 Depth=1
	s_or_b64 exec, exec, s[24:25]
                                        ; implicit-def: $vgpr24
                                        ; implicit-def: $vgpr23
	s_and_saveexec_b64 s[78:79], s[2:3]
	s_cbranch_execz .LBB43_387
; %bb.258:                              ;   in Loop: Header=BB43_6 Depth=1
	s_xor_b64 s[8:9], s[6:7], -1
	s_mov_b64 s[6:7], 0
	v_mov_b32_e32 v24, 1
	v_mov_b32_e32 v23, 1
	s_and_saveexec_b64 s[2:3], s[8:9]
	s_cbranch_execz .LBB43_267
; %bb.259:                              ;   in Loop: Header=BB43_6 Depth=1
	v_cmp_ge_u32_e32 vcc, s49, v41
	s_and_saveexec_b64 s[6:7], vcc
	s_xor_b64 s[6:7], exec, s[6:7]
	s_cbranch_execz .LBB43_264
; %bb.260:                              ;   in Loop: Header=BB43_6 Depth=1
	ds_read_b32 v1, v14 offset:4096
	v_or_b32_e32 v18, s23, v18
	v_or_b32_e32 v17, s22, v17
	;; [unrolled: 1-line block ×4, first 2 shown]
	s_waitcnt lgkmcnt(0)
	v_cmp_ne_u32_e32 vcc, 0, v1
	s_cbranch_vccnz .LBB43_264
; %bb.261:                              ;   in Loop: Header=BB43_6 Depth=1
	s_mov_b64 s[8:9], exec
	v_readlane_b32 s16, v46, 5
	v_readlane_b32 s17, v46, 6
	s_and_b64 s[16:17], s[8:9], s[16:17]
	s_mov_b64 exec, s[16:17]
; %bb.262:                              ;   in Loop: Header=BB43_6 Depth=1
	v_mov_b32_e32 v1, s49
	ds_write_b32 v14, v1 offset:4100
; %bb.263:                              ;   in Loop: Header=BB43_6 Depth=1
	s_or_b64 exec, exec, s[8:9]
	s_waitcnt lgkmcnt(0)
	s_barrier
.LBB43_264:                             ;   in Loop: Header=BB43_6 Depth=1
	s_or_saveexec_b64 s[6:7], s[6:7]
	s_mov_b64 s[8:9], 0
	v_mov_b32_e32 v23, 5
	s_xor_b64 exec, exec, s[6:7]
; %bb.265:                              ;   in Loop: Header=BB43_6 Depth=1
	v_subrev_u32_e32 v41, s49, v41
	v_mov_b32_e32 v23, 0
	s_mov_b64 s[8:9], exec
; %bb.266:                              ;   in Loop: Header=BB43_6 Depth=1
	s_or_b64 exec, exec, s[6:7]
	s_and_b64 s[6:7], s[8:9], exec
	v_mov_b32_e32 v24, v41
.LBB43_267:                             ;   in Loop: Header=BB43_6 Depth=1
	s_or_b64 exec, exec, s[2:3]
	s_mov_b64 s[2:3], -1
                                        ; implicit-def: $sgpr80_sgpr81
                                        ; implicit-def: $sgpr82_sgpr83
	s_and_saveexec_b64 s[8:9], s[6:7]
	s_xor_b64 s[6:7], exec, s[8:9]
	s_cbranch_execz .LBB43_384
; %bb.268:                              ;   in Loop: Header=BB43_6 Depth=1
	s_cmp_eq_u32 s48, 1
	s_cselect_b64 s[2:3], -1, 0
	v_cmp_eq_u32_e32 vcc, 1, v24
	s_and_b64 s[34:35], s[2:3], vcc
	s_mov_b64 s[2:3], -1
                                        ; implicit-def: $sgpr82_sgpr83
                                        ; implicit-def: $sgpr80_sgpr81
	s_and_saveexec_b64 s[24:25], s[34:35]
	s_cbranch_execz .LBB43_294
; %bb.269:                              ;   in Loop: Header=BB43_6 Depth=1
	ds_read_b32 v1, v14 offset:4096
	s_waitcnt lgkmcnt(0)
	s_barrier
	v_readfirstlane_b32 s49, v1
	s_mov_b64 s[2:3], exec
	v_readlane_b32 s8, v46, 20
	v_readlane_b32 s9, v46, 21
	s_and_b64 s[8:9], s[2:3], s[8:9]
	s_mov_b64 exec, s[8:9]
; %bb.270:                              ;   in Loop: Header=BB43_6 Depth=1
	v_mov_b32_e32 v13, v14
	ds_write_b64 v31, v[13:14]
; %bb.271:                              ;   in Loop: Header=BB43_6 Depth=1
	s_or_b64 exec, exec, s[2:3]
	s_lshl_b64 s[2:3], 2, s11
	v_and_b32_e32 v1, s27, v18
	v_and_b32_e32 v2, s26, v17
	v_or_b32_e32 v18, s3, v1
	v_or_b32_e32 v17, s2, v2
	;; [unrolled: 1-line block ×4, first 2 shown]
	s_mov_b64 s[80:81], -1
	s_mov_b64 s[82:83], 0
	s_cmp_eq_u32 s49, 0
	s_mov_b64 s[36:37], 0
	s_mov_b64 s[2:3], -1
	s_waitcnt lgkmcnt(0)
	s_barrier
                                        ; implicit-def: $vgpr3_vgpr4
	s_cbranch_scc1 .LBB43_282
; %bb.272:                              ;   in Loop: Header=BB43_6 Depth=1
	s_add_i32 s2, s49, s4
	v_readlane_b32 s3, v46, 33
	s_mul_hi_u32 s3, s2, s3
	s_mul_i32 s3, s3, s44
	s_sub_i32 s3, s2, s3
	s_sub_i32 s8, s3, s44
	s_cmp_ge_u32 s3, s44
	s_cselect_b32 s3, s8, s3
	s_sub_i32 s8, s3, s44
	s_cmp_ge_u32 s3, s44
	s_cselect_b32 s3, s8, s3
	s_sub_i32 s50, s2, s3
	v_cmp_gt_u32_e32 vcc, s50, v0
	s_mov_b64 s[2:3], 0
                                        ; implicit-def: $vgpr3_vgpr4
	s_and_saveexec_b64 s[46:47], vcc
	s_cbranch_execz .LBB43_281
; %bb.273:                              ;   in Loop: Header=BB43_6 Depth=1
	s_mov_b64 s[16:17], 0
	v_mov_b32_e32 v9, v30
	v_mov_b32_e32 v13, v0
                                        ; implicit-def: $sgpr36_sgpr37
	s_branch .LBB43_276
.LBB43_274:                             ;   in Loop: Header=BB43_276 Depth=2
	s_or_b64 exec, exec, s[8:9]
	s_waitcnt lgkmcnt(0)
	s_barrier
	ds_read_b128 v[1:4], v14 offset:3072
	s_mov_b64 s[8:9], -1
	s_mov_b64 s[42:43], -1
	s_waitcnt lgkmcnt(0)
	s_barrier
	v_cmp_ne_u64_e32 vcc, 0, v[1:2]
	s_cbranch_vccz .LBB43_279
.LBB43_275:                             ;   in Loop: Header=BB43_276 Depth=2
	s_and_b64 s[8:9], exec, s[8:9]
	s_or_b64 s[16:17], s[8:9], s[16:17]
	s_andn2_b64 s[8:9], s[36:37], exec
	s_and_b64 s[36:37], s[42:43], exec
	s_or_b64 s[36:37], s[8:9], s[36:37]
	s_andn2_b64 exec, exec, s[16:17]
	s_cbranch_execz .LBB43_280
.LBB43_276:                             ;   Parent Loop BB43_6 Depth=1
                                        ; =>  This Inner Loop Header: Depth=2
	v_cmp_gt_u32_e32 vcc, s49, v13
	s_and_saveexec_b64 s[8:9], vcc
	s_cbranch_execz .LBB43_274
; %bb.277:                              ;   in Loop: Header=BB43_276 Depth=2
	ds_read_b64 v[7:8], v9
	s_waitcnt lgkmcnt(0)
	v_xor_b32_e32 v1, 0x80000000, v8
	v_and_b32_e32 v2, v1, v20
	v_and_b32_e32 v1, v7, v19
	v_cmp_eq_u64_e32 vcc, v[1:2], v[17:18]
	s_and_b64 exec, exec, vcc
	s_cbranch_execz .LBB43_274
; %bb.278:                              ;   in Loop: Header=BB43_276 Depth=2
	v_mov_b32_e32 v6, v14
	ds_write_b128 v14, v[5:8] offset:3072
	s_branch .LBB43_274
.LBB43_279:                             ;   in Loop: Header=BB43_276 Depth=2
	v_add_u32_e32 v13, s44, v13
	v_cmp_le_u32_e32 vcc, s50, v13
	v_add_u32_e32 v9, s10, v9
	s_mov_b64 s[42:43], 0
	s_orn2_b64 s[8:9], vcc, exec
	s_branch .LBB43_275
.LBB43_280:                             ;   in Loop: Header=BB43_6 Depth=1
	s_or_b64 exec, exec, s[16:17]
	s_and_b64 s[36:37], s[36:37], exec
.LBB43_281:                             ;   in Loop: Header=BB43_6 Depth=1
	s_or_b64 exec, exec, s[46:47]
.LBB43_282:                             ;   in Loop: Header=BB43_6 Depth=1
	s_and_b64 vcc, exec, s[2:3]
	s_cbranch_vccz .LBB43_293
; %bb.283:                              ;   in Loop: Header=BB43_6 Depth=1
                                        ; implicit-def: $vgpr3_vgpr4
	s_mov_b64 s[2:3], exec
	v_readlane_b32 s8, v46, 34
	v_readlane_b32 s9, v46, 35
	s_and_b64 s[8:9], s[2:3], s[8:9]
	s_mov_b64 exec, s[8:9]
	s_cbranch_execz .LBB43_292
; %bb.284:                              ;   in Loop: Header=BB43_6 Depth=1
	s_mov_b64 s[16:17], 0
	v_mov_b32_e32 v13, v12
	v_mov_b32_e32 v9, v0
                                        ; implicit-def: $sgpr46_sgpr47
	s_branch .LBB43_287
.LBB43_285:                             ;   in Loop: Header=BB43_287 Depth=2
	s_or_b64 exec, exec, s[8:9]
	s_waitcnt lgkmcnt(0)
	s_barrier
	ds_read_b128 v[1:4], v14 offset:3072
	s_mov_b64 s[8:9], -1
	s_mov_b64 s[42:43], -1
	s_waitcnt lgkmcnt(0)
	s_barrier
	v_cmp_eq_u64_e32 vcc, 0, v[1:2]
	s_cbranch_vccnz .LBB43_290
.LBB43_286:                             ;   in Loop: Header=BB43_287 Depth=2
	s_and_b64 s[8:9], exec, s[8:9]
	s_or_b64 s[16:17], s[8:9], s[16:17]
	s_andn2_b64 s[8:9], s[46:47], exec
	s_and_b64 s[42:43], s[42:43], exec
	s_or_b64 s[46:47], s[8:9], s[42:43]
	s_andn2_b64 exec, exec, s[16:17]
	s_cbranch_execz .LBB43_291
.LBB43_287:                             ;   Parent Loop BB43_6 Depth=1
                                        ; =>  This Inner Loop Header: Depth=2
	v_cmp_gt_u32_e32 vcc, s28, v9
	s_and_saveexec_b64 s[8:9], vcc
	s_cbranch_execz .LBB43_285
; %bb.288:                              ;   in Loop: Header=BB43_287 Depth=2
	v_lshlrev_b64 v[1:2], 3, v[13:14]
	v_mov_b32_e32 v3, s38
	v_add_co_u32_e32 v1, vcc, s33, v1
	v_addc_co_u32_e32 v2, vcc, v3, v2, vcc
	global_load_dwordx2 v[7:8], v[1:2], off
	s_waitcnt vmcnt(0)
	v_xor_b32_e32 v1, 0x80000000, v8
	v_and_b32_e32 v2, v1, v20
	v_and_b32_e32 v1, v7, v19
	v_cmp_eq_u64_e32 vcc, v[1:2], v[17:18]
	s_and_b64 exec, exec, vcc
	s_cbranch_execz .LBB43_285
; %bb.289:                              ;   in Loop: Header=BB43_287 Depth=2
	v_mov_b32_e32 v6, v14
	ds_write_b128 v14, v[5:8] offset:3072
	s_branch .LBB43_285
.LBB43_290:                             ;   in Loop: Header=BB43_287 Depth=2
	v_add_u32_e32 v9, s44, v9
	v_cmp_le_u32_e32 vcc, s14, v9
	v_add_u32_e32 v13, s45, v13
	s_mov_b64 s[42:43], 0
	s_orn2_b64 s[8:9], vcc, exec
	s_branch .LBB43_286
.LBB43_291:                             ;   in Loop: Header=BB43_6 Depth=1
	s_or_b64 exec, exec, s[16:17]
	s_andn2_b64 s[8:9], s[36:37], exec
	s_and_b64 s[16:17], s[46:47], exec
	s_or_b64 s[36:37], s[8:9], s[16:17]
.LBB43_292:                             ;   in Loop: Header=BB43_6 Depth=1
	s_or_b64 exec, exec, s[2:3]
	s_mov_b64 s[80:81], 0
	s_mov_b64 s[82:83], -1
.LBB43_293:                             ;   in Loop: Header=BB43_6 Depth=1
	s_orn2_b64 s[2:3], s[36:37], exec
.LBB43_294:                             ;   in Loop: Header=BB43_6 Depth=1
	s_or_b64 exec, exec, s[24:25]
	s_mov_b64 s[8:9], 0
	s_and_saveexec_b64 s[84:85], s[2:3]
	s_cbranch_execz .LBB43_383
; %bb.295:                              ;   in Loop: Header=BB43_6 Depth=1
	s_xor_b64 s[2:3], s[34:35], -1
	v_mov_b32_e32 v9, 1
	v_mov_b32_e32 v23, 1
	s_and_saveexec_b64 s[24:25], s[2:3]
	s_cbranch_execz .LBB43_304
; %bb.296:                              ;   in Loop: Header=BB43_6 Depth=1
	v_cmp_ge_u32_e32 vcc, s48, v24
	s_and_saveexec_b64 s[2:3], vcc
	s_xor_b64 s[2:3], exec, s[2:3]
	s_cbranch_execz .LBB43_301
; %bb.297:                              ;   in Loop: Header=BB43_6 Depth=1
	s_lshl_b64 s[8:9], 2, s11
	v_and_b32_e32 v1, s27, v18
	v_or_b32_e32 v18, s9, v1
	ds_read_b32 v1, v14 offset:4096
	v_and_b32_e32 v2, s26, v17
	v_or_b32_e32 v17, s8, v2
	v_or_b32_e32 v20, s23, v20
	;; [unrolled: 1-line block ×3, first 2 shown]
	s_waitcnt lgkmcnt(0)
	v_cmp_ne_u32_e32 vcc, 0, v1
	s_cbranch_vccnz .LBB43_301
; %bb.298:                              ;   in Loop: Header=BB43_6 Depth=1
	s_mov_b64 s[8:9], exec
	v_readlane_b32 s16, v46, 5
	v_readlane_b32 s17, v46, 6
	s_and_b64 s[16:17], s[8:9], s[16:17]
	s_mov_b64 exec, s[16:17]
; %bb.299:                              ;   in Loop: Header=BB43_6 Depth=1
	v_mov_b32_e32 v1, s48
	ds_write_b32 v14, v1 offset:4100
; %bb.300:                              ;   in Loop: Header=BB43_6 Depth=1
	s_or_b64 exec, exec, s[8:9]
	s_waitcnt lgkmcnt(0)
	s_barrier
.LBB43_301:                             ;   in Loop: Header=BB43_6 Depth=1
	s_or_saveexec_b64 s[2:3], s[2:3]
	s_mov_b64 s[8:9], 0
	v_mov_b32_e32 v23, 5
	s_xor_b64 exec, exec, s[2:3]
; %bb.302:                              ;   in Loop: Header=BB43_6 Depth=1
	v_subrev_u32_e32 v24, s48, v24
	v_mov_b32_e32 v23, 0
	s_mov_b64 s[8:9], exec
; %bb.303:                              ;   in Loop: Header=BB43_6 Depth=1
	s_or_b64 exec, exec, s[2:3]
	s_and_b64 s[8:9], s[8:9], exec
	v_mov_b32_e32 v9, v24
.LBB43_304:                             ;   in Loop: Header=BB43_6 Depth=1
	s_or_b64 exec, exec, s[24:25]
	s_mov_b64 s[2:3], -1
                                        ; implicit-def: $sgpr88_sgpr89
                                        ; implicit-def: $sgpr50_sgpr51
	s_and_saveexec_b64 s[86:87], s[8:9]
	s_cbranch_execz .LBB43_382
; %bb.305:                              ;   in Loop: Header=BB43_6 Depth=1
	s_cmp_eq_u32 s91, 1
	s_cselect_b64 s[2:3], -1, 0
	v_cmp_eq_u32_e32 vcc, 1, v9
	s_and_b64 s[34:35], s[2:3], vcc
	s_mov_b64 s[2:3], -1
                                        ; implicit-def: $sgpr50_sgpr51
                                        ; implicit-def: $sgpr88_sgpr89
	s_and_saveexec_b64 s[24:25], s[34:35]
	s_cbranch_execz .LBB43_331
; %bb.306:                              ;   in Loop: Header=BB43_6 Depth=1
	ds_read_b32 v1, v14 offset:4096
	s_waitcnt lgkmcnt(0)
	s_barrier
	v_readfirstlane_b32 s48, v1
	s_mov_b64 s[2:3], exec
	v_readlane_b32 s8, v46, 20
	v_readlane_b32 s9, v46, 21
	s_and_b64 s[8:9], s[2:3], s[8:9]
	s_mov_b64 exec, s[8:9]
; %bb.307:                              ;   in Loop: Header=BB43_6 Depth=1
	v_mov_b32_e32 v13, v14
	ds_write_b64 v31, v[13:14]
; %bb.308:                              ;   in Loop: Header=BB43_6 Depth=1
	s_or_b64 exec, exec, s[2:3]
	s_lshl_b64 s[2:3], 1, s11
	v_and_b32_e32 v1, s27, v18
	v_and_b32_e32 v2, s26, v17
	v_or_b32_e32 v18, s3, v1
	v_or_b32_e32 v17, s2, v2
	v_or_b32_e32 v20, s23, v20
	v_or_b32_e32 v19, s22, v19
	s_mov_b64 s[88:89], -1
	s_mov_b64 s[50:51], 0
	s_cmp_eq_u32 s48, 0
	s_mov_b64 s[36:37], 0
	s_mov_b64 s[2:3], -1
	s_waitcnt lgkmcnt(0)
	s_barrier
                                        ; implicit-def: $vgpr3_vgpr4
	s_cbranch_scc1 .LBB43_319
; %bb.309:                              ;   in Loop: Header=BB43_6 Depth=1
	s_add_i32 s2, s48, s4
	v_readlane_b32 s3, v46, 33
	s_mul_hi_u32 s3, s2, s3
	s_mul_i32 s3, s3, s44
	s_sub_i32 s3, s2, s3
	s_sub_i32 s8, s3, s44
	s_cmp_ge_u32 s3, s44
	s_cselect_b32 s3, s8, s3
	s_sub_i32 s8, s3, s44
	s_cmp_ge_u32 s3, s44
	s_cselect_b32 s3, s8, s3
	s_sub_i32 s49, s2, s3
	v_cmp_gt_u32_e32 vcc, s49, v0
	s_mov_b64 s[2:3], 0
                                        ; implicit-def: $vgpr3_vgpr4
	s_and_saveexec_b64 s[46:47], vcc
	s_cbranch_execz .LBB43_318
; %bb.310:                              ;   in Loop: Header=BB43_6 Depth=1
	s_mov_b64 s[16:17], 0
	v_mov_b32_e32 v13, v30
	v_mov_b32_e32 v21, v0
                                        ; implicit-def: $sgpr36_sgpr37
	s_branch .LBB43_313
.LBB43_311:                             ;   in Loop: Header=BB43_313 Depth=2
	s_or_b64 exec, exec, s[8:9]
	s_waitcnt lgkmcnt(0)
	s_barrier
	ds_read_b128 v[1:4], v14 offset:3072
	s_mov_b64 s[8:9], -1
	s_mov_b64 s[42:43], -1
	s_waitcnt lgkmcnt(0)
	s_barrier
	v_cmp_ne_u64_e32 vcc, 0, v[1:2]
	s_cbranch_vccz .LBB43_316
.LBB43_312:                             ;   in Loop: Header=BB43_313 Depth=2
	s_and_b64 s[8:9], exec, s[8:9]
	s_or_b64 s[16:17], s[8:9], s[16:17]
	s_andn2_b64 s[8:9], s[36:37], exec
	s_and_b64 s[36:37], s[42:43], exec
	s_or_b64 s[36:37], s[8:9], s[36:37]
	s_andn2_b64 exec, exec, s[16:17]
	s_cbranch_execz .LBB43_317
.LBB43_313:                             ;   Parent Loop BB43_6 Depth=1
                                        ; =>  This Inner Loop Header: Depth=2
	v_cmp_gt_u32_e32 vcc, s48, v21
	s_and_saveexec_b64 s[8:9], vcc
	s_cbranch_execz .LBB43_311
; %bb.314:                              ;   in Loop: Header=BB43_313 Depth=2
	ds_read_b64 v[7:8], v13
	s_waitcnt lgkmcnt(0)
	v_xor_b32_e32 v1, 0x80000000, v8
	v_and_b32_e32 v2, v1, v20
	v_and_b32_e32 v1, v7, v19
	v_cmp_eq_u64_e32 vcc, v[1:2], v[17:18]
	s_and_b64 exec, exec, vcc
	s_cbranch_execz .LBB43_311
; %bb.315:                              ;   in Loop: Header=BB43_313 Depth=2
	v_mov_b32_e32 v6, v14
	ds_write_b128 v14, v[5:8] offset:3072
	s_branch .LBB43_311
.LBB43_316:                             ;   in Loop: Header=BB43_313 Depth=2
	v_add_u32_e32 v21, s44, v21
	v_cmp_le_u32_e32 vcc, s49, v21
	v_add_u32_e32 v13, s10, v13
	s_mov_b64 s[42:43], 0
	s_orn2_b64 s[8:9], vcc, exec
	s_branch .LBB43_312
.LBB43_317:                             ;   in Loop: Header=BB43_6 Depth=1
	s_or_b64 exec, exec, s[16:17]
	s_and_b64 s[36:37], s[36:37], exec
.LBB43_318:                             ;   in Loop: Header=BB43_6 Depth=1
	s_or_b64 exec, exec, s[46:47]
.LBB43_319:                             ;   in Loop: Header=BB43_6 Depth=1
	s_and_b64 vcc, exec, s[2:3]
	s_cbranch_vccz .LBB43_330
; %bb.320:                              ;   in Loop: Header=BB43_6 Depth=1
                                        ; implicit-def: $vgpr3_vgpr4
	s_mov_b64 s[2:3], exec
	v_readlane_b32 s8, v46, 34
	v_readlane_b32 s9, v46, 35
	s_and_b64 s[8:9], s[2:3], s[8:9]
	s_mov_b64 exec, s[8:9]
	s_cbranch_execz .LBB43_329
; %bb.321:                              ;   in Loop: Header=BB43_6 Depth=1
	s_mov_b64 s[16:17], 0
	v_mov_b32_e32 v13, v12
	v_mov_b32_e32 v21, v0
                                        ; implicit-def: $sgpr46_sgpr47
	s_branch .LBB43_324
.LBB43_322:                             ;   in Loop: Header=BB43_324 Depth=2
	s_or_b64 exec, exec, s[8:9]
	s_waitcnt lgkmcnt(0)
	s_barrier
	ds_read_b128 v[1:4], v14 offset:3072
	s_mov_b64 s[8:9], -1
	s_mov_b64 s[42:43], -1
	s_waitcnt lgkmcnt(0)
	s_barrier
	v_cmp_eq_u64_e32 vcc, 0, v[1:2]
	s_cbranch_vccnz .LBB43_327
.LBB43_323:                             ;   in Loop: Header=BB43_324 Depth=2
	s_and_b64 s[8:9], exec, s[8:9]
	s_or_b64 s[16:17], s[8:9], s[16:17]
	s_andn2_b64 s[8:9], s[46:47], exec
	s_and_b64 s[42:43], s[42:43], exec
	s_or_b64 s[46:47], s[8:9], s[42:43]
	s_andn2_b64 exec, exec, s[16:17]
	s_cbranch_execz .LBB43_328
.LBB43_324:                             ;   Parent Loop BB43_6 Depth=1
                                        ; =>  This Inner Loop Header: Depth=2
	v_cmp_gt_u32_e32 vcc, s28, v21
	s_and_saveexec_b64 s[8:9], vcc
	s_cbranch_execz .LBB43_322
; %bb.325:                              ;   in Loop: Header=BB43_324 Depth=2
	v_lshlrev_b64 v[1:2], 3, v[13:14]
	v_mov_b32_e32 v3, s38
	v_add_co_u32_e32 v1, vcc, s33, v1
	v_addc_co_u32_e32 v2, vcc, v3, v2, vcc
	global_load_dwordx2 v[7:8], v[1:2], off
	s_waitcnt vmcnt(0)
	v_xor_b32_e32 v1, 0x80000000, v8
	v_and_b32_e32 v2, v1, v20
	v_and_b32_e32 v1, v7, v19
	v_cmp_eq_u64_e32 vcc, v[1:2], v[17:18]
	s_and_b64 exec, exec, vcc
	s_cbranch_execz .LBB43_322
; %bb.326:                              ;   in Loop: Header=BB43_324 Depth=2
	v_mov_b32_e32 v6, v14
	ds_write_b128 v14, v[5:8] offset:3072
	s_branch .LBB43_322
.LBB43_327:                             ;   in Loop: Header=BB43_324 Depth=2
	v_add_u32_e32 v21, s44, v21
	v_cmp_le_u32_e32 vcc, s14, v21
	v_add_u32_e32 v13, s45, v13
	s_mov_b64 s[42:43], 0
	s_orn2_b64 s[8:9], vcc, exec
	s_branch .LBB43_323
.LBB43_328:                             ;   in Loop: Header=BB43_6 Depth=1
	s_or_b64 exec, exec, s[16:17]
	s_andn2_b64 s[8:9], s[36:37], exec
	s_and_b64 s[16:17], s[46:47], exec
	s_or_b64 s[36:37], s[8:9], s[16:17]
.LBB43_329:                             ;   in Loop: Header=BB43_6 Depth=1
	s_or_b64 exec, exec, s[2:3]
	s_mov_b64 s[88:89], 0
	s_mov_b64 s[50:51], -1
.LBB43_330:                             ;   in Loop: Header=BB43_6 Depth=1
	s_orn2_b64 s[2:3], s[36:37], exec
.LBB43_331:                             ;   in Loop: Header=BB43_6 Depth=1
	s_or_b64 exec, exec, s[24:25]
	s_mov_b64 s[8:9], 0
	s_and_saveexec_b64 s[92:93], s[2:3]
	s_cbranch_execz .LBB43_381
; %bb.332:                              ;   in Loop: Header=BB43_6 Depth=1
	s_xor_b64 s[2:3], s[34:35], -1
	v_mov_b32_e32 v21, 1
	v_mov_b32_e32 v23, 1
	s_and_saveexec_b64 s[24:25], s[2:3]
	s_cbranch_execz .LBB43_341
; %bb.333:                              ;   in Loop: Header=BB43_6 Depth=1
	v_cmp_ge_u32_e32 vcc, s91, v9
	s_and_saveexec_b64 s[2:3], vcc
	s_xor_b64 s[2:3], exec, s[2:3]
	s_cbranch_execz .LBB43_338
; %bb.334:                              ;   in Loop: Header=BB43_6 Depth=1
	s_lshl_b64 s[8:9], 1, s11
	v_and_b32_e32 v1, s27, v18
	v_or_b32_e32 v18, s9, v1
	ds_read_b32 v1, v14 offset:4096
	v_and_b32_e32 v2, s26, v17
	v_or_b32_e32 v17, s8, v2
	v_or_b32_e32 v20, s23, v20
	;; [unrolled: 1-line block ×3, first 2 shown]
	s_waitcnt lgkmcnt(0)
	v_cmp_ne_u32_e32 vcc, 0, v1
	s_cbranch_vccnz .LBB43_338
; %bb.335:                              ;   in Loop: Header=BB43_6 Depth=1
	s_mov_b64 s[8:9], exec
	v_readlane_b32 s16, v46, 5
	v_readlane_b32 s17, v46, 6
	s_and_b64 s[16:17], s[8:9], s[16:17]
	s_mov_b64 exec, s[16:17]
; %bb.336:                              ;   in Loop: Header=BB43_6 Depth=1
	v_mov_b32_e32 v1, s91
	ds_write_b32 v14, v1 offset:4100
; %bb.337:                              ;   in Loop: Header=BB43_6 Depth=1
	s_or_b64 exec, exec, s[8:9]
	s_waitcnt lgkmcnt(0)
	s_barrier
.LBB43_338:                             ;   in Loop: Header=BB43_6 Depth=1
	s_or_saveexec_b64 s[2:3], s[2:3]
	s_mov_b64 s[8:9], 0
	v_mov_b32_e32 v23, 5
	s_xor_b64 exec, exec, s[2:3]
; %bb.339:                              ;   in Loop: Header=BB43_6 Depth=1
	v_subrev_u32_e32 v9, s91, v9
	v_mov_b32_e32 v23, 0
	s_mov_b64 s[8:9], exec
; %bb.340:                              ;   in Loop: Header=BB43_6 Depth=1
	s_or_b64 exec, exec, s[2:3]
	s_and_b64 s[8:9], s[8:9], exec
	v_mov_b32_e32 v21, v9
.LBB43_341:                             ;   in Loop: Header=BB43_6 Depth=1
	s_or_b64 exec, exec, s[24:25]
	s_mov_b64 s[2:3], -1
                                        ; implicit-def: $sgpr24_sgpr25
                                        ; implicit-def: $sgpr36_sgpr37
	s_and_saveexec_b64 s[94:95], s[8:9]
	s_cbranch_execz .LBB43_380
; %bb.342:                              ;   in Loop: Header=BB43_6 Depth=1
	s_cmp_eq_u32 s90, 1
	s_cselect_b64 s[2:3], -1, 0
	v_cmp_eq_u32_e32 vcc, 1, v21
	s_and_b64 s[42:43], s[2:3], vcc
	s_mov_b64 s[8:9], -1
                                        ; implicit-def: $sgpr24_sgpr25
                                        ; implicit-def: $sgpr36_sgpr37
	s_and_saveexec_b64 s[46:47], s[42:43]
	s_cbranch_execz .LBB43_368
; %bb.343:                              ;   in Loop: Header=BB43_6 Depth=1
	ds_read_b32 v1, v14 offset:4096
	s_waitcnt lgkmcnt(0)
	s_barrier
	v_readfirstlane_b32 s91, v1
	s_mov_b64 s[2:3], exec
	v_readlane_b32 s8, v46, 20
	v_readlane_b32 s9, v46, 21
	s_and_b64 s[8:9], s[2:3], s[8:9]
	s_mov_b64 exec, s[8:9]
; %bb.344:                              ;   in Loop: Header=BB43_6 Depth=1
	v_mov_b32_e32 v13, v14
	ds_write_b64 v31, v[13:14]
; %bb.345:                              ;   in Loop: Header=BB43_6 Depth=1
	s_or_b64 exec, exec, s[2:3]
	v_and_b32_e32 v18, s27, v18
	v_and_b32_e32 v17, s26, v17
	v_or_b32_e32 v20, s23, v20
	v_or_b32_e32 v19, s22, v19
	s_mov_b64 s[36:37], -1
	s_mov_b64 s[24:25], 0
	s_cmp_eq_u32 s91, 0
	s_mov_b64 s[48:49], 0
	s_mov_b64 s[2:3], -1
	s_waitcnt lgkmcnt(0)
	s_barrier
                                        ; implicit-def: $vgpr3_vgpr4
	s_cbranch_scc1 .LBB43_356
; %bb.346:                              ;   in Loop: Header=BB43_6 Depth=1
	s_add_i32 s2, s91, s4
	v_readlane_b32 s3, v46, 33
	s_mul_hi_u32 s3, s2, s3
	s_mul_i32 s3, s3, s44
	s_sub_i32 s3, s2, s3
	s_sub_i32 s8, s3, s44
	s_cmp_ge_u32 s3, s44
	s_cselect_b32 s3, s8, s3
	s_sub_i32 s8, s3, s44
	s_cmp_ge_u32 s3, s44
	s_cselect_b32 s3, s8, s3
	s_sub_i32 s34, s2, s3
	s_mov_b64 s[2:3], 0
	v_cmp_gt_u32_e32 vcc, s34, v0
                                        ; implicit-def: $vgpr3_vgpr4
	s_mov_b64 s[8:9], exec
	v_writelane_b32 v46, s8, 36
	v_writelane_b32 v46, s9, 37
	s_and_b64 s[8:9], s[8:9], vcc
	s_mov_b64 exec, s[8:9]
	s_cbranch_execz .LBB43_355
; %bb.347:                              ;   in Loop: Header=BB43_6 Depth=1
	v_writelane_b32 v46, s42, 38
	s_mov_b64 s[16:17], 0
	v_mov_b32_e32 v9, v30
	v_mov_b32_e32 v13, v0
	v_writelane_b32 v46, s43, 39
                                        ; implicit-def: $sgpr48_sgpr49
	s_branch .LBB43_350
.LBB43_348:                             ;   in Loop: Header=BB43_350 Depth=2
	s_or_b64 exec, exec, s[8:9]
	s_waitcnt lgkmcnt(0)
	s_barrier
	ds_read_b128 v[1:4], v14 offset:3072
	s_mov_b64 s[8:9], -1
	s_mov_b64 s[42:43], -1
	s_waitcnt lgkmcnt(0)
	s_barrier
	v_cmp_ne_u64_e32 vcc, 0, v[1:2]
	s_cbranch_vccz .LBB43_353
.LBB43_349:                             ;   in Loop: Header=BB43_350 Depth=2
	s_and_b64 s[8:9], exec, s[8:9]
	s_or_b64 s[16:17], s[8:9], s[16:17]
	s_andn2_b64 s[8:9], s[48:49], exec
	s_and_b64 s[42:43], s[42:43], exec
	s_or_b64 s[48:49], s[8:9], s[42:43]
	s_andn2_b64 exec, exec, s[16:17]
	s_cbranch_execz .LBB43_354
.LBB43_350:                             ;   Parent Loop BB43_6 Depth=1
                                        ; =>  This Inner Loop Header: Depth=2
	v_cmp_gt_u32_e32 vcc, s91, v13
	s_and_saveexec_b64 s[8:9], vcc
	s_cbranch_execz .LBB43_348
; %bb.351:                              ;   in Loop: Header=BB43_350 Depth=2
	ds_read_b64 v[7:8], v9
	s_waitcnt lgkmcnt(0)
	v_xor_b32_e32 v1, 0x80000000, v8
	v_and_b32_e32 v2, v1, v20
	v_and_b32_e32 v1, v7, v19
	v_cmp_eq_u64_e32 vcc, v[1:2], v[17:18]
	s_and_b64 exec, exec, vcc
	s_cbranch_execz .LBB43_348
; %bb.352:                              ;   in Loop: Header=BB43_350 Depth=2
	v_mov_b32_e32 v6, v14
	ds_write_b128 v14, v[5:8] offset:3072
	s_branch .LBB43_348
.LBB43_353:                             ;   in Loop: Header=BB43_350 Depth=2
	v_add_u32_e32 v13, s44, v13
	v_cmp_le_u32_e32 vcc, s34, v13
	v_add_u32_e32 v9, s10, v9
	s_mov_b64 s[42:43], 0
	s_orn2_b64 s[8:9], vcc, exec
	s_branch .LBB43_349
.LBB43_354:                             ;   in Loop: Header=BB43_6 Depth=1
	s_or_b64 exec, exec, s[16:17]
	v_readlane_b32 s42, v46, 38
	s_and_b64 s[48:49], s[48:49], exec
	v_readlane_b32 s43, v46, 39
.LBB43_355:                             ;   in Loop: Header=BB43_6 Depth=1
	v_readlane_b32 s8, v46, 36
	v_readlane_b32 s9, v46, 37
	s_or_b64 exec, exec, s[8:9]
.LBB43_356:                             ;   in Loop: Header=BB43_6 Depth=1
	s_and_b64 vcc, exec, s[2:3]
	s_cbranch_vccz .LBB43_367
; %bb.357:                              ;   in Loop: Header=BB43_6 Depth=1
                                        ; implicit-def: $vgpr3_vgpr4
	s_mov_b64 s[2:3], exec
	v_readlane_b32 s8, v46, 34
	v_readlane_b32 s9, v46, 35
	s_and_b64 s[8:9], s[2:3], s[8:9]
	s_mov_b64 exec, s[8:9]
	s_cbranch_execz .LBB43_366
; %bb.358:                              ;   in Loop: Header=BB43_6 Depth=1
	s_mov_b64 s[16:17], 0
	v_mov_b32_e32 v13, v12
	v_mov_b32_e32 v9, v0
                                        ; implicit-def: $sgpr24_sgpr25
	s_branch .LBB43_361
.LBB43_359:                             ;   in Loop: Header=BB43_361 Depth=2
	s_or_b64 exec, exec, s[8:9]
	s_waitcnt lgkmcnt(0)
	s_barrier
	ds_read_b128 v[1:4], v14 offset:3072
	s_mov_b64 s[8:9], -1
	s_mov_b64 s[36:37], -1
	s_waitcnt lgkmcnt(0)
	s_barrier
	v_cmp_eq_u64_e32 vcc, 0, v[1:2]
	s_cbranch_vccnz .LBB43_364
.LBB43_360:                             ;   in Loop: Header=BB43_361 Depth=2
	s_and_b64 s[8:9], exec, s[8:9]
	s_or_b64 s[16:17], s[8:9], s[16:17]
	s_andn2_b64 s[8:9], s[24:25], exec
	s_and_b64 s[24:25], s[36:37], exec
	s_or_b64 s[24:25], s[8:9], s[24:25]
	s_andn2_b64 exec, exec, s[16:17]
	s_cbranch_execz .LBB43_365
.LBB43_361:                             ;   Parent Loop BB43_6 Depth=1
                                        ; =>  This Inner Loop Header: Depth=2
	v_cmp_gt_u32_e32 vcc, s28, v9
	s_and_saveexec_b64 s[8:9], vcc
	s_cbranch_execz .LBB43_359
; %bb.362:                              ;   in Loop: Header=BB43_361 Depth=2
	v_lshlrev_b64 v[1:2], 3, v[13:14]
	v_mov_b32_e32 v3, s38
	v_add_co_u32_e32 v1, vcc, s33, v1
	v_addc_co_u32_e32 v2, vcc, v3, v2, vcc
	global_load_dwordx2 v[7:8], v[1:2], off
	s_waitcnt vmcnt(0)
	v_xor_b32_e32 v1, 0x80000000, v8
	v_and_b32_e32 v2, v1, v20
	v_and_b32_e32 v1, v7, v19
	v_cmp_eq_u64_e32 vcc, v[1:2], v[17:18]
	s_and_b64 exec, exec, vcc
	s_cbranch_execz .LBB43_359
; %bb.363:                              ;   in Loop: Header=BB43_361 Depth=2
	v_mov_b32_e32 v6, v14
	ds_write_b128 v14, v[5:8] offset:3072
	s_branch .LBB43_359
.LBB43_364:                             ;   in Loop: Header=BB43_361 Depth=2
	v_add_u32_e32 v9, s44, v9
	v_cmp_le_u32_e32 vcc, s14, v9
	v_add_u32_e32 v13, s45, v13
	s_mov_b64 s[36:37], 0
	s_orn2_b64 s[8:9], vcc, exec
	s_branch .LBB43_360
.LBB43_365:                             ;   in Loop: Header=BB43_6 Depth=1
	s_or_b64 exec, exec, s[16:17]
	s_andn2_b64 s[8:9], s[48:49], exec
	s_and_b64 s[16:17], s[24:25], exec
	s_or_b64 s[48:49], s[8:9], s[16:17]
.LBB43_366:                             ;   in Loop: Header=BB43_6 Depth=1
	s_or_b64 exec, exec, s[2:3]
	s_mov_b64 s[36:37], 0
	s_mov_b64 s[24:25], -1
.LBB43_367:                             ;   in Loop: Header=BB43_6 Depth=1
	s_orn2_b64 s[8:9], s[48:49], exec
.LBB43_368:                             ;   in Loop: Header=BB43_6 Depth=1
	s_or_b64 exec, exec, s[46:47]
	s_mov_b64 s[16:17], 0
	s_and_saveexec_b64 s[2:3], s[8:9]
	s_cbranch_execz .LBB43_379
; %bb.369:                              ;   in Loop: Header=BB43_6 Depth=1
	s_xor_b64 s[8:9], s[42:43], -1
	v_mov_b32_e32 v23, 1
	v_mov_b32_e32 v1, 1
	s_and_saveexec_b64 s[16:17], s[8:9]
	s_cbranch_execz .LBB43_378
; %bb.370:                              ;   in Loop: Header=BB43_6 Depth=1
	v_cmp_ge_u32_e32 vcc, s90, v21
	s_and_saveexec_b64 s[8:9], vcc
	s_xor_b64 s[8:9], exec, s[8:9]
	s_cbranch_execz .LBB43_375
; %bb.371:                              ;   in Loop: Header=BB43_6 Depth=1
	ds_read_b32 v1, v14 offset:4096
	v_and_b32_e32 v18, s27, v18
	v_and_b32_e32 v17, s26, v17
	v_or_b32_e32 v20, s23, v20
	v_or_b32_e32 v19, s22, v19
	s_waitcnt lgkmcnt(0)
	v_cmp_ne_u32_e32 vcc, 0, v1
	s_cbranch_vccnz .LBB43_375
; %bb.372:                              ;   in Loop: Header=BB43_6 Depth=1
	s_mov_b64 s[22:23], exec
	v_readlane_b32 s26, v46, 5
	v_readlane_b32 s27, v46, 6
	s_and_b64 s[26:27], s[22:23], s[26:27]
	s_mov_b64 exec, s[26:27]
; %bb.373:                              ;   in Loop: Header=BB43_6 Depth=1
	v_mov_b32_e32 v1, s90
	ds_write_b32 v14, v1 offset:4100
; %bb.374:                              ;   in Loop: Header=BB43_6 Depth=1
	s_or_b64 exec, exec, s[22:23]
	s_waitcnt lgkmcnt(0)
	s_barrier
.LBB43_375:                             ;   in Loop: Header=BB43_6 Depth=1
	s_andn2_saveexec_b64 s[8:9], s[8:9]
; %bb.376:                              ;   in Loop: Header=BB43_6 Depth=1
	v_subrev_u32_e32 v21, s90, v21
; %bb.377:                              ;   in Loop: Header=BB43_6 Depth=1
	s_or_b64 exec, exec, s[8:9]
	v_mov_b32_e32 v23, 5
	v_mov_b32_e32 v1, v21
.LBB43_378:                             ;   in Loop: Header=BB43_6 Depth=1
	s_or_b64 exec, exec, s[16:17]
	s_mov_b64 s[16:17], exec
	v_mov_b32_e32 v21, v1
.LBB43_379:                             ;   in Loop: Header=BB43_6 Depth=1
	s_or_b64 exec, exec, s[2:3]
	s_orn2_b64 s[2:3], s[16:17], exec
.LBB43_380:                             ;   in Loop: Header=BB43_6 Depth=1
	s_or_b64 exec, exec, s[94:95]
	s_andn2_b64 s[8:9], s[50:51], exec
	s_and_b64 s[16:17], s[24:25], exec
	s_or_b64 s[50:51], s[8:9], s[16:17]
	s_andn2_b64 s[8:9], s[88:89], exec
	s_and_b64 s[16:17], s[36:37], exec
	s_or_b64 s[88:89], s[8:9], s[16:17]
	s_and_b64 s[8:9], s[2:3], exec
	v_mov_b32_e32 v9, v21
.LBB43_381:                             ;   in Loop: Header=BB43_6 Depth=1
	s_or_b64 exec, exec, s[92:93]
	s_orn2_b64 s[2:3], s[8:9], exec
.LBB43_382:                             ;   in Loop: Header=BB43_6 Depth=1
	s_or_b64 exec, exec, s[86:87]
	s_andn2_b64 s[8:9], s[82:83], exec
	s_and_b64 s[16:17], s[50:51], exec
	s_or_b64 s[82:83], s[8:9], s[16:17]
	s_andn2_b64 s[8:9], s[80:81], exec
	s_and_b64 s[16:17], s[88:89], exec
	s_or_b64 s[80:81], s[8:9], s[16:17]
	s_and_b64 s[8:9], s[2:3], exec
	v_mov_b32_e32 v24, v9
.LBB43_383:                             ;   in Loop: Header=BB43_6 Depth=1
	s_or_b64 exec, exec, s[84:85]
	s_orn2_b64 s[2:3], s[8:9], exec
.LBB43_384:                             ;   in Loop: Header=BB43_6 Depth=1
	s_or_b64 exec, exec, s[6:7]
	s_mov_b64 s[6:7], s[76:77]
	s_mov_b64 s[8:9], s[74:75]
	s_and_saveexec_b64 s[16:17], s[2:3]
; %bb.385:                              ;   in Loop: Header=BB43_6 Depth=1
	v_cmp_ne_u32_e64 s[6:7], 5, v23
	v_cmp_eq_u32_e32 vcc, 5, v23
	s_andn2_b64 s[2:3], s[74:75], exec
	s_and_b64 s[6:7], s[6:7], exec
	s_or_b64 s[8:9], s[2:3], s[6:7]
	s_andn2_b64 s[2:3], s[76:77], exec
	s_and_b64 s[6:7], vcc, exec
	s_or_b64 s[6:7], s[2:3], s[6:7]
; %bb.386:                              ;   in Loop: Header=BB43_6 Depth=1
	s_or_b64 exec, exec, s[16:17]
	s_andn2_b64 s[2:3], s[18:19], exec
	s_and_b64 s[16:17], s[82:83], exec
	s_or_b64 s[18:19], s[2:3], s[16:17]
	s_andn2_b64 s[2:3], s[20:21], exec
	s_and_b64 s[16:17], s[80:81], exec
	s_or_b64 s[20:21], s[2:3], s[16:17]
	;; [unrolled: 3-line block ×4, first 2 shown]
.LBB43_387:                             ;   in Loop: Header=BB43_6 Depth=1
	s_or_b64 exec, exec, s[78:79]
	s_mov_b64 s[78:79], 0
	s_mov_b64 s[80:81], 0
	s_and_saveexec_b64 s[2:3], s[76:77]
.LBB43_388:                             ;   in Loop: Header=BB43_6 Depth=1
	v_mov_b32_e32 v23, 0
	s_or_b64 s[74:75], s[74:75], exec
.LBB43_389:                             ;   in Loop: Header=BB43_6 Depth=1
	s_or_b64 exec, exec, s[2:3]
	s_andn2_b64 s[2:3], s[70:71], exec
	s_and_b64 s[8:9], s[18:19], exec
	s_or_b64 s[70:71], s[2:3], s[8:9]
	s_andn2_b64 s[2:3], s[68:69], exec
	s_and_b64 s[8:9], s[20:21], exec
	s_or_b64 s[68:69], s[2:3], s[8:9]
	;; [unrolled: 3-line block ×3, first 2 shown]
	s_andn2_b64 s[2:3], s[64:65], exec
	s_and_b64 s[8:9], s[78:79], exec
	s_mov_b64 s[6:7], -1
	s_andn2_b64 s[72:73], s[72:73], exec
	s_or_b64 s[64:65], s[2:3], s[8:9]
	v_mov_b32_e32 v41, v24
	s_and_saveexec_b64 s[2:3], s[74:75]
	s_xor_b64 s[2:3], exec, s[2:3]
	s_cbranch_execz .LBB43_5
; %bb.390:                              ;   in Loop: Header=BB43_6 Depth=1
	v_cmp_eq_u32_e32 vcc, 0, v23
	s_mov_b64 s[8:9], -1
	s_and_saveexec_b64 s[16:17], vcc
	s_cbranch_execz .LBB43_4
; %bb.391:                              ;   in Loop: Header=BB43_6 Depth=1
	s_xor_b32 s39, s39, 1
	s_add_i32 s18, s11, -2
	s_cmp_eq_u32 s11, 0
	s_cselect_b64 s[6:7], -1, 0
	s_xor_b64 s[8:9], exec, -1
	s_orn2_b64 s[6:7], s[6:7], exec
	s_mov_b32 s11, s18
	s_branch .LBB43_4
.LBB43_392:
	s_or_b64 exec, exec, s[52:53]
	s_xor_b64 s[6:7], s[62:63], -1
	s_xor_b64 s[14:15], s[60:61], -1
	;; [unrolled: 1-line block ×5, first 2 shown]
	s_mov_b64 s[8:9], 0
	s_and_saveexec_b64 s[10:11], s[4:5]
	s_xor_b64 s[10:11], exec, s[10:11]
	s_cbranch_execnz .LBB43_397
; %bb.393:
	s_andn2_saveexec_b64 s[0:1], s[10:11]
	s_cbranch_execnz .LBB43_416
.LBB43_394:
	s_or_b64 exec, exec, s[0:1]
	s_and_saveexec_b64 s[0:1], s[8:9]
.LBB43_395:
	; divergent unreachable
.LBB43_396:
	s_endpgm
.LBB43_397:
	s_and_saveexec_b64 s[4:5], s[12:13]
	s_xor_b64 s[12:13], exec, s[4:5]
	s_cbranch_execz .LBB43_414
; %bb.398:
	s_and_saveexec_b64 s[4:5], s[14:15]
	s_xor_b64 s[14:15], exec, s[4:5]
	s_cbranch_execz .LBB43_412
; %bb.399:
	;; [unrolled: 4-line block ×3, first 2 shown]
	s_and_saveexec_b64 s[4:5], s[2:3]
	s_xor_b64 s[2:3], exec, s[4:5]
; %bb.401:
	v_xor_b32_e32 v18, 0x80000000, v18
	v_mov_b32_e32 v3, v17
	v_mov_b32_e32 v4, v18
; %bb.402:
	s_or_b64 exec, exec, s[2:3]
	s_mov_b64 s[2:3], exec
	v_readlane_b32 s4, v46, 5
	v_readlane_b32 s5, v46, 6
	;; [unrolled: 1-line block ×3, first 2 shown]
	s_and_b64 s[4:5], s[2:3], s[4:5]
	v_readlane_b32 s47, v46, 9
	s_mov_b64 exec, s[4:5]
; %bb.403:
	v_mov_b32_e32 v1, 0
	ds_write_b32 v1, v1 offset:4108
; %bb.404:
	s_or_b64 exec, exec, s[2:3]
	v_mov_b32_e32 v1, 0
	v_mov_b32_e32 v2, 0
	s_waitcnt lgkmcnt(0)
	s_barrier
	s_mov_b64 s[2:3], exec
	v_readlane_b32 s4, v46, 16
	v_readlane_b32 s5, v46, 17
	s_and_b64 s[4:5], s[2:3], s[4:5]
	s_mov_b64 exec, s[4:5]
	s_cbranch_execz .LBB43_406
; %bb.405:
	global_load_dwordx2 v[1:2], v[10:11], off
.LBB43_406:
	s_or_b64 exec, exec, s[2:3]
	v_readlane_b32 s4, v46, 14
	v_readlane_b32 s5, v46, 15
	s_load_dword s2, s[4:5], 0x15c
	s_load_dword s3, s[4:5], 0x23c
	v_readlane_b32 s31, v46, 7
	s_add_i32 s34, s28, 63
	s_load_dword s35, s[4:5], 0x2a8
	s_load_dword s36, s[4:5], 0x1c8
	s_waitcnt lgkmcnt(0)
	s_mul_i32 s2, s2, s31
	s_mul_i32 s4, s3, s31
	s_mov_b32 s3, 0
	s_andn2_b32 s34, s34, 63
	s_lshl_b64 s[6:7], s[2:3], 3
	v_readlane_b32 s8, v46, 3
	v_readlane_b32 s9, v46, 4
	s_add_u32 s37, s8, s6
	s_mov_b32 s5, s3
	s_addc_u32 s39, s9, s7
	s_lshl_b64 s[2:3], s[4:5], 3
	v_readlane_b32 s4, v46, 0
	v_readlane_b32 s5, v46, 1
	s_add_u32 s40, s4, s2
	s_addc_u32 s41, s5, s3
	v_cmp_gt_u32_e32 vcc, s34, v0
	s_mov_b64 s[2:3], -1
	s_mov_b64 s[8:9], 0
	s_mov_b64 s[4:5], 0
	s_and_saveexec_b64 s[18:19], vcc
	s_cbranch_execnz .LBB43_417
; %bb.407:
	s_or_b64 exec, exec, s[18:19]
	s_and_saveexec_b64 s[6:7], s[2:3]
	s_cbranch_execnz .LBB43_432
.LBB43_408:
	s_or_b64 exec, exec, s[6:7]
	s_and_saveexec_b64 s[0:1], s[4:5]
	s_xor_b64 s[0:1], exec, s[0:1]
	s_cbranch_execnz .LBB43_455
.LBB43_409:
	s_or_b64 exec, exec, s[0:1]
	s_and_b64 s[8:9], s[8:9], exec
.LBB43_410:
	s_andn2_saveexec_b64 s[0:1], s[16:17]
	s_cbranch_execnz .LBB43_457
.LBB43_411:
	s_or_b64 exec, exec, s[0:1]
	s_and_b64 s[8:9], s[8:9], exec
.LBB43_412:
	s_andn2_saveexec_b64 s[0:1], s[14:15]
	s_cbranch_execnz .LBB43_456
.LBB43_413:
	s_or_b64 exec, exec, s[0:1]
	s_and_b64 s[8:9], s[8:9], exec
.LBB43_414:
	s_andn2_saveexec_b64 s[0:1], s[12:13]
	s_cbranch_execnz .LBB43_451
.LBB43_415:
	s_or_b64 exec, exec, s[0:1]
	s_and_b64 s[8:9], s[8:9], exec
	s_andn2_saveexec_b64 s[0:1], s[10:11]
	s_cbranch_execz .LBB43_394
.LBB43_416:
	s_or_b64 s[8:9], s[8:9], exec
	s_trap 2
	s_or_b64 exec, exec, s[0:1]
	s_and_saveexec_b64 s[0:1], s[8:9]
	s_cbranch_execnz .LBB43_395
	s_branch .LBB43_396
.LBB43_417:
	v_add_u32_e32 v7, s44, v0
	v_readlane_b32 s2, v46, 2
	v_mul_lo_u32 v7, s2, v7
	v_xor_b32_e32 v6, 0x80000000, v4
	v_mov_b32_e32 v5, v3
	s_mov_b64 s[20:21], 0
	v_mov_b32_e32 v8, 0
	v_mov_b32_e32 v14, v0
                                        ; implicit-def: $sgpr22_sgpr23
                                        ; implicit-def: $vgpr16
	s_branch .LBB43_419
.LBB43_418:                             ;   in Loop: Header=BB43_419 Depth=1
	s_or_b64 exec, exec, s[24:25]
	s_xor_b64 s[4:5], s[6:7], -1
	s_and_b64 s[2:3], exec, s[2:3]
	s_or_b64 s[20:21], s[2:3], s[20:21]
	s_andn2_b64 s[2:3], s[22:23], exec
	s_and_b64 s[4:5], s[4:5], exec
	v_mov_b32_e32 v1, v12
	s_or_b64 s[22:23], s[2:3], s[4:5]
	v_mov_b32_e32 v2, v13
	v_mov_b32_e32 v14, v9
	s_andn2_b64 exec, exec, s[20:21]
	s_cbranch_execz .LBB43_431
.LBB43_419:                             ; =>This Inner Loop Header: Depth=1
	v_add_u32_e32 v9, s44, v14
	v_mov_b32_e32 v12, 0
	v_mov_b32_e32 v13, 0
	v_cmp_gt_u32_e64 s[4:5], s28, v9
	s_and_saveexec_b64 s[2:3], s[4:5]
	s_cbranch_execz .LBB43_421
; %bb.420:                              ;   in Loop: Header=BB43_419 Depth=1
	v_lshlrev_b64 v[12:13], 3, v[7:8]
	v_mov_b32_e32 v15, s38
	v_add_co_u32_e64 v12, s[4:5], s33, v12
	v_addc_co_u32_e64 v13, s[4:5], v15, v13, s[4:5]
	global_load_dwordx2 v[12:13], v[12:13], off
.LBB43_421:                             ;   in Loop: Header=BB43_419 Depth=1
	s_or_b64 exec, exec, s[2:3]
	s_waitcnt vmcnt(0)
	v_xor_b32_e32 v18, 0x80000000, v2
	v_mov_b32_e32 v17, v1
	v_cmp_gt_u64_e64 s[6:7], v[17:18], v[5:6]
	v_cmp_gt_u32_e64 s[4:5], s28, v14
	v_cndmask_b32_e64 v15, 0, 1, s[6:7]
	v_cmp_lt_u64_e64 s[6:7], v[17:18], v[5:6]
	v_cndmask_b32_e64 v17, 0, 1, s[6:7]
	v_cndmask_b32_e64 v15, v17, v15, s[46:47]
	v_and_b32_e32 v15, 1, v15
	v_cmp_eq_u32_e64 s[6:7], 1, v15
	s_and_b64 s[24:25], s[4:5], s[6:7]
	v_cndmask_b32_e64 v15, 0, 1, s[24:25]
	v_cmp_ne_u32_e64 s[4:5], 0, v15
	s_cmp_lg_u64 s[4:5], 0
	s_cselect_b64 s[2:3], -1, 0
	s_and_b64 s[6:7], s[0:1], s[2:3]
	s_and_saveexec_b64 s[2:3], s[6:7]
	s_cbranch_execz .LBB43_425
; %bb.422:                              ;   in Loop: Header=BB43_419 Depth=1
	s_mov_b64 s[30:31], exec
	v_mbcnt_lo_u32_b32 v15, s30, 0
	v_mbcnt_hi_u32_b32 v15, s31, v15
	s_bcnt1_i32_b64 s42, s[4:5]
	v_cmp_eq_u32_e64 s[6:7], 0, v15
                                        ; implicit-def: $vgpr16
	s_and_saveexec_b64 s[26:27], s[6:7]
	s_cbranch_execz .LBB43_424
; %bb.423:                              ;   in Loop: Header=BB43_419 Depth=1
	s_bcnt1_i32_b64 s6, s[30:31]
	s_mul_i32 s6, s42, s6
	s_waitcnt lgkmcnt(0)
	v_mov_b32_e32 v16, s6
	ds_add_rtn_u32 v16, v8, v16 offset:4108
.LBB43_424:                             ;   in Loop: Header=BB43_419 Depth=1
	s_or_b64 exec, exec, s[26:27]
	s_waitcnt lgkmcnt(0)
	v_readfirstlane_b32 s6, v16
	v_mov_b32_e32 v16, s6
	v_mad_u32_u24 v16, s42, v15, v16
.LBB43_425:                             ;   in Loop: Header=BB43_419 Depth=1
	s_or_b64 exec, exec, s[2:3]
	s_waitcnt lgkmcnt(0)
	ds_bpermute_b32 v16, v25, v16
	s_mov_b64 s[2:3], -1
	s_mov_b64 s[26:27], -1
	s_and_saveexec_b64 s[6:7], s[24:25]
	s_cbranch_execz .LBB43_429
; %bb.426:                              ;   in Loop: Header=BB43_419 Depth=1
	v_and_b32_e32 v17, s4, v27
	v_and_b32_e32 v15, s5, v26
	v_bcnt_u32_b32 v17, v17, 0
	v_bcnt_u32_b32 v15, v15, v17
	s_waitcnt lgkmcnt(0)
	v_add_u32_e32 v15, v16, v15
	v_cmp_gt_u32_e64 s[4:5], s29, v15
	s_mov_b64 s[24:25], 0
	s_and_saveexec_b64 s[26:27], s[4:5]
; %bb.427:                              ;   in Loop: Header=BB43_419 Depth=1
	v_mul_lo_u32 v17, v15, s36
	v_mov_b32_e32 v18, v8
	v_mul_lo_u32 v19, v15, s35
	v_mov_b32_e32 v15, s39
	v_lshlrev_b64 v[17:18], 3, v[17:18]
	v_mov_b32_e32 v20, v8
	v_add_co_u32_e64 v17, s[4:5], s37, v17
	v_addc_co_u32_e64 v18, s[4:5], v15, v18, s[4:5]
	global_store_dwordx2 v[17:18], v[1:2], off
	v_lshlrev_b64 v[1:2], 3, v[19:20]
	v_mov_b32_e32 v17, s41
	v_add_co_u32_e64 v1, s[4:5], s40, v1
	s_mov_b64 s[24:25], exec
	v_mov_b32_e32 v15, v8
	v_addc_co_u32_e64 v2, s[4:5], v17, v2, s[4:5]
	global_store_dwordx2 v[1:2], v[14:15], off
; %bb.428:                              ;   in Loop: Header=BB43_419 Depth=1
	s_or_b64 exec, exec, s[26:27]
	s_orn2_b64 s[26:27], s[24:25], exec
.LBB43_429:                             ;   in Loop: Header=BB43_419 Depth=1
	s_or_b64 exec, exec, s[6:7]
	s_mov_b64 s[6:7], -1
	s_and_saveexec_b64 s[24:25], s[26:27]
	s_cbranch_execz .LBB43_418
; %bb.430:                              ;   in Loop: Header=BB43_419 Depth=1
	v_cmp_le_u32_e64 s[4:5], s34, v9
	v_add_u32_e32 v7, s45, v7
	s_xor_b64 s[6:7], exec, -1
	s_orn2_b64 s[2:3], s[4:5], exec
	s_branch .LBB43_418
.LBB43_431:
	s_or_b64 exec, exec, s[20:21]
	s_mov_b64 s[4:5], exec
	s_orn2_b64 s[2:3], s[22:23], exec
	s_or_b64 exec, exec, s[18:19]
	s_and_saveexec_b64 s[6:7], s[2:3]
	s_cbranch_execz .LBB43_408
.LBB43_432:
	s_waitcnt vmcnt(0)
	v_mov_b32_e32 v1, 0
	v_mov_b32_e32 v2, 0
	s_waitcnt lgkmcnt(0)
	s_barrier
	s_mov_b64 s[2:3], exec
	v_readlane_b32 s8, v46, 16
	v_readlane_b32 s9, v46, 17
	s_and_b64 s[8:9], s[2:3], s[8:9]
	s_mov_b64 exec, s[8:9]
	s_cbranch_execz .LBB43_434
; %bb.433:
	global_load_dwordx2 v[1:2], v[10:11], off
.LBB43_434:
	s_or_b64 exec, exec, s[2:3]
	s_mov_b64 s[2:3], 0
	s_and_saveexec_b64 s[8:9], vcc
	s_cbranch_execz .LBB43_454
; %bb.435:
	v_add_u32_e32 v5, s44, v0
	v_readlane_b32 s2, v46, 2
	v_mul_lo_u32 v5, s2, v5
	s_mov_b64 s[18:19], 0
	v_mov_b32_e32 v6, 0
                                        ; implicit-def: $sgpr20_sgpr21
                                        ; implicit-def: $vgpr10
	s_branch .LBB43_438
.LBB43_436:                             ;   in Loop: Header=BB43_438 Depth=1
	s_or_b64 exec, exec, s[24:25]
	s_orn2_b64 s[26:27], s[30:31], exec
	s_orn2_b64 s[24:25], s[22:23], exec
.LBB43_437:                             ;   in Loop: Header=BB43_438 Depth=1
	s_or_b64 exec, exec, s[2:3]
	s_xor_b64 s[2:3], s[26:27], -1
	s_and_b64 s[22:23], exec, s[24:25]
	s_or_b64 s[18:19], s[22:23], s[18:19]
	s_andn2_b64 s[20:21], s[20:21], exec
	s_and_b64 s[2:3], s[2:3], exec
	v_mov_b32_e32 v1, v7
	s_or_b64 s[20:21], s[20:21], s[2:3]
	v_mov_b32_e32 v0, v9
	v_mov_b32_e32 v2, v8
	s_andn2_b64 exec, exec, s[18:19]
	s_cbranch_execz .LBB43_452
.LBB43_438:                             ; =>This Inner Loop Header: Depth=1
	v_add_u32_e32 v9, s44, v0
	v_mov_b32_e32 v7, 0
	v_mov_b32_e32 v8, 0
	v_cmp_gt_u32_e32 vcc, s28, v9
	s_and_saveexec_b64 s[2:3], vcc
	s_cbranch_execz .LBB43_440
; %bb.439:                              ;   in Loop: Header=BB43_438 Depth=1
	v_lshlrev_b64 v[7:8], 3, v[5:6]
	v_mov_b32_e32 v11, s38
	v_add_co_u32_e32 v7, vcc, s33, v7
	v_addc_co_u32_e32 v8, vcc, v11, v8, vcc
	global_load_dwordx2 v[7:8], v[7:8], off
.LBB43_440:                             ;   in Loop: Header=BB43_438 Depth=1
	s_or_b64 exec, exec, s[2:3]
	s_waitcnt vmcnt(0)
	v_cmp_eq_u64_e32 vcc, v[1:2], v[3:4]
	v_cmp_gt_u32_e64 s[2:3], s28, v0
	s_and_b64 s[22:23], s[2:3], vcc
	v_cndmask_b32_e64 v1, 0, 1, s[22:23]
	v_cmp_ne_u32_e32 vcc, 0, v1
	s_cmp_lg_u64 vcc, 0
	s_cselect_b64 s[2:3], -1, 0
	s_and_b64 s[2:3], s[0:1], s[2:3]
	s_and_saveexec_b64 s[24:25], s[2:3]
	s_cbranch_execz .LBB43_444
; %bb.441:                              ;   in Loop: Header=BB43_438 Depth=1
	s_mov_b64 s[30:31], exec
	v_mbcnt_lo_u32_b32 v1, s30, 0
	v_mbcnt_hi_u32_b32 v1, s31, v1
	s_bcnt1_i32_b64 s42, vcc
	v_cmp_eq_u32_e64 s[2:3], 0, v1
                                        ; implicit-def: $vgpr2
	s_and_saveexec_b64 s[26:27], s[2:3]
; %bb.442:                              ;   in Loop: Header=BB43_438 Depth=1
	s_bcnt1_i32_b64 s2, s[30:31]
	s_mul_i32 s2, s42, s2
	v_mov_b32_e32 v2, s2
	ds_add_rtn_u32 v2, v6, v2 offset:4108
; %bb.443:                              ;   in Loop: Header=BB43_438 Depth=1
	s_or_b64 exec, exec, s[26:27]
	s_waitcnt lgkmcnt(0)
	v_readfirstlane_b32 s2, v2
	v_mov_b32_e32 v2, s2
	v_mad_u32_u24 v10, s42, v1, v2
.LBB43_444:                             ;   in Loop: Header=BB43_438 Depth=1
	s_or_b64 exec, exec, s[24:25]
	ds_bpermute_b32 v10, v25, v10
	s_cmp_eq_u64 vcc, 0
	s_cselect_b64 s[26:27], -1, 0
	s_mov_b64 s[24:25], -1
	s_waitcnt lgkmcnt(0)
	v_cmp_gt_u32_e64 s[2:3], s29, v10
	s_or_b64 s[30:31], s[26:27], s[2:3]
	s_mov_b64 s[26:27], -1
	s_and_saveexec_b64 s[2:3], s[30:31]
	s_cbranch_execz .LBB43_437
; %bb.445:                              ;   in Loop: Header=BB43_438 Depth=1
	v_and_b32_e32 v2, vcc_lo, v27
	v_and_b32_e32 v1, vcc_hi, v26
	v_bcnt_u32_b32 v2, v2, 0
	v_bcnt_u32_b32 v1, v1, v2
	v_sub_u32_e32 v2, s29, v10
	v_cmp_gt_u32_e32 vcc, v2, v1
	s_and_b64 s[42:43], s[22:23], vcc
	s_mov_b64 s[22:23], -1
	s_mov_b64 s[30:31], -1
	s_and_saveexec_b64 s[24:25], s[42:43]
	s_cbranch_execz .LBB43_449
; %bb.446:                              ;   in Loop: Header=BB43_438 Depth=1
	v_add_u32_e32 v1, v10, v1
	v_cmp_gt_u32_e32 vcc, s29, v1
	s_mov_b64 s[26:27], 0
	s_and_saveexec_b64 s[30:31], vcc
; %bb.447:                              ;   in Loop: Header=BB43_438 Depth=1
	v_mul_lo_u32 v11, v1, s36
	v_mul_lo_u32 v13, v1, s35
	v_mov_b32_e32 v12, v6
	v_mov_b32_e32 v14, v6
	v_lshlrev_b64 v[1:2], 3, v[11:12]
	v_mov_b32_e32 v11, s39
	v_add_co_u32_e32 v1, vcc, s37, v1
	v_addc_co_u32_e32 v2, vcc, v11, v2, vcc
	v_lshlrev_b64 v[11:12], 3, v[13:14]
	global_store_dwordx2 v[1:2], v[3:4], off
	v_mov_b32_e32 v2, s41
	v_add_co_u32_e32 v11, vcc, s40, v11
	s_mov_b64 s[26:27], exec
	v_mov_b32_e32 v1, v6
	v_addc_co_u32_e32 v12, vcc, v2, v12, vcc
	global_store_dwordx2 v[11:12], v[0:1], off
; %bb.448:                              ;   in Loop: Header=BB43_438 Depth=1
	s_or_b64 exec, exec, s[30:31]
	s_xor_b64 s[30:31], exec, -1
	s_orn2_b64 s[26:27], s[26:27], exec
.LBB43_449:                             ;   in Loop: Header=BB43_438 Depth=1
	s_or_b64 exec, exec, s[24:25]
	s_and_saveexec_b64 s[24:25], s[26:27]
	s_cbranch_execz .LBB43_436
; %bb.450:                              ;   in Loop: Header=BB43_438 Depth=1
	v_cmp_le_u32_e32 vcc, s34, v9
	v_add_u32_e32 v5, s45, v5
	s_or_b64 s[30:31], s[30:31], exec
	s_orn2_b64 s[22:23], vcc, exec
	s_branch .LBB43_436
.LBB43_451:
	s_or_b64 s[8:9], s[8:9], exec
	s_trap 2
	s_branch .LBB43_415
.LBB43_452:
	s_or_b64 exec, exec, s[18:19]
	s_mov_b64 s[0:1], 0
	s_and_saveexec_b64 s[2:3], s[20:21]
	s_xor_b64 s[2:3], exec, s[2:3]
	s_cbranch_execnz .LBB43_458
.LBB43_453:
	s_or_b64 exec, exec, s[2:3]
	s_and_b64 s[2:3], s[0:1], exec
.LBB43_454:
	s_or_b64 exec, exec, s[8:9]
	s_and_b64 s[8:9], s[2:3], exec
	s_andn2_b64 s[4:5], s[4:5], exec
	s_or_b64 exec, exec, s[6:7]
	s_and_saveexec_b64 s[0:1], s[4:5]
	s_xor_b64 s[0:1], exec, s[0:1]
	s_cbranch_execz .LBB43_409
.LBB43_455:
	s_trap 2
	s_or_b64 s[8:9], s[8:9], exec
	s_branch .LBB43_409
.LBB43_456:
	s_or_b64 s[8:9], s[8:9], exec
	s_trap 2
	s_branch .LBB43_413
.LBB43_457:
	s_trap 2
	s_or_b64 s[8:9], s[8:9], exec
	s_branch .LBB43_411
.LBB43_458:
	s_mov_b64 s[0:1], exec
	s_trap 2
	s_branch .LBB43_453
	.section	.rodata,"a",@progbits
	.p2align	6, 0x0
	.amdhsa_kernel _ZN2at6native6sbtopk10gatherTopKIljLi1ELb0EEEvNS_4cuda6detail10TensorInfoIKT_T0_EES8_S8_bS8_S8_NS5_IS6_S8_EES8_NS5_IlS8_EES8_PS6_
		.amdhsa_group_segment_fixed_size 4112
		.amdhsa_private_segment_fixed_size 0
		.amdhsa_kernarg_size 952
		.amdhsa_user_sgpr_count 6
		.amdhsa_user_sgpr_private_segment_buffer 1
		.amdhsa_user_sgpr_dispatch_ptr 0
		.amdhsa_user_sgpr_queue_ptr 0
		.amdhsa_user_sgpr_kernarg_segment_ptr 1
		.amdhsa_user_sgpr_dispatch_id 0
		.amdhsa_user_sgpr_flat_scratch_init 0
		.amdhsa_user_sgpr_private_segment_size 0
		.amdhsa_uses_dynamic_stack 0
		.amdhsa_system_sgpr_private_segment_wavefront_offset 0
		.amdhsa_system_sgpr_workgroup_id_x 1
		.amdhsa_system_sgpr_workgroup_id_y 1
		.amdhsa_system_sgpr_workgroup_id_z 1
		.amdhsa_system_sgpr_workgroup_info 0
		.amdhsa_system_vgpr_workitem_id 0
		.amdhsa_next_free_vgpr 47
		.amdhsa_next_free_sgpr 96
		.amdhsa_reserve_vcc 1
		.amdhsa_reserve_flat_scratch 0
		.amdhsa_float_round_mode_32 0
		.amdhsa_float_round_mode_16_64 0
		.amdhsa_float_denorm_mode_32 3
		.amdhsa_float_denorm_mode_16_64 3
		.amdhsa_dx10_clamp 1
		.amdhsa_ieee_mode 1
		.amdhsa_fp16_overflow 0
		.amdhsa_exception_fp_ieee_invalid_op 0
		.amdhsa_exception_fp_denorm_src 0
		.amdhsa_exception_fp_ieee_div_zero 0
		.amdhsa_exception_fp_ieee_overflow 0
		.amdhsa_exception_fp_ieee_underflow 0
		.amdhsa_exception_fp_ieee_inexact 0
		.amdhsa_exception_int_div_zero 0
	.end_amdhsa_kernel
	.section	.text._ZN2at6native6sbtopk10gatherTopKIljLi1ELb0EEEvNS_4cuda6detail10TensorInfoIKT_T0_EES8_S8_bS8_S8_NS5_IS6_S8_EES8_NS5_IlS8_EES8_PS6_,"axG",@progbits,_ZN2at6native6sbtopk10gatherTopKIljLi1ELb0EEEvNS_4cuda6detail10TensorInfoIKT_T0_EES8_S8_bS8_S8_NS5_IS6_S8_EES8_NS5_IlS8_EES8_PS6_,comdat
.Lfunc_end43:
	.size	_ZN2at6native6sbtopk10gatherTopKIljLi1ELb0EEEvNS_4cuda6detail10TensorInfoIKT_T0_EES8_S8_bS8_S8_NS5_IS6_S8_EES8_NS5_IlS8_EES8_PS6_, .Lfunc_end43-_ZN2at6native6sbtopk10gatherTopKIljLi1ELb0EEEvNS_4cuda6detail10TensorInfoIKT_T0_EES8_S8_bS8_S8_NS5_IS6_S8_EES8_NS5_IlS8_EES8_PS6_
                                        ; -- End function
	.set _ZN2at6native6sbtopk10gatherTopKIljLi1ELb0EEEvNS_4cuda6detail10TensorInfoIKT_T0_EES8_S8_bS8_S8_NS5_IS6_S8_EES8_NS5_IlS8_EES8_PS6_.num_vgpr, 47
	.set _ZN2at6native6sbtopk10gatherTopKIljLi1ELb0EEEvNS_4cuda6detail10TensorInfoIKT_T0_EES8_S8_bS8_S8_NS5_IS6_S8_EES8_NS5_IlS8_EES8_PS6_.num_agpr, 0
	.set _ZN2at6native6sbtopk10gatherTopKIljLi1ELb0EEEvNS_4cuda6detail10TensorInfoIKT_T0_EES8_S8_bS8_S8_NS5_IS6_S8_EES8_NS5_IlS8_EES8_PS6_.numbered_sgpr, 96
	.set _ZN2at6native6sbtopk10gatherTopKIljLi1ELb0EEEvNS_4cuda6detail10TensorInfoIKT_T0_EES8_S8_bS8_S8_NS5_IS6_S8_EES8_NS5_IlS8_EES8_PS6_.num_named_barrier, 0
	.set _ZN2at6native6sbtopk10gatherTopKIljLi1ELb0EEEvNS_4cuda6detail10TensorInfoIKT_T0_EES8_S8_bS8_S8_NS5_IS6_S8_EES8_NS5_IlS8_EES8_PS6_.private_seg_size, 0
	.set _ZN2at6native6sbtopk10gatherTopKIljLi1ELb0EEEvNS_4cuda6detail10TensorInfoIKT_T0_EES8_S8_bS8_S8_NS5_IS6_S8_EES8_NS5_IlS8_EES8_PS6_.uses_vcc, 1
	.set _ZN2at6native6sbtopk10gatherTopKIljLi1ELb0EEEvNS_4cuda6detail10TensorInfoIKT_T0_EES8_S8_bS8_S8_NS5_IS6_S8_EES8_NS5_IlS8_EES8_PS6_.uses_flat_scratch, 0
	.set _ZN2at6native6sbtopk10gatherTopKIljLi1ELb0EEEvNS_4cuda6detail10TensorInfoIKT_T0_EES8_S8_bS8_S8_NS5_IS6_S8_EES8_NS5_IlS8_EES8_PS6_.has_dyn_sized_stack, 0
	.set _ZN2at6native6sbtopk10gatherTopKIljLi1ELb0EEEvNS_4cuda6detail10TensorInfoIKT_T0_EES8_S8_bS8_S8_NS5_IS6_S8_EES8_NS5_IlS8_EES8_PS6_.has_recursion, 0
	.set _ZN2at6native6sbtopk10gatherTopKIljLi1ELb0EEEvNS_4cuda6detail10TensorInfoIKT_T0_EES8_S8_bS8_S8_NS5_IS6_S8_EES8_NS5_IlS8_EES8_PS6_.has_indirect_call, 0
	.section	.AMDGPU.csdata,"",@progbits
; Kernel info:
; codeLenInByte = 14844
; TotalNumSgprs: 100
; NumVgprs: 47
; ScratchSize: 0
; MemoryBound: 0
; FloatMode: 240
; IeeeMode: 1
; LDSByteSize: 4112 bytes/workgroup (compile time only)
; SGPRBlocks: 12
; VGPRBlocks: 11
; NumSGPRsForWavesPerEU: 100
; NumVGPRsForWavesPerEU: 47
; Occupancy: 5
; WaveLimiterHint : 1
; COMPUTE_PGM_RSRC2:SCRATCH_EN: 0
; COMPUTE_PGM_RSRC2:USER_SGPR: 6
; COMPUTE_PGM_RSRC2:TRAP_HANDLER: 0
; COMPUTE_PGM_RSRC2:TGID_X_EN: 1
; COMPUTE_PGM_RSRC2:TGID_Y_EN: 1
; COMPUTE_PGM_RSRC2:TGID_Z_EN: 1
; COMPUTE_PGM_RSRC2:TIDIG_COMP_CNT: 0
	.section	.text._ZN2at6native6mbtopk23computeBlockDigitCountsIljmLi2EEEvNS_4cuda6detail10TensorInfoIKT_T0_EEjPjjS8_iijT1_PSB_Ps,"axG",@progbits,_ZN2at6native6mbtopk23computeBlockDigitCountsIljmLi2EEEvNS_4cuda6detail10TensorInfoIKT_T0_EEjPjjS8_iijT1_PSB_Ps,comdat
	.protected	_ZN2at6native6mbtopk23computeBlockDigitCountsIljmLi2EEEvNS_4cuda6detail10TensorInfoIKT_T0_EEjPjjS8_iijT1_PSB_Ps ; -- Begin function _ZN2at6native6mbtopk23computeBlockDigitCountsIljmLi2EEEvNS_4cuda6detail10TensorInfoIKT_T0_EEjPjjS8_iijT1_PSB_Ps
	.globl	_ZN2at6native6mbtopk23computeBlockDigitCountsIljmLi2EEEvNS_4cuda6detail10TensorInfoIKT_T0_EEjPjjS8_iijT1_PSB_Ps
	.p2align	8
	.type	_ZN2at6native6mbtopk23computeBlockDigitCountsIljmLi2EEEvNS_4cuda6detail10TensorInfoIKT_T0_EEjPjjS8_iijT1_PSB_Ps,@function
_ZN2at6native6mbtopk23computeBlockDigitCountsIljmLi2EEEvNS_4cuda6detail10TensorInfoIKT_T0_EEjPjjS8_iijT1_PSB_Ps: ; @_ZN2at6native6mbtopk23computeBlockDigitCountsIljmLi2EEEvNS_4cuda6detail10TensorInfoIKT_T0_EEjPjjS8_iijT1_PSB_Ps
; %bb.0:
	s_load_dword s20, s[4:5], 0xf8
	s_load_dwordx4 s[12:15], s[4:5], 0xe8
	s_load_dwordx2 s[0:1], s[4:5], 0x118
	s_waitcnt lgkmcnt(0)
	v_cvt_f32_u32_e32 v1, s20
	s_sub_i32 s2, 0, s20
	s_mul_i32 s1, s1, s8
	s_add_i32 s1, s1, s7
	v_rcp_iflag_f32_e32 v1, v1
	s_mul_i32 s18, s1, s0
	s_add_i32 s18, s18, s6
	v_mul_f32_e32 v1, 0x4f7ffffe, v1
	v_cvt_u32_f32_e32 v1, v1
	v_readfirstlane_b32 s0, v1
	s_mul_i32 s2, s2, s0
	s_mul_hi_u32 s1, s0, s2
	s_add_i32 s0, s0, s1
	s_mul_hi_u32 s0, s18, s0
	s_mul_i32 s1, s0, s20
	s_sub_i32 s1, s18, s1
	s_add_i32 s2, s0, 1
	s_sub_i32 s3, s1, s20
	s_cmp_ge_u32 s1, s20
	s_cselect_b32 s0, s2, s0
	s_cselect_b32 s1, s3, s1
	s_add_i32 s2, s0, 1
	s_cmp_ge_u32 s1, s20
	s_cselect_b32 s0, s2, s0
	s_cmp_ge_u32 s0, s12
	s_mov_b32 s1, 0
	s_cbranch_scc1 .LBB44_27
; %bb.1:
	s_load_dword s21, s[4:5], 0xc
	s_load_dwordx4 s[8:11], s[4:5], 0x100
	s_load_dwordx2 s[2:3], s[4:5], 0x110
	s_lshl_b64 s[6:7], s[0:1], 3
	s_movk_i32 s1, 0x100
	s_waitcnt lgkmcnt(0)
	v_cvt_f32_u32_e32 v1, s21
	s_add_u32 s16, s10, s6
	v_cmp_gt_u32_e32 vcc, s1, v0
	s_addc_u32 s17, s11, s7
	v_rcp_iflag_f32_e32 v1, v1
	v_lshlrev_b32_e32 v5, 2, v0
	v_mul_f32_e32 v1, 0x4f7ffffe, v1
	v_cvt_u32_f32_e32 v1, v1
	v_readfirstlane_b32 s1, v1
	s_and_saveexec_b64 s[6:7], vcc
; %bb.2:
	v_mov_b32_e32 v1, 0
	ds_write_b32 v5, v1
; %bb.3:
	s_or_b64 exec, exec, s[6:7]
	s_load_dword s12, s[4:5], 0xd8
	s_mul_i32 s6, s0, s20
	s_sub_i32 s6, s18, s6
	s_add_i32 s10, s6, 1
	s_mul_i32 s6, s15, s6
	s_lshl_b32 s19, s6, 8
	s_waitcnt lgkmcnt(0)
	s_sub_i32 s6, s12, s19
	s_add_u32 s6, s6, 0xff
	s_addc_u32 s7, 0, 0
	s_lshr_b64 s[6:7], s[6:7], 8
	s_cmp_lt_u32 s10, s20
	s_cselect_b32 s20, s15, s6
	s_cmp_lt_i32 s20, 1
	s_mov_b32 s11, 0
	s_barrier
	s_cbranch_scc1 .LBB44_25
; %bb.4:
	s_sub_i32 s6, 0, s21
	s_mul_i32 s6, s6, s1
	s_mul_hi_u32 s6, s1, s6
	s_add_i32 s1, s1, s6
	s_mul_hi_u32 s1, s0, s1
	s_load_dwordx2 s[22:23], s[4:5], 0x6c
	s_load_dwordx2 s[24:25], s[4:5], 0x0
	;; [unrolled: 1-line block ×3, first 2 shown]
	s_mul_i32 s4, s1, s21
	s_sub_i32 s4, s0, s4
	s_add_i32 s5, s1, 1
	s_sub_i32 s10, s4, s21
	s_cmp_ge_u32 s4, s21
	s_cselect_b32 s1, s5, s1
	s_cselect_b32 s4, s10, s4
	s_add_i32 s5, s1, 1
	s_cmp_ge_u32 s4, s21
	s_cselect_b32 s1, s5, s1
	s_mul_i32 s4, s1, s21
	s_sub_i32 s0, s0, s4
	s_waitcnt lgkmcnt(0)
	s_mul_i32 s0, s0, s23
	s_mul_i32 s1, s1, s22
	s_add_i32 s10, s1, s0
	s_lshl_b64 s[0:1], s[10:11], 3
	s_add_u32 s10, s24, s0
	s_addc_u32 s15, s25, s1
	s_and_b32 s14, s14, 0xff
	s_cmp_lt_u32 s20, 4
	s_cbranch_scc1 .LBB44_19
; %bb.5:
	v_add_u32_e32 v1, s19, v0
	v_add_u32_e32 v2, 0x200, v1
	;; [unrolled: 1-line block ×3, first 2 shown]
	v_mul_lo_u32 v8, s13, v2
	v_add_u32_e32 v2, 0x100, v1
	v_mul_lo_u32 v7, s13, v6
	v_mul_lo_u32 v9, s13, v2
	;; [unrolled: 1-line block ×3, first 2 shown]
	s_and_b32 s11, s20, 0x7ffffffc
	s_lshl_b32 s16, s13, 10
	s_mov_b32 s17, 0
	v_mov_b32_e32 v2, 0
	v_mov_b32_e32 v11, 1
	;; [unrolled: 1-line block ×3, first 2 shown]
	s_mov_b32 s21, 0
	s_branch .LBB44_7
.LBB44_6:                               ;   in Loop: Header=BB44_7 Depth=1
	s_or_b64 exec, exec, s[4:5]
	s_add_i32 s21, s21, 4
	s_add_i32 s17, s17, s16
	s_cmp_eq_u32 s11, s21
	v_add_u32_e32 v6, 0x400, v6
	s_cbranch_scc1 .LBB44_19
.LBB44_7:                               ; =>This Inner Loop Header: Depth=1
	v_add_u32_e32 v1, 0xfffffd00, v6
	v_cmp_gt_u32_e64 s[0:1], s12, v1
	s_and_saveexec_b64 s[4:5], s[0:1]
	s_cbranch_execz .LBB44_10
; %bb.8:                                ;   in Loop: Header=BB44_7 Depth=1
	v_add_u32_e32 v1, s17, v10
	v_lshlrev_b64 v[3:4], 3, v[1:2]
	v_mov_b32_e32 v1, s15
	v_add_co_u32_e64 v3, s[0:1], s10, v3
	v_addc_co_u32_e64 v4, s[0:1], v1, v4, s[0:1]
	global_load_dwordx2 v[3:4], v[3:4], off
	s_waitcnt vmcnt(0)
	v_xor_b32_e32 v4, 0x80000000, v4
	v_xor_b32_e32 v1, s6, v3
	;; [unrolled: 1-line block ×3, first 2 shown]
	v_and_b32_e32 v14, s9, v13
	v_and_b32_e32 v13, s8, v1
	v_cmp_eq_u64_e64 s[0:1], 0, v[13:14]
	s_and_b64 exec, exec, s[0:1]
; %bb.9:                                ;   in Loop: Header=BB44_7 Depth=1
	v_lshrrev_b64 v[3:4], s14, v[3:4]
	v_lshlrev_b32_sdwa v1, v12, v3 dst_sel:DWORD dst_unused:UNUSED_PAD src0_sel:DWORD src1_sel:BYTE_0
	ds_add_u32 v1, v11
.LBB44_10:                              ;   in Loop: Header=BB44_7 Depth=1
	s_or_b64 exec, exec, s[4:5]
	v_add_u32_e32 v1, 0xfffffe00, v6
	v_cmp_gt_u32_e64 s[0:1], s12, v1
	s_and_saveexec_b64 s[4:5], s[0:1]
	s_cbranch_execz .LBB44_13
; %bb.11:                               ;   in Loop: Header=BB44_7 Depth=1
	v_add_u32_e32 v1, s17, v9
	v_lshlrev_b64 v[3:4], 3, v[1:2]
	v_mov_b32_e32 v1, s15
	v_add_co_u32_e64 v3, s[0:1], s10, v3
	v_addc_co_u32_e64 v4, s[0:1], v1, v4, s[0:1]
	global_load_dwordx2 v[3:4], v[3:4], off
	s_waitcnt vmcnt(0)
	v_xor_b32_e32 v4, 0x80000000, v4
	v_xor_b32_e32 v1, s6, v3
	;; [unrolled: 1-line block ×3, first 2 shown]
	v_and_b32_e32 v14, s9, v13
	v_and_b32_e32 v13, s8, v1
	v_cmp_eq_u64_e64 s[0:1], 0, v[13:14]
	s_and_b64 exec, exec, s[0:1]
; %bb.12:                               ;   in Loop: Header=BB44_7 Depth=1
	v_lshrrev_b64 v[3:4], s14, v[3:4]
	v_lshlrev_b32_sdwa v1, v12, v3 dst_sel:DWORD dst_unused:UNUSED_PAD src0_sel:DWORD src1_sel:BYTE_0
	ds_add_u32 v1, v11
.LBB44_13:                              ;   in Loop: Header=BB44_7 Depth=1
	s_or_b64 exec, exec, s[4:5]
	v_add_u32_e32 v1, 0xffffff00, v6
	v_cmp_gt_u32_e64 s[0:1], s12, v1
	s_and_saveexec_b64 s[4:5], s[0:1]
	s_cbranch_execz .LBB44_16
; %bb.14:                               ;   in Loop: Header=BB44_7 Depth=1
	v_add_u32_e32 v1, s17, v8
	v_lshlrev_b64 v[3:4], 3, v[1:2]
	v_mov_b32_e32 v1, s15
	v_add_co_u32_e64 v3, s[0:1], s10, v3
	v_addc_co_u32_e64 v4, s[0:1], v1, v4, s[0:1]
	global_load_dwordx2 v[3:4], v[3:4], off
	s_waitcnt vmcnt(0)
	v_xor_b32_e32 v4, 0x80000000, v4
	v_xor_b32_e32 v1, s6, v3
	;; [unrolled: 1-line block ×3, first 2 shown]
	v_and_b32_e32 v14, s9, v13
	v_and_b32_e32 v13, s8, v1
	v_cmp_eq_u64_e64 s[0:1], 0, v[13:14]
	s_and_b64 exec, exec, s[0:1]
; %bb.15:                               ;   in Loop: Header=BB44_7 Depth=1
	v_lshrrev_b64 v[3:4], s14, v[3:4]
	v_lshlrev_b32_sdwa v1, v12, v3 dst_sel:DWORD dst_unused:UNUSED_PAD src0_sel:DWORD src1_sel:BYTE_0
	ds_add_u32 v1, v11
.LBB44_16:                              ;   in Loop: Header=BB44_7 Depth=1
	s_or_b64 exec, exec, s[4:5]
	v_cmp_gt_u32_e64 s[0:1], s12, v6
	s_and_saveexec_b64 s[4:5], s[0:1]
	s_cbranch_execz .LBB44_6
; %bb.17:                               ;   in Loop: Header=BB44_7 Depth=1
	v_add_u32_e32 v1, s17, v7
	v_lshlrev_b64 v[3:4], 3, v[1:2]
	v_mov_b32_e32 v1, s15
	v_add_co_u32_e64 v3, s[0:1], s10, v3
	v_addc_co_u32_e64 v4, s[0:1], v1, v4, s[0:1]
	global_load_dwordx2 v[3:4], v[3:4], off
	s_waitcnt vmcnt(0)
	v_xor_b32_e32 v4, 0x80000000, v4
	v_xor_b32_e32 v1, s6, v3
	;; [unrolled: 1-line block ×3, first 2 shown]
	v_and_b32_e32 v14, s9, v13
	v_and_b32_e32 v13, s8, v1
	v_cmp_eq_u64_e64 s[0:1], 0, v[13:14]
	s_and_b64 exec, exec, s[0:1]
	s_cbranch_execz .LBB44_6
; %bb.18:                               ;   in Loop: Header=BB44_7 Depth=1
	v_lshrrev_b64 v[3:4], s14, v[3:4]
	v_lshlrev_b32_sdwa v1, v12, v3 dst_sel:DWORD dst_unused:UNUSED_PAD src0_sel:DWORD src1_sel:BYTE_0
	ds_add_u32 v1, v11
	s_branch .LBB44_6
.LBB44_19:
	s_and_b32 s16, s20, 3
	s_cmp_eq_u32 s16, 0
	s_cbranch_scc1 .LBB44_25
; %bb.20:
	s_lshl_b32 s0, s11, 8
	s_add_i32 s0, s0, s19
	v_add_u32_e32 v6, s0, v0
	v_mul_lo_u32 v1, s13, v6
	s_lshl_b32 s11, s13, 8
	v_mov_b32_e32 v2, 0
	v_mov_b32_e32 v7, 1
	;; [unrolled: 1-line block ×3, first 2 shown]
	s_branch .LBB44_22
.LBB44_21:                              ;   in Loop: Header=BB44_22 Depth=1
	s_or_b64 exec, exec, s[4:5]
	s_add_i32 s16, s16, -1
	v_add_u32_e32 v1, s11, v1
	s_cmp_lg_u32 s16, 0
	v_add_u32_e32 v6, 0x100, v6
	s_cbranch_scc0 .LBB44_25
.LBB44_22:                              ; =>This Inner Loop Header: Depth=1
	v_cmp_gt_u32_e64 s[0:1], s12, v6
	s_and_saveexec_b64 s[4:5], s[0:1]
	s_cbranch_execz .LBB44_21
; %bb.23:                               ;   in Loop: Header=BB44_22 Depth=1
	v_lshlrev_b64 v[3:4], 3, v[1:2]
	v_mov_b32_e32 v9, s15
	v_add_co_u32_e64 v3, s[0:1], s10, v3
	v_addc_co_u32_e64 v4, s[0:1], v9, v4, s[0:1]
	global_load_dwordx2 v[3:4], v[3:4], off
	s_waitcnt vmcnt(0)
	v_xor_b32_e32 v4, 0x80000000, v4
	v_xor_b32_e32 v9, s6, v3
	;; [unrolled: 1-line block ×3, first 2 shown]
	v_and_b32_e32 v10, s9, v10
	v_and_b32_e32 v9, s8, v9
	v_cmp_eq_u64_e64 s[0:1], 0, v[9:10]
	s_and_b64 exec, exec, s[0:1]
	s_cbranch_execz .LBB44_21
; %bb.24:                               ;   in Loop: Header=BB44_22 Depth=1
	v_lshrrev_b64 v[3:4], s14, v[3:4]
	v_lshlrev_b32_sdwa v3, v8, v3 dst_sel:DWORD dst_unused:UNUSED_PAD src0_sel:DWORD src1_sel:BYTE_0
	ds_add_u32 v3, v7
	s_branch .LBB44_21
.LBB44_25:
	s_waitcnt lgkmcnt(0)
	s_barrier
	s_and_saveexec_b64 s[0:1], vcc
	s_cbranch_execz .LBB44_27
; %bb.26:
	v_lshl_or_b32 v0, s18, 8, v0
	v_mov_b32_e32 v1, 0
	ds_read_b32 v3, v5
	v_lshlrev_b64 v[0:1], 1, v[0:1]
	v_mov_b32_e32 v2, s3
	v_add_co_u32_e32 v0, vcc, s2, v0
	v_addc_co_u32_e32 v1, vcc, v2, v1, vcc
	s_waitcnt lgkmcnt(0)
	global_store_short v[0:1], v3, off
.LBB44_27:
	s_endpgm
	.section	.rodata,"a",@progbits
	.p2align	6, 0x0
	.amdhsa_kernel _ZN2at6native6mbtopk23computeBlockDigitCountsIljmLi2EEEvNS_4cuda6detail10TensorInfoIKT_T0_EEjPjjS8_iijT1_PSB_Ps
		.amdhsa_group_segment_fixed_size 1024
		.amdhsa_private_segment_fixed_size 0
		.amdhsa_kernarg_size 536
		.amdhsa_user_sgpr_count 6
		.amdhsa_user_sgpr_private_segment_buffer 1
		.amdhsa_user_sgpr_dispatch_ptr 0
		.amdhsa_user_sgpr_queue_ptr 0
		.amdhsa_user_sgpr_kernarg_segment_ptr 1
		.amdhsa_user_sgpr_dispatch_id 0
		.amdhsa_user_sgpr_flat_scratch_init 0
		.amdhsa_user_sgpr_private_segment_size 0
		.amdhsa_uses_dynamic_stack 0
		.amdhsa_system_sgpr_private_segment_wavefront_offset 0
		.amdhsa_system_sgpr_workgroup_id_x 1
		.amdhsa_system_sgpr_workgroup_id_y 1
		.amdhsa_system_sgpr_workgroup_id_z 1
		.amdhsa_system_sgpr_workgroup_info 0
		.amdhsa_system_vgpr_workitem_id 0
		.amdhsa_next_free_vgpr 15
		.amdhsa_next_free_sgpr 26
		.amdhsa_reserve_vcc 1
		.amdhsa_reserve_flat_scratch 0
		.amdhsa_float_round_mode_32 0
		.amdhsa_float_round_mode_16_64 0
		.amdhsa_float_denorm_mode_32 3
		.amdhsa_float_denorm_mode_16_64 3
		.amdhsa_dx10_clamp 1
		.amdhsa_ieee_mode 1
		.amdhsa_fp16_overflow 0
		.amdhsa_exception_fp_ieee_invalid_op 0
		.amdhsa_exception_fp_denorm_src 0
		.amdhsa_exception_fp_ieee_div_zero 0
		.amdhsa_exception_fp_ieee_overflow 0
		.amdhsa_exception_fp_ieee_underflow 0
		.amdhsa_exception_fp_ieee_inexact 0
		.amdhsa_exception_int_div_zero 0
	.end_amdhsa_kernel
	.section	.text._ZN2at6native6mbtopk23computeBlockDigitCountsIljmLi2EEEvNS_4cuda6detail10TensorInfoIKT_T0_EEjPjjS8_iijT1_PSB_Ps,"axG",@progbits,_ZN2at6native6mbtopk23computeBlockDigitCountsIljmLi2EEEvNS_4cuda6detail10TensorInfoIKT_T0_EEjPjjS8_iijT1_PSB_Ps,comdat
.Lfunc_end44:
	.size	_ZN2at6native6mbtopk23computeBlockDigitCountsIljmLi2EEEvNS_4cuda6detail10TensorInfoIKT_T0_EEjPjjS8_iijT1_PSB_Ps, .Lfunc_end44-_ZN2at6native6mbtopk23computeBlockDigitCountsIljmLi2EEEvNS_4cuda6detail10TensorInfoIKT_T0_EEjPjjS8_iijT1_PSB_Ps
                                        ; -- End function
	.set _ZN2at6native6mbtopk23computeBlockDigitCountsIljmLi2EEEvNS_4cuda6detail10TensorInfoIKT_T0_EEjPjjS8_iijT1_PSB_Ps.num_vgpr, 15
	.set _ZN2at6native6mbtopk23computeBlockDigitCountsIljmLi2EEEvNS_4cuda6detail10TensorInfoIKT_T0_EEjPjjS8_iijT1_PSB_Ps.num_agpr, 0
	.set _ZN2at6native6mbtopk23computeBlockDigitCountsIljmLi2EEEvNS_4cuda6detail10TensorInfoIKT_T0_EEjPjjS8_iijT1_PSB_Ps.numbered_sgpr, 26
	.set _ZN2at6native6mbtopk23computeBlockDigitCountsIljmLi2EEEvNS_4cuda6detail10TensorInfoIKT_T0_EEjPjjS8_iijT1_PSB_Ps.num_named_barrier, 0
	.set _ZN2at6native6mbtopk23computeBlockDigitCountsIljmLi2EEEvNS_4cuda6detail10TensorInfoIKT_T0_EEjPjjS8_iijT1_PSB_Ps.private_seg_size, 0
	.set _ZN2at6native6mbtopk23computeBlockDigitCountsIljmLi2EEEvNS_4cuda6detail10TensorInfoIKT_T0_EEjPjjS8_iijT1_PSB_Ps.uses_vcc, 1
	.set _ZN2at6native6mbtopk23computeBlockDigitCountsIljmLi2EEEvNS_4cuda6detail10TensorInfoIKT_T0_EEjPjjS8_iijT1_PSB_Ps.uses_flat_scratch, 0
	.set _ZN2at6native6mbtopk23computeBlockDigitCountsIljmLi2EEEvNS_4cuda6detail10TensorInfoIKT_T0_EEjPjjS8_iijT1_PSB_Ps.has_dyn_sized_stack, 0
	.set _ZN2at6native6mbtopk23computeBlockDigitCountsIljmLi2EEEvNS_4cuda6detail10TensorInfoIKT_T0_EEjPjjS8_iijT1_PSB_Ps.has_recursion, 0
	.set _ZN2at6native6mbtopk23computeBlockDigitCountsIljmLi2EEEvNS_4cuda6detail10TensorInfoIKT_T0_EEjPjjS8_iijT1_PSB_Ps.has_indirect_call, 0
	.section	.AMDGPU.csdata,"",@progbits
; Kernel info:
; codeLenInByte = 1372
; TotalNumSgprs: 30
; NumVgprs: 15
; ScratchSize: 0
; MemoryBound: 0
; FloatMode: 240
; IeeeMode: 1
; LDSByteSize: 1024 bytes/workgroup (compile time only)
; SGPRBlocks: 3
; VGPRBlocks: 3
; NumSGPRsForWavesPerEU: 30
; NumVGPRsForWavesPerEU: 15
; Occupancy: 10
; WaveLimiterHint : 1
; COMPUTE_PGM_RSRC2:SCRATCH_EN: 0
; COMPUTE_PGM_RSRC2:USER_SGPR: 6
; COMPUTE_PGM_RSRC2:TRAP_HANDLER: 0
; COMPUTE_PGM_RSRC2:TGID_X_EN: 1
; COMPUTE_PGM_RSRC2:TGID_Y_EN: 1
; COMPUTE_PGM_RSRC2:TGID_Z_EN: 1
; COMPUTE_PGM_RSRC2:TIDIG_COMP_CNT: 0
	.section	.text._ZN2at6native6mbtopk10gatherTopKIljLi2EEEvNS_4cuda6detail10TensorInfoIKT_T0_EES8_S8_bjS8_NS5_IS6_S8_EES8_NS5_IlS8_EES8_jjPS6_PjSD_j,"axG",@progbits,_ZN2at6native6mbtopk10gatherTopKIljLi2EEEvNS_4cuda6detail10TensorInfoIKT_T0_EES8_S8_bjS8_NS5_IS6_S8_EES8_NS5_IlS8_EES8_jjPS6_PjSD_j,comdat
	.protected	_ZN2at6native6mbtopk10gatherTopKIljLi2EEEvNS_4cuda6detail10TensorInfoIKT_T0_EES8_S8_bjS8_NS5_IS6_S8_EES8_NS5_IlS8_EES8_jjPS6_PjSD_j ; -- Begin function _ZN2at6native6mbtopk10gatherTopKIljLi2EEEvNS_4cuda6detail10TensorInfoIKT_T0_EES8_S8_bjS8_NS5_IS6_S8_EES8_NS5_IlS8_EES8_jjPS6_PjSD_j
	.globl	_ZN2at6native6mbtopk10gatherTopKIljLi2EEEvNS_4cuda6detail10TensorInfoIKT_T0_EES8_S8_bjS8_NS5_IS6_S8_EES8_NS5_IlS8_EES8_jjPS6_PjSD_j
	.p2align	8
	.type	_ZN2at6native6mbtopk10gatherTopKIljLi2EEEvNS_4cuda6detail10TensorInfoIKT_T0_EES8_S8_bjS8_NS5_IS6_S8_EES8_NS5_IlS8_EES8_jjPS6_PjSD_j,@function
_ZN2at6native6mbtopk10gatherTopKIljLi2EEEvNS_4cuda6detail10TensorInfoIKT_T0_EES8_S8_bjS8_NS5_IS6_S8_EES8_NS5_IlS8_EES8_jjPS6_PjSD_j: ; @_ZN2at6native6mbtopk10gatherTopKIljLi2EEEvNS_4cuda6detail10TensorInfoIKT_T0_EES8_S8_bjS8_NS5_IS6_S8_EES8_NS5_IlS8_EES8_jjPS6_PjSD_j
; %bb.0:
	s_load_dwordx2 s[0:1], s[4:5], 0x2d8
	s_load_dword s2, s[4:5], 0x2d0
	s_waitcnt lgkmcnt(0)
	s_mul_i32 s1, s1, s8
	s_add_i32 s1, s1, s7
	s_mul_i32 s0, s1, s0
	s_add_i32 s0, s0, s6
	s_cmp_ge_u32 s0, s2
	s_cbranch_scc1 .LBB45_40
; %bb.1:
	s_load_dwordx8 s[8:15], s[4:5], 0x2a8
	s_load_dwordx2 s[22:23], s[4:5], 0x23c
	s_load_dword s33, s[4:5], 0x1dc
	s_load_dwordx2 s[6:7], s[4:5], 0x1d0
	s_load_dwordx2 s[30:31], s[4:5], 0x15c
	s_load_dword s42, s[4:5], 0xfc
	s_load_dwordx2 s[24:25], s[4:5], 0xf0
	s_load_dwordx2 s[34:35], s[4:5], 0x6c
	;; [unrolled: 1-line block ×3, first 2 shown]
	s_load_dword s43, s[4:5], 0xc
	s_mov_b32 s29, 0
	s_waitcnt lgkmcnt(0)
	v_cvt_f32_u32_e32 v1, s10
	s_sub_i32 s1, 0, s10
	v_cvt_f32_u32_e32 v2, s43
	v_rcp_iflag_f32_e32 v1, v1
	v_mul_f32_e32 v1, 0x4f7ffffe, v1
	v_cvt_u32_f32_e32 v1, v1
	v_readfirstlane_b32 s2, v1
	s_mul_i32 s1, s1, s2
	s_mul_hi_u32 s1, s2, s1
	s_add_i32 s2, s2, s1
	v_rcp_iflag_f32_e32 v1, v2
	s_mul_hi_u32 s1, s0, s2
	s_mul_i32 s2, s1, s10
	s_sub_i32 s2, s0, s2
	s_add_i32 s3, s1, 1
	s_sub_i32 s11, s2, s10
	v_mul_f32_e32 v1, 0x4f7ffffe, v1
	s_cmp_ge_u32 s2, s10
	v_cvt_u32_f32_e32 v1, v1
	v_cvt_f32_u32_e32 v2, s42
	s_cselect_b32 s1, s3, s1
	s_cselect_b32 s2, s11, s2
	s_add_i32 s3, s1, 1
	s_cmp_ge_u32 s2, s10
	s_cselect_b32 s28, s3, s1
	v_readfirstlane_b32 s1, v1
	v_rcp_iflag_f32_e32 v1, v2
	v_cvt_f32_u32_e32 v2, s33
	s_mul_i32 s16, s28, s10
	s_sub_i32 s11, s0, s16
	v_mul_f32_e32 v1, 0x4f7ffffe, v1
	s_sub_i32 s0, 0, s43
	v_cvt_u32_f32_e32 v1, v1
	v_rcp_iflag_f32_e32 v2, v2
	s_mul_i32 s0, s0, s1
	s_mul_hi_u32 s0, s1, s0
	s_add_i32 s1, s1, s0
	s_mul_hi_u32 s45, s28, s1
	v_readfirstlane_b32 s1, v1
	v_mul_f32_e32 v1, 0x4f7ffffe, v2
	v_cvt_u32_f32_e32 v1, v1
	s_sub_i32 s0, 0, s42
	s_mul_i32 s0, s0, s1
	s_mul_hi_u32 s0, s1, s0
	s_add_i32 s2, s1, s0
	s_sub_i32 s0, 0, s33
	v_readfirstlane_b32 s1, v1
	s_mul_i32 s0, s0, s1
	s_mul_hi_u32 s0, s1, s0
	s_add_i32 s3, s1, s0
	s_lshl_b64 s[0:1], s[28:29], 3
	s_add_u32 s0, s12, s0
	s_addc_u32 s1, s13, s1
	s_load_dwordx2 s[20:21], s[0:1], 0x0
	s_mul_hi_u32 s46, s28, s2
	s_mul_hi_u32 s44, s28, s3
	v_cmp_ne_u32_e64 s[0:1], 0, v0
	v_cmp_eq_u32_e64 s[2:3], 0, v0
	s_and_saveexec_b64 s[12:13], s[2:3]
	s_cbranch_execz .LBB45_17
; %bb.2:
	s_load_dwordx2 s[36:37], s[4:5], 0x2c8
	s_mov_b32 s17, s29
	s_lshl_b64 s[38:39], s[16:17], 2
	s_add_u32 s16, s14, s38
	s_addc_u32 s17, s15, s39
	s_waitcnt lgkmcnt(0)
	s_add_u32 s18, s36, s38
	s_addc_u32 s19, s37, s39
	s_cmp_lt_u32 s10, 4
	s_cbranch_scc1 .LBB45_14
; %bb.3:
	s_mov_b32 s47, s29
	s_mov_b32 s48, s29
	;; [unrolled: 1-line block ×3, first 2 shown]
.LBB45_4:                               ; =>This Inner Loop Header: Depth=1
	s_add_u32 s40, s14, s38
	s_addc_u32 s41, s15, s39
	s_load_dwordx4 s[16:19], s[40:41], 0x0
	s_add_u32 s40, s36, s38
	s_addc_u32 s41, s37, s39
	s_cmp_ge_u32 s49, s11
	s_cbranch_scc0 .LBB45_11
; %bb.5:                                ;   in Loop: Header=BB45_4 Depth=1
	s_add_i32 s50, s49, 1
	s_cmp_ge_u32 s50, s11
	s_cbranch_scc0 .LBB45_12
.LBB45_6:                               ;   in Loop: Header=BB45_4 Depth=1
	s_add_i32 s50, s50, 1
	s_cmp_ge_u32 s50, s11
	s_cbranch_scc0 .LBB45_13
.LBB45_7:                               ;   in Loop: Header=BB45_4 Depth=1
	s_add_i32 s50, s50, 1
	s_cmp_ge_u32 s50, s11
	s_cbranch_scc1 .LBB45_9
.LBB45_8:                               ;   in Loop: Header=BB45_4 Depth=1
	s_load_dword s40, s[40:41], 0xc
	s_waitcnt lgkmcnt(0)
	s_add_i32 s29, s29, s19
	s_add_i32 s47, s40, s47
.LBB45_9:                               ;   in Loop: Header=BB45_4 Depth=1
	s_waitcnt lgkmcnt(0)
	s_add_i32 s16, s16, s48
	s_add_i32 s16, s16, s17
	;; [unrolled: 1-line block ×4, first 2 shown]
	s_add_u32 s14, s14, 16
	s_addc_u32 s15, s15, 0
	s_add_u32 s36, s36, 16
	s_addc_u32 s37, s37, 0
	s_add_i32 s41, s50, 4
	s_add_u32 s18, s36, s38
	s_addc_u32 s19, s37, s39
	s_add_u32 s16, s14, s38
	s_addc_u32 s17, s15, s39
	s_add_i32 s40, s50, 1
	s_cmp_ge_u32 s41, s10
	s_cbranch_scc1 .LBB45_15
; %bb.10:                               ;   in Loop: Header=BB45_4 Depth=1
	s_mov_b32 s49, s40
	s_branch .LBB45_4
.LBB45_11:                              ;   in Loop: Header=BB45_4 Depth=1
	s_load_dword s50, s[40:41], 0x0
	s_waitcnt lgkmcnt(0)
	s_add_i32 s29, s16, s29
	s_add_i32 s47, s50, s47
	;; [unrolled: 1-line block ×3, first 2 shown]
	s_cmp_ge_u32 s50, s11
	s_cbranch_scc1 .LBB45_6
.LBB45_12:                              ;   in Loop: Header=BB45_4 Depth=1
	s_load_dword s51, s[40:41], 0x4
	s_waitcnt lgkmcnt(0)
	s_add_i32 s29, s29, s17
	s_add_i32 s47, s51, s47
	;; [unrolled: 1-line block ×3, first 2 shown]
	s_cmp_ge_u32 s50, s11
	s_cbranch_scc1 .LBB45_7
.LBB45_13:                              ;   in Loop: Header=BB45_4 Depth=1
	s_load_dword s51, s[40:41], 0x8
	s_waitcnt lgkmcnt(0)
	s_add_i32 s29, s29, s18
	s_add_i32 s47, s51, s47
	;; [unrolled: 1-line block ×3, first 2 shown]
	s_cmp_ge_u32 s50, s11
	s_cbranch_scc0 .LBB45_8
	s_branch .LBB45_9
.LBB45_14:
	s_mov_b32 s47, 0
	s_mov_b32 s48, 0
	;; [unrolled: 1-line block ×3, first 2 shown]
	s_cmp_ge_u32 s14, s10
	s_cbranch_scc0 .LBB45_38
	s_branch .LBB45_16
.LBB45_15:
	s_add_i32 s14, s49, 4
	s_cmp_ge_u32 s14, s10
	s_cbranch_scc0 .LBB45_38
.LBB45_16:
	v_mov_b32_e32 v1, s47
	v_mov_b32_e32 v2, s48
	;; [unrolled: 1-line block ×4, first 2 shown]
	ds_write_b96 v4, v[1:3] offset:1056
.LBB45_17:
	s_or_b64 exec, exec, s[12:13]
	s_load_dwordx4 s[12:15], s[4:5], 0xd8
	s_waitcnt lgkmcnt(0)
	s_mul_i32 s15, s9, s11
	s_lshl_b32 s15, s15, 8
	s_add_i32 s18, s11, 1
	s_mov_b32 s11, 0
	s_sub_i32 s16, s12, s15
	s_add_u32 s16, s16, 0xff
	s_addc_u32 s17, 0, 0
	s_lshr_b64 s[16:17], s[16:17], 8
	s_cmp_lt_u32 s18, s10
	s_cselect_b32 s9, s9, s16
	s_cmp_eq_u32 s9, 0
	s_barrier
	s_cbranch_scc1 .LBB45_40
; %bb.18:
	s_mul_i32 s10, s45, s43
	s_sub_i32 s10, s28, s10
	s_add_i32 s16, s45, 1
	s_sub_i32 s17, s10, s43
	s_cmp_ge_u32 s10, s43
	s_cselect_b32 s16, s16, s45
	s_cselect_b32 s10, s17, s10
	s_add_i32 s17, s16, 1
	s_cmp_ge_u32 s10, s43
	s_cselect_b32 s10, s17, s16
	s_mul_i32 s16, s10, s43
	s_sub_i32 s16, s28, s16
	s_mul_i32 s16, s16, s35
	s_mul_i32 s10, s10, s34
	s_add_i32 s10, s10, s16
	s_mul_i32 s16, s46, s42
	s_sub_i32 s16, s28, s16
	s_add_i32 s17, s46, 1
	s_sub_i32 s18, s16, s42
	s_cmp_ge_u32 s16, s42
	s_cselect_b32 s17, s17, s46
	s_cselect_b32 s16, s18, s16
	s_add_i32 s18, s17, 1
	s_cmp_ge_u32 s16, s42
	s_cselect_b32 s16, s18, s17
	s_mul_i32 s17, s16, s42
	s_sub_i32 s17, s28, s17
	s_mul_i32 s17, s17, s31
	s_mul_i32 s16, s16, s30
	s_add_i32 s18, s16, s17
	s_mul_i32 s16, s44, s33
	s_sub_i32 s16, s28, s16
	s_add_i32 s17, s44, 1
	s_sub_i32 s19, s16, s33
	s_cmp_ge_u32 s16, s33
	s_cselect_b32 s17, s17, s44
	s_cselect_b32 s16, s19, s16
	s_add_i32 s19, s17, 1
	s_cmp_ge_u32 s16, s33
	s_cselect_b32 s16, s19, s17
	s_mul_i32 s17, s16, s33
	s_sub_i32 s17, s28, s17
	s_mul_i32 s17, s17, s23
	s_mul_i32 s16, s16, s22
	v_mov_b32_e32 v5, 0
	s_add_i32 s22, s16, s17
	s_lshl_b64 s[16:17], s[10:11], 3
	ds_read_b96 v[1:3], v5 offset:1056
	s_add_u32 s16, s26, s16
	s_mov_b32 s19, s11
	s_addc_u32 s17, s27, s17
	s_lshl_b64 s[18:19], s[18:19], 3
	s_add_u32 s18, s24, s18
	s_mov_b32 s23, s11
	s_addc_u32 s19, s25, s19
	s_lshl_b64 s[10:11], s[22:23], 3
	s_add_u32 s22, s6, s10
	s_waitcnt lgkmcnt(0)
	v_add_u32_e32 v2, v1, v2
	v_lshrrev_b32_e32 v1, 3, v0
	s_addc_u32 s23, s7, s11
	s_xor_b32 s11, s21, 0x80000000
	v_and_b32_e32 v1, 28, v1
	s_bitcmp1_b32 s14, 0
	s_load_dword s14, s[4:5], 0xe8
	s_load_dword s24, s[4:5], 0x1c8
	v_lshl_add_u32 v8, v0, 2, v1
	v_lshrrev_b32_e32 v1, 1, v0
	v_and_b32_e32 v9, 0x7c, v1
	v_add_u32_e32 v1, -1, v0
	v_lshrrev_b32_e32 v4, 3, v1
	v_cmp_gt_u32_e64 s[4:5], 64, v0
	v_lshlrev_b32_e32 v10, 4, v0
	v_and_b32_e32 v4, 0x1ffffffc, v4
	v_add_u32_e32 v0, s15, v0
	v_lshl_add_u32 v11, v1, 2, v4
	s_waitcnt lgkmcnt(0)
	v_mul_lo_u32 v4, s14, v0
	v_mbcnt_lo_u32_b32 v1, -1, 0
	s_mov_b32 s10, s20
	s_cselect_b64 s[6:7], -1, 0
	s_lshl_b32 s25, s14, 8
	v_mbcnt_hi_u32_b32 v12, -1, v1
                                        ; implicit-def: $vgpr6_vgpr7
	s_branch .LBB45_21
.LBB45_19:                              ;   in Loop: Header=BB45_21 Depth=1
	s_or_b64 exec, exec, s[14:15]
	v_add_u32_e32 v2, v15, v2
.LBB45_20:                              ;   in Loop: Header=BB45_21 Depth=1
	s_add_i32 s9, s9, -1
	v_add_u32_e32 v3, v14, v3
	v_add_u32_e32 v4, s25, v4
	s_cmp_lg_u32 s9, 0
	v_add_u32_e32 v0, 0x100, v0
	s_cbranch_scc0 .LBB45_40
.LBB45_21:                              ; =>This Inner Loop Header: Depth=1
	v_cmp_gt_u32_e32 vcc, s12, v0
	v_mov_b32_e32 v1, 0
	v_mov_b32_e32 v13, 0
	s_and_saveexec_b64 s[14:15], vcc
	s_cbranch_execz .LBB45_23
; %bb.22:                               ;   in Loop: Header=BB45_21 Depth=1
	v_lshlrev_b64 v[6:7], 3, v[4:5]
	v_mov_b32_e32 v1, s17
	v_add_co_u32_e32 v6, vcc, s16, v6
	v_addc_co_u32_e32 v7, vcc, v1, v7, vcc
	global_load_dwordx2 v[6:7], v[6:7], off
	s_waitcnt vmcnt(0)
	v_xor_b32_e32 v14, 0x80000000, v7
	v_mov_b32_e32 v13, v6
	v_cmp_lt_u64_e32 vcc, s[10:11], v[13:14]
	v_cndmask_b32_e64 v1, 0, 1, vcc
	v_cmp_gt_u64_e32 vcc, s[10:11], v[13:14]
	v_cndmask_b32_e64 v13, 0, 1, vcc
	v_cmp_eq_u64_e32 vcc, s[20:21], v[6:7]
	v_cndmask_b32_e64 v1, v13, v1, s[6:7]
	v_and_b32_e32 v1, 1, v1
	v_cndmask_b32_e64 v13, 0, 1, vcc
.LBB45_23:                              ;   in Loop: Header=BB45_21 Depth=1
	s_or_b64 exec, exec, s[14:15]
	ds_write_b32 v8, v1
	s_waitcnt vmcnt(0) lgkmcnt(0)
	s_barrier
	s_and_saveexec_b64 s[14:15], s[4:5]
	s_cbranch_execz .LBB45_25
; %bb.24:                               ;   in Loop: Header=BB45_21 Depth=1
	v_add_u32_e32 v18, v9, v10
	ds_read2_b32 v[14:15], v18 offset1:1
	ds_read2_b32 v[16:17], v18 offset0:2 offset1:3
	v_and_b32_e32 v19, 15, v12
	v_cmp_ne_u32_e32 vcc, 0, v19
	s_waitcnt lgkmcnt(1)
	v_add_u32_e32 v15, v15, v14
	s_waitcnt lgkmcnt(0)
	v_add3_u32 v15, v15, v16, v17
	v_bfe_i32 v17, v12, 4, 1
	; wave barrier
	s_nop 0
	v_mov_b32_dpp v16, v15 row_shr:1 row_mask:0xf bank_mask:0xf
	v_cndmask_b32_e32 v16, 0, v16, vcc
	v_add_u32_e32 v15, v16, v15
	v_cmp_lt_u32_e32 vcc, 1, v19
	s_nop 0
	v_mov_b32_dpp v16, v15 row_shr:2 row_mask:0xf bank_mask:0xf
	v_cndmask_b32_e32 v16, 0, v16, vcc
	v_add_u32_e32 v15, v15, v16
	v_cmp_lt_u32_e32 vcc, 3, v19
	;; [unrolled: 5-line block ×4, first 2 shown]
	s_nop 0
	v_mov_b32_dpp v16, v15 row_bcast:15 row_mask:0xf bank_mask:0xf
	v_and_b32_e32 v16, v17, v16
	v_add_u32_e32 v15, v15, v16
	v_and_b32_e32 v17, 64, v12
	s_nop 0
	v_mov_b32_dpp v16, v15 row_bcast:31 row_mask:0xf bank_mask:0xf
	v_cndmask_b32_e32 v16, 0, v16, vcc
	v_add_u32_e32 v15, v15, v16
	v_add_u32_e32 v16, -1, v12
	v_cmp_lt_i32_e32 vcc, v16, v17
	v_cndmask_b32_e32 v16, v16, v12, vcc
	v_lshlrev_b32_e32 v16, 2, v16
	ds_bpermute_b32 v15, v16, v15
	s_waitcnt lgkmcnt(0)
	v_add_u32_e32 v14, v15, v14
	v_cndmask_b32_e64 v16, v14, v1, s[2:3]
	ds_write_b32 v18, v16
	; wave barrier
	ds_read2_b32 v[14:15], v18 offset0:1 offset1:2
	ds_read_b32 v17, v18 offset:12
	s_waitcnt lgkmcnt(1)
	v_add_u32_e32 v14, v14, v16
	v_add_u32_e32 v15, v15, v14
	ds_write2_b32 v18, v14, v15 offset0:1 offset1:2
	s_waitcnt lgkmcnt(1)
	v_add_u32_e32 v14, v17, v15
	ds_write_b32 v18, v14 offset:12
.LBB45_25:                              ;   in Loop: Header=BB45_21 Depth=1
	s_or_b64 exec, exec, s[14:15]
	v_mov_b32_e32 v15, 0
	s_waitcnt lgkmcnt(0)
	s_barrier
	s_and_saveexec_b64 s[14:15], s[0:1]
; %bb.26:                               ;   in Loop: Header=BB45_21 Depth=1
	ds_read_b32 v15, v11
; %bb.27:                               ;   in Loop: Header=BB45_21 Depth=1
	s_or_b64 exec, exec, s[14:15]
	ds_read_b32 v14, v5 offset:1048
	v_cmp_ne_u32_e32 vcc, 0, v1
	s_waitcnt lgkmcnt(0)
	s_barrier
	s_and_saveexec_b64 s[14:15], vcc
	s_cbranch_execz .LBB45_29
; %bb.28:                               ;   in Loop: Header=BB45_21 Depth=1
	v_add_u32_e32 v1, v15, v3
	v_mul_lo_u32 v15, v1, s24
	v_mov_b32_e32 v16, v5
	v_mov_b32_e32 v17, s19
	;; [unrolled: 1-line block ×3, first 2 shown]
	v_lshlrev_b64 v[15:16], 3, v[15:16]
	v_add_co_u32_e32 v15, vcc, s18, v15
	v_addc_co_u32_e32 v16, vcc, v17, v16, vcc
	v_mul_lo_u32 v17, v1, s8
	global_store_dwordx2 v[15:16], v[6:7], off
	v_mov_b32_e32 v1, v5
	v_lshlrev_b64 v[15:16], 3, v[17:18]
	v_mov_b32_e32 v17, s23
	v_add_co_u32_e32 v15, vcc, s22, v15
	v_addc_co_u32_e32 v16, vcc, v17, v16, vcc
	global_store_dwordx2 v[15:16], v[0:1], off
.LBB45_29:                              ;   in Loop: Header=BB45_21 Depth=1
	s_or_b64 exec, exec, s[14:15]
	v_cmp_le_u32_e32 vcc, s13, v2
	s_cbranch_vccnz .LBB45_20
; %bb.30:                               ;   in Loop: Header=BB45_21 Depth=1
	ds_write_b32 v8, v13
	s_waitcnt vmcnt(0) lgkmcnt(0)
	s_barrier
	s_and_saveexec_b64 s[14:15], s[4:5]
	s_cbranch_execz .LBB45_32
; %bb.31:                               ;   in Loop: Header=BB45_21 Depth=1
	v_add_u32_e32 v1, v9, v10
	ds_read2_b32 v[15:16], v1 offset1:1
	ds_read2_b32 v[17:18], v1 offset0:2 offset1:3
	v_and_b32_e32 v19, 15, v12
	v_cmp_ne_u32_e32 vcc, 0, v19
	s_waitcnt lgkmcnt(1)
	v_add_u32_e32 v16, v16, v15
	s_waitcnt lgkmcnt(0)
	v_add3_u32 v16, v16, v17, v18
	v_bfe_i32 v18, v12, 4, 1
	; wave barrier
	s_nop 0
	v_mov_b32_dpp v17, v16 row_shr:1 row_mask:0xf bank_mask:0xf
	v_cndmask_b32_e32 v17, 0, v17, vcc
	v_add_u32_e32 v16, v17, v16
	v_cmp_lt_u32_e32 vcc, 1, v19
	s_nop 0
	v_mov_b32_dpp v17, v16 row_shr:2 row_mask:0xf bank_mask:0xf
	v_cndmask_b32_e32 v17, 0, v17, vcc
	v_add_u32_e32 v16, v16, v17
	v_cmp_lt_u32_e32 vcc, 3, v19
	;; [unrolled: 5-line block ×4, first 2 shown]
	s_nop 0
	v_mov_b32_dpp v17, v16 row_bcast:15 row_mask:0xf bank_mask:0xf
	v_and_b32_e32 v17, v18, v17
	v_add_u32_e32 v16, v16, v17
	v_and_b32_e32 v18, 64, v12
	s_nop 0
	v_mov_b32_dpp v17, v16 row_bcast:31 row_mask:0xf bank_mask:0xf
	v_cndmask_b32_e32 v17, 0, v17, vcc
	v_add_u32_e32 v16, v16, v17
	v_add_u32_e32 v17, -1, v12
	v_cmp_lt_i32_e32 vcc, v17, v18
	v_cndmask_b32_e32 v17, v17, v12, vcc
	v_lshlrev_b32_e32 v17, 2, v17
	ds_bpermute_b32 v16, v17, v16
	s_waitcnt lgkmcnt(0)
	v_add_u32_e32 v15, v16, v15
	v_cndmask_b32_e64 v17, v15, v13, s[2:3]
	ds_write_b32 v1, v17
	; wave barrier
	ds_read2_b32 v[15:16], v1 offset0:1 offset1:2
	ds_read_b32 v18, v1 offset:12
	s_waitcnt lgkmcnt(1)
	v_add_u32_e32 v15, v15, v17
	v_add_u32_e32 v16, v16, v15
	ds_write2_b32 v1, v15, v16 offset0:1 offset1:2
	s_waitcnt lgkmcnt(1)
	v_add_u32_e32 v15, v18, v16
	ds_write_b32 v1, v15 offset:12
.LBB45_32:                              ;   in Loop: Header=BB45_21 Depth=1
	s_or_b64 exec, exec, s[14:15]
	v_mov_b32_e32 v1, 0
	s_waitcnt lgkmcnt(0)
	s_barrier
	s_and_saveexec_b64 s[14:15], s[0:1]
; %bb.33:                               ;   in Loop: Header=BB45_21 Depth=1
	ds_read_b32 v1, v11
; %bb.34:                               ;   in Loop: Header=BB45_21 Depth=1
	s_or_b64 exec, exec, s[14:15]
	ds_read_b32 v15, v5 offset:1048
	v_cmp_ne_u32_e32 vcc, 0, v13
	s_waitcnt lgkmcnt(0)
	s_barrier
	s_and_saveexec_b64 s[14:15], vcc
	s_cbranch_execz .LBB45_19
; %bb.35:                               ;   in Loop: Header=BB45_21 Depth=1
	v_add_u32_e32 v1, v1, v2
	v_cmp_gt_u32_e32 vcc, s13, v1
	s_and_b64 exec, exec, vcc
	s_cbranch_execz .LBB45_19
; %bb.36:                               ;   in Loop: Header=BB45_21 Depth=1
	v_mul_lo_u32 v16, v1, s24
	v_mov_b32_e32 v17, v5
	v_mul_lo_u32 v18, v1, s8
	v_mov_b32_e32 v13, s19
	v_lshlrev_b64 v[16:17], 3, v[16:17]
	v_mov_b32_e32 v19, v5
	v_add_co_u32_e32 v16, vcc, s18, v16
	v_addc_co_u32_e32 v17, vcc, v13, v17, vcc
	global_store_dwordx2 v[16:17], v[6:7], off
	v_lshlrev_b64 v[16:17], 3, v[18:19]
	v_mov_b32_e32 v13, s23
	v_add_co_u32_e32 v16, vcc, s22, v16
	v_mov_b32_e32 v1, v5
	v_addc_co_u32_e32 v17, vcc, v13, v17, vcc
	global_store_dwordx2 v[16:17], v[0:1], off
	s_branch .LBB45_19
.LBB45_37:                              ;   in Loop: Header=BB45_38 Depth=1
	s_add_u32 s16, s16, 4
	s_addc_u32 s17, s17, 0
	s_waitcnt lgkmcnt(0)
	s_add_i32 s48, s15, s48
	s_add_u32 s18, s18, 4
	s_addc_u32 s19, s19, 0
	s_add_i32 s14, s14, 1
	s_cmp_lt_u32 s14, s10
	s_cbranch_scc0 .LBB45_16
.LBB45_38:                              ; =>This Inner Loop Header: Depth=1
	s_load_dword s15, s[16:17], 0x0
	s_cmp_ge_u32 s14, s11
	s_cbranch_scc1 .LBB45_37
; %bb.39:                               ;   in Loop: Header=BB45_38 Depth=1
	s_load_dword s36, s[18:19], 0x0
	s_waitcnt lgkmcnt(0)
	s_add_i32 s29, s15, s29
	s_add_i32 s47, s36, s47
	s_branch .LBB45_37
.LBB45_40:
	s_endpgm
	.section	.rodata,"a",@progbits
	.p2align	6, 0x0
	.amdhsa_kernel _ZN2at6native6mbtopk10gatherTopKIljLi2EEEvNS_4cuda6detail10TensorInfoIKT_T0_EES8_S8_bjS8_NS5_IS6_S8_EES8_NS5_IlS8_EES8_jjPS6_PjSD_j
		.amdhsa_group_segment_fixed_size 1068
		.amdhsa_private_segment_fixed_size 0
		.amdhsa_kernarg_size 984
		.amdhsa_user_sgpr_count 6
		.amdhsa_user_sgpr_private_segment_buffer 1
		.amdhsa_user_sgpr_dispatch_ptr 0
		.amdhsa_user_sgpr_queue_ptr 0
		.amdhsa_user_sgpr_kernarg_segment_ptr 1
		.amdhsa_user_sgpr_dispatch_id 0
		.amdhsa_user_sgpr_flat_scratch_init 0
		.amdhsa_user_sgpr_private_segment_size 0
		.amdhsa_uses_dynamic_stack 0
		.amdhsa_system_sgpr_private_segment_wavefront_offset 0
		.amdhsa_system_sgpr_workgroup_id_x 1
		.amdhsa_system_sgpr_workgroup_id_y 1
		.amdhsa_system_sgpr_workgroup_id_z 1
		.amdhsa_system_sgpr_workgroup_info 0
		.amdhsa_system_vgpr_workitem_id 0
		.amdhsa_next_free_vgpr 20
		.amdhsa_next_free_sgpr 52
		.amdhsa_reserve_vcc 1
		.amdhsa_reserve_flat_scratch 0
		.amdhsa_float_round_mode_32 0
		.amdhsa_float_round_mode_16_64 0
		.amdhsa_float_denorm_mode_32 3
		.amdhsa_float_denorm_mode_16_64 3
		.amdhsa_dx10_clamp 1
		.amdhsa_ieee_mode 1
		.amdhsa_fp16_overflow 0
		.amdhsa_exception_fp_ieee_invalid_op 0
		.amdhsa_exception_fp_denorm_src 0
		.amdhsa_exception_fp_ieee_div_zero 0
		.amdhsa_exception_fp_ieee_overflow 0
		.amdhsa_exception_fp_ieee_underflow 0
		.amdhsa_exception_fp_ieee_inexact 0
		.amdhsa_exception_int_div_zero 0
	.end_amdhsa_kernel
	.section	.text._ZN2at6native6mbtopk10gatherTopKIljLi2EEEvNS_4cuda6detail10TensorInfoIKT_T0_EES8_S8_bjS8_NS5_IS6_S8_EES8_NS5_IlS8_EES8_jjPS6_PjSD_j,"axG",@progbits,_ZN2at6native6mbtopk10gatherTopKIljLi2EEEvNS_4cuda6detail10TensorInfoIKT_T0_EES8_S8_bjS8_NS5_IS6_S8_EES8_NS5_IlS8_EES8_jjPS6_PjSD_j,comdat
.Lfunc_end45:
	.size	_ZN2at6native6mbtopk10gatherTopKIljLi2EEEvNS_4cuda6detail10TensorInfoIKT_T0_EES8_S8_bjS8_NS5_IS6_S8_EES8_NS5_IlS8_EES8_jjPS6_PjSD_j, .Lfunc_end45-_ZN2at6native6mbtopk10gatherTopKIljLi2EEEvNS_4cuda6detail10TensorInfoIKT_T0_EES8_S8_bjS8_NS5_IS6_S8_EES8_NS5_IlS8_EES8_jjPS6_PjSD_j
                                        ; -- End function
	.set _ZN2at6native6mbtopk10gatherTopKIljLi2EEEvNS_4cuda6detail10TensorInfoIKT_T0_EES8_S8_bjS8_NS5_IS6_S8_EES8_NS5_IlS8_EES8_jjPS6_PjSD_j.num_vgpr, 20
	.set _ZN2at6native6mbtopk10gatherTopKIljLi2EEEvNS_4cuda6detail10TensorInfoIKT_T0_EES8_S8_bjS8_NS5_IS6_S8_EES8_NS5_IlS8_EES8_jjPS6_PjSD_j.num_agpr, 0
	.set _ZN2at6native6mbtopk10gatherTopKIljLi2EEEvNS_4cuda6detail10TensorInfoIKT_T0_EES8_S8_bjS8_NS5_IS6_S8_EES8_NS5_IlS8_EES8_jjPS6_PjSD_j.numbered_sgpr, 52
	.set _ZN2at6native6mbtopk10gatherTopKIljLi2EEEvNS_4cuda6detail10TensorInfoIKT_T0_EES8_S8_bjS8_NS5_IS6_S8_EES8_NS5_IlS8_EES8_jjPS6_PjSD_j.num_named_barrier, 0
	.set _ZN2at6native6mbtopk10gatherTopKIljLi2EEEvNS_4cuda6detail10TensorInfoIKT_T0_EES8_S8_bjS8_NS5_IS6_S8_EES8_NS5_IlS8_EES8_jjPS6_PjSD_j.private_seg_size, 0
	.set _ZN2at6native6mbtopk10gatherTopKIljLi2EEEvNS_4cuda6detail10TensorInfoIKT_T0_EES8_S8_bjS8_NS5_IS6_S8_EES8_NS5_IlS8_EES8_jjPS6_PjSD_j.uses_vcc, 1
	.set _ZN2at6native6mbtopk10gatherTopKIljLi2EEEvNS_4cuda6detail10TensorInfoIKT_T0_EES8_S8_bjS8_NS5_IS6_S8_EES8_NS5_IlS8_EES8_jjPS6_PjSD_j.uses_flat_scratch, 0
	.set _ZN2at6native6mbtopk10gatherTopKIljLi2EEEvNS_4cuda6detail10TensorInfoIKT_T0_EES8_S8_bjS8_NS5_IS6_S8_EES8_NS5_IlS8_EES8_jjPS6_PjSD_j.has_dyn_sized_stack, 0
	.set _ZN2at6native6mbtopk10gatherTopKIljLi2EEEvNS_4cuda6detail10TensorInfoIKT_T0_EES8_S8_bjS8_NS5_IS6_S8_EES8_NS5_IlS8_EES8_jjPS6_PjSD_j.has_recursion, 0
	.set _ZN2at6native6mbtopk10gatherTopKIljLi2EEEvNS_4cuda6detail10TensorInfoIKT_T0_EES8_S8_bjS8_NS5_IS6_S8_EES8_NS5_IlS8_EES8_jjPS6_PjSD_j.has_indirect_call, 0
	.section	.AMDGPU.csdata,"",@progbits
; Kernel info:
; codeLenInByte = 2432
; TotalNumSgprs: 56
; NumVgprs: 20
; ScratchSize: 0
; MemoryBound: 0
; FloatMode: 240
; IeeeMode: 1
; LDSByteSize: 1068 bytes/workgroup (compile time only)
; SGPRBlocks: 6
; VGPRBlocks: 4
; NumSGPRsForWavesPerEU: 56
; NumVGPRsForWavesPerEU: 20
; Occupancy: 10
; WaveLimiterHint : 1
; COMPUTE_PGM_RSRC2:SCRATCH_EN: 0
; COMPUTE_PGM_RSRC2:USER_SGPR: 6
; COMPUTE_PGM_RSRC2:TRAP_HANDLER: 0
; COMPUTE_PGM_RSRC2:TGID_X_EN: 1
; COMPUTE_PGM_RSRC2:TGID_Y_EN: 1
; COMPUTE_PGM_RSRC2:TGID_Z_EN: 1
; COMPUTE_PGM_RSRC2:TIDIG_COMP_CNT: 0
	.section	.text._ZN2at6native6sbtopk10gatherTopKIljLi2ELb0EEEvNS_4cuda6detail10TensorInfoIKT_T0_EES8_S8_bS8_S8_NS5_IS6_S8_EES8_NS5_IlS8_EES8_PS6_,"axG",@progbits,_ZN2at6native6sbtopk10gatherTopKIljLi2ELb0EEEvNS_4cuda6detail10TensorInfoIKT_T0_EES8_S8_bS8_S8_NS5_IS6_S8_EES8_NS5_IlS8_EES8_PS6_,comdat
	.protected	_ZN2at6native6sbtopk10gatherTopKIljLi2ELb0EEEvNS_4cuda6detail10TensorInfoIKT_T0_EES8_S8_bS8_S8_NS5_IS6_S8_EES8_NS5_IlS8_EES8_PS6_ ; -- Begin function _ZN2at6native6sbtopk10gatherTopKIljLi2ELb0EEEvNS_4cuda6detail10TensorInfoIKT_T0_EES8_S8_bS8_S8_NS5_IS6_S8_EES8_NS5_IlS8_EES8_PS6_
	.globl	_ZN2at6native6sbtopk10gatherTopKIljLi2ELb0EEEvNS_4cuda6detail10TensorInfoIKT_T0_EES8_S8_bS8_S8_NS5_IS6_S8_EES8_NS5_IlS8_EES8_PS6_
	.p2align	8
	.type	_ZN2at6native6sbtopk10gatherTopKIljLi2ELb0EEEvNS_4cuda6detail10TensorInfoIKT_T0_EES8_S8_bS8_S8_NS5_IS6_S8_EES8_NS5_IlS8_EES8_PS6_,@function
_ZN2at6native6sbtopk10gatherTopKIljLi2ELb0EEEvNS_4cuda6detail10TensorInfoIKT_T0_EES8_S8_bS8_S8_NS5_IS6_S8_EES8_NS5_IlS8_EES8_PS6_: ; @_ZN2at6native6sbtopk10gatherTopKIljLi2ELb0EEEvNS_4cuda6detail10TensorInfoIKT_T0_EES8_S8_bS8_S8_NS5_IS6_S8_EES8_NS5_IlS8_EES8_PS6_
; %bb.0:
	s_load_dwordx2 s[14:15], s[4:5], 0x2b8
	s_load_dwordx4 s[28:31], s[4:5], 0xd8
	s_mov_b64 s[16:17], s[4:5]
	s_add_u32 s12, s16, 0x2b8
	s_addc_u32 s13, s17, 0
	s_waitcnt lgkmcnt(0)
	s_mul_i32 s0, s15, s8
	s_add_i32 s0, s0, s7
	s_mul_i32 s0, s0, s14
	s_add_i32 s15, s0, s6
	s_cmp_ge_u32 s15, s31
	s_cbranch_scc1 .LBB46_396
; %bb.1:
	s_load_dword s4, s[16:17], 0xc
	s_load_dword s0, s[16:17], 0xe8
	s_load_dwordx2 s[8:9], s[16:17], 0x23c
                                        ; implicit-def: $vgpr46 : SGPR spill to VGPR lane
	s_mov_b32 s41, 0
	s_waitcnt lgkmcnt(0)
	v_cvt_f32_u32_e32 v1, s4
	v_writelane_b32 v46, s0, 0
	s_load_dwordx2 s[2:3], s[16:17], 0x6c
	s_load_dwordx2 s[0:1], s[16:17], 0x0
	s_load_dword s10, s[16:17], 0x1dc
	s_load_dword s11, s[16:17], 0xfc
	v_writelane_b32 v46, s8, 1
	v_writelane_b32 v46, s9, 2
	s_load_dwordx2 s[8:9], s[16:17], 0x1d0
	v_rcp_iflag_f32_e32 v1, v1
	s_waitcnt lgkmcnt(0)
	v_cvt_f32_u32_e32 v2, s11
	s_sub_i32 s5, 0, s4
	v_writelane_b32 v46, s8, 3
	v_mul_f32_e32 v1, 0x4f7ffffe, v1
	v_writelane_b32 v46, s9, 4
	s_load_dwordx2 s[8:9], s[16:17], 0x15c
	v_cvt_u32_f32_e32 v1, v1
	v_rcp_iflag_f32_e32 v2, v2
	v_readfirstlane_b32 s7, v1
	v_mul_f32_e32 v1, 0x4f7ffffe, v2
	v_cvt_f32_u32_e32 v2, s10
	s_waitcnt lgkmcnt(0)
	v_writelane_b32 v46, s8, 5
	v_writelane_b32 v46, s9, 6
	s_load_dwordx2 s[8:9], s[16:17], 0xf0
	v_cvt_u32_f32_e32 v1, v1
	v_rcp_iflag_f32_e32 v2, v2
	s_mul_i32 s5, s5, s7
	s_mul_hi_u32 s5, s7, s5
	s_waitcnt lgkmcnt(0)
	v_writelane_b32 v46, s8, 7
	s_add_i32 s7, s7, s5
	v_writelane_b32 v46, s9, 8
	s_mul_hi_u32 s5, s15, s7
	s_sub_i32 s7, 0, s11
	v_readfirstlane_b32 s8, v1
	v_mul_f32_e32 v1, 0x4f7ffffe, v2
	s_mul_i32 s7, s7, s8
	v_cvt_u32_f32_e32 v1, v1
	s_mul_hi_u32 s7, s8, s7
	s_add_i32 s8, s8, s7
	v_writelane_b32 v46, s11, 9
	s_mul_hi_u32 s7, s15, s8
	v_writelane_b32 v46, s7, 10
	s_sub_i32 s7, 0, s10
	v_readfirstlane_b32 s8, v1
	s_mul_i32 s7, s7, s8
	s_mul_hi_u32 s7, s8, s7
	s_add_i32 s8, s8, s7
	v_writelane_b32 v46, s10, 11
	s_mul_hi_u32 s7, s15, s8
	v_writelane_b32 v46, s7, 12
	v_cmp_eq_u32_e64 s[10:11], 0, v0
	s_mov_b64 s[8:9], exec
	v_writelane_b32 v46, s10, 13
	v_writelane_b32 v46, s11, 14
	s_and_b64 s[10:11], s[8:9], s[10:11]
	s_mov_b64 exec, s[10:11]
; %bb.2:
	v_mov_b32_e32 v1, 0
	v_mov_b32_e32 v2, s28
	;; [unrolled: 1-line block ×3, first 2 shown]
	ds_write_b96 v1, v[1:3] offset:4096
; %bb.3:
	s_or_b64 exec, exec, s[8:9]
	s_mul_i32 s7, s5, s4
	s_sub_i32 s7, s15, s7
	s_add_i32 s8, s5, 1
	s_sub_i32 s9, s7, s4
	s_cmp_ge_u32 s7, s4
	s_cselect_b32 s5, s8, s5
	s_cselect_b32 s7, s9, s7
	s_add_i32 s8, s5, 1
	s_cmp_ge_u32 s7, s4
	s_cselect_b32 s5, s8, s5
	s_mul_i32 s4, s5, s4
	s_sub_i32 s4, s15, s4
	s_mul_i32 s4, s4, s3
	s_mul_i32 s2, s5, s2
	s_add_i32 s40, s2, s4
	s_lshl_b64 s[2:3], s[40:41], 3
	s_add_u32 s33, s0, s2
	s_waitcnt lgkmcnt(0)
	s_barrier
	s_load_dword s0, s[12:13], 0xc
	s_addc_u32 s40, s1, s3
	s_bitcmp1_b32 s30, 0
	v_writelane_b32 v46, s15, 15
	s_cselect_b64 s[2:3], -1, 0
	v_mbcnt_lo_u32_b32 v1, -1, 0
	v_writelane_b32 v46, s2, 16
	v_mbcnt_hi_u32_b32 v29, -1, v1
	v_writelane_b32 v46, s3, 17
	s_xor_b64 s[30:31], s[2:3], -1
	s_waitcnt lgkmcnt(0)
	s_and_b32 s46, s0, 0xffff
	v_cmp_gt_u32_e32 vcc, 64, v0
	v_cmp_gt_i32_e64 s[2:3], 4, v29
	s_lshl_b32 s15, s46, 2
	s_bfe_u32 s4, s0, 0xa0006
	s_and_b64 s[42:43], vcc, s[2:3]
	s_cmpk_gt_u32 s28, 0x180
	s_cselect_b64 s[2:3], -1, 0
	v_writelane_b32 v46, s2, 18
	v_writelane_b32 v46, s3, 19
	;; [unrolled: 1-line block ×3, first 2 shown]
	s_load_dword s7, s[16:17], 0xe8
	v_mov_b32_e32 v14, 0
	v_mov_b32_e32 v13, v14
	v_writelane_b32 v46, s17, 21
	v_cmp_gt_u32_e64 s[2:3], s28, v0
	s_waitcnt lgkmcnt(0)
	v_mul_lo_u32 v12, s7, v0
	v_mov_b32_e32 v3, s40
	v_writelane_b32 v46, s2, 22
	s_cmp_gt_u32 s46, 63
	v_lshlrev_b64 v[1:2], 3, v[12:13]
	v_writelane_b32 v46, s3, 23
	v_add_co_u32_e32 v10, vcc, s33, v1
	v_addc_co_u32_e32 v11, vcc, v3, v2, vcc
	v_lshlrev_b64 v[2:3], v29, -1
	s_cselect_b64 s[2:3], -1, 0
	v_writelane_b32 v46, s2, 24
	v_not_b32_e32 v27, v2
	v_lshrrev_b32_e32 v2, 2, v0
	v_writelane_b32 v46, s3, 25
	v_cmp_gt_u32_e64 s[2:3], 2, v0
	v_and_b32_e32 v2, 0xf0, v2
	v_writelane_b32 v46, s2, 26
	s_add_i32 s45, s46, -1
	v_or_b32_e32 v32, 0xc00, v2
	v_cvt_f32_u32_e32 v2, s15
	v_writelane_b32 v46, s3, 27
	s_add_i32 s2, s45, s28
	s_cmp_lt_u32 s6, s14
	s_cselect_b32 s3, 12, 18
	s_add_u32 s8, s12, s3
	v_rcp_iflag_f32_e32 v2, v2
	s_addc_u32 s9, s13, 0
	s_add_i32 s3, s4, -1
	s_bfe_u32 s5, s46, 0x30006
	s_and_b32 s3, s3, 0xffff
	v_writelane_b32 v46, s8, 28
	s_cmp_gt_u32 s3, 6
	v_writelane_b32 v46, s9, 29
	s_cselect_b64 s[8:9], -1, 0
	v_mul_f32_e32 v2, 0x4f7ffffe, v2
	v_writelane_b32 v46, s8, 30
	s_and_b32 s14, s4, 0x3f8
	v_cvt_u32_f32_e32 v2, v2
	v_writelane_b32 v46, s9, 31
	s_cmp_lg_u32 s5, 0
	v_writelane_b32 v46, s5, 32
	s_cselect_b64 s[4:5], -1, 0
	v_writelane_b32 v46, s4, 33
	v_writelane_b32 v46, s5, 34
	s_sub_i32 s3, 0, s15
	v_readfirstlane_b32 s4, v2
	s_mul_i32 s3, s3, s4
	s_mul_hi_u32 s3, s4, s3
	s_add_i32 s3, s4, s3
	v_writelane_b32 v46, s3, 35
	s_mul_hi_u32 s3, s28, s3
	s_mul_i32 s3, s3, s15
	v_cvt_f32_u32_e32 v2, s46
	s_sub_i32 s3, s28, s3
	s_sub_i32 s4, s3, s15
	s_cmp_ge_u32 s3, s15
	s_cselect_b32 s3, s4, s3
	v_rcp_iflag_f32_e32 v4, v2
	s_sub_i32 s4, s3, s15
	s_cmp_ge_u32 s3, s15
	s_cselect_b32 s3, s4, s3
	v_lshlrev_b32_e32 v28, 2, v0
	s_sub_i32 s13, s28, s3
	v_mul_f32_e32 v4, 0x4f7ffffe, v4
	v_cmp_gt_u32_e64 s[4:5], s13, v28
	v_cvt_u32_f32_e32 v4, v4
	v_add_u32_e32 v33, s13, v0
	v_writelane_b32 v46, s4, 36
	v_writelane_b32 v46, s5, 37
	v_cmp_gt_u32_e64 s[4:5], s28, v33
	v_writelane_b32 v46, s4, 38
	v_writelane_b32 v46, s5, 39
	s_sub_i32 s4, 0, s46
	v_readfirstlane_b32 s5, v4
	s_mul_i32 s4, s4, s5
	v_mul_lo_u32 v13, v33, s7
	s_mul_hi_u32 s4, s5, s4
	s_add_i32 s4, s5, s4
	v_writelane_b32 v46, s4, 40
	s_mul_hi_u32 s4, s2, s4
	s_mul_i32 s4, s4, s46
	v_not_b32_e32 v26, v3
	v_lshlrev_b64 v[2:3], 3, v[13:14]
	s_sub_i32 s4, s2, s4
	s_sub_i32 s5, s4, s46
	v_add_co_u32_e32 v15, vcc, s33, v2
	s_cmp_ge_u32 s4, s46
	v_mul_lo_u32 v2, s7, v28
	s_cselect_b32 s4, s5, s4
	s_sub_i32 s5, s4, s46
	s_cmp_ge_u32 s4, s46
	s_cselect_b32 s4, s5, s4
	v_add_u32_e32 v34, s7, v2
	v_or_b32_e32 v2, 2, v28
	s_sub_i32 s12, s2, s4
	v_mul_lo_u32 v35, s7, v2
	v_or_b32_e32 v2, 3, v28
	s_add_i32 s2, s46, s28
	v_mul_lo_u32 v36, s7, v2
	v_add_u32_e32 v2, s2, v0
	v_subrev_u32_e32 v2, s3, v2
	v_mul_lo_u32 v38, s7, v2
	v_mov_b32_e32 v5, s40
	v_cmp_gt_u32_e64 s[4:5], s12, v0
	v_lshlrev_b32_e32 v30, 3, v0
	v_lshlrev_b32_e32 v1, 2, v29
	v_addc_co_u32_e32 v16, vcc, v5, v3, vcc
	v_writelane_b32 v46, s4, 41
	s_mul_i32 s47, s7, s46
	v_mov_b32_e32 v17, 0
	v_mov_b32_e32 v19, 0
	;; [unrolled: 1-line block ×3, first 2 shown]
	v_cmp_eq_u32_e64 s[0:1], 0, v29
	v_add_u32_e32 v31, 0xc00, v30
	v_and_b32_e32 v25, 0x100, v1
	v_writelane_b32 v46, s5, 42
	s_lshl_b32 s48, s47, 2
	v_lshlrev_b32_e32 v37, 2, v12
	v_lshlrev_b32_e32 v39, 5, v0
	s_lshl_b32 s49, s46, 5
	s_lshl_b32 s10, s46, 3
	v_or_b32_e32 v40, 0xc00, v1
	s_mov_b32 s11, 62
	s_mov_b64 s[54:55], 0
	v_mov_b32_e32 v41, s29
	v_mov_b32_e32 v18, 0
	;; [unrolled: 1-line block ×5, first 2 shown]
                                        ; implicit-def: $sgpr56_sgpr57
                                        ; implicit-def: $sgpr58_sgpr59
                                        ; implicit-def: $sgpr62_sgpr63
                                        ; implicit-def: $sgpr64_sgpr65
                                        ; implicit-def: $sgpr60_sgpr61
                                        ; implicit-def: $sgpr66_sgpr67
                                        ; implicit-def: $sgpr68_sgpr69
                                        ; implicit-def: $sgpr70_sgpr71
                                        ; implicit-def: $sgpr72_sgpr73
                                        ; implicit-def: $sgpr74_sgpr75
	v_writelane_b32 v46, s45, 43
	s_branch .LBB46_6
.LBB46_4:                               ;   in Loop: Header=BB46_6 Depth=1
	s_or_b64 exec, exec, s[16:17]
	s_andn2_b64 s[4:5], s[74:75], exec
	s_and_b64 s[8:9], s[8:9], exec
	s_or_b64 s[74:75], s[4:5], s[8:9]
	s_andn2_b64 s[72:73], s[72:73], exec
	s_andn2_b64 s[70:71], s[70:71], exec
	;; [unrolled: 1-line block ×4, first 2 shown]
	s_orn2_b64 s[6:7], s[6:7], exec
	v_mov_b32_e32 v41, v24
.LBB46_5:                               ;   in Loop: Header=BB46_6 Depth=1
	s_or_b64 exec, exec, s[2:3]
	s_and_b64 s[2:3], exec, s[6:7]
	s_or_b64 s[54:55], s[2:3], s[54:55]
	s_andn2_b64 s[2:3], s[60:61], exec
	s_and_b64 s[4:5], s[74:75], exec
	s_or_b64 s[60:61], s[2:3], s[4:5]
	s_andn2_b64 s[2:3], s[64:65], exec
	s_and_b64 s[4:5], s[72:73], exec
	s_or_b64 s[64:65], s[2:3], s[4:5]
	s_andn2_b64 s[2:3], s[62:63], exec
	s_and_b64 s[4:5], s[70:71], exec
	s_or_b64 s[62:63], s[2:3], s[4:5]
	s_andn2_b64 s[2:3], s[58:59], exec
	s_and_b64 s[4:5], s[68:69], exec
	s_or_b64 s[58:59], s[2:3], s[4:5]
	s_andn2_b64 s[2:3], s[56:57], exec
	s_and_b64 s[4:5], s[66:67], exec
	s_or_b64 s[56:57], s[2:3], s[4:5]
	s_andn2_b64 exec, exec, s[54:55]
	s_cbranch_execz .LBB46_392
.LBB46_6:                               ; =>This Loop Header: Depth=1
                                        ;     Child Loop BB46_12 Depth 2
                                        ;     Child Loop BB46_25 Depth 2
	;; [unrolled: 1-line block ×24, first 2 shown]
	ds_read_b64 v[1:2], v14 offset:4096
	s_waitcnt lgkmcnt(0)
	v_readfirstlane_b32 s4, v1
	s_cmp_lg_u32 s4, 0
	s_cbranch_scc1 .LBB46_33
; %bb.7:                                ;   in Loop: Header=BB46_6 Depth=1
	v_readlane_b32 s2, v46, 18
	v_readlane_b32 s3, v46, 19
	s_and_b64 vcc, exec, s[2:3]
	s_cbranch_vccz .LBB46_20
; %bb.8:                                ;   in Loop: Header=BB46_6 Depth=1
	s_movk_i32 s2, 0x181
	v_cmp_gt_u32_e32 vcc, s2, v2
	s_mov_b64 s[20:21], 0
	s_mov_b64 s[2:3], 0
	s_cbranch_vccz .LBB46_21
; %bb.9:                                ;   in Loop: Header=BB46_6 Depth=1
	s_mov_b64 s[22:23], exec
	v_readlane_b32 s2, v46, 22
	v_readlane_b32 s3, v46, 23
	s_and_b64 s[2:3], s[22:23], s[2:3]
	s_mov_b64 exec, s[2:3]
	s_cbranch_execz .LBB46_81
; %bb.10:                               ;   in Loop: Header=BB46_6 Depth=1
	v_readlane_b32 s2, v46, 28
	v_readlane_b32 s3, v46, 29
	s_nop 4
	global_load_ushort v8, v14, s[2:3]
	global_load_dwordx2 v[1:2], v[10:11], off
	v_readlane_b32 s2, v46, 20
	v_readlane_b32 s3, v46, 21
	s_load_dword s2, s[2:3], 0xe8
	v_mov_b32_e32 v21, v0
	s_waitcnt vmcnt(1)
	v_add_u32_e32 v6, v0, v8
	s_waitcnt lgkmcnt(0)
	v_mul_lo_u32 v13, s2, v6
	v_mul_lo_u32 v9, s2, v8
	s_mov_b64 s[2:3], 0
	s_branch .LBB46_12
.LBB46_11:                              ;   in Loop: Header=BB46_12 Depth=2
	s_or_b64 exec, exec, s[6:7]
	v_mov_b32_e32 v1, v6
	v_add_u32_e32 v13, v13, v9
	v_mov_b32_e32 v2, v7
	s_andn2_b64 exec, exec, s[2:3]
	s_cbranch_execz .LBB46_81
.LBB46_12:                              ;   Parent Loop BB46_6 Depth=1
                                        ; =>  This Inner Loop Header: Depth=2
	v_add_u32_e32 v21, v21, v8
	v_mov_b32_e32 v6, 0
	v_cmp_gt_u32_e64 s[6:7], s28, v21
	v_mov_b32_e32 v7, 0
	v_cmp_le_u32_e32 vcc, s28, v21
	s_and_saveexec_b64 s[8:9], s[6:7]
	s_cbranch_execz .LBB46_14
; %bb.13:                               ;   in Loop: Header=BB46_12 Depth=2
	v_lshlrev_b64 v[6:7], 3, v[13:14]
	s_waitcnt lgkmcnt(0)
	v_mov_b32_e32 v22, s40
	v_add_co_u32_e64 v6, s[6:7], s33, v6
	v_addc_co_u32_e64 v7, s[6:7], v22, v7, s[6:7]
	global_load_dwordx2 v[6:7], v[6:7], off
.LBB46_14:                              ;   in Loop: Header=BB46_12 Depth=2
	s_or_b64 exec, exec, s[8:9]
	s_waitcnt vmcnt(0) lgkmcnt(0)
	v_xor_b32_e32 v22, 0x80000000, v2
	v_and_b32_e32 v23, v22, v20
	v_and_b32_e32 v22, v1, v19
	v_cmp_eq_u64_e64 s[18:19], v[22:23], v[17:18]
	v_mov_b32_e32 v22, 0
	s_cmp_lg_u64 s[18:19], 0
	s_cselect_b64 s[4:5], -1, 0
	s_and_b64 s[4:5], s[0:1], s[4:5]
	s_and_saveexec_b64 s[8:9], s[4:5]
	s_cbranch_execz .LBB46_18
; %bb.15:                               ;   in Loop: Header=BB46_12 Depth=2
	s_mov_b64 s[24:25], exec
	v_mbcnt_lo_u32_b32 v22, s24, 0
	v_mbcnt_hi_u32_b32 v22, s25, v22
	s_bcnt1_i32_b64 s4, s[18:19]
	v_cmp_eq_u32_e64 s[6:7], 0, v22
                                        ; implicit-def: $vgpr23
	s_and_saveexec_b64 s[16:17], s[6:7]
; %bb.16:                               ;   in Loop: Header=BB46_12 Depth=2
	s_bcnt1_i32_b64 s5, s[24:25]
	s_mul_i32 s5, s4, s5
	v_mov_b32_e32 v23, s5
	ds_add_rtn_u32 v23, v14, v23 offset:4104
; %bb.17:                               ;   in Loop: Header=BB46_12 Depth=2
	s_or_b64 exec, exec, s[16:17]
	s_waitcnt lgkmcnt(0)
	v_readfirstlane_b32 s5, v23
	v_mov_b32_e32 v23, s5
	v_mad_u32_u24 v22, s4, v22, v23
.LBB46_18:                              ;   in Loop: Header=BB46_12 Depth=2
	s_or_b64 exec, exec, s[8:9]
	ds_bpermute_b32 v22, v25, v22
	s_and_b64 s[4:5], exec, vcc
	s_or_b64 s[2:3], s[4:5], s[2:3]
	s_and_saveexec_b64 s[6:7], s[18:19]
	s_cbranch_execz .LBB46_11
; %bb.19:                               ;   in Loop: Header=BB46_12 Depth=2
	v_and_b32_e32 v24, s18, v27
	v_and_b32_e32 v23, s19, v26
	v_bcnt_u32_b32 v24, v24, 0
	v_bcnt_u32_b32 v23, v23, v24
	v_lshlrev_b32_e32 v23, 3, v23
	s_waitcnt lgkmcnt(0)
	v_lshl_add_u32 v22, v22, 3, v23
	ds_write_b64 v22, v[1:2]
	s_branch .LBB46_11
.LBB46_20:                              ;   in Loop: Header=BB46_6 Depth=1
	s_mov_b64 s[20:21], -1
	s_mov_b64 s[2:3], 0
.LBB46_21:                              ;   in Loop: Header=BB46_6 Depth=1
	s_and_b64 vcc, exec, s[20:21]
	s_cbranch_vccz .LBB46_31
.LBB46_22:                              ;   in Loop: Header=BB46_6 Depth=1
	s_mov_b64 s[2:3], exec
	v_readlane_b32 s4, v46, 22
	v_readlane_b32 s5, v46, 23
	s_and_b64 s[4:5], s[2:3], s[4:5]
	s_mov_b64 exec, s[4:5]
	s_cbranch_execz .LBB46_28
; %bb.23:                               ;   in Loop: Header=BB46_6 Depth=1
	v_readlane_b32 s4, v46, 28
	v_readlane_b32 s5, v46, 29
	s_nop 4
	global_load_ushort v8, v14, s[4:5]
	global_load_dwordx2 v[1:2], v[10:11], off
	v_mov_b32_e32 v9, v0
	s_waitcnt vmcnt(1)
	v_add_u32_e32 v6, v0, v8
	v_cmp_gt_u32_e32 vcc, s28, v6
	s_and_saveexec_b64 s[6:7], vcc
	s_cbranch_execz .LBB46_27
; %bb.24:                               ;   in Loop: Header=BB46_6 Depth=1
	v_readlane_b32 s4, v46, 20
	v_readlane_b32 s5, v46, 21
	s_load_dword s4, s[4:5], 0xe8
	v_lshlrev_b32_e32 v21, 3, v8
	s_mov_b64 s[8:9], 0
	v_mov_b32_e32 v23, v30
	v_mov_b32_e32 v9, v0
	s_waitcnt lgkmcnt(0)
	v_mul_lo_u32 v13, s4, v6
	v_mul_lo_u32 v22, s4, v8
.LBB46_25:                              ;   Parent Loop BB46_6 Depth=1
                                        ; =>  This Inner Loop Header: Depth=2
	v_lshlrev_b64 v[6:7], 3, v[13:14]
	v_mov_b32_e32 v24, s40
	v_add_co_u32_e32 v6, vcc, s33, v6
	v_addc_co_u32_e32 v7, vcc, v24, v7, vcc
	global_load_dwordx2 v[6:7], v[6:7], off
	v_add_u32_e32 v9, v9, v8
	s_waitcnt vmcnt(1)
	ds_write_b64 v23, v[1:2]
	v_add_u32_e32 v1, v8, v9
	v_cmp_le_u32_e32 vcc, s28, v1
	v_add_u32_e32 v23, v23, v21
	v_add_u32_e32 v13, v13, v22
	s_or_b64 s[8:9], vcc, s[8:9]
	s_waitcnt vmcnt(0)
	v_mov_b32_e32 v1, v6
	v_mov_b32_e32 v2, v7
	s_andn2_b64 exec, exec, s[8:9]
	s_cbranch_execnz .LBB46_25
; %bb.26:                               ;   in Loop: Header=BB46_6 Depth=1
	s_or_b64 exec, exec, s[8:9]
	v_mov_b32_e32 v1, v6
	v_mov_b32_e32 v2, v7
.LBB46_27:                              ;   in Loop: Header=BB46_6 Depth=1
	s_or_b64 exec, exec, s[6:7]
	v_lshlrev_b32_e32 v6, 3, v9
	s_waitcnt vmcnt(0)
	ds_write_b64 v6, v[1:2]
.LBB46_28:                              ;   in Loop: Header=BB46_6 Depth=1
	s_or_b64 exec, exec, s[2:3]
	s_waitcnt lgkmcnt(0)
	s_barrier
	s_mov_b64 s[2:3], exec
	v_readlane_b32 s4, v46, 13
	v_readlane_b32 s5, v46, 14
	s_and_b64 s[4:5], s[2:3], s[4:5]
	s_mov_b64 exec, s[4:5]
; %bb.29:                               ;   in Loop: Header=BB46_6 Depth=1
	v_mov_b32_e32 v1, s28
	ds_write_b32 v14, v1 offset:4096
; %bb.30:                               ;   in Loop: Header=BB46_6 Depth=1
	s_or_b64 exec, exec, s[2:3]
	s_mov_b64 s[2:3], -1
	s_waitcnt lgkmcnt(0)
	s_barrier
.LBB46_31:                              ;   in Loop: Header=BB46_6 Depth=1
	s_mov_b32 s4, 0
	s_and_b64 vcc, exec, s[2:3]
	s_cbranch_vccz .LBB46_33
; %bb.32:                               ;   in Loop: Header=BB46_6 Depth=1
	ds_read_b32 v1, v14 offset:4096
	s_waitcnt lgkmcnt(0)
	v_readfirstlane_b32 s4, v1
.LBB46_33:                              ;   in Loop: Header=BB46_6 Depth=1
	s_cmp_lt_i32 s4, 1
	s_mov_b64 s[2:3], -1
                                        ; implicit-def: $vgpr6
	s_cbranch_scc1 .LBB46_43
; %bb.34:                               ;   in Loop: Header=BB46_6 Depth=1
	s_and_b64 vcc, exec, s[2:3]
	s_cbranch_vccnz .LBB46_54
.LBB46_35:                              ;   in Loop: Header=BB46_6 Depth=1
	s_lshl_b32 s4, s41, 6
	s_and_saveexec_b64 s[2:3], s[0:1]
.LBB46_36:                              ;   in Loop: Header=BB46_6 Depth=1
	v_lshl_add_u32 v1, s4, 2, v32
	ds_write_b128 v1, v[6:9]
.LBB46_37:                              ;   in Loop: Header=BB46_6 Depth=1
	s_or_b64 exec, exec, s[2:3]
	s_waitcnt lgkmcnt(0)
	s_barrier
	s_and_saveexec_b64 s[2:3], s[42:43]
	s_cbranch_execz .LBB46_68
; %bb.38:                               ;   in Loop: Header=BB46_6 Depth=1
	v_readlane_b32 s6, v46, 24
	v_readlane_b32 s7, v46, 25
	s_andn2_b64 vcc, exec, s[6:7]
	v_mov_b32_e32 v1, 0
	s_cbranch_vccnz .LBB46_67
; %bb.39:                               ;   in Loop: Header=BB46_6 Depth=1
	v_readlane_b32 s6, v46, 30
	v_readlane_b32 s7, v46, 31
	s_andn2_b64 vcc, exec, s[6:7]
	s_cbranch_vccnz .LBB46_63
; %bb.40:                               ;   in Loop: Header=BB46_6 Depth=1
	v_lshl_add_u32 v2, s41, 8, v40
	s_mov_b32 s5, 0
	v_mov_b32_e32 v1, 0
.LBB46_41:                              ;   Parent Loop BB46_6 Depth=1
                                        ; =>  This Inner Loop Header: Depth=2
	ds_read2_b32 v[6:7], v2 offset1:4
	ds_read2_b32 v[8:9], v2 offset0:8 offset1:12
	ds_read2_b32 v[21:22], v2 offset0:16 offset1:20
	;; [unrolled: 1-line block ×3, first 2 shown]
	s_add_i32 s5, s5, 8
	s_waitcnt lgkmcnt(3)
	v_add3_u32 v1, v6, v1, v7
	s_waitcnt lgkmcnt(2)
	v_add3_u32 v1, v8, v1, v9
	;; [unrolled: 2-line block ×3, first 2 shown]
	v_add_u32_e32 v2, 0x80, v2
	s_cmp_eq_u32 s14, s5
	s_waitcnt lgkmcnt(0)
	v_add3_u32 v1, v23, v1, v24
	s_cbranch_scc0 .LBB46_41
; %bb.42:                               ;   in Loop: Header=BB46_6 Depth=1
	s_mov_b32 s5, s14
	s_branch .LBB46_64
.LBB46_43:                              ;   in Loop: Header=BB46_6 Depth=1
	v_mov_b32_e32 v6, 0
	v_mov_b32_e32 v7, 0
	;; [unrolled: 1-line block ×4, first 2 shown]
	s_mov_b64 s[76:77], exec
	v_readlane_b32 s2, v46, 36
	v_readlane_b32 s3, v46, 37
	s_and_b64 s[2:3], s[76:77], s[2:3]
	s_mov_b64 exec, s[2:3]
	s_cbranch_execz .LBB46_47
; %bb.44:                               ;   in Loop: Header=BB46_6 Depth=1
	s_mov_b32 s2, 0
	s_mov_b64 s[78:79], 0
	s_mov_b32 s3, 0
	s_mov_b32 s5, 0
	;; [unrolled: 1-line block ×4, first 2 shown]
	v_mov_b32_e32 v21, v28
.LBB46_45:                              ;   Parent Loop BB46_6 Depth=1
                                        ; =>  This Inner Loop Header: Depth=2
	v_add_u32_e32 v13, s2, v37
	v_lshlrev_b64 v[1:2], 3, v[13:14]
	v_add_u32_e32 v13, s2, v34
	v_add_co_u32_e32 v1, vcc, s33, v1
	v_mov_b32_e32 v24, s40
	v_lshlrev_b64 v[6:7], 3, v[13:14]
	v_addc_co_u32_e32 v2, vcc, v24, v2, vcc
	v_add_co_u32_e32 v6, vcc, s33, v6
	v_addc_co_u32_e32 v7, vcc, v24, v7, vcc
	v_add_u32_e32 v13, s2, v35
	global_load_dwordx2 v[1:2], v[1:2], off
	v_add_u32_e32 v21, s15, v21
	global_load_dwordx2 v[22:23], v[6:7], off
	v_lshlrev_b64 v[6:7], 3, v[13:14]
	v_add_u32_e32 v13, s2, v36
	v_add_co_u32_e32 v6, vcc, s33, v6
	v_addc_co_u32_e32 v7, vcc, v24, v7, vcc
	global_load_dwordx2 v[8:9], v[6:7], off
	v_lshlrev_b64 v[6:7], 3, v[13:14]
	s_add_i32 s2, s2, s48
	v_add_co_u32_e32 v6, vcc, s33, v6
	v_addc_co_u32_e32 v7, vcc, v24, v7, vcc
	global_load_dwordx2 v[6:7], v[6:7], off
	s_waitcnt vmcnt(3)
	v_xor_b32_e32 v2, 0x80000000, v2
	v_and_b32_e32 v43, v2, v20
	v_and_b32_e32 v42, v1, v19
	v_lshrrev_b64 v[1:2], s11, v[1:2]
	s_waitcnt vmcnt(2)
	v_xor_b32_e32 v23, 0x80000000, v23
	v_and_b32_e32 v13, 3, v1
	v_lshrrev_b64 v[1:2], s11, v[22:23]
	v_cmp_eq_u64_e32 vcc, v[42:43], v[17:18]
	v_and_b32_e32 v43, v23, v20
	s_waitcnt vmcnt(1)
	v_xor_b32_e32 v9, 0x80000000, v9
	v_and_b32_e32 v42, v22, v19
	v_cmp_eq_u64_e64 s[6:7], 0, v[13:14]
	v_cmp_eq_u64_e64 s[18:19], v[42:43], v[17:18]
	v_and_b32_e32 v43, v9, v20
	v_and_b32_e32 v42, v8, v19
	;; [unrolled: 1-line block ×3, first 2 shown]
	v_mov_b32_e32 v2, v14
	v_lshrrev_b64 v[8:9], s11, v[8:9]
	s_waitcnt vmcnt(0)
	v_xor_b32_e32 v7, 0x80000000, v7
	s_and_b64 s[16:17], vcc, s[6:7]
	v_cmp_eq_u64_e64 s[6:7], 0, v[1:2]
	v_cmp_eq_u64_e64 s[20:21], v[42:43], v[17:18]
	v_and_b32_e32 v43, v7, v20
	v_and_b32_e32 v42, v6, v19
	;; [unrolled: 1-line block ×3, first 2 shown]
	v_mov_b32_e32 v9, v14
	v_lshrrev_b64 v[6:7], s11, v[6:7]
	s_and_b64 s[24:25], s[18:19], s[6:7]
	v_cmp_eq_u64_e64 s[6:7], 0, v[8:9]
	v_and_b32_e32 v6, 3, v6
	v_mov_b32_e32 v7, v14
	v_cmp_eq_u64_e64 s[22:23], v[42:43], v[17:18]
	s_and_b64 s[26:27], s[20:21], s[6:7]
	v_cmp_eq_u64_e64 s[6:7], 0, v[6:7]
	v_cndmask_b32_e64 v22, 0, 1, s[16:17]
	s_and_b64 s[34:35], s[22:23], s[6:7]
	v_cmp_ne_u32_e64 s[6:7], 0, v22
	v_cndmask_b32_e64 v22, 0, 1, s[24:25]
	s_bcnt1_i32_b64 s16, s[6:7]
	v_cmp_ne_u32_e64 s[6:7], 0, v22
	v_cndmask_b32_e64 v22, 0, 1, s[26:27]
	s_bcnt1_i32_b64 s17, s[6:7]
	;; [unrolled: 3-line block ×3, first 2 shown]
	v_cmp_ne_u32_e64 s[6:7], 0, v22
	s_bcnt1_i32_b64 s6, s[6:7]
	s_add_i32 s7, s9, s16
	s_add_i32 s7, s7, s17
	;; [unrolled: 1-line block ×4, first 2 shown]
	v_cmp_eq_u64_e64 s[6:7], 1, v[13:14]
	s_and_b64 s[16:17], vcc, s[6:7]
	v_cmp_eq_u64_e64 s[6:7], 1, v[1:2]
	v_cndmask_b32_e64 v22, 0, 1, s[16:17]
	s_and_b64 s[24:25], s[18:19], s[6:7]
	v_cmp_eq_u64_e64 s[6:7], 1, v[8:9]
	s_and_b64 s[26:27], s[20:21], s[6:7]
	v_cmp_eq_u64_e64 s[6:7], 1, v[6:7]
	s_and_b64 s[34:35], s[22:23], s[6:7]
	v_cmp_ne_u32_e64 s[6:7], 0, v22
	v_cndmask_b32_e64 v22, 0, 1, s[24:25]
	s_bcnt1_i32_b64 s16, s[6:7]
	v_cmp_ne_u32_e64 s[6:7], 0, v22
	v_cndmask_b32_e64 v22, 0, 1, s[26:27]
	s_bcnt1_i32_b64 s17, s[6:7]
	v_cmp_ne_u32_e64 s[6:7], 0, v22
	v_cndmask_b32_e64 v22, 0, 1, s[34:35]
	s_bcnt1_i32_b64 s24, s[6:7]
	v_cmp_ne_u32_e64 s[6:7], 0, v22
	s_bcnt1_i32_b64 s6, s[6:7]
	s_add_i32 s7, s8, s16
	s_add_i32 s7, s7, s17
	;; [unrolled: 1-line block ×4, first 2 shown]
	v_cmp_eq_u64_e64 s[6:7], 2, v[13:14]
	s_and_b64 s[16:17], vcc, s[6:7]
	v_cmp_eq_u64_e64 s[6:7], 2, v[1:2]
	v_cndmask_b32_e64 v22, 0, 1, s[16:17]
	s_and_b64 s[24:25], s[18:19], s[6:7]
	v_cmp_eq_u64_e64 s[6:7], 2, v[8:9]
	s_and_b64 s[26:27], s[20:21], s[6:7]
	v_cmp_eq_u64_e64 s[6:7], 2, v[6:7]
	s_and_b64 s[34:35], s[22:23], s[6:7]
	v_cmp_ne_u32_e64 s[6:7], 0, v22
	v_cndmask_b32_e64 v22, 0, 1, s[24:25]
	s_bcnt1_i32_b64 s16, s[6:7]
	v_cmp_ne_u32_e64 s[6:7], 0, v22
	v_cndmask_b32_e64 v22, 0, 1, s[26:27]
	s_bcnt1_i32_b64 s17, s[6:7]
	v_cmp_ne_u32_e64 s[6:7], 0, v22
	v_cndmask_b32_e64 v22, 0, 1, s[34:35]
	s_add_i32 s5, s5, s16
	s_bcnt1_i32_b64 s24, s[6:7]
	v_cmp_ne_u32_e64 s[6:7], 0, v22
	s_add_i32 s5, s5, s17
	s_bcnt1_i32_b64 s6, s[6:7]
	s_add_i32 s5, s5, s24
	s_add_i32 s5, s5, s6
	v_cmp_eq_u64_e64 s[6:7], 3, v[13:14]
	s_and_b64 s[6:7], vcc, s[6:7]
	v_cmp_eq_u64_e32 vcc, 3, v[1:2]
	v_cndmask_b32_e64 v1, 0, 1, s[6:7]
	s_and_b64 s[16:17], s[18:19], vcc
	v_cmp_eq_u64_e32 vcc, 3, v[8:9]
	v_mov_b32_e32 v8, s5
	s_and_b64 s[18:19], s[20:21], vcc
	v_cmp_eq_u64_e32 vcc, 3, v[6:7]
	v_mov_b32_e32 v6, s9
	s_and_b64 s[20:21], s[22:23], vcc
	v_cmp_ne_u32_e32 vcc, 0, v1
	v_cndmask_b32_e64 v1, 0, 1, s[16:17]
	s_bcnt1_i32_b64 s6, vcc
	v_cmp_ne_u32_e32 vcc, 0, v1
	v_cndmask_b32_e64 v1, 0, 1, s[18:19]
	s_bcnt1_i32_b64 s7, vcc
	v_cmp_ne_u32_e32 vcc, 0, v1
	v_cndmask_b32_e64 v1, 0, 1, s[20:21]
	s_add_i32 s3, s3, s6
	s_bcnt1_i32_b64 s16, vcc
	v_cmp_ne_u32_e32 vcc, 0, v1
	s_add_i32 s3, s3, s7
	s_bcnt1_i32_b64 s17, vcc
	s_add_i32 s3, s3, s16
	s_add_i32 s3, s3, s17
	v_cmp_le_u32_e32 vcc, s13, v21
	s_or_b64 s[78:79], vcc, s[78:79]
	v_mov_b32_e32 v7, s8
	v_mov_b32_e32 v9, s3
	s_andn2_b64 exec, exec, s[78:79]
	s_cbranch_execnz .LBB46_45
; %bb.46:                               ;   in Loop: Header=BB46_6 Depth=1
	s_or_b64 exec, exec, s[78:79]
.LBB46_47:                              ;   in Loop: Header=BB46_6 Depth=1
	s_or_b64 exec, exec, s[76:77]
	s_mov_b64 s[2:3], exec
	v_readlane_b32 s6, v46, 38
	v_readlane_b32 s7, v46, 39
	s_and_b64 s[6:7], s[2:3], s[6:7]
	s_mov_b64 exec, s[6:7]
	s_cbranch_execz .LBB46_53
; %bb.48:                               ;   in Loop: Header=BB46_6 Depth=1
	global_load_dwordx2 v[23:24], v[15:16], off
	s_mov_b64 s[16:17], 0
	v_mov_b32_e32 v1, v38
	v_mov_b32_e32 v42, v33
	s_branch .LBB46_50
.LBB46_49:                              ;   in Loop: Header=BB46_50 Depth=2
	s_or_b64 exec, exec, s[8:9]
	s_waitcnt vmcnt(0)
	v_xor_b32_e32 v24, 0x80000000, v24
	v_and_b32_e32 v44, v24, v20
	v_and_b32_e32 v43, v23, v19
	v_lshrrev_b64 v[23:24], s11, v[23:24]
	s_and_b64 s[8:9], exec, vcc
	v_and_b32_e32 v13, 3, v23
	v_cmp_eq_u64_e32 vcc, v[43:44], v[17:18]
	v_cmp_eq_u64_e64 s[6:7], 0, v[13:14]
	s_or_b64 s[16:17], s[8:9], s[16:17]
	s_and_b64 s[6:7], vcc, s[6:7]
	v_cndmask_b32_e64 v2, 0, 1, s[6:7]
	v_cmp_ne_u32_e64 s[6:7], 0, v2
	s_bcnt1_i32_b64 s5, s[6:7]
	v_cmp_eq_u64_e64 s[6:7], 1, v[13:14]
	v_add_u32_e32 v6, s5, v6
	s_and_b64 s[6:7], vcc, s[6:7]
	v_cndmask_b32_e64 v2, 0, 1, s[6:7]
	v_cmp_ne_u32_e64 s[6:7], 0, v2
	s_bcnt1_i32_b64 s5, s[6:7]
	v_cmp_eq_u64_e64 s[6:7], 2, v[13:14]
	v_add_u32_e32 v7, s5, v7
	s_and_b64 s[6:7], vcc, s[6:7]
	v_cndmask_b32_e64 v2, 0, 1, s[6:7]
	v_cmp_ne_u32_e64 s[6:7], 0, v2
	s_bcnt1_i32_b64 s5, s[6:7]
	v_cmp_eq_u64_e64 s[6:7], 3, v[13:14]
	v_add_u32_e32 v8, s5, v8
	s_and_b64 s[6:7], vcc, s[6:7]
	v_cndmask_b32_e64 v2, 0, 1, s[6:7]
	v_cmp_ne_u32_e32 vcc, 0, v2
	s_bcnt1_i32_b64 s5, vcc
	v_mov_b32_e32 v24, v22
	v_add_u32_e32 v9, s5, v9
	v_add_u32_e32 v1, s47, v1
	v_mov_b32_e32 v23, v21
	s_andn2_b64 exec, exec, s[16:17]
	s_cbranch_execz .LBB46_52
.LBB46_50:                              ;   Parent Loop BB46_6 Depth=1
                                        ; =>  This Inner Loop Header: Depth=2
	v_add_u32_e32 v42, s46, v42
	v_mov_b32_e32 v21, 0
	v_cmp_gt_u32_e64 s[6:7], s28, v42
	v_mov_b32_e32 v22, 0
	v_cmp_le_u32_e32 vcc, s28, v42
	s_and_saveexec_b64 s[8:9], s[6:7]
	s_cbranch_execz .LBB46_49
; %bb.51:                               ;   in Loop: Header=BB46_50 Depth=2
	v_mov_b32_e32 v2, v14
	v_lshlrev_b64 v[21:22], 3, v[1:2]
	v_mov_b32_e32 v2, s40
	v_add_co_u32_e64 v21, s[6:7], s33, v21
	v_addc_co_u32_e64 v22, s[6:7], v2, v22, s[6:7]
	global_load_dwordx2 v[21:22], v[21:22], off
	s_branch .LBB46_49
.LBB46_52:                              ;   in Loop: Header=BB46_6 Depth=1
	s_or_b64 exec, exec, s[16:17]
.LBB46_53:                              ;   in Loop: Header=BB46_6 Depth=1
	s_or_b64 exec, exec, s[2:3]
	s_branch .LBB46_35
.LBB46_54:                              ;   in Loop: Header=BB46_6 Depth=1
	v_readlane_b32 s2, v46, 35
	s_mul_hi_u32 s2, s4, s2
	s_mul_i32 s2, s2, s15
	s_sub_i32 s2, s4, s2
	s_sub_i32 s3, s2, s15
	s_cmp_ge_u32 s2, s15
	s_cselect_b32 s2, s3, s2
	s_sub_i32 s3, s2, s15
	s_cmp_ge_u32 s2, s15
	s_cselect_b32 s2, s3, s2
	s_sub_i32 s2, s4, s2
	v_cmp_gt_u32_e32 vcc, s2, v28
	v_mov_b32_e32 v6, 0
	v_mov_b32_e32 v7, 0
	;; [unrolled: 1-line block ×4, first 2 shown]
	s_and_saveexec_b64 s[76:77], vcc
	s_cbranch_execz .LBB46_58
; %bb.55:                               ;   in Loop: Header=BB46_6 Depth=1
	s_mov_b32 s3, 0
	s_mov_b64 s[78:79], 0
	v_mov_b32_e32 v21, v39
	s_mov_b32 s5, 0
	s_mov_b32 s8, 0
	;; [unrolled: 1-line block ×3, first 2 shown]
	v_mov_b32_e32 v22, v28
.LBB46_56:                              ;   Parent Loop BB46_6 Depth=1
                                        ; =>  This Inner Loop Header: Depth=2
	ds_read_b128 v[42:45], v21
	ds_read_b128 v[6:9], v21 offset:16
	v_add_u32_e32 v22, s15, v22
	v_add_u32_e32 v21, s49, v21
	s_waitcnt lgkmcnt(1)
	v_xor_b32_e32 v43, 0x80000000, v43
	v_xor_b32_e32 v45, 0x80000000, v45
	v_and_b32_e32 v2, v43, v20
	v_and_b32_e32 v1, v42, v19
	s_waitcnt lgkmcnt(0)
	v_xor_b32_e32 v7, 0x80000000, v7
	v_cmp_eq_u64_e32 vcc, v[1:2], v[17:18]
	v_and_b32_e32 v2, v45, v20
	v_and_b32_e32 v1, v44, v19
	v_xor_b32_e32 v9, 0x80000000, v9
	v_cmp_eq_u64_e64 s[18:19], v[1:2], v[17:18]
	v_and_b32_e32 v2, v7, v20
	v_and_b32_e32 v1, v6, v19
	v_cmp_eq_u64_e64 s[20:21], v[1:2], v[17:18]
	v_and_b32_e32 v2, v9, v20
	v_and_b32_e32 v1, v8, v19
	v_cmp_eq_u64_e64 s[22:23], v[1:2], v[17:18]
	v_lshrrev_b64 v[1:2], s11, v[42:43]
	v_lshrrev_b64 v[6:7], s11, v[6:7]
	v_and_b32_e32 v13, 3, v1
	v_lshrrev_b64 v[1:2], s11, v[44:45]
	v_cmp_eq_u64_e64 s[6:7], 0, v[13:14]
	v_and_b32_e32 v1, 3, v1
	v_mov_b32_e32 v2, v14
	s_and_b64 s[16:17], vcc, s[6:7]
	v_cmp_eq_u64_e64 s[6:7], 0, v[1:2]
	v_and_b32_e32 v6, 3, v6
	v_mov_b32_e32 v7, v14
	v_lshrrev_b64 v[8:9], s11, v[8:9]
	s_and_b64 s[24:25], s[18:19], s[6:7]
	v_cmp_eq_u64_e64 s[6:7], 0, v[6:7]
	v_and_b32_e32 v8, 3, v8
	v_mov_b32_e32 v9, v14
	s_and_b64 s[26:27], s[20:21], s[6:7]
	v_cmp_eq_u64_e64 s[6:7], 0, v[8:9]
	v_cndmask_b32_e64 v23, 0, 1, s[16:17]
	s_and_b64 s[34:35], s[22:23], s[6:7]
	v_cmp_ne_u32_e64 s[6:7], 0, v23
	v_cndmask_b32_e64 v23, 0, 1, s[24:25]
	s_bcnt1_i32_b64 s16, s[6:7]
	v_cmp_ne_u32_e64 s[6:7], 0, v23
	v_cndmask_b32_e64 v23, 0, 1, s[26:27]
	s_bcnt1_i32_b64 s17, s[6:7]
	;; [unrolled: 3-line block ×3, first 2 shown]
	v_cmp_ne_u32_e64 s[6:7], 0, v23
	s_bcnt1_i32_b64 s6, s[6:7]
	s_add_i32 s7, s9, s16
	s_add_i32 s7, s7, s17
	;; [unrolled: 1-line block ×4, first 2 shown]
	v_cmp_eq_u64_e64 s[6:7], 1, v[13:14]
	s_and_b64 s[16:17], vcc, s[6:7]
	v_cmp_eq_u64_e64 s[6:7], 1, v[1:2]
	v_cndmask_b32_e64 v23, 0, 1, s[16:17]
	s_and_b64 s[24:25], s[18:19], s[6:7]
	v_cmp_eq_u64_e64 s[6:7], 1, v[6:7]
	s_and_b64 s[26:27], s[20:21], s[6:7]
	v_cmp_eq_u64_e64 s[6:7], 1, v[8:9]
	s_and_b64 s[34:35], s[22:23], s[6:7]
	v_cmp_ne_u32_e64 s[6:7], 0, v23
	v_cndmask_b32_e64 v23, 0, 1, s[24:25]
	s_bcnt1_i32_b64 s16, s[6:7]
	v_cmp_ne_u32_e64 s[6:7], 0, v23
	v_cndmask_b32_e64 v23, 0, 1, s[26:27]
	s_bcnt1_i32_b64 s17, s[6:7]
	;; [unrolled: 3-line block ×3, first 2 shown]
	v_cmp_ne_u32_e64 s[6:7], 0, v23
	s_bcnt1_i32_b64 s6, s[6:7]
	s_add_i32 s7, s8, s16
	s_add_i32 s7, s7, s17
	s_add_i32 s7, s7, s24
	s_add_i32 s8, s7, s6
	v_cmp_eq_u64_e64 s[6:7], 2, v[13:14]
	s_and_b64 s[16:17], vcc, s[6:7]
	v_cmp_eq_u64_e64 s[6:7], 2, v[1:2]
	v_cndmask_b32_e64 v23, 0, 1, s[16:17]
	s_and_b64 s[24:25], s[18:19], s[6:7]
	v_cmp_eq_u64_e64 s[6:7], 2, v[6:7]
	s_and_b64 s[26:27], s[20:21], s[6:7]
	v_cmp_eq_u64_e64 s[6:7], 2, v[8:9]
	s_and_b64 s[34:35], s[22:23], s[6:7]
	v_cmp_ne_u32_e64 s[6:7], 0, v23
	v_cndmask_b32_e64 v23, 0, 1, s[24:25]
	s_bcnt1_i32_b64 s16, s[6:7]
	v_cmp_ne_u32_e64 s[6:7], 0, v23
	v_cndmask_b32_e64 v23, 0, 1, s[26:27]
	s_bcnt1_i32_b64 s17, s[6:7]
	v_cmp_ne_u32_e64 s[6:7], 0, v23
	v_cndmask_b32_e64 v23, 0, 1, s[34:35]
	s_add_i32 s5, s5, s16
	s_bcnt1_i32_b64 s24, s[6:7]
	v_cmp_ne_u32_e64 s[6:7], 0, v23
	s_add_i32 s5, s5, s17
	s_bcnt1_i32_b64 s6, s[6:7]
	s_add_i32 s5, s5, s24
	s_add_i32 s5, s5, s6
	v_cmp_eq_u64_e64 s[6:7], 3, v[13:14]
	s_and_b64 s[6:7], vcc, s[6:7]
	v_cmp_eq_u64_e32 vcc, 3, v[1:2]
	v_cndmask_b32_e64 v1, 0, 1, s[6:7]
	s_and_b64 s[16:17], s[18:19], vcc
	v_cmp_eq_u64_e32 vcc, 3, v[6:7]
	v_mov_b32_e32 v6, s9
	s_and_b64 s[18:19], s[20:21], vcc
	v_cmp_eq_u64_e32 vcc, 3, v[8:9]
	v_mov_b32_e32 v7, s8
	s_and_b64 s[20:21], s[22:23], vcc
	v_cmp_ne_u32_e32 vcc, 0, v1
	v_cndmask_b32_e64 v1, 0, 1, s[16:17]
	s_bcnt1_i32_b64 s6, vcc
	v_cmp_ne_u32_e32 vcc, 0, v1
	v_cndmask_b32_e64 v1, 0, 1, s[18:19]
	s_bcnt1_i32_b64 s7, vcc
	v_cmp_ne_u32_e32 vcc, 0, v1
	v_cndmask_b32_e64 v1, 0, 1, s[20:21]
	s_add_i32 s3, s3, s6
	s_bcnt1_i32_b64 s16, vcc
	v_cmp_ne_u32_e32 vcc, 0, v1
	s_add_i32 s3, s3, s7
	s_bcnt1_i32_b64 s17, vcc
	s_add_i32 s3, s3, s16
	s_add_i32 s3, s3, s17
	v_cmp_le_u32_e32 vcc, s2, v22
	s_or_b64 s[78:79], vcc, s[78:79]
	v_mov_b32_e32 v8, s5
	v_mov_b32_e32 v9, s3
	s_andn2_b64 exec, exec, s[78:79]
	s_cbranch_execnz .LBB46_56
; %bb.57:                               ;   in Loop: Header=BB46_6 Depth=1
	s_or_b64 exec, exec, s[78:79]
.LBB46_58:                              ;   in Loop: Header=BB46_6 Depth=1
	s_or_b64 exec, exec, s[76:77]
	v_add_u32_e32 v1, s2, v0
	v_cmp_gt_u32_e32 vcc, s4, v1
	s_and_saveexec_b64 s[18:19], vcc
	s_cbranch_execz .LBB46_62
; %bb.59:                               ;   in Loop: Header=BB46_6 Depth=1
	v_lshlrev_b32_e32 v2, 3, v1
	s_mov_b64 s[20:21], 0
.LBB46_60:                              ;   Parent Loop BB46_6 Depth=1
                                        ; =>  This Inner Loop Header: Depth=2
	ds_read_b64 v[21:22], v2
	v_add_u32_e32 v1, s46, v1
	v_add_u32_e32 v2, s10, v2
	s_waitcnt lgkmcnt(0)
	v_xor_b32_e32 v22, 0x80000000, v22
	v_and_b32_e32 v24, v22, v20
	v_and_b32_e32 v23, v21, v19
	v_lshrrev_b64 v[21:22], s11, v[21:22]
	v_cmp_eq_u64_e32 vcc, v[23:24], v[17:18]
	v_and_b32_e32 v13, 3, v21
	v_cmp_eq_u64_e64 s[6:7], 0, v[13:14]
	s_and_b64 s[2:3], vcc, s[6:7]
	v_cndmask_b32_e64 v21, 0, 1, s[2:3]
	v_cmp_ne_u32_e64 s[6:7], 0, v21
	s_bcnt1_i32_b64 s2, s[6:7]
	v_cmp_eq_u64_e64 s[6:7], 1, v[13:14]
	v_add_u32_e32 v6, s2, v6
	s_and_b64 s[2:3], vcc, s[6:7]
	v_cndmask_b32_e64 v21, 0, 1, s[2:3]
	v_cmp_ne_u32_e64 s[6:7], 0, v21
	s_bcnt1_i32_b64 s2, s[6:7]
	v_cmp_eq_u64_e64 s[6:7], 2, v[13:14]
	v_add_u32_e32 v7, s2, v7
	;; [unrolled: 6-line block ×3, first 2 shown]
	s_and_b64 s[2:3], vcc, s[6:7]
	v_cndmask_b32_e64 v13, 0, 1, s[2:3]
	v_cmp_ne_u32_e32 vcc, 0, v13
	s_bcnt1_i32_b64 s2, vcc
	v_cmp_le_u32_e32 vcc, s4, v1
	v_add_u32_e32 v9, s2, v9
	s_or_b64 s[20:21], vcc, s[20:21]
	s_andn2_b64 exec, exec, s[20:21]
	s_cbranch_execnz .LBB46_60
; %bb.61:                               ;   in Loop: Header=BB46_6 Depth=1
	s_or_b64 exec, exec, s[20:21]
.LBB46_62:                              ;   in Loop: Header=BB46_6 Depth=1
	s_or_b64 exec, exec, s[18:19]
	s_lshl_b32 s4, s41, 6
	s_and_saveexec_b64 s[2:3], s[0:1]
	s_cbranch_execnz .LBB46_36
	s_branch .LBB46_37
.LBB46_63:                              ;   in Loop: Header=BB46_6 Depth=1
	v_mov_b32_e32 v1, 0
	s_mov_b32 s5, 0
.LBB46_64:                              ;   in Loop: Header=BB46_6 Depth=1
	v_readlane_b32 s6, v46, 33
	v_readlane_b32 s7, v46, 34
	s_andn2_b64 vcc, exec, s[6:7]
	s_cbranch_vccnz .LBB46_67
; %bb.65:                               ;   in Loop: Header=BB46_6 Depth=1
	s_lshl_b32 s6, s41, 8
	s_lshl_b32 s5, s5, 4
	s_add_i32 s6, s6, s5
	v_add_u32_e32 v2, s6, v40
	v_readlane_b32 s5, v46, 32
.LBB46_66:                              ;   Parent Loop BB46_6 Depth=1
                                        ; =>  This Inner Loop Header: Depth=2
	ds_read_b32 v6, v2
	s_add_i32 s5, s5, -1
	v_add_u32_e32 v2, 16, v2
	s_cmp_lg_u32 s5, 0
	s_waitcnt lgkmcnt(0)
	v_add_u32_e32 v1, v6, v1
	s_cbranch_scc1 .LBB46_66
.LBB46_67:                              ;   in Loop: Header=BB46_6 Depth=1
	v_add_lshl_u32 v2, s4, v29, 2
	ds_write_b32 v2, v1 offset:3072
.LBB46_68:                              ;   in Loop: Header=BB46_6 Depth=1
	s_or_b64 exec, exec, s[2:3]
	s_lshl_b32 s2, s4, 2
	v_mov_b32_e32 v1, s2
	s_waitcnt lgkmcnt(0)
	s_barrier
	ds_read_b128 v[6:9], v1 offset:3072
	s_lshl_b64 s[22:23], 3, s11
	s_not_b64 s[76:77], s[22:23]
	v_cmp_eq_u32_e64 s[18:19], 1, v41
	s_mov_b64 s[86:87], -1
	s_waitcnt lgkmcnt(0)
	v_readfirstlane_b32 s4, v6
	v_readfirstlane_b32 s5, v7
	;; [unrolled: 1-line block ×4, first 2 shown]
	s_mov_b64 s[20:21], 0
	s_andn2_b64 vcc, exec, s[30:31]
	s_mov_b64 s[80:81], 0
	s_mov_b64 s[78:79], 0
                                        ; implicit-def: $sgpr82_sgpr83
                                        ; implicit-def: $sgpr84_sgpr85
                                        ; implicit-def: $vgpr24
                                        ; implicit-def: $vgpr23
                                        ; implicit-def: $vgpr1_vgpr2
                                        ; implicit-def: $vgpr21_vgpr22
                                        ; implicit-def: $vgpr8_vgpr9
	s_cbranch_vccnz .LBB46_229
; %bb.69:                               ;   in Loop: Header=BB46_6 Depth=1
	s_cmp_eq_u32 s4, 1
	s_cselect_b64 s[2:3], -1, 0
	v_mov_b32_e32 v1, v17
	v_mov_b32_e32 v22, v20
	;; [unrolled: 1-line block ×3, first 2 shown]
	s_and_b64 s[6:7], s[2:3], s[18:19]
	s_mov_b64 s[2:3], -1
	v_mov_b32_e32 v2, v18
	v_mov_b32_e32 v21, v19
	;; [unrolled: 1-line block ×3, first 2 shown]
                                        ; implicit-def: $sgpr84_sgpr85
                                        ; implicit-def: $sgpr82_sgpr83
	s_and_saveexec_b64 s[24:25], s[6:7]
	s_cbranch_execz .LBB46_98
; %bb.70:                               ;   in Loop: Header=BB46_6 Depth=1
	ds_read_b32 v1, v14 offset:4096
	s_waitcnt lgkmcnt(0)
	s_barrier
	v_readfirstlane_b32 s38, v1
	s_mov_b64 s[2:3], exec
	v_readlane_b32 s8, v46, 26
	v_readlane_b32 s9, v46, 27
	s_and_b64 s[8:9], s[2:3], s[8:9]
	s_mov_b64 exec, s[8:9]
; %bb.71:                               ;   in Loop: Header=BB46_6 Depth=1
	v_mov_b32_e32 v13, v14
	ds_write_b64 v31, v[13:14]
; %bb.72:                               ;   in Loop: Header=BB46_6 Depth=1
	s_or_b64 exec, exec, s[2:3]
	v_and_b32_e32 v2, s77, v18
	v_and_b32_e32 v1, s76, v17
	v_or_b32_e32 v22, s23, v20
	v_or_b32_e32 v21, s22, v19
	s_mov_b64 s[82:83], -1
	s_mov_b64 s[84:85], 0
	s_cmp_eq_u32 s38, 0
	s_mov_b64 s[26:27], 0
	s_mov_b64 s[34:35], -1
	s_waitcnt lgkmcnt(0)
	s_barrier
                                        ; implicit-def: $vgpr8_vgpr9
	s_cbranch_scc1 .LBB46_86
; %bb.73:                               ;   in Loop: Header=BB46_6 Depth=1
	s_add_i32 s2, s38, s45
	v_readlane_b32 s3, v46, 40
	s_mul_hi_u32 s3, s2, s3
	s_mul_i32 s3, s3, s46
	s_sub_i32 s3, s2, s3
	s_sub_i32 s8, s3, s46
	s_cmp_ge_u32 s3, s46
	s_cselect_b32 s3, s8, s3
	s_sub_i32 s8, s3, s46
	s_cmp_ge_u32 s3, s46
	s_cselect_b32 s3, s8, s3
	s_sub_i32 s39, s2, s3
	v_cmp_gt_u32_e32 vcc, s39, v0
	s_mov_b64 s[34:35], 0
                                        ; implicit-def: $vgpr8_vgpr9
	s_and_saveexec_b64 s[2:3], vcc
	s_cbranch_execz .LBB46_85
; %bb.74:                               ;   in Loop: Header=BB46_6 Depth=1
	s_mov_b64 s[16:17], 0
	v_mov_b32_e32 v13, v30
	v_mov_b32_e32 v23, v0
                                        ; implicit-def: $sgpr8_sgpr9
	s_branch .LBB46_77
.LBB46_75:                              ;   in Loop: Header=BB46_77 Depth=2
	s_or_b64 exec, exec, s[26:27]
	s_waitcnt lgkmcnt(0)
	s_barrier
	ds_read_b128 v[6:9], v14 offset:3072
	s_mov_b64 s[26:27], -1
	s_mov_b64 s[36:37], -1
	s_waitcnt lgkmcnt(0)
	s_barrier
	v_cmp_ne_u64_e32 vcc, 0, v[6:7]
	s_cbranch_vccz .LBB46_80
.LBB46_76:                              ;   in Loop: Header=BB46_77 Depth=2
	s_and_b64 s[26:27], exec, s[26:27]
	s_or_b64 s[16:17], s[26:27], s[16:17]
	s_andn2_b64 s[8:9], s[8:9], exec
	s_and_b64 s[26:27], s[36:37], exec
	s_or_b64 s[8:9], s[8:9], s[26:27]
	s_andn2_b64 exec, exec, s[16:17]
	s_cbranch_execz .LBB46_84
.LBB46_77:                              ;   Parent Loop BB46_6 Depth=1
                                        ; =>  This Inner Loop Header: Depth=2
	v_cmp_gt_u32_e32 vcc, s38, v23
	s_and_saveexec_b64 s[26:27], vcc
	s_cbranch_execz .LBB46_75
; %bb.78:                               ;   in Loop: Header=BB46_77 Depth=2
	ds_read_b64 v[7:8], v13
	s_waitcnt lgkmcnt(0)
	v_xor_b32_e32 v6, 0x80000000, v8
	v_and_b32_e32 v43, v6, v22
	v_and_b32_e32 v42, v7, v21
	v_cmp_eq_u64_e32 vcc, v[42:43], v[1:2]
	s_and_b64 exec, exec, vcc
	s_cbranch_execz .LBB46_75
; %bb.79:                               ;   in Loop: Header=BB46_77 Depth=2
	v_mov_b32_e32 v6, v14
	ds_write_b128 v14, v[5:8] offset:3072
	s_branch .LBB46_75
.LBB46_80:                              ;   in Loop: Header=BB46_77 Depth=2
	v_add_u32_e32 v23, s46, v23
	v_cmp_le_u32_e32 vcc, s39, v23
	v_add_u32_e32 v13, s10, v13
	s_mov_b64 s[36:37], 0
	s_orn2_b64 s[26:27], vcc, exec
	s_branch .LBB46_76
.LBB46_81:                              ;   in Loop: Header=BB46_6 Depth=1
	s_or_b64 exec, exec, s[22:23]
	s_waitcnt lgkmcnt(0)
	s_barrier
	s_mov_b64 s[2:3], exec
	v_readlane_b32 s4, v46, 13
	v_readlane_b32 s5, v46, 14
	s_and_b64 s[4:5], s[2:3], s[4:5]
	s_mov_b64 exec, s[4:5]
	s_cbranch_execz .LBB46_83
; %bb.82:                               ;   in Loop: Header=BB46_6 Depth=1
	ds_read_b32 v1, v14 offset:4104
	s_waitcnt lgkmcnt(0)
	ds_write_b32 v14, v1 offset:4096
.LBB46_83:                              ;   in Loop: Header=BB46_6 Depth=1
	s_or_b64 exec, exec, s[2:3]
	s_waitcnt lgkmcnt(0)
	s_barrier
	s_mov_b64 s[2:3], -1
	s_and_b64 vcc, exec, s[20:21]
	s_cbranch_vccnz .LBB46_22
	s_branch .LBB46_31
.LBB46_84:                              ;   in Loop: Header=BB46_6 Depth=1
	s_or_b64 exec, exec, s[16:17]
	s_and_b64 s[26:27], s[8:9], exec
.LBB46_85:                              ;   in Loop: Header=BB46_6 Depth=1
	s_or_b64 exec, exec, s[2:3]
.LBB46_86:                              ;   in Loop: Header=BB46_6 Depth=1
	s_and_b64 vcc, exec, s[34:35]
	s_cbranch_vccz .LBB46_97
; %bb.87:                               ;   in Loop: Header=BB46_6 Depth=1
                                        ; implicit-def: $vgpr8_vgpr9
	s_mov_b64 s[2:3], exec
	v_readlane_b32 s8, v46, 41
	v_readlane_b32 s9, v46, 42
	s_and_b64 s[8:9], s[2:3], s[8:9]
	s_mov_b64 exec, s[8:9]
	s_cbranch_execz .LBB46_96
; %bb.88:                               ;   in Loop: Header=BB46_6 Depth=1
	s_mov_b64 s[34:35], 0
	v_mov_b32_e32 v13, v12
	v_mov_b32_e32 v23, v0
                                        ; implicit-def: $sgpr16_sgpr17
	s_branch .LBB46_91
.LBB46_89:                              ;   in Loop: Header=BB46_91 Depth=2
	s_or_b64 exec, exec, s[8:9]
	s_waitcnt lgkmcnt(0)
	s_barrier
	ds_read_b128 v[6:9], v14 offset:3072
	s_mov_b64 s[8:9], -1
	s_mov_b64 s[36:37], -1
	s_waitcnt lgkmcnt(0)
	s_barrier
	v_cmp_ne_u64_e32 vcc, 0, v[6:7]
	s_cbranch_vccz .LBB46_94
.LBB46_90:                              ;   in Loop: Header=BB46_91 Depth=2
	s_and_b64 s[8:9], exec, s[8:9]
	s_or_b64 s[34:35], s[8:9], s[34:35]
	s_andn2_b64 s[8:9], s[16:17], exec
	s_and_b64 s[16:17], s[36:37], exec
	s_or_b64 s[16:17], s[8:9], s[16:17]
	s_andn2_b64 exec, exec, s[34:35]
	s_cbranch_execz .LBB46_95
.LBB46_91:                              ;   Parent Loop BB46_6 Depth=1
                                        ; =>  This Inner Loop Header: Depth=2
	v_cmp_gt_u32_e32 vcc, s28, v23
	s_and_saveexec_b64 s[8:9], vcc
	s_cbranch_execz .LBB46_89
; %bb.92:                               ;   in Loop: Header=BB46_91 Depth=2
	v_lshlrev_b64 v[6:7], 3, v[13:14]
	v_mov_b32_e32 v8, s40
	v_add_co_u32_e32 v6, vcc, s33, v6
	v_addc_co_u32_e32 v7, vcc, v8, v7, vcc
	global_load_dwordx2 v[7:8], v[6:7], off
	s_waitcnt vmcnt(0)
	v_xor_b32_e32 v6, 0x80000000, v8
	v_and_b32_e32 v43, v6, v22
	v_and_b32_e32 v42, v7, v21
	v_cmp_eq_u64_e32 vcc, v[42:43], v[1:2]
	s_and_b64 exec, exec, vcc
	s_cbranch_execz .LBB46_89
; %bb.93:                               ;   in Loop: Header=BB46_91 Depth=2
	v_mov_b32_e32 v6, v14
	ds_write_b128 v14, v[5:8] offset:3072
	s_branch .LBB46_89
.LBB46_94:                              ;   in Loop: Header=BB46_91 Depth=2
	v_add_u32_e32 v23, s46, v23
	v_cmp_le_u32_e32 vcc, s12, v23
	v_add_u32_e32 v13, s47, v13
	s_mov_b64 s[36:37], 0
	s_orn2_b64 s[8:9], vcc, exec
	s_branch .LBB46_90
.LBB46_95:                              ;   in Loop: Header=BB46_6 Depth=1
	s_or_b64 exec, exec, s[34:35]
	s_andn2_b64 s[8:9], s[26:27], exec
	s_and_b64 s[16:17], s[16:17], exec
	s_or_b64 s[26:27], s[8:9], s[16:17]
.LBB46_96:                              ;   in Loop: Header=BB46_6 Depth=1
	s_or_b64 exec, exec, s[2:3]
	s_mov_b64 s[82:83], 0
	s_mov_b64 s[84:85], -1
.LBB46_97:                              ;   in Loop: Header=BB46_6 Depth=1
	s_orn2_b64 s[2:3], s[26:27], exec
.LBB46_98:                              ;   in Loop: Header=BB46_6 Depth=1
	s_or_b64 exec, exec, s[24:25]
	s_mov_b64 s[86:87], 0
	s_mov_b64 s[80:81], 0
	;; [unrolled: 1-line block ×3, first 2 shown]
                                        ; implicit-def: $vgpr24
                                        ; implicit-def: $vgpr23
	s_and_saveexec_b64 s[88:89], s[2:3]
	s_cbranch_execz .LBB46_228
; %bb.99:                               ;   in Loop: Header=BB46_6 Depth=1
	s_xor_b64 s[8:9], s[6:7], -1
	s_mov_b64 s[6:7], 0
	v_mov_b32_e32 v24, 1
	v_mov_b32_e32 v23, 1
	s_and_saveexec_b64 s[2:3], s[8:9]
	s_cbranch_execz .LBB46_108
; %bb.100:                              ;   in Loop: Header=BB46_6 Depth=1
	v_cmp_ge_u32_e32 vcc, s4, v41
	s_and_saveexec_b64 s[6:7], vcc
	s_xor_b64 s[6:7], exec, s[6:7]
	s_cbranch_execz .LBB46_105
; %bb.101:                              ;   in Loop: Header=BB46_6 Depth=1
	ds_read_b32 v6, v14 offset:4096
	v_and_b32_e32 v2, s77, v2
	v_and_b32_e32 v1, s76, v1
	v_or_b32_e32 v22, s23, v22
	v_or_b32_e32 v21, s22, v21
	s_waitcnt lgkmcnt(0)
	v_cmp_ne_u32_e32 vcc, 0, v6
	s_cbranch_vccnz .LBB46_105
; %bb.102:                              ;   in Loop: Header=BB46_6 Depth=1
	s_mov_b64 s[8:9], exec
	v_readlane_b32 s16, v46, 13
	v_readlane_b32 s17, v46, 14
	s_and_b64 s[16:17], s[8:9], s[16:17]
	s_mov_b64 exec, s[16:17]
; %bb.103:                              ;   in Loop: Header=BB46_6 Depth=1
	v_mov_b32_e32 v6, s4
	ds_write_b32 v14, v6 offset:4100
; %bb.104:                              ;   in Loop: Header=BB46_6 Depth=1
	s_or_b64 exec, exec, s[8:9]
	s_waitcnt lgkmcnt(0)
	s_barrier
.LBB46_105:                             ;   in Loop: Header=BB46_6 Depth=1
	s_or_saveexec_b64 s[6:7], s[6:7]
	s_mov_b64 s[8:9], 0
	v_mov_b32_e32 v23, 8
	v_mov_b32_e32 v24, v41
	s_xor_b64 exec, exec, s[6:7]
; %bb.106:                              ;   in Loop: Header=BB46_6 Depth=1
	s_mov_b64 s[8:9], exec
	v_subrev_u32_e32 v24, s4, v41
	v_mov_b32_e32 v23, 0
; %bb.107:                              ;   in Loop: Header=BB46_6 Depth=1
	s_or_b64 exec, exec, s[6:7]
	s_and_b64 s[6:7], s[8:9], exec
.LBB46_108:                             ;   in Loop: Header=BB46_6 Depth=1
	s_or_b64 exec, exec, s[2:3]
	s_mov_b64 s[2:3], -1
                                        ; implicit-def: $sgpr78_sgpr79
                                        ; implicit-def: $sgpr80_sgpr81
	s_and_saveexec_b64 s[8:9], s[6:7]
	s_xor_b64 s[6:7], exec, s[8:9]
	s_cbranch_execz .LBB46_225
; %bb.109:                              ;   in Loop: Header=BB46_6 Depth=1
	s_cmp_eq_u32 s5, 1
	s_cselect_b64 s[2:3], -1, 0
	v_cmp_eq_u32_e32 vcc, 1, v24
	s_and_b64 s[26:27], s[2:3], vcc
	s_mov_b64 s[2:3], -1
                                        ; implicit-def: $sgpr80_sgpr81
                                        ; implicit-def: $sgpr78_sgpr79
	s_and_saveexec_b64 s[24:25], s[26:27]
	s_cbranch_execz .LBB46_135
; %bb.110:                              ;   in Loop: Header=BB46_6 Depth=1
	ds_read_b32 v6, v14 offset:4096
	s_waitcnt lgkmcnt(0)
	s_barrier
	v_readfirstlane_b32 s44, v6
	s_mov_b64 s[2:3], exec
	v_readlane_b32 s8, v46, 26
	v_readlane_b32 s9, v46, 27
	s_and_b64 s[8:9], s[2:3], s[8:9]
	s_mov_b64 exec, s[8:9]
; %bb.111:                              ;   in Loop: Header=BB46_6 Depth=1
	v_mov_b32_e32 v13, v14
	ds_write_b64 v31, v[13:14]
; %bb.112:                              ;   in Loop: Header=BB46_6 Depth=1
	s_or_b64 exec, exec, s[2:3]
	s_lshl_b64 s[2:3], 1, s11
	v_and_b32_e32 v2, s77, v2
	v_and_b32_e32 v1, s76, v1
	v_or_b32_e32 v2, s3, v2
	v_or_b32_e32 v1, s2, v1
	;; [unrolled: 1-line block ×4, first 2 shown]
	s_mov_b64 s[78:79], -1
	s_mov_b64 s[80:81], 0
	s_cmp_eq_u32 s44, 0
	s_mov_b64 s[34:35], 0
	s_mov_b64 s[36:37], -1
	s_waitcnt lgkmcnt(0)
	s_barrier
                                        ; implicit-def: $vgpr8_vgpr9
	s_cbranch_scc1 .LBB46_123
; %bb.113:                              ;   in Loop: Header=BB46_6 Depth=1
	s_add_i32 s2, s44, s45
	v_readlane_b32 s3, v46, 40
	s_mul_hi_u32 s3, s2, s3
	s_mul_i32 s3, s3, s46
	s_sub_i32 s3, s2, s3
	s_sub_i32 s8, s3, s46
	s_cmp_ge_u32 s3, s46
	s_cselect_b32 s3, s8, s3
	s_sub_i32 s8, s3, s46
	s_cmp_ge_u32 s3, s46
	s_cselect_b32 s3, s8, s3
	s_sub_i32 s45, s2, s3
	v_cmp_gt_u32_e32 vcc, s45, v0
	s_mov_b64 s[36:37], 0
                                        ; implicit-def: $vgpr8_vgpr9
	s_and_saveexec_b64 s[2:3], vcc
	s_cbranch_execz .LBB46_122
; %bb.114:                              ;   in Loop: Header=BB46_6 Depth=1
	s_mov_b64 s[16:17], 0
	v_mov_b32_e32 v13, v30
	v_mov_b32_e32 v42, v0
                                        ; implicit-def: $sgpr34_sgpr35
	s_branch .LBB46_117
.LBB46_115:                             ;   in Loop: Header=BB46_117 Depth=2
	s_or_b64 exec, exec, s[8:9]
	s_waitcnt lgkmcnt(0)
	s_barrier
	ds_read_b128 v[6:9], v14 offset:3072
	s_mov_b64 s[8:9], -1
	s_mov_b64 s[38:39], -1
	s_waitcnt lgkmcnt(0)
	s_barrier
	v_cmp_ne_u64_e32 vcc, 0, v[6:7]
	s_cbranch_vccz .LBB46_120
.LBB46_116:                             ;   in Loop: Header=BB46_117 Depth=2
	s_and_b64 s[8:9], exec, s[8:9]
	s_or_b64 s[16:17], s[8:9], s[16:17]
	s_andn2_b64 s[8:9], s[34:35], exec
	s_and_b64 s[34:35], s[38:39], exec
	s_or_b64 s[34:35], s[8:9], s[34:35]
	s_andn2_b64 exec, exec, s[16:17]
	s_cbranch_execz .LBB46_121
.LBB46_117:                             ;   Parent Loop BB46_6 Depth=1
                                        ; =>  This Inner Loop Header: Depth=2
	v_cmp_gt_u32_e32 vcc, s44, v42
	s_and_saveexec_b64 s[8:9], vcc
	s_cbranch_execz .LBB46_115
; %bb.118:                              ;   in Loop: Header=BB46_117 Depth=2
	ds_read_b64 v[7:8], v13
	s_waitcnt lgkmcnt(0)
	v_xor_b32_e32 v6, 0x80000000, v8
	v_and_b32_e32 v44, v6, v22
	v_and_b32_e32 v43, v7, v21
	v_cmp_eq_u64_e32 vcc, v[43:44], v[1:2]
	s_and_b64 exec, exec, vcc
	s_cbranch_execz .LBB46_115
; %bb.119:                              ;   in Loop: Header=BB46_117 Depth=2
	v_mov_b32_e32 v6, v14
	ds_write_b128 v14, v[5:8] offset:3072
	s_branch .LBB46_115
.LBB46_120:                             ;   in Loop: Header=BB46_117 Depth=2
	v_add_u32_e32 v42, s46, v42
	v_cmp_le_u32_e32 vcc, s45, v42
	v_add_u32_e32 v13, s10, v13
	s_mov_b64 s[38:39], 0
	s_orn2_b64 s[8:9], vcc, exec
	s_branch .LBB46_116
.LBB46_121:                             ;   in Loop: Header=BB46_6 Depth=1
	s_or_b64 exec, exec, s[16:17]
	s_and_b64 s[34:35], s[34:35], exec
.LBB46_122:                             ;   in Loop: Header=BB46_6 Depth=1
	s_or_b64 exec, exec, s[2:3]
	v_readlane_b32 s45, v46, 43
.LBB46_123:                             ;   in Loop: Header=BB46_6 Depth=1
	s_and_b64 vcc, exec, s[36:37]
	s_cbranch_vccz .LBB46_134
; %bb.124:                              ;   in Loop: Header=BB46_6 Depth=1
                                        ; implicit-def: $vgpr8_vgpr9
	s_mov_b64 s[2:3], exec
	v_readlane_b32 s8, v46, 41
	v_readlane_b32 s9, v46, 42
	s_and_b64 s[8:9], s[2:3], s[8:9]
	s_mov_b64 exec, s[8:9]
	s_cbranch_execz .LBB46_133
; %bb.125:                              ;   in Loop: Header=BB46_6 Depth=1
	s_mov_b64 s[16:17], 0
	v_mov_b32_e32 v13, v12
	v_mov_b32_e32 v42, v0
                                        ; implicit-def: $sgpr36_sgpr37
	s_branch .LBB46_128
.LBB46_126:                             ;   in Loop: Header=BB46_128 Depth=2
	s_or_b64 exec, exec, s[8:9]
	s_waitcnt lgkmcnt(0)
	s_barrier
	ds_read_b128 v[6:9], v14 offset:3072
	s_mov_b64 s[8:9], -1
	s_mov_b64 s[38:39], -1
	s_waitcnt lgkmcnt(0)
	s_barrier
	v_cmp_eq_u64_e32 vcc, 0, v[6:7]
	s_cbranch_vccnz .LBB46_131
.LBB46_127:                             ;   in Loop: Header=BB46_128 Depth=2
	s_and_b64 s[8:9], exec, s[8:9]
	s_or_b64 s[16:17], s[8:9], s[16:17]
	s_andn2_b64 s[8:9], s[36:37], exec
	s_and_b64 s[36:37], s[38:39], exec
	s_or_b64 s[36:37], s[8:9], s[36:37]
	s_andn2_b64 exec, exec, s[16:17]
	s_cbranch_execz .LBB46_132
.LBB46_128:                             ;   Parent Loop BB46_6 Depth=1
                                        ; =>  This Inner Loop Header: Depth=2
	v_cmp_gt_u32_e32 vcc, s28, v42
	s_and_saveexec_b64 s[8:9], vcc
	s_cbranch_execz .LBB46_126
; %bb.129:                              ;   in Loop: Header=BB46_128 Depth=2
	v_lshlrev_b64 v[6:7], 3, v[13:14]
	v_mov_b32_e32 v8, s40
	v_add_co_u32_e32 v6, vcc, s33, v6
	v_addc_co_u32_e32 v7, vcc, v8, v7, vcc
	global_load_dwordx2 v[7:8], v[6:7], off
	s_waitcnt vmcnt(0)
	v_xor_b32_e32 v6, 0x80000000, v8
	v_and_b32_e32 v44, v6, v22
	v_and_b32_e32 v43, v7, v21
	v_cmp_eq_u64_e32 vcc, v[43:44], v[1:2]
	s_and_b64 exec, exec, vcc
	s_cbranch_execz .LBB46_126
; %bb.130:                              ;   in Loop: Header=BB46_128 Depth=2
	v_mov_b32_e32 v6, v14
	ds_write_b128 v14, v[5:8] offset:3072
	s_branch .LBB46_126
.LBB46_131:                             ;   in Loop: Header=BB46_128 Depth=2
	v_add_u32_e32 v42, s46, v42
	v_cmp_le_u32_e32 vcc, s12, v42
	v_add_u32_e32 v13, s47, v13
	s_mov_b64 s[38:39], 0
	s_orn2_b64 s[8:9], vcc, exec
	s_branch .LBB46_127
.LBB46_132:                             ;   in Loop: Header=BB46_6 Depth=1
	s_or_b64 exec, exec, s[16:17]
	s_andn2_b64 s[8:9], s[34:35], exec
	s_and_b64 s[16:17], s[36:37], exec
	s_or_b64 s[34:35], s[8:9], s[16:17]
.LBB46_133:                             ;   in Loop: Header=BB46_6 Depth=1
	s_or_b64 exec, exec, s[2:3]
	s_mov_b64 s[78:79], 0
	s_mov_b64 s[80:81], -1
.LBB46_134:                             ;   in Loop: Header=BB46_6 Depth=1
	s_orn2_b64 s[2:3], s[34:35], exec
.LBB46_135:                             ;   in Loop: Header=BB46_6 Depth=1
	s_or_b64 exec, exec, s[24:25]
	s_mov_b64 s[8:9], 0
	s_and_saveexec_b64 s[90:91], s[2:3]
	s_cbranch_execz .LBB46_224
; %bb.136:                              ;   in Loop: Header=BB46_6 Depth=1
	s_xor_b64 s[2:3], s[26:27], -1
	v_mov_b32_e32 v42, 1
	v_mov_b32_e32 v23, 1
	s_and_saveexec_b64 s[24:25], s[2:3]
	s_cbranch_execz .LBB46_145
; %bb.137:                              ;   in Loop: Header=BB46_6 Depth=1
	v_cmp_ge_u32_e32 vcc, s5, v24
	s_and_saveexec_b64 s[2:3], vcc
	s_xor_b64 s[2:3], exec, s[2:3]
	s_cbranch_execz .LBB46_142
; %bb.138:                              ;   in Loop: Header=BB46_6 Depth=1
	ds_read_b32 v6, v14 offset:4096
	s_lshl_b64 s[8:9], 1, s11
	v_and_b32_e32 v2, s77, v2
	v_and_b32_e32 v1, s76, v1
	v_or_b32_e32 v2, s9, v2
	s_waitcnt lgkmcnt(0)
	v_cmp_ne_u32_e32 vcc, 0, v6
	v_or_b32_e32 v1, s8, v1
	v_or_b32_e32 v22, s23, v22
	;; [unrolled: 1-line block ×3, first 2 shown]
	s_cbranch_vccnz .LBB46_142
; %bb.139:                              ;   in Loop: Header=BB46_6 Depth=1
	s_mov_b64 s[8:9], exec
	v_readlane_b32 s16, v46, 13
	v_readlane_b32 s17, v46, 14
	s_and_b64 s[16:17], s[8:9], s[16:17]
	s_mov_b64 exec, s[16:17]
; %bb.140:                              ;   in Loop: Header=BB46_6 Depth=1
	v_mov_b32_e32 v6, s5
	ds_write_b32 v14, v6 offset:4100
; %bb.141:                              ;   in Loop: Header=BB46_6 Depth=1
	s_or_b64 exec, exec, s[8:9]
	s_waitcnt lgkmcnt(0)
	s_barrier
.LBB46_142:                             ;   in Loop: Header=BB46_6 Depth=1
	s_or_saveexec_b64 s[2:3], s[2:3]
	s_mov_b64 s[8:9], 0
	v_mov_b32_e32 v23, 8
	s_xor_b64 exec, exec, s[2:3]
; %bb.143:                              ;   in Loop: Header=BB46_6 Depth=1
	s_mov_b64 s[8:9], exec
	v_subrev_u32_e32 v24, s5, v24
	v_mov_b32_e32 v23, 0
; %bb.144:                              ;   in Loop: Header=BB46_6 Depth=1
	s_or_b64 exec, exec, s[2:3]
	s_and_b64 s[8:9], s[8:9], exec
	v_mov_b32_e32 v42, v24
.LBB46_145:                             ;   in Loop: Header=BB46_6 Depth=1
	s_or_b64 exec, exec, s[24:25]
	s_mov_b64 s[2:3], -1
                                        ; implicit-def: $sgpr94_sgpr95
                                        ; implicit-def: $sgpr26_sgpr27
	s_and_saveexec_b64 s[92:93], s[8:9]
	s_cbranch_execz .LBB46_223
; %bb.146:                              ;   in Loop: Header=BB46_6 Depth=1
	s_cmp_eq_u32 s50, 1
	s_cselect_b64 s[2:3], -1, 0
	v_cmp_eq_u32_e32 vcc, 1, v42
	s_and_b64 s[36:37], s[2:3], vcc
	s_mov_b64 s[2:3], -1
                                        ; implicit-def: $sgpr26_sgpr27
                                        ; implicit-def: $sgpr94_sgpr95
	s_and_saveexec_b64 s[24:25], s[36:37]
	s_cbranch_execz .LBB46_172
; %bb.147:                              ;   in Loop: Header=BB46_6 Depth=1
	ds_read_b32 v6, v14 offset:4096
	s_waitcnt lgkmcnt(0)
	s_barrier
	v_readfirstlane_b32 s52, v6
	s_mov_b64 s[2:3], exec
	v_readlane_b32 s8, v46, 26
	v_readlane_b32 s9, v46, 27
	s_and_b64 s[8:9], s[2:3], s[8:9]
	s_mov_b64 exec, s[8:9]
; %bb.148:                              ;   in Loop: Header=BB46_6 Depth=1
	v_mov_b32_e32 v13, v14
	ds_write_b64 v31, v[13:14]
; %bb.149:                              ;   in Loop: Header=BB46_6 Depth=1
	s_or_b64 exec, exec, s[2:3]
	s_lshl_b64 s[2:3], 2, s11
	v_and_b32_e32 v2, s77, v2
	v_and_b32_e32 v1, s76, v1
	v_or_b32_e32 v2, s3, v2
	v_or_b32_e32 v1, s2, v1
	;; [unrolled: 1-line block ×4, first 2 shown]
	s_mov_b64 s[94:95], -1
	s_mov_b64 s[26:27], 0
	s_cmp_eq_u32 s52, 0
	s_mov_b64 s[34:35], 0
	s_mov_b64 s[38:39], -1
	s_waitcnt lgkmcnt(0)
	s_barrier
                                        ; implicit-def: $vgpr8_vgpr9
	s_cbranch_scc1 .LBB46_160
; %bb.150:                              ;   in Loop: Header=BB46_6 Depth=1
	s_add_i32 s2, s52, s45
	v_readlane_b32 s3, v46, 40
	s_mul_hi_u32 s3, s2, s3
	s_mul_i32 s3, s3, s46
	s_sub_i32 s3, s2, s3
	s_sub_i32 s8, s3, s46
	s_cmp_ge_u32 s3, s46
	s_cselect_b32 s3, s8, s3
	s_sub_i32 s8, s3, s46
	s_cmp_ge_u32 s3, s46
	s_cselect_b32 s3, s8, s3
	s_sub_i32 s53, s2, s3
	v_cmp_gt_u32_e32 vcc, s53, v0
	s_mov_b64 s[38:39], 0
                                        ; implicit-def: $vgpr8_vgpr9
	s_and_saveexec_b64 s[2:3], vcc
	s_cbranch_execz .LBB46_159
; %bb.151:                              ;   in Loop: Header=BB46_6 Depth=1
	s_mov_b64 s[16:17], 0
	v_mov_b32_e32 v13, v30
	v_mov_b32_e32 v24, v0
                                        ; implicit-def: $sgpr34_sgpr35
	s_branch .LBB46_154
.LBB46_152:                             ;   in Loop: Header=BB46_154 Depth=2
	s_or_b64 exec, exec, s[8:9]
	s_waitcnt lgkmcnt(0)
	s_barrier
	ds_read_b128 v[6:9], v14 offset:3072
	s_mov_b64 s[8:9], -1
	s_mov_b64 s[44:45], -1
	s_waitcnt lgkmcnt(0)
	s_barrier
	v_cmp_ne_u64_e32 vcc, 0, v[6:7]
	s_cbranch_vccz .LBB46_157
.LBB46_153:                             ;   in Loop: Header=BB46_154 Depth=2
	s_and_b64 s[8:9], exec, s[8:9]
	s_or_b64 s[16:17], s[8:9], s[16:17]
	s_andn2_b64 s[8:9], s[34:35], exec
	s_and_b64 s[34:35], s[44:45], exec
	s_or_b64 s[34:35], s[8:9], s[34:35]
	s_andn2_b64 exec, exec, s[16:17]
	s_cbranch_execz .LBB46_158
.LBB46_154:                             ;   Parent Loop BB46_6 Depth=1
                                        ; =>  This Inner Loop Header: Depth=2
	v_cmp_gt_u32_e32 vcc, s52, v24
	s_and_saveexec_b64 s[8:9], vcc
	s_cbranch_execz .LBB46_152
; %bb.155:                              ;   in Loop: Header=BB46_154 Depth=2
	ds_read_b64 v[7:8], v13
	s_waitcnt lgkmcnt(0)
	v_xor_b32_e32 v6, 0x80000000, v8
	v_and_b32_e32 v44, v6, v22
	v_and_b32_e32 v43, v7, v21
	v_cmp_eq_u64_e32 vcc, v[43:44], v[1:2]
	s_and_b64 exec, exec, vcc
	s_cbranch_execz .LBB46_152
; %bb.156:                              ;   in Loop: Header=BB46_154 Depth=2
	v_mov_b32_e32 v6, v14
	ds_write_b128 v14, v[5:8] offset:3072
	s_branch .LBB46_152
.LBB46_157:                             ;   in Loop: Header=BB46_154 Depth=2
	v_add_u32_e32 v24, s46, v24
	v_cmp_le_u32_e32 vcc, s53, v24
	v_add_u32_e32 v13, s10, v13
	s_mov_b64 s[44:45], 0
	s_orn2_b64 s[8:9], vcc, exec
	s_branch .LBB46_153
.LBB46_158:                             ;   in Loop: Header=BB46_6 Depth=1
	s_or_b64 exec, exec, s[16:17]
	s_and_b64 s[34:35], s[34:35], exec
	v_readlane_b32 s45, v46, 43
.LBB46_159:                             ;   in Loop: Header=BB46_6 Depth=1
	s_or_b64 exec, exec, s[2:3]
.LBB46_160:                             ;   in Loop: Header=BB46_6 Depth=1
	s_and_b64 vcc, exec, s[38:39]
	s_cbranch_vccz .LBB46_171
; %bb.161:                              ;   in Loop: Header=BB46_6 Depth=1
                                        ; implicit-def: $vgpr8_vgpr9
	s_mov_b64 s[2:3], exec
	v_readlane_b32 s8, v46, 41
	v_readlane_b32 s9, v46, 42
	s_and_b64 s[8:9], s[2:3], s[8:9]
	s_mov_b64 exec, s[8:9]
	s_cbranch_execz .LBB46_170
; %bb.162:                              ;   in Loop: Header=BB46_6 Depth=1
	s_mov_b64 s[16:17], 0
	v_mov_b32_e32 v13, v12
	v_mov_b32_e32 v24, v0
                                        ; implicit-def: $sgpr26_sgpr27
	s_branch .LBB46_165
.LBB46_163:                             ;   in Loop: Header=BB46_165 Depth=2
	s_or_b64 exec, exec, s[8:9]
	s_waitcnt lgkmcnt(0)
	s_barrier
	ds_read_b128 v[6:9], v14 offset:3072
	s_mov_b64 s[8:9], -1
	s_mov_b64 s[38:39], -1
	s_waitcnt lgkmcnt(0)
	s_barrier
	v_cmp_eq_u64_e32 vcc, 0, v[6:7]
	s_cbranch_vccnz .LBB46_168
.LBB46_164:                             ;   in Loop: Header=BB46_165 Depth=2
	s_and_b64 s[8:9], exec, s[8:9]
	s_or_b64 s[16:17], s[8:9], s[16:17]
	s_andn2_b64 s[8:9], s[26:27], exec
	s_and_b64 s[26:27], s[38:39], exec
	s_or_b64 s[26:27], s[8:9], s[26:27]
	s_andn2_b64 exec, exec, s[16:17]
	s_cbranch_execz .LBB46_169
.LBB46_165:                             ;   Parent Loop BB46_6 Depth=1
                                        ; =>  This Inner Loop Header: Depth=2
	v_cmp_gt_u32_e32 vcc, s28, v24
	s_and_saveexec_b64 s[8:9], vcc
	s_cbranch_execz .LBB46_163
; %bb.166:                              ;   in Loop: Header=BB46_165 Depth=2
	v_lshlrev_b64 v[6:7], 3, v[13:14]
	v_mov_b32_e32 v8, s40
	v_add_co_u32_e32 v6, vcc, s33, v6
	v_addc_co_u32_e32 v7, vcc, v8, v7, vcc
	global_load_dwordx2 v[7:8], v[6:7], off
	s_waitcnt vmcnt(0)
	v_xor_b32_e32 v6, 0x80000000, v8
	v_and_b32_e32 v44, v6, v22
	v_and_b32_e32 v43, v7, v21
	v_cmp_eq_u64_e32 vcc, v[43:44], v[1:2]
	s_and_b64 exec, exec, vcc
	s_cbranch_execz .LBB46_163
; %bb.167:                              ;   in Loop: Header=BB46_165 Depth=2
	v_mov_b32_e32 v6, v14
	ds_write_b128 v14, v[5:8] offset:3072
	s_branch .LBB46_163
.LBB46_168:                             ;   in Loop: Header=BB46_165 Depth=2
	v_add_u32_e32 v24, s46, v24
	v_cmp_le_u32_e32 vcc, s12, v24
	v_add_u32_e32 v13, s47, v13
	s_mov_b64 s[38:39], 0
	s_orn2_b64 s[8:9], vcc, exec
	s_branch .LBB46_164
.LBB46_169:                             ;   in Loop: Header=BB46_6 Depth=1
	s_or_b64 exec, exec, s[16:17]
	s_andn2_b64 s[8:9], s[34:35], exec
	s_and_b64 s[16:17], s[26:27], exec
	s_or_b64 s[34:35], s[8:9], s[16:17]
.LBB46_170:                             ;   in Loop: Header=BB46_6 Depth=1
	s_or_b64 exec, exec, s[2:3]
	s_mov_b64 s[94:95], 0
	s_mov_b64 s[26:27], -1
.LBB46_171:                             ;   in Loop: Header=BB46_6 Depth=1
	s_orn2_b64 s[2:3], s[34:35], exec
.LBB46_172:                             ;   in Loop: Header=BB46_6 Depth=1
	s_or_b64 exec, exec, s[24:25]
	s_mov_b64 s[8:9], 0
	s_and_saveexec_b64 s[34:35], s[2:3]
	s_cbranch_execz .LBB46_222
; %bb.173:                              ;   in Loop: Header=BB46_6 Depth=1
	s_xor_b64 s[2:3], s[36:37], -1
	v_mov_b32_e32 v24, 1
	v_mov_b32_e32 v23, 1
	s_and_saveexec_b64 s[24:25], s[2:3]
	s_cbranch_execz .LBB46_182
; %bb.174:                              ;   in Loop: Header=BB46_6 Depth=1
	v_cmp_ge_u32_e32 vcc, s50, v42
	s_and_saveexec_b64 s[2:3], vcc
	s_xor_b64 s[2:3], exec, s[2:3]
	s_cbranch_execz .LBB46_179
; %bb.175:                              ;   in Loop: Header=BB46_6 Depth=1
	ds_read_b32 v6, v14 offset:4096
	s_lshl_b64 s[8:9], 2, s11
	v_and_b32_e32 v2, s77, v2
	v_and_b32_e32 v1, s76, v1
	v_or_b32_e32 v2, s9, v2
	s_waitcnt lgkmcnt(0)
	v_cmp_ne_u32_e32 vcc, 0, v6
	v_or_b32_e32 v1, s8, v1
	v_or_b32_e32 v22, s23, v22
	;; [unrolled: 1-line block ×3, first 2 shown]
	s_cbranch_vccnz .LBB46_179
; %bb.176:                              ;   in Loop: Header=BB46_6 Depth=1
	s_mov_b64 s[8:9], exec
	v_readlane_b32 s16, v46, 13
	v_readlane_b32 s17, v46, 14
	s_and_b64 s[16:17], s[8:9], s[16:17]
	s_mov_b64 exec, s[16:17]
; %bb.177:                              ;   in Loop: Header=BB46_6 Depth=1
	v_mov_b32_e32 v6, s50
	ds_write_b32 v14, v6 offset:4100
; %bb.178:                              ;   in Loop: Header=BB46_6 Depth=1
	s_or_b64 exec, exec, s[8:9]
	s_waitcnt lgkmcnt(0)
	s_barrier
.LBB46_179:                             ;   in Loop: Header=BB46_6 Depth=1
	s_or_saveexec_b64 s[2:3], s[2:3]
	s_mov_b64 s[8:9], 0
	v_mov_b32_e32 v23, 8
	s_xor_b64 exec, exec, s[2:3]
; %bb.180:                              ;   in Loop: Header=BB46_6 Depth=1
	s_mov_b64 s[8:9], exec
	v_subrev_u32_e32 v42, s50, v42
	v_mov_b32_e32 v23, 0
; %bb.181:                              ;   in Loop: Header=BB46_6 Depth=1
	s_or_b64 exec, exec, s[2:3]
	s_and_b64 s[8:9], s[8:9], exec
	v_mov_b32_e32 v24, v42
.LBB46_182:                             ;   in Loop: Header=BB46_6 Depth=1
	s_or_b64 exec, exec, s[24:25]
	s_mov_b64 s[2:3], -1
                                        ; implicit-def: $sgpr24_sgpr25
                                        ; implicit-def: $sgpr52_sgpr53
	s_and_saveexec_b64 s[36:37], s[8:9]
	s_cbranch_execz .LBB46_221
; %bb.183:                              ;   in Loop: Header=BB46_6 Depth=1
	s_cmp_eq_u32 s51, 1
	s_cselect_b64 s[2:3], -1, 0
	v_cmp_eq_u32_e32 vcc, 1, v24
	s_and_b64 s[38:39], s[2:3], vcc
	s_mov_b64 s[8:9], -1
                                        ; implicit-def: $sgpr24_sgpr25
                                        ; implicit-def: $sgpr52_sgpr53
	s_mov_b64 s[2:3], exec
	v_writelane_b32 v46, s2, 44
	v_writelane_b32 v46, s3, 45
	s_and_b64 s[2:3], s[2:3], s[38:39]
	s_mov_b64 exec, s[2:3]
	s_cbranch_execz .LBB46_209
; %bb.184:                              ;   in Loop: Header=BB46_6 Depth=1
	ds_read_b32 v6, v14 offset:4096
	s_waitcnt lgkmcnt(0)
	s_barrier
	v_readfirstlane_b32 s16, v6
	s_mov_b64 s[2:3], exec
	v_readlane_b32 s8, v46, 26
	v_readlane_b32 s9, v46, 27
	s_and_b64 s[8:9], s[2:3], s[8:9]
	s_mov_b64 exec, s[8:9]
; %bb.185:                              ;   in Loop: Header=BB46_6 Depth=1
	v_mov_b32_e32 v13, v14
	ds_write_b64 v31, v[13:14]
; %bb.186:                              ;   in Loop: Header=BB46_6 Depth=1
	s_or_b64 exec, exec, s[2:3]
	s_mov_b64 s[2:3], -1
	v_writelane_b32 v46, s2, 46
	v_or_b32_e32 v2, s23, v2
	v_or_b32_e32 v1, s22, v1
	;; [unrolled: 1-line block ×4, first 2 shown]
	v_writelane_b32 v46, s3, 47
	s_mov_b64 s[24:25], 0
	s_cmp_eq_u32 s16, 0
	s_mov_b64 s[52:53], 0
	s_mov_b64 s[2:3], -1
	s_waitcnt lgkmcnt(0)
	s_barrier
                                        ; implicit-def: $vgpr8_vgpr9
	s_cbranch_scc1 .LBB46_197
; %bb.187:                              ;   in Loop: Header=BB46_6 Depth=1
	s_add_i32 s2, s16, s45
	v_readlane_b32 s3, v46, 40
	s_mul_hi_u32 s3, s2, s3
	s_mul_i32 s3, s3, s46
	s_sub_i32 s3, s2, s3
	s_sub_i32 s8, s3, s46
	s_cmp_ge_u32 s3, s46
	s_cselect_b32 s3, s8, s3
	s_sub_i32 s8, s3, s46
	s_cmp_ge_u32 s3, s46
	s_cselect_b32 s3, s8, s3
	s_sub_i32 s17, s2, s3
	s_mov_b64 s[2:3], 0
	v_cmp_gt_u32_e32 vcc, s17, v0
                                        ; implicit-def: $vgpr8_vgpr9
	s_mov_b64 s[8:9], exec
	v_writelane_b32 v46, s8, 48
	v_writelane_b32 v46, s9, 49
	s_and_b64 s[8:9], s[8:9], vcc
	s_mov_b64 exec, s[8:9]
	s_cbranch_execz .LBB46_196
; %bb.188:                              ;   in Loop: Header=BB46_6 Depth=1
	v_writelane_b32 v46, s38, 50
	v_mov_b32_e32 v13, v30
	v_mov_b32_e32 v42, v0
	v_writelane_b32 v46, s39, 51
                                        ; implicit-def: $sgpr8_sgpr9
	s_branch .LBB46_191
.LBB46_189:                             ;   in Loop: Header=BB46_191 Depth=2
	s_or_b64 exec, exec, s[44:45]
	s_waitcnt lgkmcnt(0)
	s_barrier
	ds_read_b128 v[6:9], v14 offset:3072
	s_mov_b64 s[44:45], -1
	s_mov_b64 s[38:39], -1
	s_waitcnt lgkmcnt(0)
	s_barrier
	v_cmp_ne_u64_e32 vcc, 0, v[6:7]
	s_cbranch_vccz .LBB46_194
.LBB46_190:                             ;   in Loop: Header=BB46_191 Depth=2
	s_and_b64 s[44:45], exec, s[44:45]
	s_or_b64 s[52:53], s[44:45], s[52:53]
	s_andn2_b64 s[8:9], s[8:9], exec
	s_and_b64 s[38:39], s[38:39], exec
	s_or_b64 s[8:9], s[8:9], s[38:39]
	s_andn2_b64 exec, exec, s[52:53]
	s_cbranch_execz .LBB46_195
.LBB46_191:                             ;   Parent Loop BB46_6 Depth=1
                                        ; =>  This Inner Loop Header: Depth=2
	v_cmp_gt_u32_e32 vcc, s16, v42
	s_and_saveexec_b64 s[44:45], vcc
	s_cbranch_execz .LBB46_189
; %bb.192:                              ;   in Loop: Header=BB46_191 Depth=2
	ds_read_b64 v[7:8], v13
	s_waitcnt lgkmcnt(0)
	v_xor_b32_e32 v6, 0x80000000, v8
	v_and_b32_e32 v44, v6, v22
	v_and_b32_e32 v43, v7, v21
	v_cmp_eq_u64_e32 vcc, v[43:44], v[1:2]
	s_and_b64 exec, exec, vcc
	s_cbranch_execz .LBB46_189
; %bb.193:                              ;   in Loop: Header=BB46_191 Depth=2
	v_mov_b32_e32 v6, v14
	ds_write_b128 v14, v[5:8] offset:3072
	s_branch .LBB46_189
.LBB46_194:                             ;   in Loop: Header=BB46_191 Depth=2
	v_add_u32_e32 v42, s46, v42
	v_cmp_le_u32_e32 vcc, s17, v42
	v_add_u32_e32 v13, s10, v13
	s_mov_b64 s[38:39], 0
	s_orn2_b64 s[44:45], vcc, exec
	s_branch .LBB46_190
.LBB46_195:                             ;   in Loop: Header=BB46_6 Depth=1
	s_or_b64 exec, exec, s[52:53]
	v_readlane_b32 s38, v46, 50
	s_and_b64 s[52:53], s[8:9], exec
	v_readlane_b32 s45, v46, 43
	v_readlane_b32 s39, v46, 51
.LBB46_196:                             ;   in Loop: Header=BB46_6 Depth=1
	v_readlane_b32 s8, v46, 48
	v_readlane_b32 s9, v46, 49
	s_or_b64 exec, exec, s[8:9]
.LBB46_197:                             ;   in Loop: Header=BB46_6 Depth=1
	s_and_b64 vcc, exec, s[2:3]
	s_cbranch_vccz .LBB46_208
; %bb.198:                              ;   in Loop: Header=BB46_6 Depth=1
                                        ; implicit-def: $vgpr8_vgpr9
	s_mov_b64 s[2:3], exec
	v_readlane_b32 s8, v46, 41
	v_readlane_b32 s9, v46, 42
	s_and_b64 s[8:9], s[2:3], s[8:9]
	s_mov_b64 exec, s[8:9]
	s_cbranch_execz .LBB46_207
; %bb.199:                              ;   in Loop: Header=BB46_6 Depth=1
	v_writelane_b32 v46, s38, 50
	s_mov_b64 s[16:17], 0
	v_mov_b32_e32 v13, v12
	v_mov_b32_e32 v42, v0
	v_writelane_b32 v46, s39, 51
                                        ; implicit-def: $sgpr24_sgpr25
	s_branch .LBB46_202
.LBB46_200:                             ;   in Loop: Header=BB46_202 Depth=2
	s_or_b64 exec, exec, s[8:9]
	s_waitcnt lgkmcnt(0)
	s_barrier
	ds_read_b128 v[6:9], v14 offset:3072
	s_mov_b64 s[8:9], -1
	s_mov_b64 s[38:39], -1
	s_waitcnt lgkmcnt(0)
	s_barrier
	v_cmp_eq_u64_e32 vcc, 0, v[6:7]
	s_cbranch_vccnz .LBB46_205
.LBB46_201:                             ;   in Loop: Header=BB46_202 Depth=2
	s_and_b64 s[8:9], exec, s[8:9]
	s_or_b64 s[16:17], s[8:9], s[16:17]
	s_andn2_b64 s[8:9], s[24:25], exec
	s_and_b64 s[24:25], s[38:39], exec
	s_or_b64 s[24:25], s[8:9], s[24:25]
	s_andn2_b64 exec, exec, s[16:17]
	s_cbranch_execz .LBB46_206
.LBB46_202:                             ;   Parent Loop BB46_6 Depth=1
                                        ; =>  This Inner Loop Header: Depth=2
	v_cmp_gt_u32_e32 vcc, s28, v42
	s_and_saveexec_b64 s[8:9], vcc
	s_cbranch_execz .LBB46_200
; %bb.203:                              ;   in Loop: Header=BB46_202 Depth=2
	v_lshlrev_b64 v[6:7], 3, v[13:14]
	v_mov_b32_e32 v8, s40
	v_add_co_u32_e32 v6, vcc, s33, v6
	v_addc_co_u32_e32 v7, vcc, v8, v7, vcc
	global_load_dwordx2 v[7:8], v[6:7], off
	s_waitcnt vmcnt(0)
	v_xor_b32_e32 v6, 0x80000000, v8
	v_and_b32_e32 v44, v6, v22
	v_and_b32_e32 v43, v7, v21
	v_cmp_eq_u64_e32 vcc, v[43:44], v[1:2]
	s_and_b64 exec, exec, vcc
	s_cbranch_execz .LBB46_200
; %bb.204:                              ;   in Loop: Header=BB46_202 Depth=2
	v_mov_b32_e32 v6, v14
	ds_write_b128 v14, v[5:8] offset:3072
	s_branch .LBB46_200
.LBB46_205:                             ;   in Loop: Header=BB46_202 Depth=2
	v_add_u32_e32 v42, s46, v42
	v_cmp_le_u32_e32 vcc, s12, v42
	v_add_u32_e32 v13, s47, v13
	s_mov_b64 s[38:39], 0
	s_orn2_b64 s[8:9], vcc, exec
	s_branch .LBB46_201
.LBB46_206:                             ;   in Loop: Header=BB46_6 Depth=1
	s_or_b64 exec, exec, s[16:17]
	s_andn2_b64 s[8:9], s[52:53], exec
	s_and_b64 s[16:17], s[24:25], exec
	v_readlane_b32 s38, v46, 50
	s_or_b64 s[52:53], s[8:9], s[16:17]
	v_readlane_b32 s39, v46, 51
.LBB46_207:                             ;   in Loop: Header=BB46_6 Depth=1
	s_or_b64 exec, exec, s[2:3]
	s_mov_b64 s[2:3], 0
	v_writelane_b32 v46, s2, 46
	s_mov_b64 s[24:25], -1
	v_writelane_b32 v46, s3, 47
.LBB46_208:                             ;   in Loop: Header=BB46_6 Depth=1
	s_orn2_b64 s[8:9], s[52:53], exec
	v_readlane_b32 s52, v46, 46
	v_readlane_b32 s53, v46, 47
.LBB46_209:                             ;   in Loop: Header=BB46_6 Depth=1
	v_readlane_b32 s2, v46, 44
	v_readlane_b32 s3, v46, 45
	s_or_b64 exec, exec, s[2:3]
	s_mov_b64 s[16:17], 0
	s_and_saveexec_b64 s[2:3], s[8:9]
	s_cbranch_execz .LBB46_220
; %bb.210:                              ;   in Loop: Header=BB46_6 Depth=1
	s_xor_b64 s[8:9], s[38:39], -1
	v_mov_b32_e32 v23, 1
	v_mov_b32_e32 v6, 1
	s_and_saveexec_b64 s[16:17], s[8:9]
	s_cbranch_execz .LBB46_219
; %bb.211:                              ;   in Loop: Header=BB46_6 Depth=1
	v_cmp_ge_u32_e32 vcc, s51, v24
	s_and_saveexec_b64 s[8:9], vcc
	s_xor_b64 s[8:9], exec, s[8:9]
	s_cbranch_execz .LBB46_216
; %bb.212:                              ;   in Loop: Header=BB46_6 Depth=1
	ds_read_b32 v6, v14 offset:4096
	v_or_b32_e32 v2, s23, v2
	v_or_b32_e32 v1, s22, v1
	;; [unrolled: 1-line block ×4, first 2 shown]
	s_waitcnt lgkmcnt(0)
	v_cmp_ne_u32_e32 vcc, 0, v6
	s_cbranch_vccnz .LBB46_216
; %bb.213:                              ;   in Loop: Header=BB46_6 Depth=1
	s_mov_b64 s[38:39], exec
	v_readlane_b32 s44, v46, 13
	v_readlane_b32 s45, v46, 14
	s_and_b64 s[44:45], s[38:39], s[44:45]
	s_mov_b64 exec, s[44:45]
; %bb.214:                              ;   in Loop: Header=BB46_6 Depth=1
	v_mov_b32_e32 v6, s51
	ds_write_b32 v14, v6 offset:4100
; %bb.215:                              ;   in Loop: Header=BB46_6 Depth=1
	s_or_b64 exec, exec, s[38:39]
	v_readlane_b32 s45, v46, 43
	s_waitcnt lgkmcnt(0)
	s_barrier
.LBB46_216:                             ;   in Loop: Header=BB46_6 Depth=1
	s_andn2_saveexec_b64 s[8:9], s[8:9]
; %bb.217:                              ;   in Loop: Header=BB46_6 Depth=1
	v_subrev_u32_e32 v24, s51, v24
; %bb.218:                              ;   in Loop: Header=BB46_6 Depth=1
	s_or_b64 exec, exec, s[8:9]
	v_mov_b32_e32 v23, 8
	v_mov_b32_e32 v6, v24
.LBB46_219:                             ;   in Loop: Header=BB46_6 Depth=1
	s_or_b64 exec, exec, s[16:17]
	s_mov_b64 s[16:17], exec
	v_mov_b32_e32 v24, v6
.LBB46_220:                             ;   in Loop: Header=BB46_6 Depth=1
	s_or_b64 exec, exec, s[2:3]
	s_orn2_b64 s[2:3], s[16:17], exec
.LBB46_221:                             ;   in Loop: Header=BB46_6 Depth=1
	s_or_b64 exec, exec, s[36:37]
	s_andn2_b64 s[8:9], s[26:27], exec
	s_and_b64 s[16:17], s[24:25], exec
	s_or_b64 s[26:27], s[8:9], s[16:17]
	s_andn2_b64 s[8:9], s[94:95], exec
	s_and_b64 s[16:17], s[52:53], exec
	s_or_b64 s[94:95], s[8:9], s[16:17]
	s_and_b64 s[8:9], s[2:3], exec
	v_mov_b32_e32 v42, v24
.LBB46_222:                             ;   in Loop: Header=BB46_6 Depth=1
	s_or_b64 exec, exec, s[34:35]
	s_orn2_b64 s[2:3], s[8:9], exec
.LBB46_223:                             ;   in Loop: Header=BB46_6 Depth=1
	s_or_b64 exec, exec, s[92:93]
	s_andn2_b64 s[8:9], s[80:81], exec
	s_and_b64 s[16:17], s[26:27], exec
	s_or_b64 s[80:81], s[8:9], s[16:17]
	s_andn2_b64 s[8:9], s[78:79], exec
	s_and_b64 s[16:17], s[94:95], exec
	s_or_b64 s[78:79], s[8:9], s[16:17]
	s_and_b64 s[8:9], s[2:3], exec
	v_mov_b32_e32 v24, v42
.LBB46_224:                             ;   in Loop: Header=BB46_6 Depth=1
	s_or_b64 exec, exec, s[90:91]
	s_orn2_b64 s[2:3], s[8:9], exec
.LBB46_225:                             ;   in Loop: Header=BB46_6 Depth=1
	s_or_b64 exec, exec, s[6:7]
	s_mov_b64 s[6:7], 0
	s_mov_b64 s[8:9], 0
	s_and_saveexec_b64 s[16:17], s[2:3]
	s_xor_b64 s[2:3], exec, s[16:17]
; %bb.226:                              ;   in Loop: Header=BB46_6 Depth=1
	v_cmp_eq_u32_e32 vcc, 8, v23
	v_cmp_ne_u32_e64 s[6:7], 8, v23
	s_and_b64 s[8:9], s[6:7], exec
	s_and_b64 s[6:7], vcc, exec
; %bb.227:                              ;   in Loop: Header=BB46_6 Depth=1
	s_or_b64 exec, exec, s[2:3]
	s_andn2_b64 s[2:3], s[84:85], exec
	s_and_b64 s[16:17], s[80:81], exec
	s_or_b64 s[84:85], s[2:3], s[16:17]
	s_andn2_b64 s[2:3], s[82:83], exec
	s_and_b64 s[16:17], s[78:79], exec
	s_or_b64 s[82:83], s[2:3], s[16:17]
	s_and_b64 s[78:79], s[8:9], exec
	s_and_b64 s[80:81], s[6:7], exec
.LBB46_228:                             ;   in Loop: Header=BB46_6 Depth=1
	s_or_b64 exec, exec, s[88:89]
.LBB46_229:                             ;   in Loop: Header=BB46_6 Depth=1
	s_and_b64 vcc, exec, s[86:87]
	s_cbranch_vccz .LBB46_242
; %bb.230:                              ;   in Loop: Header=BB46_6 Depth=1
	s_cmp_eq_u32 s51, 1
	s_cselect_b64 s[2:3], -1, 0
	s_and_b64 s[6:7], s[2:3], s[18:19]
	s_mov_b64 s[2:3], -1
                                        ; implicit-def: $sgpr18_sgpr19
                                        ; implicit-def: $sgpr20_sgpr21
	s_and_saveexec_b64 s[24:25], s[6:7]
	s_cbranch_execz .LBB46_257
; %bb.231:                              ;   in Loop: Header=BB46_6 Depth=1
	ds_read_b32 v1, v14 offset:4096
	s_waitcnt lgkmcnt(0)
	s_barrier
	v_readfirstlane_b32 s38, v1
	s_mov_b64 s[2:3], exec
	v_readlane_b32 s8, v46, 26
	v_readlane_b32 s9, v46, 27
	s_and_b64 s[8:9], s[2:3], s[8:9]
	s_mov_b64 exec, s[8:9]
; %bb.232:                              ;   in Loop: Header=BB46_6 Depth=1
	v_mov_b32_e32 v13, v14
	ds_write_b64 v31, v[13:14]
; %bb.233:                              ;   in Loop: Header=BB46_6 Depth=1
	s_or_b64 exec, exec, s[2:3]
	v_or_b32_e32 v18, s23, v18
	v_or_b32_e32 v17, s22, v17
	;; [unrolled: 1-line block ×4, first 2 shown]
	s_mov_b64 s[20:21], -1
	s_mov_b64 s[18:19], 0
	s_cmp_eq_u32 s38, 0
	s_mov_b64 s[26:27], 0
	s_mov_b64 s[2:3], -1
	s_waitcnt lgkmcnt(0)
	s_barrier
                                        ; implicit-def: $vgpr3_vgpr4
	s_cbranch_scc1 .LBB46_245
; %bb.234:                              ;   in Loop: Header=BB46_6 Depth=1
	s_add_i32 s2, s38, s45
	v_readlane_b32 s3, v46, 40
	s_mul_hi_u32 s3, s2, s3
	s_mul_i32 s3, s3, s46
	s_sub_i32 s3, s2, s3
	s_sub_i32 s8, s3, s46
	s_cmp_ge_u32 s3, s46
	s_cselect_b32 s3, s8, s3
	s_sub_i32 s8, s3, s46
	s_cmp_ge_u32 s3, s46
	s_cselect_b32 s3, s8, s3
	s_sub_i32 s39, s2, s3
	v_cmp_gt_u32_e32 vcc, s39, v0
	s_mov_b64 s[2:3], 0
                                        ; implicit-def: $vgpr3_vgpr4
	s_and_saveexec_b64 s[34:35], vcc
	s_cbranch_execz .LBB46_244
; %bb.235:                              ;   in Loop: Header=BB46_6 Depth=1
	s_mov_b64 s[16:17], 0
	v_mov_b32_e32 v9, v30
	v_mov_b32_e32 v13, v0
                                        ; implicit-def: $sgpr26_sgpr27
	s_branch .LBB46_238
.LBB46_236:                             ;   in Loop: Header=BB46_238 Depth=2
	s_or_b64 exec, exec, s[8:9]
	s_waitcnt lgkmcnt(0)
	s_barrier
	ds_read_b128 v[1:4], v14 offset:3072
	s_mov_b64 s[8:9], -1
	s_mov_b64 s[36:37], -1
	s_waitcnt lgkmcnt(0)
	s_barrier
	v_cmp_ne_u64_e32 vcc, 0, v[1:2]
	s_cbranch_vccz .LBB46_241
.LBB46_237:                             ;   in Loop: Header=BB46_238 Depth=2
	s_and_b64 s[8:9], exec, s[8:9]
	s_or_b64 s[16:17], s[8:9], s[16:17]
	s_andn2_b64 s[8:9], s[26:27], exec
	s_and_b64 s[26:27], s[36:37], exec
	s_or_b64 s[26:27], s[8:9], s[26:27]
	s_andn2_b64 exec, exec, s[16:17]
	s_cbranch_execz .LBB46_243
.LBB46_238:                             ;   Parent Loop BB46_6 Depth=1
                                        ; =>  This Inner Loop Header: Depth=2
	v_cmp_gt_u32_e32 vcc, s38, v13
	s_and_saveexec_b64 s[8:9], vcc
	s_cbranch_execz .LBB46_236
; %bb.239:                              ;   in Loop: Header=BB46_238 Depth=2
	ds_read_b64 v[7:8], v9
	s_waitcnt lgkmcnt(0)
	v_xor_b32_e32 v1, 0x80000000, v8
	v_and_b32_e32 v2, v1, v20
	v_and_b32_e32 v1, v7, v19
	v_cmp_eq_u64_e32 vcc, v[1:2], v[17:18]
	s_and_b64 exec, exec, vcc
	s_cbranch_execz .LBB46_236
; %bb.240:                              ;   in Loop: Header=BB46_238 Depth=2
	v_mov_b32_e32 v6, v14
	ds_write_b128 v14, v[5:8] offset:3072
	s_branch .LBB46_236
.LBB46_241:                             ;   in Loop: Header=BB46_238 Depth=2
	v_add_u32_e32 v13, s46, v13
	v_cmp_le_u32_e32 vcc, s39, v13
	v_add_u32_e32 v9, s10, v9
	s_mov_b64 s[36:37], 0
	s_orn2_b64 s[8:9], vcc, exec
	s_branch .LBB46_237
.LBB46_242:                             ;   in Loop: Header=BB46_6 Depth=1
	v_mov_b32_e32 v18, v2
	v_mov_b32_e32 v19, v21
	;; [unrolled: 1-line block ×3, first 2 shown]
	s_mov_b64 s[18:19], 0
	v_mov_b32_e32 v17, v1
	v_mov_b32_e32 v20, v22
	;; [unrolled: 1-line block ×3, first 2 shown]
	s_and_saveexec_b64 s[2:3], s[80:81]
	s_cbranch_execnz .LBB46_388
	s_branch .LBB46_389
.LBB46_243:                             ;   in Loop: Header=BB46_6 Depth=1
	s_or_b64 exec, exec, s[16:17]
	s_and_b64 s[26:27], s[26:27], exec
.LBB46_244:                             ;   in Loop: Header=BB46_6 Depth=1
	s_or_b64 exec, exec, s[34:35]
.LBB46_245:                             ;   in Loop: Header=BB46_6 Depth=1
	s_and_b64 vcc, exec, s[2:3]
	s_cbranch_vccz .LBB46_256
; %bb.246:                              ;   in Loop: Header=BB46_6 Depth=1
                                        ; implicit-def: $vgpr3_vgpr4
	s_mov_b64 s[2:3], exec
	v_readlane_b32 s8, v46, 41
	v_readlane_b32 s9, v46, 42
	s_and_b64 s[8:9], s[2:3], s[8:9]
	s_mov_b64 exec, s[8:9]
	s_cbranch_execz .LBB46_255
; %bb.247:                              ;   in Loop: Header=BB46_6 Depth=1
	s_mov_b64 s[18:19], 0
	v_mov_b32_e32 v13, v12
	v_mov_b32_e32 v9, v0
                                        ; implicit-def: $sgpr16_sgpr17
	s_branch .LBB46_250
.LBB46_248:                             ;   in Loop: Header=BB46_250 Depth=2
	s_or_b64 exec, exec, s[8:9]
	s_waitcnt lgkmcnt(0)
	s_barrier
	ds_read_b128 v[1:4], v14 offset:3072
	s_mov_b64 s[8:9], -1
	s_mov_b64 s[20:21], -1
	s_waitcnt lgkmcnt(0)
	s_barrier
	v_cmp_ne_u64_e32 vcc, 0, v[1:2]
	s_cbranch_vccz .LBB46_253
.LBB46_249:                             ;   in Loop: Header=BB46_250 Depth=2
	s_and_b64 s[8:9], exec, s[8:9]
	s_or_b64 s[18:19], s[8:9], s[18:19]
	s_andn2_b64 s[8:9], s[16:17], exec
	s_and_b64 s[16:17], s[20:21], exec
	s_or_b64 s[16:17], s[8:9], s[16:17]
	s_andn2_b64 exec, exec, s[18:19]
	s_cbranch_execz .LBB46_254
.LBB46_250:                             ;   Parent Loop BB46_6 Depth=1
                                        ; =>  This Inner Loop Header: Depth=2
	v_cmp_gt_u32_e32 vcc, s28, v9
	s_and_saveexec_b64 s[8:9], vcc
	s_cbranch_execz .LBB46_248
; %bb.251:                              ;   in Loop: Header=BB46_250 Depth=2
	v_lshlrev_b64 v[1:2], 3, v[13:14]
	v_mov_b32_e32 v3, s40
	v_add_co_u32_e32 v1, vcc, s33, v1
	v_addc_co_u32_e32 v2, vcc, v3, v2, vcc
	global_load_dwordx2 v[7:8], v[1:2], off
	s_waitcnt vmcnt(0)
	v_xor_b32_e32 v1, 0x80000000, v8
	v_and_b32_e32 v2, v1, v20
	v_and_b32_e32 v1, v7, v19
	v_cmp_eq_u64_e32 vcc, v[1:2], v[17:18]
	s_and_b64 exec, exec, vcc
	s_cbranch_execz .LBB46_248
; %bb.252:                              ;   in Loop: Header=BB46_250 Depth=2
	v_mov_b32_e32 v6, v14
	ds_write_b128 v14, v[5:8] offset:3072
	s_branch .LBB46_248
.LBB46_253:                             ;   in Loop: Header=BB46_250 Depth=2
	v_add_u32_e32 v9, s46, v9
	v_cmp_le_u32_e32 vcc, s12, v9
	v_add_u32_e32 v13, s47, v13
	s_mov_b64 s[20:21], 0
	s_orn2_b64 s[8:9], vcc, exec
	s_branch .LBB46_249
.LBB46_254:                             ;   in Loop: Header=BB46_6 Depth=1
	s_or_b64 exec, exec, s[18:19]
	s_andn2_b64 s[8:9], s[26:27], exec
	s_and_b64 s[16:17], s[16:17], exec
	s_or_b64 s[26:27], s[8:9], s[16:17]
.LBB46_255:                             ;   in Loop: Header=BB46_6 Depth=1
	s_or_b64 exec, exec, s[2:3]
	s_mov_b64 s[20:21], 0
	s_mov_b64 s[18:19], -1
.LBB46_256:                             ;   in Loop: Header=BB46_6 Depth=1
	s_orn2_b64 s[2:3], s[26:27], exec
.LBB46_257:                             ;   in Loop: Header=BB46_6 Depth=1
	s_or_b64 exec, exec, s[24:25]
                                        ; implicit-def: $vgpr24
                                        ; implicit-def: $vgpr23
	s_and_saveexec_b64 s[82:83], s[2:3]
	s_cbranch_execz .LBB46_387
; %bb.258:                              ;   in Loop: Header=BB46_6 Depth=1
	s_xor_b64 s[8:9], s[6:7], -1
	s_mov_b64 s[6:7], 0
	v_mov_b32_e32 v24, 1
	v_mov_b32_e32 v23, 1
	s_and_saveexec_b64 s[2:3], s[8:9]
	s_cbranch_execz .LBB46_267
; %bb.259:                              ;   in Loop: Header=BB46_6 Depth=1
	v_cmp_ge_u32_e32 vcc, s51, v41
	s_and_saveexec_b64 s[6:7], vcc
	s_xor_b64 s[6:7], exec, s[6:7]
	s_cbranch_execz .LBB46_264
; %bb.260:                              ;   in Loop: Header=BB46_6 Depth=1
	ds_read_b32 v1, v14 offset:4096
	v_or_b32_e32 v18, s23, v18
	v_or_b32_e32 v17, s22, v17
	;; [unrolled: 1-line block ×4, first 2 shown]
	s_waitcnt lgkmcnt(0)
	v_cmp_ne_u32_e32 vcc, 0, v1
	s_cbranch_vccnz .LBB46_264
; %bb.261:                              ;   in Loop: Header=BB46_6 Depth=1
	s_mov_b64 s[8:9], exec
	v_readlane_b32 s16, v46, 13
	v_readlane_b32 s17, v46, 14
	s_and_b64 s[16:17], s[8:9], s[16:17]
	s_mov_b64 exec, s[16:17]
; %bb.262:                              ;   in Loop: Header=BB46_6 Depth=1
	v_mov_b32_e32 v1, s51
	ds_write_b32 v14, v1 offset:4100
; %bb.263:                              ;   in Loop: Header=BB46_6 Depth=1
	s_or_b64 exec, exec, s[8:9]
	s_waitcnt lgkmcnt(0)
	s_barrier
.LBB46_264:                             ;   in Loop: Header=BB46_6 Depth=1
	s_or_saveexec_b64 s[6:7], s[6:7]
	s_mov_b64 s[8:9], 0
	v_mov_b32_e32 v23, 5
	s_xor_b64 exec, exec, s[6:7]
; %bb.265:                              ;   in Loop: Header=BB46_6 Depth=1
	v_subrev_u32_e32 v41, s51, v41
	v_mov_b32_e32 v23, 0
	s_mov_b64 s[8:9], exec
; %bb.266:                              ;   in Loop: Header=BB46_6 Depth=1
	s_or_b64 exec, exec, s[6:7]
	s_and_b64 s[6:7], s[8:9], exec
	v_mov_b32_e32 v24, v41
.LBB46_267:                             ;   in Loop: Header=BB46_6 Depth=1
	s_or_b64 exec, exec, s[2:3]
	s_mov_b64 s[2:3], -1
                                        ; implicit-def: $sgpr84_sgpr85
                                        ; implicit-def: $sgpr86_sgpr87
	s_and_saveexec_b64 s[8:9], s[6:7]
	s_xor_b64 s[6:7], exec, s[8:9]
	s_cbranch_execz .LBB46_384
; %bb.268:                              ;   in Loop: Header=BB46_6 Depth=1
	s_cmp_eq_u32 s50, 1
	s_cselect_b64 s[2:3], -1, 0
	v_cmp_eq_u32_e32 vcc, 1, v24
	s_and_b64 s[26:27], s[2:3], vcc
	s_mov_b64 s[2:3], -1
                                        ; implicit-def: $sgpr86_sgpr87
                                        ; implicit-def: $sgpr84_sgpr85
	s_and_saveexec_b64 s[24:25], s[26:27]
	s_cbranch_execz .LBB46_294
; %bb.269:                              ;   in Loop: Header=BB46_6 Depth=1
	ds_read_b32 v1, v14 offset:4096
	s_waitcnt lgkmcnt(0)
	s_barrier
	v_readfirstlane_b32 s44, v1
	s_mov_b64 s[2:3], exec
	v_readlane_b32 s8, v46, 26
	v_readlane_b32 s9, v46, 27
	s_and_b64 s[8:9], s[2:3], s[8:9]
	s_mov_b64 exec, s[8:9]
; %bb.270:                              ;   in Loop: Header=BB46_6 Depth=1
	v_mov_b32_e32 v13, v14
	ds_write_b64 v31, v[13:14]
; %bb.271:                              ;   in Loop: Header=BB46_6 Depth=1
	s_or_b64 exec, exec, s[2:3]
	s_lshl_b64 s[2:3], 2, s11
	v_and_b32_e32 v1, s77, v18
	v_and_b32_e32 v2, s76, v17
	v_or_b32_e32 v18, s3, v1
	v_or_b32_e32 v17, s2, v2
	;; [unrolled: 1-line block ×4, first 2 shown]
	s_mov_b64 s[84:85], -1
	s_mov_b64 s[86:87], 0
	s_cmp_eq_u32 s44, 0
	s_mov_b64 s[34:35], 0
	s_mov_b64 s[2:3], -1
	s_waitcnt lgkmcnt(0)
	s_barrier
                                        ; implicit-def: $vgpr3_vgpr4
	s_cbranch_scc1 .LBB46_282
; %bb.272:                              ;   in Loop: Header=BB46_6 Depth=1
	s_add_i32 s2, s44, s45
	v_readlane_b32 s3, v46, 40
	s_mul_hi_u32 s3, s2, s3
	s_mul_i32 s3, s3, s46
	s_sub_i32 s3, s2, s3
	s_sub_i32 s8, s3, s46
	s_cmp_ge_u32 s3, s46
	s_cselect_b32 s3, s8, s3
	s_sub_i32 s8, s3, s46
	s_cmp_ge_u32 s3, s46
	s_cselect_b32 s3, s8, s3
	s_sub_i32 s45, s2, s3
	v_cmp_gt_u32_e32 vcc, s45, v0
	s_mov_b64 s[2:3], 0
                                        ; implicit-def: $vgpr3_vgpr4
	s_and_saveexec_b64 s[36:37], vcc
	s_cbranch_execz .LBB46_281
; %bb.273:                              ;   in Loop: Header=BB46_6 Depth=1
	s_mov_b64 s[16:17], 0
	v_mov_b32_e32 v9, v30
	v_mov_b32_e32 v13, v0
                                        ; implicit-def: $sgpr34_sgpr35
	s_branch .LBB46_276
.LBB46_274:                             ;   in Loop: Header=BB46_276 Depth=2
	s_or_b64 exec, exec, s[8:9]
	s_waitcnt lgkmcnt(0)
	s_barrier
	ds_read_b128 v[1:4], v14 offset:3072
	s_mov_b64 s[8:9], -1
	s_mov_b64 s[38:39], -1
	s_waitcnt lgkmcnt(0)
	s_barrier
	v_cmp_ne_u64_e32 vcc, 0, v[1:2]
	s_cbranch_vccz .LBB46_279
.LBB46_275:                             ;   in Loop: Header=BB46_276 Depth=2
	s_and_b64 s[8:9], exec, s[8:9]
	s_or_b64 s[16:17], s[8:9], s[16:17]
	s_andn2_b64 s[8:9], s[34:35], exec
	s_and_b64 s[34:35], s[38:39], exec
	s_or_b64 s[34:35], s[8:9], s[34:35]
	s_andn2_b64 exec, exec, s[16:17]
	s_cbranch_execz .LBB46_280
.LBB46_276:                             ;   Parent Loop BB46_6 Depth=1
                                        ; =>  This Inner Loop Header: Depth=2
	v_cmp_gt_u32_e32 vcc, s44, v13
	s_and_saveexec_b64 s[8:9], vcc
	s_cbranch_execz .LBB46_274
; %bb.277:                              ;   in Loop: Header=BB46_276 Depth=2
	ds_read_b64 v[7:8], v9
	s_waitcnt lgkmcnt(0)
	v_xor_b32_e32 v1, 0x80000000, v8
	v_and_b32_e32 v2, v1, v20
	v_and_b32_e32 v1, v7, v19
	v_cmp_eq_u64_e32 vcc, v[1:2], v[17:18]
	s_and_b64 exec, exec, vcc
	s_cbranch_execz .LBB46_274
; %bb.278:                              ;   in Loop: Header=BB46_276 Depth=2
	v_mov_b32_e32 v6, v14
	ds_write_b128 v14, v[5:8] offset:3072
	s_branch .LBB46_274
.LBB46_279:                             ;   in Loop: Header=BB46_276 Depth=2
	v_add_u32_e32 v13, s46, v13
	v_cmp_le_u32_e32 vcc, s45, v13
	v_add_u32_e32 v9, s10, v9
	s_mov_b64 s[38:39], 0
	s_orn2_b64 s[8:9], vcc, exec
	s_branch .LBB46_275
.LBB46_280:                             ;   in Loop: Header=BB46_6 Depth=1
	s_or_b64 exec, exec, s[16:17]
	s_and_b64 s[34:35], s[34:35], exec
.LBB46_281:                             ;   in Loop: Header=BB46_6 Depth=1
	s_or_b64 exec, exec, s[36:37]
	v_readlane_b32 s45, v46, 43
.LBB46_282:                             ;   in Loop: Header=BB46_6 Depth=1
	s_and_b64 vcc, exec, s[2:3]
	s_cbranch_vccz .LBB46_293
; %bb.283:                              ;   in Loop: Header=BB46_6 Depth=1
                                        ; implicit-def: $vgpr3_vgpr4
	s_mov_b64 s[2:3], exec
	v_readlane_b32 s8, v46, 41
	v_readlane_b32 s9, v46, 42
	s_and_b64 s[8:9], s[2:3], s[8:9]
	s_mov_b64 exec, s[8:9]
	s_cbranch_execz .LBB46_292
; %bb.284:                              ;   in Loop: Header=BB46_6 Depth=1
	s_mov_b64 s[16:17], 0
	v_mov_b32_e32 v13, v12
	v_mov_b32_e32 v9, v0
                                        ; implicit-def: $sgpr36_sgpr37
	s_branch .LBB46_287
.LBB46_285:                             ;   in Loop: Header=BB46_287 Depth=2
	s_or_b64 exec, exec, s[8:9]
	s_waitcnt lgkmcnt(0)
	s_barrier
	ds_read_b128 v[1:4], v14 offset:3072
	s_mov_b64 s[8:9], -1
	s_mov_b64 s[38:39], -1
	s_waitcnt lgkmcnt(0)
	s_barrier
	v_cmp_eq_u64_e32 vcc, 0, v[1:2]
	s_cbranch_vccnz .LBB46_290
.LBB46_286:                             ;   in Loop: Header=BB46_287 Depth=2
	s_and_b64 s[8:9], exec, s[8:9]
	s_or_b64 s[16:17], s[8:9], s[16:17]
	s_andn2_b64 s[8:9], s[36:37], exec
	s_and_b64 s[36:37], s[38:39], exec
	s_or_b64 s[36:37], s[8:9], s[36:37]
	s_andn2_b64 exec, exec, s[16:17]
	s_cbranch_execz .LBB46_291
.LBB46_287:                             ;   Parent Loop BB46_6 Depth=1
                                        ; =>  This Inner Loop Header: Depth=2
	v_cmp_gt_u32_e32 vcc, s28, v9
	s_and_saveexec_b64 s[8:9], vcc
	s_cbranch_execz .LBB46_285
; %bb.288:                              ;   in Loop: Header=BB46_287 Depth=2
	v_lshlrev_b64 v[1:2], 3, v[13:14]
	v_mov_b32_e32 v3, s40
	v_add_co_u32_e32 v1, vcc, s33, v1
	v_addc_co_u32_e32 v2, vcc, v3, v2, vcc
	global_load_dwordx2 v[7:8], v[1:2], off
	s_waitcnt vmcnt(0)
	v_xor_b32_e32 v1, 0x80000000, v8
	v_and_b32_e32 v2, v1, v20
	v_and_b32_e32 v1, v7, v19
	v_cmp_eq_u64_e32 vcc, v[1:2], v[17:18]
	s_and_b64 exec, exec, vcc
	s_cbranch_execz .LBB46_285
; %bb.289:                              ;   in Loop: Header=BB46_287 Depth=2
	v_mov_b32_e32 v6, v14
	ds_write_b128 v14, v[5:8] offset:3072
	s_branch .LBB46_285
.LBB46_290:                             ;   in Loop: Header=BB46_287 Depth=2
	v_add_u32_e32 v9, s46, v9
	v_cmp_le_u32_e32 vcc, s12, v9
	v_add_u32_e32 v13, s47, v13
	s_mov_b64 s[38:39], 0
	s_orn2_b64 s[8:9], vcc, exec
	s_branch .LBB46_286
.LBB46_291:                             ;   in Loop: Header=BB46_6 Depth=1
	s_or_b64 exec, exec, s[16:17]
	s_andn2_b64 s[8:9], s[34:35], exec
	s_and_b64 s[16:17], s[36:37], exec
	s_or_b64 s[34:35], s[8:9], s[16:17]
.LBB46_292:                             ;   in Loop: Header=BB46_6 Depth=1
	s_or_b64 exec, exec, s[2:3]
	s_mov_b64 s[84:85], 0
	s_mov_b64 s[86:87], -1
.LBB46_293:                             ;   in Loop: Header=BB46_6 Depth=1
	s_orn2_b64 s[2:3], s[34:35], exec
.LBB46_294:                             ;   in Loop: Header=BB46_6 Depth=1
	s_or_b64 exec, exec, s[24:25]
	s_mov_b64 s[8:9], 0
	s_and_saveexec_b64 s[88:89], s[2:3]
	s_cbranch_execz .LBB46_383
; %bb.295:                              ;   in Loop: Header=BB46_6 Depth=1
	s_xor_b64 s[2:3], s[26:27], -1
	v_mov_b32_e32 v9, 1
	v_mov_b32_e32 v23, 1
	s_and_saveexec_b64 s[24:25], s[2:3]
	s_cbranch_execz .LBB46_304
; %bb.296:                              ;   in Loop: Header=BB46_6 Depth=1
	v_cmp_ge_u32_e32 vcc, s50, v24
	s_and_saveexec_b64 s[2:3], vcc
	s_xor_b64 s[2:3], exec, s[2:3]
	s_cbranch_execz .LBB46_301
; %bb.297:                              ;   in Loop: Header=BB46_6 Depth=1
	s_lshl_b64 s[8:9], 2, s11
	v_and_b32_e32 v1, s77, v18
	v_or_b32_e32 v18, s9, v1
	ds_read_b32 v1, v14 offset:4096
	v_and_b32_e32 v2, s76, v17
	v_or_b32_e32 v17, s8, v2
	v_or_b32_e32 v20, s23, v20
	;; [unrolled: 1-line block ×3, first 2 shown]
	s_waitcnt lgkmcnt(0)
	v_cmp_ne_u32_e32 vcc, 0, v1
	s_cbranch_vccnz .LBB46_301
; %bb.298:                              ;   in Loop: Header=BB46_6 Depth=1
	s_mov_b64 s[8:9], exec
	v_readlane_b32 s16, v46, 13
	v_readlane_b32 s17, v46, 14
	s_and_b64 s[16:17], s[8:9], s[16:17]
	s_mov_b64 exec, s[16:17]
; %bb.299:                              ;   in Loop: Header=BB46_6 Depth=1
	v_mov_b32_e32 v1, s50
	ds_write_b32 v14, v1 offset:4100
; %bb.300:                              ;   in Loop: Header=BB46_6 Depth=1
	s_or_b64 exec, exec, s[8:9]
	s_waitcnt lgkmcnt(0)
	s_barrier
.LBB46_301:                             ;   in Loop: Header=BB46_6 Depth=1
	s_or_saveexec_b64 s[2:3], s[2:3]
	s_mov_b64 s[8:9], 0
	v_mov_b32_e32 v23, 5
	s_xor_b64 exec, exec, s[2:3]
; %bb.302:                              ;   in Loop: Header=BB46_6 Depth=1
	v_subrev_u32_e32 v24, s50, v24
	v_mov_b32_e32 v23, 0
	s_mov_b64 s[8:9], exec
; %bb.303:                              ;   in Loop: Header=BB46_6 Depth=1
	s_or_b64 exec, exec, s[2:3]
	s_and_b64 s[8:9], s[8:9], exec
	v_mov_b32_e32 v9, v24
.LBB46_304:                             ;   in Loop: Header=BB46_6 Depth=1
	s_or_b64 exec, exec, s[24:25]
	s_mov_b64 s[2:3], -1
                                        ; implicit-def: $sgpr92_sgpr93
                                        ; implicit-def: $sgpr94_sgpr95
	s_and_saveexec_b64 s[90:91], s[8:9]
	s_cbranch_execz .LBB46_382
; %bb.305:                              ;   in Loop: Header=BB46_6 Depth=1
	s_cmp_eq_u32 s5, 1
	s_cselect_b64 s[2:3], -1, 0
	v_cmp_eq_u32_e32 vcc, 1, v9
	s_and_b64 s[34:35], s[2:3], vcc
	s_mov_b64 s[2:3], -1
                                        ; implicit-def: $sgpr94_sgpr95
                                        ; implicit-def: $sgpr92_sgpr93
	s_and_saveexec_b64 s[24:25], s[34:35]
	s_cbranch_execz .LBB46_331
; %bb.306:                              ;   in Loop: Header=BB46_6 Depth=1
	ds_read_b32 v1, v14 offset:4096
	s_waitcnt lgkmcnt(0)
	s_barrier
	v_readfirstlane_b32 s44, v1
	s_mov_b64 s[2:3], exec
	v_readlane_b32 s8, v46, 26
	v_readlane_b32 s9, v46, 27
	s_and_b64 s[8:9], s[2:3], s[8:9]
	s_mov_b64 exec, s[8:9]
; %bb.307:                              ;   in Loop: Header=BB46_6 Depth=1
	v_mov_b32_e32 v13, v14
	ds_write_b64 v31, v[13:14]
; %bb.308:                              ;   in Loop: Header=BB46_6 Depth=1
	s_or_b64 exec, exec, s[2:3]
	s_lshl_b64 s[2:3], 1, s11
	v_and_b32_e32 v1, s77, v18
	v_and_b32_e32 v2, s76, v17
	v_or_b32_e32 v18, s3, v1
	v_or_b32_e32 v17, s2, v2
	v_or_b32_e32 v20, s23, v20
	v_or_b32_e32 v19, s22, v19
	s_mov_b64 s[92:93], -1
	s_mov_b64 s[94:95], 0
	s_cmp_eq_u32 s44, 0
	s_mov_b64 s[26:27], 0
	s_mov_b64 s[2:3], -1
	s_waitcnt lgkmcnt(0)
	s_barrier
                                        ; implicit-def: $vgpr3_vgpr4
	s_cbranch_scc1 .LBB46_319
; %bb.309:                              ;   in Loop: Header=BB46_6 Depth=1
	s_add_i32 s2, s44, s45
	v_readlane_b32 s3, v46, 40
	s_mul_hi_u32 s3, s2, s3
	s_mul_i32 s3, s3, s46
	s_sub_i32 s3, s2, s3
	s_sub_i32 s8, s3, s46
	s_cmp_ge_u32 s3, s46
	s_cselect_b32 s3, s8, s3
	s_sub_i32 s8, s3, s46
	s_cmp_ge_u32 s3, s46
	s_cselect_b32 s3, s8, s3
	s_sub_i32 s45, s2, s3
	v_cmp_gt_u32_e32 vcc, s45, v0
	s_mov_b64 s[2:3], 0
                                        ; implicit-def: $vgpr3_vgpr4
	s_and_saveexec_b64 s[36:37], vcc
	s_cbranch_execz .LBB46_318
; %bb.310:                              ;   in Loop: Header=BB46_6 Depth=1
	s_mov_b64 s[16:17], 0
	v_mov_b32_e32 v13, v30
	v_mov_b32_e32 v21, v0
                                        ; implicit-def: $sgpr26_sgpr27
	s_branch .LBB46_313
.LBB46_311:                             ;   in Loop: Header=BB46_313 Depth=2
	s_or_b64 exec, exec, s[8:9]
	s_waitcnt lgkmcnt(0)
	s_barrier
	ds_read_b128 v[1:4], v14 offset:3072
	s_mov_b64 s[8:9], -1
	s_mov_b64 s[38:39], -1
	s_waitcnt lgkmcnt(0)
	s_barrier
	v_cmp_ne_u64_e32 vcc, 0, v[1:2]
	s_cbranch_vccz .LBB46_316
.LBB46_312:                             ;   in Loop: Header=BB46_313 Depth=2
	s_and_b64 s[8:9], exec, s[8:9]
	s_or_b64 s[16:17], s[8:9], s[16:17]
	s_andn2_b64 s[8:9], s[26:27], exec
	s_and_b64 s[26:27], s[38:39], exec
	s_or_b64 s[26:27], s[8:9], s[26:27]
	s_andn2_b64 exec, exec, s[16:17]
	s_cbranch_execz .LBB46_317
.LBB46_313:                             ;   Parent Loop BB46_6 Depth=1
                                        ; =>  This Inner Loop Header: Depth=2
	v_cmp_gt_u32_e32 vcc, s44, v21
	s_and_saveexec_b64 s[8:9], vcc
	s_cbranch_execz .LBB46_311
; %bb.314:                              ;   in Loop: Header=BB46_313 Depth=2
	ds_read_b64 v[7:8], v13
	s_waitcnt lgkmcnt(0)
	v_xor_b32_e32 v1, 0x80000000, v8
	v_and_b32_e32 v2, v1, v20
	v_and_b32_e32 v1, v7, v19
	v_cmp_eq_u64_e32 vcc, v[1:2], v[17:18]
	s_and_b64 exec, exec, vcc
	s_cbranch_execz .LBB46_311
; %bb.315:                              ;   in Loop: Header=BB46_313 Depth=2
	v_mov_b32_e32 v6, v14
	ds_write_b128 v14, v[5:8] offset:3072
	s_branch .LBB46_311
.LBB46_316:                             ;   in Loop: Header=BB46_313 Depth=2
	v_add_u32_e32 v21, s46, v21
	v_cmp_le_u32_e32 vcc, s45, v21
	v_add_u32_e32 v13, s10, v13
	s_mov_b64 s[38:39], 0
	s_orn2_b64 s[8:9], vcc, exec
	s_branch .LBB46_312
.LBB46_317:                             ;   in Loop: Header=BB46_6 Depth=1
	s_or_b64 exec, exec, s[16:17]
	s_and_b64 s[26:27], s[26:27], exec
.LBB46_318:                             ;   in Loop: Header=BB46_6 Depth=1
	s_or_b64 exec, exec, s[36:37]
	v_readlane_b32 s45, v46, 43
.LBB46_319:                             ;   in Loop: Header=BB46_6 Depth=1
	s_and_b64 vcc, exec, s[2:3]
	s_cbranch_vccz .LBB46_330
; %bb.320:                              ;   in Loop: Header=BB46_6 Depth=1
                                        ; implicit-def: $vgpr3_vgpr4
	s_mov_b64 s[2:3], exec
	v_readlane_b32 s8, v46, 41
	v_readlane_b32 s9, v46, 42
	s_and_b64 s[8:9], s[2:3], s[8:9]
	s_mov_b64 exec, s[8:9]
	s_cbranch_execz .LBB46_329
; %bb.321:                              ;   in Loop: Header=BB46_6 Depth=1
	s_mov_b64 s[16:17], 0
	v_mov_b32_e32 v13, v12
	v_mov_b32_e32 v21, v0
                                        ; implicit-def: $sgpr36_sgpr37
	s_branch .LBB46_324
.LBB46_322:                             ;   in Loop: Header=BB46_324 Depth=2
	s_or_b64 exec, exec, s[8:9]
	s_waitcnt lgkmcnt(0)
	s_barrier
	ds_read_b128 v[1:4], v14 offset:3072
	s_mov_b64 s[8:9], -1
	s_mov_b64 s[38:39], -1
	s_waitcnt lgkmcnt(0)
	s_barrier
	v_cmp_eq_u64_e32 vcc, 0, v[1:2]
	s_cbranch_vccnz .LBB46_327
.LBB46_323:                             ;   in Loop: Header=BB46_324 Depth=2
	s_and_b64 s[8:9], exec, s[8:9]
	s_or_b64 s[16:17], s[8:9], s[16:17]
	s_andn2_b64 s[8:9], s[36:37], exec
	s_and_b64 s[36:37], s[38:39], exec
	s_or_b64 s[36:37], s[8:9], s[36:37]
	s_andn2_b64 exec, exec, s[16:17]
	s_cbranch_execz .LBB46_328
.LBB46_324:                             ;   Parent Loop BB46_6 Depth=1
                                        ; =>  This Inner Loop Header: Depth=2
	v_cmp_gt_u32_e32 vcc, s28, v21
	s_and_saveexec_b64 s[8:9], vcc
	s_cbranch_execz .LBB46_322
; %bb.325:                              ;   in Loop: Header=BB46_324 Depth=2
	v_lshlrev_b64 v[1:2], 3, v[13:14]
	v_mov_b32_e32 v3, s40
	v_add_co_u32_e32 v1, vcc, s33, v1
	v_addc_co_u32_e32 v2, vcc, v3, v2, vcc
	global_load_dwordx2 v[7:8], v[1:2], off
	s_waitcnt vmcnt(0)
	v_xor_b32_e32 v1, 0x80000000, v8
	v_and_b32_e32 v2, v1, v20
	v_and_b32_e32 v1, v7, v19
	v_cmp_eq_u64_e32 vcc, v[1:2], v[17:18]
	s_and_b64 exec, exec, vcc
	s_cbranch_execz .LBB46_322
; %bb.326:                              ;   in Loop: Header=BB46_324 Depth=2
	v_mov_b32_e32 v6, v14
	ds_write_b128 v14, v[5:8] offset:3072
	s_branch .LBB46_322
.LBB46_327:                             ;   in Loop: Header=BB46_324 Depth=2
	v_add_u32_e32 v21, s46, v21
	v_cmp_le_u32_e32 vcc, s12, v21
	v_add_u32_e32 v13, s47, v13
	s_mov_b64 s[38:39], 0
	s_orn2_b64 s[8:9], vcc, exec
	s_branch .LBB46_323
.LBB46_328:                             ;   in Loop: Header=BB46_6 Depth=1
	s_or_b64 exec, exec, s[16:17]
	s_andn2_b64 s[8:9], s[26:27], exec
	s_and_b64 s[16:17], s[36:37], exec
	s_or_b64 s[26:27], s[8:9], s[16:17]
.LBB46_329:                             ;   in Loop: Header=BB46_6 Depth=1
	s_or_b64 exec, exec, s[2:3]
	s_mov_b64 s[92:93], 0
	s_mov_b64 s[94:95], -1
.LBB46_330:                             ;   in Loop: Header=BB46_6 Depth=1
	s_orn2_b64 s[2:3], s[26:27], exec
.LBB46_331:                             ;   in Loop: Header=BB46_6 Depth=1
	s_or_b64 exec, exec, s[24:25]
	s_mov_b64 s[8:9], 0
	s_and_saveexec_b64 s[26:27], s[2:3]
	s_cbranch_execz .LBB46_381
; %bb.332:                              ;   in Loop: Header=BB46_6 Depth=1
	s_xor_b64 s[2:3], s[34:35], -1
	v_mov_b32_e32 v21, 1
	v_mov_b32_e32 v23, 1
	s_and_saveexec_b64 s[24:25], s[2:3]
	s_cbranch_execz .LBB46_341
; %bb.333:                              ;   in Loop: Header=BB46_6 Depth=1
	v_cmp_ge_u32_e32 vcc, s5, v9
	s_and_saveexec_b64 s[2:3], vcc
	s_xor_b64 s[2:3], exec, s[2:3]
	s_cbranch_execz .LBB46_338
; %bb.334:                              ;   in Loop: Header=BB46_6 Depth=1
	s_lshl_b64 s[8:9], 1, s11
	v_and_b32_e32 v1, s77, v18
	v_or_b32_e32 v18, s9, v1
	ds_read_b32 v1, v14 offset:4096
	v_and_b32_e32 v2, s76, v17
	v_or_b32_e32 v17, s8, v2
	v_or_b32_e32 v20, s23, v20
	;; [unrolled: 1-line block ×3, first 2 shown]
	s_waitcnt lgkmcnt(0)
	v_cmp_ne_u32_e32 vcc, 0, v1
	s_cbranch_vccnz .LBB46_338
; %bb.335:                              ;   in Loop: Header=BB46_6 Depth=1
	s_mov_b64 s[8:9], exec
	v_readlane_b32 s16, v46, 13
	v_readlane_b32 s17, v46, 14
	s_and_b64 s[16:17], s[8:9], s[16:17]
	s_mov_b64 exec, s[16:17]
; %bb.336:                              ;   in Loop: Header=BB46_6 Depth=1
	v_mov_b32_e32 v1, s5
	ds_write_b32 v14, v1 offset:4100
; %bb.337:                              ;   in Loop: Header=BB46_6 Depth=1
	s_or_b64 exec, exec, s[8:9]
	s_waitcnt lgkmcnt(0)
	s_barrier
.LBB46_338:                             ;   in Loop: Header=BB46_6 Depth=1
	s_or_saveexec_b64 s[2:3], s[2:3]
	s_mov_b64 s[8:9], 0
	v_mov_b32_e32 v23, 5
	s_xor_b64 exec, exec, s[2:3]
; %bb.339:                              ;   in Loop: Header=BB46_6 Depth=1
	v_subrev_u32_e32 v9, s5, v9
	v_mov_b32_e32 v23, 0
	s_mov_b64 s[8:9], exec
; %bb.340:                              ;   in Loop: Header=BB46_6 Depth=1
	s_or_b64 exec, exec, s[2:3]
	s_and_b64 s[8:9], s[8:9], exec
	v_mov_b32_e32 v21, v9
.LBB46_341:                             ;   in Loop: Header=BB46_6 Depth=1
	s_or_b64 exec, exec, s[24:25]
	s_mov_b64 s[2:3], -1
                                        ; implicit-def: $sgpr24_sgpr25
                                        ; implicit-def: $sgpr38_sgpr39
	s_and_saveexec_b64 s[34:35], s[8:9]
	s_cbranch_execz .LBB46_380
; %bb.342:                              ;   in Loop: Header=BB46_6 Depth=1
	s_cmp_eq_u32 s4, 1
	s_cselect_b64 s[2:3], -1, 0
	v_cmp_eq_u32_e32 vcc, 1, v21
	s_and_b64 s[52:53], s[2:3], vcc
	s_mov_b64 s[8:9], -1
                                        ; implicit-def: $sgpr24_sgpr25
                                        ; implicit-def: $sgpr38_sgpr39
	s_and_saveexec_b64 s[36:37], s[52:53]
	s_cbranch_execz .LBB46_368
; %bb.343:                              ;   in Loop: Header=BB46_6 Depth=1
	ds_read_b32 v1, v14 offset:4096
	s_waitcnt lgkmcnt(0)
	s_barrier
	v_readfirstlane_b32 s5, v1
	s_mov_b64 s[2:3], exec
	v_readlane_b32 s8, v46, 26
	v_readlane_b32 s9, v46, 27
	s_and_b64 s[8:9], s[2:3], s[8:9]
	s_mov_b64 exec, s[8:9]
; %bb.344:                              ;   in Loop: Header=BB46_6 Depth=1
	v_mov_b32_e32 v13, v14
	ds_write_b64 v31, v[13:14]
; %bb.345:                              ;   in Loop: Header=BB46_6 Depth=1
	s_or_b64 exec, exec, s[2:3]
	v_and_b32_e32 v18, s77, v18
	v_and_b32_e32 v17, s76, v17
	v_or_b32_e32 v20, s23, v20
	v_or_b32_e32 v19, s22, v19
	s_mov_b64 s[38:39], -1
	s_mov_b64 s[24:25], 0
	s_cmp_eq_u32 s5, 0
	s_mov_b64 s[50:51], 0
	s_mov_b64 s[2:3], -1
	s_waitcnt lgkmcnt(0)
	s_barrier
                                        ; implicit-def: $vgpr3_vgpr4
	s_cbranch_scc1 .LBB46_356
; %bb.346:                              ;   in Loop: Header=BB46_6 Depth=1
	v_writelane_b32 v46, s52, 44
	v_writelane_b32 v46, s53, 45
	s_add_i32 s2, s5, s45
	v_readlane_b32 s3, v46, 40
	s_mul_hi_u32 s3, s2, s3
	s_mul_i32 s3, s3, s46
	s_sub_i32 s3, s2, s3
	s_sub_i32 s8, s3, s46
	s_cmp_ge_u32 s3, s46
	s_cselect_b32 s3, s8, s3
	s_sub_i32 s8, s3, s46
	s_cmp_ge_u32 s3, s46
	s_cselect_b32 s3, s8, s3
	s_sub_i32 s52, s2, s3
	s_mov_b64 s[2:3], 0
	v_cmp_gt_u32_e32 vcc, s52, v0
                                        ; implicit-def: $vgpr3_vgpr4
	s_mov_b64 s[8:9], exec
	v_writelane_b32 v46, s8, 46
	v_writelane_b32 v46, s9, 47
	s_and_b64 s[8:9], s[8:9], vcc
	s_mov_b64 exec, s[8:9]
	s_cbranch_execz .LBB46_355
; %bb.347:                              ;   in Loop: Header=BB46_6 Depth=1
	s_mov_b64 s[16:17], 0
	v_mov_b32_e32 v9, v30
	v_mov_b32_e32 v13, v0
                                        ; implicit-def: $sgpr50_sgpr51
	s_branch .LBB46_350
.LBB46_348:                             ;   in Loop: Header=BB46_350 Depth=2
	s_or_b64 exec, exec, s[8:9]
	s_waitcnt lgkmcnt(0)
	s_barrier
	ds_read_b128 v[1:4], v14 offset:3072
	s_mov_b64 s[8:9], -1
	s_mov_b64 s[44:45], -1
	s_waitcnt lgkmcnt(0)
	s_barrier
	v_cmp_ne_u64_e32 vcc, 0, v[1:2]
	s_cbranch_vccz .LBB46_353
.LBB46_349:                             ;   in Loop: Header=BB46_350 Depth=2
	s_and_b64 s[8:9], exec, s[8:9]
	s_or_b64 s[16:17], s[8:9], s[16:17]
	s_andn2_b64 s[8:9], s[50:51], exec
	s_and_b64 s[44:45], s[44:45], exec
	s_or_b64 s[50:51], s[8:9], s[44:45]
	s_andn2_b64 exec, exec, s[16:17]
	s_cbranch_execz .LBB46_354
.LBB46_350:                             ;   Parent Loop BB46_6 Depth=1
                                        ; =>  This Inner Loop Header: Depth=2
	v_cmp_gt_u32_e32 vcc, s5, v13
	s_and_saveexec_b64 s[8:9], vcc
	s_cbranch_execz .LBB46_348
; %bb.351:                              ;   in Loop: Header=BB46_350 Depth=2
	ds_read_b64 v[7:8], v9
	s_waitcnt lgkmcnt(0)
	v_xor_b32_e32 v1, 0x80000000, v8
	v_and_b32_e32 v2, v1, v20
	v_and_b32_e32 v1, v7, v19
	v_cmp_eq_u64_e32 vcc, v[1:2], v[17:18]
	s_and_b64 exec, exec, vcc
	s_cbranch_execz .LBB46_348
; %bb.352:                              ;   in Loop: Header=BB46_350 Depth=2
	v_mov_b32_e32 v6, v14
	ds_write_b128 v14, v[5:8] offset:3072
	s_branch .LBB46_348
.LBB46_353:                             ;   in Loop: Header=BB46_350 Depth=2
	v_add_u32_e32 v13, s46, v13
	v_cmp_le_u32_e32 vcc, s52, v13
	v_add_u32_e32 v9, s10, v9
	s_mov_b64 s[44:45], 0
	s_orn2_b64 s[8:9], vcc, exec
	s_branch .LBB46_349
.LBB46_354:                             ;   in Loop: Header=BB46_6 Depth=1
	s_or_b64 exec, exec, s[16:17]
	s_and_b64 s[50:51], s[50:51], exec
	v_readlane_b32 s45, v46, 43
.LBB46_355:                             ;   in Loop: Header=BB46_6 Depth=1
	v_readlane_b32 s8, v46, 46
	v_readlane_b32 s9, v46, 47
	s_or_b64 exec, exec, s[8:9]
	v_readlane_b32 s52, v46, 44
	v_readlane_b32 s53, v46, 45
.LBB46_356:                             ;   in Loop: Header=BB46_6 Depth=1
	s_and_b64 vcc, exec, s[2:3]
	s_cbranch_vccz .LBB46_367
; %bb.357:                              ;   in Loop: Header=BB46_6 Depth=1
                                        ; implicit-def: $vgpr3_vgpr4
	s_mov_b64 s[2:3], exec
	v_readlane_b32 s8, v46, 41
	v_readlane_b32 s9, v46, 42
	s_and_b64 s[8:9], s[2:3], s[8:9]
	s_mov_b64 exec, s[8:9]
	s_cbranch_execz .LBB46_366
; %bb.358:                              ;   in Loop: Header=BB46_6 Depth=1
	s_mov_b64 s[16:17], 0
	v_mov_b32_e32 v13, v12
	v_mov_b32_e32 v9, v0
                                        ; implicit-def: $sgpr24_sgpr25
	s_branch .LBB46_361
.LBB46_359:                             ;   in Loop: Header=BB46_361 Depth=2
	s_or_b64 exec, exec, s[8:9]
	s_waitcnt lgkmcnt(0)
	s_barrier
	ds_read_b128 v[1:4], v14 offset:3072
	s_mov_b64 s[8:9], -1
	s_mov_b64 s[38:39], -1
	s_waitcnt lgkmcnt(0)
	s_barrier
	v_cmp_eq_u64_e32 vcc, 0, v[1:2]
	s_cbranch_vccnz .LBB46_364
.LBB46_360:                             ;   in Loop: Header=BB46_361 Depth=2
	s_and_b64 s[8:9], exec, s[8:9]
	s_or_b64 s[16:17], s[8:9], s[16:17]
	s_andn2_b64 s[8:9], s[24:25], exec
	s_and_b64 s[24:25], s[38:39], exec
	s_or_b64 s[24:25], s[8:9], s[24:25]
	s_andn2_b64 exec, exec, s[16:17]
	s_cbranch_execz .LBB46_365
.LBB46_361:                             ;   Parent Loop BB46_6 Depth=1
                                        ; =>  This Inner Loop Header: Depth=2
	v_cmp_gt_u32_e32 vcc, s28, v9
	s_and_saveexec_b64 s[8:9], vcc
	s_cbranch_execz .LBB46_359
; %bb.362:                              ;   in Loop: Header=BB46_361 Depth=2
	v_lshlrev_b64 v[1:2], 3, v[13:14]
	v_mov_b32_e32 v3, s40
	v_add_co_u32_e32 v1, vcc, s33, v1
	v_addc_co_u32_e32 v2, vcc, v3, v2, vcc
	global_load_dwordx2 v[7:8], v[1:2], off
	s_waitcnt vmcnt(0)
	v_xor_b32_e32 v1, 0x80000000, v8
	v_and_b32_e32 v2, v1, v20
	v_and_b32_e32 v1, v7, v19
	v_cmp_eq_u64_e32 vcc, v[1:2], v[17:18]
	s_and_b64 exec, exec, vcc
	s_cbranch_execz .LBB46_359
; %bb.363:                              ;   in Loop: Header=BB46_361 Depth=2
	v_mov_b32_e32 v6, v14
	ds_write_b128 v14, v[5:8] offset:3072
	s_branch .LBB46_359
.LBB46_364:                             ;   in Loop: Header=BB46_361 Depth=2
	v_add_u32_e32 v9, s46, v9
	v_cmp_le_u32_e32 vcc, s12, v9
	v_add_u32_e32 v13, s47, v13
	s_mov_b64 s[38:39], 0
	s_orn2_b64 s[8:9], vcc, exec
	s_branch .LBB46_360
.LBB46_365:                             ;   in Loop: Header=BB46_6 Depth=1
	s_or_b64 exec, exec, s[16:17]
	s_andn2_b64 s[8:9], s[50:51], exec
	s_and_b64 s[16:17], s[24:25], exec
	s_or_b64 s[50:51], s[8:9], s[16:17]
.LBB46_366:                             ;   in Loop: Header=BB46_6 Depth=1
	s_or_b64 exec, exec, s[2:3]
	s_mov_b64 s[38:39], 0
	s_mov_b64 s[24:25], -1
.LBB46_367:                             ;   in Loop: Header=BB46_6 Depth=1
	s_orn2_b64 s[8:9], s[50:51], exec
.LBB46_368:                             ;   in Loop: Header=BB46_6 Depth=1
	s_or_b64 exec, exec, s[36:37]
	s_mov_b64 s[16:17], 0
	s_and_saveexec_b64 s[2:3], s[8:9]
	s_cbranch_execz .LBB46_379
; %bb.369:                              ;   in Loop: Header=BB46_6 Depth=1
	s_xor_b64 s[8:9], s[52:53], -1
	v_mov_b32_e32 v23, 1
	v_mov_b32_e32 v1, 1
	s_and_saveexec_b64 s[16:17], s[8:9]
	s_cbranch_execz .LBB46_378
; %bb.370:                              ;   in Loop: Header=BB46_6 Depth=1
	v_cmp_ge_u32_e32 vcc, s4, v21
	s_and_saveexec_b64 s[8:9], vcc
	s_xor_b64 s[8:9], exec, s[8:9]
	s_cbranch_execz .LBB46_375
; %bb.371:                              ;   in Loop: Header=BB46_6 Depth=1
	ds_read_b32 v1, v14 offset:4096
	v_and_b32_e32 v18, s77, v18
	v_and_b32_e32 v17, s76, v17
	v_or_b32_e32 v20, s23, v20
	v_or_b32_e32 v19, s22, v19
	s_waitcnt lgkmcnt(0)
	v_cmp_ne_u32_e32 vcc, 0, v1
	s_cbranch_vccnz .LBB46_375
; %bb.372:                              ;   in Loop: Header=BB46_6 Depth=1
	s_mov_b64 s[22:23], exec
	v_readlane_b32 s36, v46, 13
	v_readlane_b32 s37, v46, 14
	s_and_b64 s[36:37], s[22:23], s[36:37]
	s_mov_b64 exec, s[36:37]
; %bb.373:                              ;   in Loop: Header=BB46_6 Depth=1
	v_mov_b32_e32 v1, s4
	ds_write_b32 v14, v1 offset:4100
; %bb.374:                              ;   in Loop: Header=BB46_6 Depth=1
	s_or_b64 exec, exec, s[22:23]
	s_waitcnt lgkmcnt(0)
	s_barrier
.LBB46_375:                             ;   in Loop: Header=BB46_6 Depth=1
	s_andn2_saveexec_b64 s[8:9], s[8:9]
; %bb.376:                              ;   in Loop: Header=BB46_6 Depth=1
	v_subrev_u32_e32 v21, s4, v21
; %bb.377:                              ;   in Loop: Header=BB46_6 Depth=1
	s_or_b64 exec, exec, s[8:9]
	v_mov_b32_e32 v23, 5
	v_mov_b32_e32 v1, v21
.LBB46_378:                             ;   in Loop: Header=BB46_6 Depth=1
	s_or_b64 exec, exec, s[16:17]
	s_mov_b64 s[16:17], exec
	v_mov_b32_e32 v21, v1
.LBB46_379:                             ;   in Loop: Header=BB46_6 Depth=1
	s_or_b64 exec, exec, s[2:3]
	s_orn2_b64 s[2:3], s[16:17], exec
.LBB46_380:                             ;   in Loop: Header=BB46_6 Depth=1
	s_or_b64 exec, exec, s[34:35]
	s_andn2_b64 s[4:5], s[94:95], exec
	s_and_b64 s[8:9], s[24:25], exec
	s_or_b64 s[94:95], s[4:5], s[8:9]
	s_andn2_b64 s[4:5], s[92:93], exec
	s_and_b64 s[8:9], s[38:39], exec
	s_or_b64 s[92:93], s[4:5], s[8:9]
	s_and_b64 s[8:9], s[2:3], exec
	v_mov_b32_e32 v9, v21
.LBB46_381:                             ;   in Loop: Header=BB46_6 Depth=1
	s_or_b64 exec, exec, s[26:27]
	s_orn2_b64 s[2:3], s[8:9], exec
.LBB46_382:                             ;   in Loop: Header=BB46_6 Depth=1
	s_or_b64 exec, exec, s[90:91]
	s_andn2_b64 s[4:5], s[86:87], exec
	s_and_b64 s[8:9], s[94:95], exec
	s_or_b64 s[86:87], s[4:5], s[8:9]
	s_andn2_b64 s[4:5], s[84:85], exec
	s_and_b64 s[8:9], s[92:93], exec
	s_or_b64 s[84:85], s[4:5], s[8:9]
	s_and_b64 s[8:9], s[2:3], exec
	v_mov_b32_e32 v24, v9
.LBB46_383:                             ;   in Loop: Header=BB46_6 Depth=1
	s_or_b64 exec, exec, s[88:89]
	s_orn2_b64 s[2:3], s[8:9], exec
.LBB46_384:                             ;   in Loop: Header=BB46_6 Depth=1
	s_or_b64 exec, exec, s[6:7]
	s_mov_b64 s[6:7], s[80:81]
	s_mov_b64 s[8:9], s[78:79]
	s_and_saveexec_b64 s[16:17], s[2:3]
; %bb.385:                              ;   in Loop: Header=BB46_6 Depth=1
	v_cmp_ne_u32_e64 s[6:7], 5, v23
	v_cmp_eq_u32_e32 vcc, 5, v23
	s_andn2_b64 s[2:3], s[78:79], exec
	s_and_b64 s[4:5], s[6:7], exec
	s_or_b64 s[8:9], s[2:3], s[4:5]
	s_andn2_b64 s[2:3], s[80:81], exec
	s_and_b64 s[4:5], vcc, exec
	s_or_b64 s[6:7], s[2:3], s[4:5]
; %bb.386:                              ;   in Loop: Header=BB46_6 Depth=1
	s_or_b64 exec, exec, s[16:17]
	s_andn2_b64 s[2:3], s[18:19], exec
	s_and_b64 s[4:5], s[86:87], exec
	s_or_b64 s[18:19], s[2:3], s[4:5]
	s_andn2_b64 s[2:3], s[20:21], exec
	s_and_b64 s[4:5], s[84:85], exec
	s_or_b64 s[20:21], s[2:3], s[4:5]
	;; [unrolled: 3-line block ×4, first 2 shown]
.LBB46_387:                             ;   in Loop: Header=BB46_6 Depth=1
	s_or_b64 exec, exec, s[82:83]
	s_mov_b64 s[82:83], 0
	s_mov_b64 s[84:85], 0
	s_and_saveexec_b64 s[2:3], s[80:81]
.LBB46_388:                             ;   in Loop: Header=BB46_6 Depth=1
	v_mov_b32_e32 v23, 0
	s_or_b64 s[78:79], s[78:79], exec
.LBB46_389:                             ;   in Loop: Header=BB46_6 Depth=1
	s_or_b64 exec, exec, s[2:3]
	s_andn2_b64 s[2:3], s[72:73], exec
	s_and_b64 s[4:5], s[18:19], exec
	s_or_b64 s[72:73], s[2:3], s[4:5]
	s_andn2_b64 s[2:3], s[70:71], exec
	s_and_b64 s[4:5], s[20:21], exec
	s_or_b64 s[70:71], s[2:3], s[4:5]
	;; [unrolled: 3-line block ×3, first 2 shown]
	s_andn2_b64 s[2:3], s[66:67], exec
	s_and_b64 s[4:5], s[82:83], exec
	s_mov_b64 s[6:7], -1
	s_andn2_b64 s[74:75], s[74:75], exec
	s_or_b64 s[66:67], s[2:3], s[4:5]
	v_mov_b32_e32 v41, v24
	s_and_saveexec_b64 s[2:3], s[78:79]
	s_xor_b64 s[2:3], exec, s[2:3]
	s_cbranch_execz .LBB46_5
; %bb.390:                              ;   in Loop: Header=BB46_6 Depth=1
	v_cmp_eq_u32_e32 vcc, 0, v23
	s_mov_b64 s[8:9], -1
	s_and_saveexec_b64 s[16:17], vcc
	s_cbranch_execz .LBB46_4
; %bb.391:                              ;   in Loop: Header=BB46_6 Depth=1
	s_xor_b32 s41, s41, 1
	s_add_i32 s18, s11, -2
	s_cmp_eq_u32 s11, 0
	s_cselect_b64 s[4:5], -1, 0
	s_xor_b64 s[8:9], exec, -1
	s_orn2_b64 s[6:7], s[4:5], exec
	s_mov_b32 s11, s18
	s_branch .LBB46_4
.LBB46_392:
	s_or_b64 exec, exec, s[54:55]
	s_xor_b64 s[6:7], s[64:65], -1
	s_xor_b64 s[14:15], s[62:63], -1
	;; [unrolled: 1-line block ×5, first 2 shown]
	s_mov_b64 s[8:9], 0
	s_and_saveexec_b64 s[10:11], s[4:5]
	s_xor_b64 s[10:11], exec, s[10:11]
	s_cbranch_execnz .LBB46_397
; %bb.393:
	s_andn2_saveexec_b64 s[0:1], s[10:11]
	s_cbranch_execnz .LBB46_416
.LBB46_394:
	s_or_b64 exec, exec, s[0:1]
	s_and_saveexec_b64 s[0:1], s[8:9]
.LBB46_395:
	; divergent unreachable
.LBB46_396:
	s_endpgm
.LBB46_397:
	s_and_saveexec_b64 s[4:5], s[12:13]
	s_xor_b64 s[12:13], exec, s[4:5]
	s_cbranch_execz .LBB46_414
; %bb.398:
	s_and_saveexec_b64 s[4:5], s[14:15]
	s_xor_b64 s[14:15], exec, s[4:5]
	s_cbranch_execz .LBB46_412
; %bb.399:
	;; [unrolled: 4-line block ×3, first 2 shown]
	s_and_saveexec_b64 s[4:5], s[2:3]
	s_xor_b64 s[2:3], exec, s[4:5]
; %bb.401:
	v_xor_b32_e32 v18, 0x80000000, v18
	v_mov_b32_e32 v3, v17
	v_mov_b32_e32 v4, v18
; %bb.402:
	s_or_b64 exec, exec, s[2:3]
	s_mov_b64 s[2:3], exec
	v_readlane_b32 s4, v46, 13
	v_readlane_b32 s5, v46, 14
	;; [unrolled: 1-line block ×4, first 2 shown]
	s_and_b64 s[4:5], s[2:3], s[4:5]
	v_readlane_b32 s45, v46, 17
	v_readlane_b32 s9, v46, 21
	s_mov_b64 exec, s[4:5]
; %bb.403:
	v_mov_b32_e32 v1, 0
	ds_write_b32 v1, v1 offset:4108
; %bb.404:
	s_or_b64 exec, exec, s[2:3]
	v_mov_b32_e32 v1, 0
	v_mov_b32_e32 v2, 0
	s_waitcnt lgkmcnt(0)
	s_barrier
	s_mov_b64 s[2:3], exec
	v_readlane_b32 s4, v46, 22
	v_readlane_b32 s5, v46, 23
	s_and_b64 s[4:5], s[2:3], s[4:5]
	s_mov_b64 exec, s[4:5]
	s_cbranch_execz .LBB46_406
; %bb.405:
	global_load_dwordx2 v[1:2], v[10:11], off
.LBB46_406:
	s_or_b64 exec, exec, s[2:3]
	v_readlane_b32 s5, v46, 9
	v_readlane_b32 s7, v46, 10
	s_mul_i32 s2, s7, s5
	v_readlane_b32 s6, v46, 15
	s_add_i32 s34, s28, 63
	s_sub_i32 s2, s6, s2
	s_andn2_b32 s34, s34, 63
	s_add_i32 s3, s7, 1
	s_sub_i32 s4, s2, s5
	s_cmp_ge_u32 s2, s5
	s_cselect_b32 s3, s3, s7
	s_cselect_b32 s2, s4, s2
	s_add_i32 s4, s3, 1
	s_cmp_ge_u32 s2, s5
	s_cselect_b32 s2, s4, s3
	s_mul_i32 s3, s2, s5
	v_readlane_b32 s4, v46, 5
	s_sub_i32 s3, s6, s3
	v_readlane_b32 s5, v46, 6
	s_mul_i32 s3, s3, s5
	s_mul_i32 s2, s2, s4
	v_readlane_b32 s7, v46, 11
	v_readlane_b32 s18, v46, 12
	s_add_i32 s2, s2, s3
	s_mul_i32 s3, s18, s7
	s_sub_i32 s3, s6, s3
	s_add_i32 s4, s18, 1
	s_sub_i32 s5, s3, s7
	s_cmp_ge_u32 s3, s7
	s_cselect_b32 s4, s4, s18
	s_cselect_b32 s3, s5, s3
	s_add_i32 s5, s4, 1
	s_cmp_ge_u32 s3, s7
	s_cselect_b32 s3, s5, s4
	s_mul_i32 s4, s3, s7
	s_sub_i32 s4, s6, s4
	v_readlane_b32 s6, v46, 1
	v_readlane_b32 s7, v46, 2
	s_mul_i32 s4, s4, s7
	s_mul_i32 s3, s3, s6
	s_add_i32 s4, s3, s4
	s_mov_b32 s3, 0
	s_lshl_b64 s[6:7], s[2:3], 3
	v_readlane_b32 s18, v46, 7
	s_load_dword s39, s[8:9], 0x1c8
	s_load_dword s41, s[8:9], 0x2a8
	v_readlane_b32 s19, v46, 8
	s_add_u32 s35, s18, s6
	s_mov_b32 s5, s3
	s_addc_u32 s36, s19, s7
	s_lshl_b64 s[2:3], s[4:5], 3
	v_readlane_b32 s4, v46, 3
	v_readlane_b32 s5, v46, 4
	s_add_u32 s37, s4, s2
	s_addc_u32 s38, s5, s3
	v_cmp_gt_u32_e32 vcc, s34, v0
	s_mov_b64 s[2:3], -1
	s_mov_b64 s[8:9], 0
	s_mov_b64 s[4:5], 0
	s_and_saveexec_b64 s[18:19], vcc
	s_cbranch_execnz .LBB46_417
; %bb.407:
	s_or_b64 exec, exec, s[18:19]
	s_and_saveexec_b64 s[6:7], s[2:3]
	s_cbranch_execnz .LBB46_432
.LBB46_408:
	s_or_b64 exec, exec, s[6:7]
	s_and_saveexec_b64 s[0:1], s[4:5]
	s_xor_b64 s[0:1], exec, s[0:1]
	s_cbranch_execnz .LBB46_455
.LBB46_409:
	s_or_b64 exec, exec, s[0:1]
	s_and_b64 s[8:9], s[8:9], exec
.LBB46_410:
	s_andn2_saveexec_b64 s[0:1], s[16:17]
	s_cbranch_execnz .LBB46_457
.LBB46_411:
	s_or_b64 exec, exec, s[0:1]
	s_and_b64 s[8:9], s[8:9], exec
.LBB46_412:
	s_andn2_saveexec_b64 s[0:1], s[14:15]
	s_cbranch_execnz .LBB46_456
.LBB46_413:
	s_or_b64 exec, exec, s[0:1]
	s_and_b64 s[8:9], s[8:9], exec
.LBB46_414:
	s_andn2_saveexec_b64 s[0:1], s[12:13]
	s_cbranch_execnz .LBB46_451
.LBB46_415:
	s_or_b64 exec, exec, s[0:1]
	s_and_b64 s[8:9], s[8:9], exec
	s_andn2_saveexec_b64 s[0:1], s[10:11]
	s_cbranch_execz .LBB46_394
.LBB46_416:
	s_or_b64 s[8:9], s[8:9], exec
	s_trap 2
	s_or_b64 exec, exec, s[0:1]
	s_and_saveexec_b64 s[0:1], s[8:9]
	s_cbranch_execnz .LBB46_395
	s_branch .LBB46_396
.LBB46_417:
	v_add_u32_e32 v7, s46, v0
	v_readlane_b32 s2, v46, 0
	v_mul_lo_u32 v7, s2, v7
	v_xor_b32_e32 v6, 0x80000000, v4
	v_mov_b32_e32 v5, v3
	s_mov_b64 s[20:21], 0
	v_mov_b32_e32 v8, 0
	v_mov_b32_e32 v14, v0
                                        ; implicit-def: $sgpr22_sgpr23
                                        ; implicit-def: $vgpr16
	s_branch .LBB46_419
.LBB46_418:                             ;   in Loop: Header=BB46_419 Depth=1
	s_or_b64 exec, exec, s[24:25]
	s_xor_b64 s[4:5], s[6:7], -1
	s_and_b64 s[2:3], exec, s[2:3]
	s_or_b64 s[20:21], s[2:3], s[20:21]
	s_andn2_b64 s[2:3], s[22:23], exec
	s_and_b64 s[4:5], s[4:5], exec
	v_mov_b32_e32 v1, v12
	s_or_b64 s[22:23], s[2:3], s[4:5]
	v_mov_b32_e32 v2, v13
	v_mov_b32_e32 v14, v9
	s_andn2_b64 exec, exec, s[20:21]
	s_cbranch_execz .LBB46_431
.LBB46_419:                             ; =>This Inner Loop Header: Depth=1
	v_add_u32_e32 v9, s46, v14
	v_mov_b32_e32 v12, 0
	v_mov_b32_e32 v13, 0
	v_cmp_gt_u32_e64 s[4:5], s28, v9
	s_and_saveexec_b64 s[2:3], s[4:5]
	s_cbranch_execz .LBB46_421
; %bb.420:                              ;   in Loop: Header=BB46_419 Depth=1
	v_lshlrev_b64 v[12:13], 3, v[7:8]
	v_mov_b32_e32 v15, s40
	v_add_co_u32_e64 v12, s[4:5], s33, v12
	v_addc_co_u32_e64 v13, s[4:5], v15, v13, s[4:5]
	global_load_dwordx2 v[12:13], v[12:13], off
.LBB46_421:                             ;   in Loop: Header=BB46_419 Depth=1
	s_or_b64 exec, exec, s[2:3]
	s_waitcnt vmcnt(0)
	v_xor_b32_e32 v18, 0x80000000, v2
	v_mov_b32_e32 v17, v1
	v_cmp_gt_u64_e64 s[6:7], v[17:18], v[5:6]
	v_cmp_gt_u32_e64 s[4:5], s28, v14
	v_cndmask_b32_e64 v15, 0, 1, s[6:7]
	v_cmp_lt_u64_e64 s[6:7], v[17:18], v[5:6]
	v_cndmask_b32_e64 v17, 0, 1, s[6:7]
	v_cndmask_b32_e64 v15, v17, v15, s[44:45]
	v_and_b32_e32 v15, 1, v15
	v_cmp_eq_u32_e64 s[6:7], 1, v15
	s_and_b64 s[24:25], s[4:5], s[6:7]
	v_cndmask_b32_e64 v15, 0, 1, s[24:25]
	v_cmp_ne_u32_e64 s[4:5], 0, v15
	s_cmp_lg_u64 s[4:5], 0
	s_cselect_b64 s[2:3], -1, 0
	s_and_b64 s[6:7], s[0:1], s[2:3]
	s_and_saveexec_b64 s[2:3], s[6:7]
	s_cbranch_execz .LBB46_425
; %bb.422:                              ;   in Loop: Header=BB46_419 Depth=1
	s_mov_b64 s[30:31], exec
	v_mbcnt_lo_u32_b32 v15, s30, 0
	v_mbcnt_hi_u32_b32 v15, s31, v15
	s_bcnt1_i32_b64 s42, s[4:5]
	v_cmp_eq_u32_e64 s[6:7], 0, v15
                                        ; implicit-def: $vgpr16
	s_and_saveexec_b64 s[26:27], s[6:7]
	s_cbranch_execz .LBB46_424
; %bb.423:                              ;   in Loop: Header=BB46_419 Depth=1
	s_bcnt1_i32_b64 s6, s[30:31]
	s_mul_i32 s6, s42, s6
	s_waitcnt lgkmcnt(0)
	v_mov_b32_e32 v16, s6
	ds_add_rtn_u32 v16, v8, v16 offset:4108
.LBB46_424:                             ;   in Loop: Header=BB46_419 Depth=1
	s_or_b64 exec, exec, s[26:27]
	s_waitcnt lgkmcnt(0)
	v_readfirstlane_b32 s6, v16
	v_mov_b32_e32 v16, s6
	v_mad_u32_u24 v16, s42, v15, v16
.LBB46_425:                             ;   in Loop: Header=BB46_419 Depth=1
	s_or_b64 exec, exec, s[2:3]
	s_waitcnt lgkmcnt(0)
	ds_bpermute_b32 v16, v25, v16
	s_mov_b64 s[2:3], -1
	s_mov_b64 s[26:27], -1
	s_and_saveexec_b64 s[6:7], s[24:25]
	s_cbranch_execz .LBB46_429
; %bb.426:                              ;   in Loop: Header=BB46_419 Depth=1
	v_and_b32_e32 v17, s4, v27
	v_and_b32_e32 v15, s5, v26
	v_bcnt_u32_b32 v17, v17, 0
	v_bcnt_u32_b32 v15, v15, v17
	s_waitcnt lgkmcnt(0)
	v_add_u32_e32 v15, v16, v15
	v_cmp_gt_u32_e64 s[4:5], s29, v15
	s_mov_b64 s[24:25], 0
	s_and_saveexec_b64 s[26:27], s[4:5]
; %bb.427:                              ;   in Loop: Header=BB46_419 Depth=1
	v_mul_lo_u32 v17, v15, s39
	v_mov_b32_e32 v18, v8
	v_mul_lo_u32 v19, v15, s41
	v_mov_b32_e32 v15, s36
	v_lshlrev_b64 v[17:18], 3, v[17:18]
	v_mov_b32_e32 v20, v8
	v_add_co_u32_e64 v17, s[4:5], s35, v17
	v_addc_co_u32_e64 v18, s[4:5], v15, v18, s[4:5]
	global_store_dwordx2 v[17:18], v[1:2], off
	v_lshlrev_b64 v[1:2], 3, v[19:20]
	v_mov_b32_e32 v17, s38
	v_add_co_u32_e64 v1, s[4:5], s37, v1
	s_mov_b64 s[24:25], exec
	v_mov_b32_e32 v15, v8
	v_addc_co_u32_e64 v2, s[4:5], v17, v2, s[4:5]
	global_store_dwordx2 v[1:2], v[14:15], off
; %bb.428:                              ;   in Loop: Header=BB46_419 Depth=1
	s_or_b64 exec, exec, s[26:27]
	s_orn2_b64 s[26:27], s[24:25], exec
.LBB46_429:                             ;   in Loop: Header=BB46_419 Depth=1
	s_or_b64 exec, exec, s[6:7]
	s_mov_b64 s[6:7], -1
	s_and_saveexec_b64 s[24:25], s[26:27]
	s_cbranch_execz .LBB46_418
; %bb.430:                              ;   in Loop: Header=BB46_419 Depth=1
	v_cmp_le_u32_e64 s[4:5], s34, v9
	v_add_u32_e32 v7, s47, v7
	s_xor_b64 s[6:7], exec, -1
	s_orn2_b64 s[2:3], s[4:5], exec
	s_branch .LBB46_418
.LBB46_431:
	s_or_b64 exec, exec, s[20:21]
	s_mov_b64 s[4:5], exec
	s_orn2_b64 s[2:3], s[22:23], exec
	s_or_b64 exec, exec, s[18:19]
	s_and_saveexec_b64 s[6:7], s[2:3]
	s_cbranch_execz .LBB46_408
.LBB46_432:
	s_waitcnt vmcnt(0)
	v_mov_b32_e32 v1, 0
	v_mov_b32_e32 v2, 0
	s_waitcnt lgkmcnt(0)
	s_barrier
	s_mov_b64 s[2:3], exec
	v_readlane_b32 s8, v46, 22
	v_readlane_b32 s9, v46, 23
	s_and_b64 s[8:9], s[2:3], s[8:9]
	s_mov_b64 exec, s[8:9]
	s_cbranch_execz .LBB46_434
; %bb.433:
	global_load_dwordx2 v[1:2], v[10:11], off
.LBB46_434:
	s_or_b64 exec, exec, s[2:3]
	s_mov_b64 s[2:3], 0
	s_and_saveexec_b64 s[8:9], vcc
	s_cbranch_execz .LBB46_454
; %bb.435:
	v_add_u32_e32 v5, s46, v0
	v_readlane_b32 s2, v46, 0
	v_mul_lo_u32 v5, s2, v5
	s_mov_b64 s[18:19], 0
	v_mov_b32_e32 v6, 0
                                        ; implicit-def: $sgpr20_sgpr21
                                        ; implicit-def: $vgpr10
	s_branch .LBB46_438
.LBB46_436:                             ;   in Loop: Header=BB46_438 Depth=1
	s_or_b64 exec, exec, s[24:25]
	s_orn2_b64 s[26:27], s[30:31], exec
	s_orn2_b64 s[24:25], s[22:23], exec
.LBB46_437:                             ;   in Loop: Header=BB46_438 Depth=1
	s_or_b64 exec, exec, s[2:3]
	s_xor_b64 s[2:3], s[26:27], -1
	s_and_b64 s[22:23], exec, s[24:25]
	s_or_b64 s[18:19], s[22:23], s[18:19]
	s_andn2_b64 s[20:21], s[20:21], exec
	s_and_b64 s[2:3], s[2:3], exec
	v_mov_b32_e32 v1, v7
	s_or_b64 s[20:21], s[20:21], s[2:3]
	v_mov_b32_e32 v0, v9
	v_mov_b32_e32 v2, v8
	s_andn2_b64 exec, exec, s[18:19]
	s_cbranch_execz .LBB46_452
.LBB46_438:                             ; =>This Inner Loop Header: Depth=1
	v_add_u32_e32 v9, s46, v0
	v_mov_b32_e32 v7, 0
	v_mov_b32_e32 v8, 0
	v_cmp_gt_u32_e32 vcc, s28, v9
	s_and_saveexec_b64 s[2:3], vcc
	s_cbranch_execz .LBB46_440
; %bb.439:                              ;   in Loop: Header=BB46_438 Depth=1
	v_lshlrev_b64 v[7:8], 3, v[5:6]
	v_mov_b32_e32 v11, s40
	v_add_co_u32_e32 v7, vcc, s33, v7
	v_addc_co_u32_e32 v8, vcc, v11, v8, vcc
	global_load_dwordx2 v[7:8], v[7:8], off
.LBB46_440:                             ;   in Loop: Header=BB46_438 Depth=1
	s_or_b64 exec, exec, s[2:3]
	s_waitcnt vmcnt(0)
	v_cmp_eq_u64_e32 vcc, v[1:2], v[3:4]
	v_cmp_gt_u32_e64 s[2:3], s28, v0
	s_and_b64 s[22:23], s[2:3], vcc
	v_cndmask_b32_e64 v1, 0, 1, s[22:23]
	v_cmp_ne_u32_e32 vcc, 0, v1
	s_cmp_lg_u64 vcc, 0
	s_cselect_b64 s[2:3], -1, 0
	s_and_b64 s[2:3], s[0:1], s[2:3]
	s_and_saveexec_b64 s[24:25], s[2:3]
	s_cbranch_execz .LBB46_444
; %bb.441:                              ;   in Loop: Header=BB46_438 Depth=1
	s_mov_b64 s[30:31], exec
	v_mbcnt_lo_u32_b32 v1, s30, 0
	v_mbcnt_hi_u32_b32 v1, s31, v1
	s_bcnt1_i32_b64 s42, vcc
	v_cmp_eq_u32_e64 s[2:3], 0, v1
                                        ; implicit-def: $vgpr2
	s_and_saveexec_b64 s[26:27], s[2:3]
; %bb.442:                              ;   in Loop: Header=BB46_438 Depth=1
	s_bcnt1_i32_b64 s2, s[30:31]
	s_mul_i32 s2, s42, s2
	v_mov_b32_e32 v2, s2
	ds_add_rtn_u32 v2, v6, v2 offset:4108
; %bb.443:                              ;   in Loop: Header=BB46_438 Depth=1
	s_or_b64 exec, exec, s[26:27]
	s_waitcnt lgkmcnt(0)
	v_readfirstlane_b32 s2, v2
	v_mov_b32_e32 v2, s2
	v_mad_u32_u24 v10, s42, v1, v2
.LBB46_444:                             ;   in Loop: Header=BB46_438 Depth=1
	s_or_b64 exec, exec, s[24:25]
	ds_bpermute_b32 v10, v25, v10
	s_cmp_eq_u64 vcc, 0
	s_cselect_b64 s[26:27], -1, 0
	s_mov_b64 s[24:25], -1
	s_waitcnt lgkmcnt(0)
	v_cmp_gt_u32_e64 s[2:3], s29, v10
	s_or_b64 s[30:31], s[26:27], s[2:3]
	s_mov_b64 s[26:27], -1
	s_and_saveexec_b64 s[2:3], s[30:31]
	s_cbranch_execz .LBB46_437
; %bb.445:                              ;   in Loop: Header=BB46_438 Depth=1
	v_and_b32_e32 v2, vcc_lo, v27
	v_and_b32_e32 v1, vcc_hi, v26
	v_bcnt_u32_b32 v2, v2, 0
	v_bcnt_u32_b32 v1, v1, v2
	v_sub_u32_e32 v2, s29, v10
	v_cmp_gt_u32_e32 vcc, v2, v1
	s_and_b64 s[42:43], s[22:23], vcc
	s_mov_b64 s[22:23], -1
	s_mov_b64 s[30:31], -1
	s_and_saveexec_b64 s[24:25], s[42:43]
	s_cbranch_execz .LBB46_449
; %bb.446:                              ;   in Loop: Header=BB46_438 Depth=1
	v_add_u32_e32 v1, v10, v1
	v_cmp_gt_u32_e32 vcc, s29, v1
	s_mov_b64 s[26:27], 0
	s_and_saveexec_b64 s[30:31], vcc
; %bb.447:                              ;   in Loop: Header=BB46_438 Depth=1
	v_mul_lo_u32 v11, v1, s39
	v_mul_lo_u32 v13, v1, s41
	v_mov_b32_e32 v12, v6
	v_mov_b32_e32 v14, v6
	v_lshlrev_b64 v[1:2], 3, v[11:12]
	v_mov_b32_e32 v11, s36
	v_add_co_u32_e32 v1, vcc, s35, v1
	v_addc_co_u32_e32 v2, vcc, v11, v2, vcc
	v_lshlrev_b64 v[11:12], 3, v[13:14]
	global_store_dwordx2 v[1:2], v[3:4], off
	v_mov_b32_e32 v2, s38
	v_add_co_u32_e32 v11, vcc, s37, v11
	s_mov_b64 s[26:27], exec
	v_mov_b32_e32 v1, v6
	v_addc_co_u32_e32 v12, vcc, v2, v12, vcc
	global_store_dwordx2 v[11:12], v[0:1], off
; %bb.448:                              ;   in Loop: Header=BB46_438 Depth=1
	s_or_b64 exec, exec, s[30:31]
	s_xor_b64 s[30:31], exec, -1
	s_orn2_b64 s[26:27], s[26:27], exec
.LBB46_449:                             ;   in Loop: Header=BB46_438 Depth=1
	s_or_b64 exec, exec, s[24:25]
	s_and_saveexec_b64 s[24:25], s[26:27]
	s_cbranch_execz .LBB46_436
; %bb.450:                              ;   in Loop: Header=BB46_438 Depth=1
	v_cmp_le_u32_e32 vcc, s34, v9
	v_add_u32_e32 v5, s47, v5
	s_or_b64 s[30:31], s[30:31], exec
	s_orn2_b64 s[22:23], vcc, exec
	s_branch .LBB46_436
.LBB46_451:
	s_or_b64 s[8:9], s[8:9], exec
	s_trap 2
	s_branch .LBB46_415
.LBB46_452:
	s_or_b64 exec, exec, s[18:19]
	s_mov_b64 s[0:1], 0
	s_and_saveexec_b64 s[2:3], s[20:21]
	s_xor_b64 s[2:3], exec, s[2:3]
	s_cbranch_execnz .LBB46_458
.LBB46_453:
	s_or_b64 exec, exec, s[2:3]
	s_and_b64 s[2:3], s[0:1], exec
.LBB46_454:
	s_or_b64 exec, exec, s[8:9]
	s_and_b64 s[8:9], s[2:3], exec
	s_andn2_b64 s[4:5], s[4:5], exec
	s_or_b64 exec, exec, s[6:7]
	s_and_saveexec_b64 s[0:1], s[4:5]
	s_xor_b64 s[0:1], exec, s[0:1]
	s_cbranch_execz .LBB46_409
.LBB46_455:
	s_trap 2
	s_or_b64 s[8:9], s[8:9], exec
	s_branch .LBB46_409
.LBB46_456:
	s_or_b64 s[8:9], s[8:9], exec
	s_trap 2
	s_branch .LBB46_413
.LBB46_457:
	s_trap 2
	s_or_b64 s[8:9], s[8:9], exec
	s_branch .LBB46_411
.LBB46_458:
	s_mov_b64 s[0:1], exec
	s_trap 2
	s_branch .LBB46_453
	.section	.rodata,"a",@progbits
	.p2align	6, 0x0
	.amdhsa_kernel _ZN2at6native6sbtopk10gatherTopKIljLi2ELb0EEEvNS_4cuda6detail10TensorInfoIKT_T0_EES8_S8_bS8_S8_NS5_IS6_S8_EES8_NS5_IlS8_EES8_PS6_
		.amdhsa_group_segment_fixed_size 4112
		.amdhsa_private_segment_fixed_size 0
		.amdhsa_kernarg_size 952
		.amdhsa_user_sgpr_count 6
		.amdhsa_user_sgpr_private_segment_buffer 1
		.amdhsa_user_sgpr_dispatch_ptr 0
		.amdhsa_user_sgpr_queue_ptr 0
		.amdhsa_user_sgpr_kernarg_segment_ptr 1
		.amdhsa_user_sgpr_dispatch_id 0
		.amdhsa_user_sgpr_flat_scratch_init 0
		.amdhsa_user_sgpr_private_segment_size 0
		.amdhsa_uses_dynamic_stack 0
		.amdhsa_system_sgpr_private_segment_wavefront_offset 0
		.amdhsa_system_sgpr_workgroup_id_x 1
		.amdhsa_system_sgpr_workgroup_id_y 1
		.amdhsa_system_sgpr_workgroup_id_z 1
		.amdhsa_system_sgpr_workgroup_info 0
		.amdhsa_system_vgpr_workitem_id 0
		.amdhsa_next_free_vgpr 47
		.amdhsa_next_free_sgpr 96
		.amdhsa_reserve_vcc 1
		.amdhsa_reserve_flat_scratch 0
		.amdhsa_float_round_mode_32 0
		.amdhsa_float_round_mode_16_64 0
		.amdhsa_float_denorm_mode_32 3
		.amdhsa_float_denorm_mode_16_64 3
		.amdhsa_dx10_clamp 1
		.amdhsa_ieee_mode 1
		.amdhsa_fp16_overflow 0
		.amdhsa_exception_fp_ieee_invalid_op 0
		.amdhsa_exception_fp_denorm_src 0
		.amdhsa_exception_fp_ieee_div_zero 0
		.amdhsa_exception_fp_ieee_overflow 0
		.amdhsa_exception_fp_ieee_underflow 0
		.amdhsa_exception_fp_ieee_inexact 0
		.amdhsa_exception_int_div_zero 0
	.end_amdhsa_kernel
	.section	.text._ZN2at6native6sbtopk10gatherTopKIljLi2ELb0EEEvNS_4cuda6detail10TensorInfoIKT_T0_EES8_S8_bS8_S8_NS5_IS6_S8_EES8_NS5_IlS8_EES8_PS6_,"axG",@progbits,_ZN2at6native6sbtopk10gatherTopKIljLi2ELb0EEEvNS_4cuda6detail10TensorInfoIKT_T0_EES8_S8_bS8_S8_NS5_IS6_S8_EES8_NS5_IlS8_EES8_PS6_,comdat
.Lfunc_end46:
	.size	_ZN2at6native6sbtopk10gatherTopKIljLi2ELb0EEEvNS_4cuda6detail10TensorInfoIKT_T0_EES8_S8_bS8_S8_NS5_IS6_S8_EES8_NS5_IlS8_EES8_PS6_, .Lfunc_end46-_ZN2at6native6sbtopk10gatherTopKIljLi2ELb0EEEvNS_4cuda6detail10TensorInfoIKT_T0_EES8_S8_bS8_S8_NS5_IS6_S8_EES8_NS5_IlS8_EES8_PS6_
                                        ; -- End function
	.set _ZN2at6native6sbtopk10gatherTopKIljLi2ELb0EEEvNS_4cuda6detail10TensorInfoIKT_T0_EES8_S8_bS8_S8_NS5_IS6_S8_EES8_NS5_IlS8_EES8_PS6_.num_vgpr, 47
	.set _ZN2at6native6sbtopk10gatherTopKIljLi2ELb0EEEvNS_4cuda6detail10TensorInfoIKT_T0_EES8_S8_bS8_S8_NS5_IS6_S8_EES8_NS5_IlS8_EES8_PS6_.num_agpr, 0
	.set _ZN2at6native6sbtopk10gatherTopKIljLi2ELb0EEEvNS_4cuda6detail10TensorInfoIKT_T0_EES8_S8_bS8_S8_NS5_IS6_S8_EES8_NS5_IlS8_EES8_PS6_.numbered_sgpr, 96
	.set _ZN2at6native6sbtopk10gatherTopKIljLi2ELb0EEEvNS_4cuda6detail10TensorInfoIKT_T0_EES8_S8_bS8_S8_NS5_IS6_S8_EES8_NS5_IlS8_EES8_PS6_.num_named_barrier, 0
	.set _ZN2at6native6sbtopk10gatherTopKIljLi2ELb0EEEvNS_4cuda6detail10TensorInfoIKT_T0_EES8_S8_bS8_S8_NS5_IS6_S8_EES8_NS5_IlS8_EES8_PS6_.private_seg_size, 0
	.set _ZN2at6native6sbtopk10gatherTopKIljLi2ELb0EEEvNS_4cuda6detail10TensorInfoIKT_T0_EES8_S8_bS8_S8_NS5_IS6_S8_EES8_NS5_IlS8_EES8_PS6_.uses_vcc, 1
	.set _ZN2at6native6sbtopk10gatherTopKIljLi2ELb0EEEvNS_4cuda6detail10TensorInfoIKT_T0_EES8_S8_bS8_S8_NS5_IS6_S8_EES8_NS5_IlS8_EES8_PS6_.uses_flat_scratch, 0
	.set _ZN2at6native6sbtopk10gatherTopKIljLi2ELb0EEEvNS_4cuda6detail10TensorInfoIKT_T0_EES8_S8_bS8_S8_NS5_IS6_S8_EES8_NS5_IlS8_EES8_PS6_.has_dyn_sized_stack, 0
	.set _ZN2at6native6sbtopk10gatherTopKIljLi2ELb0EEEvNS_4cuda6detail10TensorInfoIKT_T0_EES8_S8_bS8_S8_NS5_IS6_S8_EES8_NS5_IlS8_EES8_PS6_.has_recursion, 0
	.set _ZN2at6native6sbtopk10gatherTopKIljLi2ELb0EEEvNS_4cuda6detail10TensorInfoIKT_T0_EES8_S8_bS8_S8_NS5_IS6_S8_EES8_NS5_IlS8_EES8_PS6_.has_indirect_call, 0
	.section	.AMDGPU.csdata,"",@progbits
; Kernel info:
; codeLenInByte = 15332
; TotalNumSgprs: 100
; NumVgprs: 47
; ScratchSize: 0
; MemoryBound: 0
; FloatMode: 240
; IeeeMode: 1
; LDSByteSize: 4112 bytes/workgroup (compile time only)
; SGPRBlocks: 12
; VGPRBlocks: 11
; NumSGPRsForWavesPerEU: 100
; NumVGPRsForWavesPerEU: 47
; Occupancy: 5
; WaveLimiterHint : 1
; COMPUTE_PGM_RSRC2:SCRATCH_EN: 0
; COMPUTE_PGM_RSRC2:USER_SGPR: 6
; COMPUTE_PGM_RSRC2:TRAP_HANDLER: 0
; COMPUTE_PGM_RSRC2:TGID_X_EN: 1
; COMPUTE_PGM_RSRC2:TGID_Y_EN: 1
; COMPUTE_PGM_RSRC2:TGID_Z_EN: 1
; COMPUTE_PGM_RSRC2:TIDIG_COMP_CNT: 0
	.section	.text._ZN2at6native6mbtopk23computeBlockDigitCountsIljmLi3EEEvNS_4cuda6detail10TensorInfoIKT_T0_EEjPjjS8_iijT1_PSB_Ps,"axG",@progbits,_ZN2at6native6mbtopk23computeBlockDigitCountsIljmLi3EEEvNS_4cuda6detail10TensorInfoIKT_T0_EEjPjjS8_iijT1_PSB_Ps,comdat
	.protected	_ZN2at6native6mbtopk23computeBlockDigitCountsIljmLi3EEEvNS_4cuda6detail10TensorInfoIKT_T0_EEjPjjS8_iijT1_PSB_Ps ; -- Begin function _ZN2at6native6mbtopk23computeBlockDigitCountsIljmLi3EEEvNS_4cuda6detail10TensorInfoIKT_T0_EEjPjjS8_iijT1_PSB_Ps
	.globl	_ZN2at6native6mbtopk23computeBlockDigitCountsIljmLi3EEEvNS_4cuda6detail10TensorInfoIKT_T0_EEjPjjS8_iijT1_PSB_Ps
	.p2align	8
	.type	_ZN2at6native6mbtopk23computeBlockDigitCountsIljmLi3EEEvNS_4cuda6detail10TensorInfoIKT_T0_EEjPjjS8_iijT1_PSB_Ps,@function
_ZN2at6native6mbtopk23computeBlockDigitCountsIljmLi3EEEvNS_4cuda6detail10TensorInfoIKT_T0_EEjPjjS8_iijT1_PSB_Ps: ; @_ZN2at6native6mbtopk23computeBlockDigitCountsIljmLi3EEEvNS_4cuda6detail10TensorInfoIKT_T0_EEjPjjS8_iijT1_PSB_Ps
; %bb.0:
	s_load_dword s21, s[4:5], 0xf8
	s_load_dwordx4 s[12:15], s[4:5], 0xe8
	s_load_dwordx2 s[0:1], s[4:5], 0x118
	s_mov_b32 s17, 0
	s_waitcnt lgkmcnt(0)
	v_cvt_f32_u32_e32 v1, s21
	s_sub_i32 s2, 0, s21
	s_mul_i32 s1, s1, s8
	s_add_i32 s1, s1, s7
	v_rcp_iflag_f32_e32 v1, v1
	s_mul_i32 s20, s1, s0
	s_add_i32 s20, s20, s6
	v_mul_f32_e32 v1, 0x4f7ffffe, v1
	v_cvt_u32_f32_e32 v1, v1
	v_readfirstlane_b32 s0, v1
	s_mul_i32 s2, s2, s0
	s_mul_hi_u32 s1, s0, s2
	s_add_i32 s0, s0, s1
	s_mul_hi_u32 s0, s20, s0
	s_mul_i32 s1, s0, s21
	s_sub_i32 s1, s20, s1
	s_add_i32 s2, s0, 1
	s_sub_i32 s3, s1, s21
	s_cmp_ge_u32 s1, s21
	s_cselect_b32 s0, s2, s0
	s_cselect_b32 s1, s3, s1
	s_add_i32 s2, s0, 1
	s_cmp_ge_u32 s1, s21
	s_cselect_b32 s16, s2, s0
	s_cmp_ge_u32 s16, s12
	s_cbranch_scc1 .LBB47_27
; %bb.1:
	s_load_dwordx2 s[0:1], s[4:5], 0xc
	s_load_dwordx4 s[8:11], s[4:5], 0x100
	s_load_dwordx2 s[2:3], s[4:5], 0x110
	s_lshl_b64 s[6:7], s[16:17], 3
	v_lshlrev_b32_e32 v5, 2, v0
	s_waitcnt lgkmcnt(0)
	s_add_u32 s18, s10, s6
	v_cvt_f32_u32_e32 v1, s1
	v_cvt_f32_u32_e32 v2, s0
	s_addc_u32 s19, s11, s7
	s_sub_i32 s6, 0, s1
	v_rcp_iflag_f32_e32 v1, v1
	v_rcp_iflag_f32_e32 v2, v2
	v_mul_f32_e32 v1, 0x4f7ffffe, v1
	v_cvt_u32_f32_e32 v1, v1
	v_mul_f32_e32 v2, 0x4f7ffffe, v2
	v_cvt_u32_f32_e32 v2, v2
	v_readfirstlane_b32 s7, v1
	s_mul_i32 s6, s6, s7
	s_mul_hi_u32 s6, s7, s6
	s_add_i32 s7, s7, s6
	s_mul_hi_u32 s6, s16, s7
	s_mul_i32 s7, s6, s1
	s_sub_i32 s7, s16, s7
	s_add_i32 s10, s6, 1
	s_sub_i32 s11, s7, s1
	s_cmp_ge_u32 s7, s1
	s_cselect_b32 s6, s10, s6
	s_cselect_b32 s7, s11, s7
	s_add_i32 s10, s6, 1
	s_cmp_ge_u32 s7, s1
	s_cselect_b32 s10, s10, s6
	s_movk_i32 s6, 0x100
	v_readfirstlane_b32 s22, v2
	v_cmp_gt_u32_e32 vcc, s6, v0
	s_and_saveexec_b64 s[6:7], vcc
; %bb.2:
	v_mov_b32_e32 v1, 0
	ds_write_b32 v5, v1
; %bb.3:
	s_or_b64 exec, exec, s[6:7]
	s_load_dword s12, s[4:5], 0xd8
	s_mul_i32 s6, s16, s21
	s_sub_i32 s6, s20, s6
	s_add_i32 s11, s6, 1
	s_mul_i32 s6, s15, s6
	s_lshl_b32 s17, s6, 8
	s_waitcnt lgkmcnt(0)
	s_sub_i32 s6, s12, s17
	s_add_u32 s6, s6, 0xff
	s_addc_u32 s7, 0, 0
	s_lshr_b64 s[6:7], s[6:7], 8
	s_cmp_lt_u32 s11, s21
	s_cselect_b32 s21, s15, s6
	s_cmp_lt_i32 s21, 1
	s_mov_b32 s11, 0
	s_barrier
	s_cbranch_scc1 .LBB47_25
; %bb.4:
	s_sub_i32 s6, 0, s0
	s_mul_i32 s6, s6, s22
	s_mul_hi_u32 s6, s22, s6
	s_add_i32 s15, s22, s6
	s_load_dwordx4 s[24:27], s[4:5], 0x6c
	s_load_dwordx2 s[22:23], s[4:5], 0x0
	s_load_dwordx2 s[6:7], s[18:19], 0x0
	s_mul_hi_u32 s4, s10, s15
	s_mul_i32 s5, s4, s0
	s_mul_i32 s1, s10, s1
	s_sub_i32 s5, s10, s5
	s_sub_i32 s1, s16, s1
	s_add_i32 s15, s4, 1
	s_sub_i32 s16, s5, s0
	s_cmp_ge_u32 s5, s0
	s_cselect_b32 s4, s15, s4
	s_cselect_b32 s5, s16, s5
	s_add_i32 s15, s4, 1
	s_cmp_ge_u32 s5, s0
	s_cselect_b32 s4, s15, s4
	s_mul_i32 s0, s4, s0
	s_sub_i32 s0, s10, s0
	s_waitcnt lgkmcnt(0)
	s_mul_i32 s1, s1, s26
	s_mul_i32 s0, s0, s25
	s_add_i32 s0, s0, s1
	s_mul_i32 s4, s4, s24
	s_add_i32 s10, s0, s4
	s_lshl_b64 s[0:1], s[10:11], 3
	s_add_u32 s10, s22, s0
	s_addc_u32 s15, s23, s1
	s_and_b32 s14, s14, 0xff
	s_cmp_lt_u32 s21, 4
	s_cbranch_scc1 .LBB47_19
; %bb.5:
	v_add_u32_e32 v1, s17, v0
	v_add_u32_e32 v2, 0x200, v1
	;; [unrolled: 1-line block ×3, first 2 shown]
	v_mul_lo_u32 v8, s13, v2
	v_add_u32_e32 v2, 0x100, v1
	v_mul_lo_u32 v7, s13, v6
	v_mul_lo_u32 v9, s13, v2
	;; [unrolled: 1-line block ×3, first 2 shown]
	s_and_b32 s11, s21, 0x7ffffffc
	s_lshl_b32 s16, s13, 10
	s_mov_b32 s18, 0
	v_mov_b32_e32 v2, 0
	v_mov_b32_e32 v11, 1
	;; [unrolled: 1-line block ×3, first 2 shown]
	s_mov_b32 s19, 0
	s_branch .LBB47_7
.LBB47_6:                               ;   in Loop: Header=BB47_7 Depth=1
	s_or_b64 exec, exec, s[4:5]
	s_add_i32 s19, s19, 4
	s_add_i32 s18, s18, s16
	s_cmp_eq_u32 s11, s19
	v_add_u32_e32 v6, 0x400, v6
	s_cbranch_scc1 .LBB47_19
.LBB47_7:                               ; =>This Inner Loop Header: Depth=1
	v_add_u32_e32 v1, 0xfffffd00, v6
	v_cmp_gt_u32_e64 s[0:1], s12, v1
	s_and_saveexec_b64 s[4:5], s[0:1]
	s_cbranch_execz .LBB47_10
; %bb.8:                                ;   in Loop: Header=BB47_7 Depth=1
	v_add_u32_e32 v1, s18, v10
	v_lshlrev_b64 v[3:4], 3, v[1:2]
	v_mov_b32_e32 v1, s15
	v_add_co_u32_e64 v3, s[0:1], s10, v3
	v_addc_co_u32_e64 v4, s[0:1], v1, v4, s[0:1]
	global_load_dwordx2 v[3:4], v[3:4], off
	s_waitcnt vmcnt(0)
	v_xor_b32_e32 v4, 0x80000000, v4
	v_xor_b32_e32 v1, s6, v3
	;; [unrolled: 1-line block ×3, first 2 shown]
	v_and_b32_e32 v14, s9, v13
	v_and_b32_e32 v13, s8, v1
	v_cmp_eq_u64_e64 s[0:1], 0, v[13:14]
	s_and_b64 exec, exec, s[0:1]
; %bb.9:                                ;   in Loop: Header=BB47_7 Depth=1
	v_lshrrev_b64 v[3:4], s14, v[3:4]
	v_lshlrev_b32_sdwa v1, v12, v3 dst_sel:DWORD dst_unused:UNUSED_PAD src0_sel:DWORD src1_sel:BYTE_0
	ds_add_u32 v1, v11
.LBB47_10:                              ;   in Loop: Header=BB47_7 Depth=1
	s_or_b64 exec, exec, s[4:5]
	v_add_u32_e32 v1, 0xfffffe00, v6
	v_cmp_gt_u32_e64 s[0:1], s12, v1
	s_and_saveexec_b64 s[4:5], s[0:1]
	s_cbranch_execz .LBB47_13
; %bb.11:                               ;   in Loop: Header=BB47_7 Depth=1
	v_add_u32_e32 v1, s18, v9
	v_lshlrev_b64 v[3:4], 3, v[1:2]
	v_mov_b32_e32 v1, s15
	v_add_co_u32_e64 v3, s[0:1], s10, v3
	v_addc_co_u32_e64 v4, s[0:1], v1, v4, s[0:1]
	global_load_dwordx2 v[3:4], v[3:4], off
	s_waitcnt vmcnt(0)
	v_xor_b32_e32 v4, 0x80000000, v4
	v_xor_b32_e32 v1, s6, v3
	;; [unrolled: 1-line block ×3, first 2 shown]
	v_and_b32_e32 v14, s9, v13
	v_and_b32_e32 v13, s8, v1
	v_cmp_eq_u64_e64 s[0:1], 0, v[13:14]
	s_and_b64 exec, exec, s[0:1]
; %bb.12:                               ;   in Loop: Header=BB47_7 Depth=1
	v_lshrrev_b64 v[3:4], s14, v[3:4]
	v_lshlrev_b32_sdwa v1, v12, v3 dst_sel:DWORD dst_unused:UNUSED_PAD src0_sel:DWORD src1_sel:BYTE_0
	ds_add_u32 v1, v11
.LBB47_13:                              ;   in Loop: Header=BB47_7 Depth=1
	s_or_b64 exec, exec, s[4:5]
	v_add_u32_e32 v1, 0xffffff00, v6
	v_cmp_gt_u32_e64 s[0:1], s12, v1
	s_and_saveexec_b64 s[4:5], s[0:1]
	s_cbranch_execz .LBB47_16
; %bb.14:                               ;   in Loop: Header=BB47_7 Depth=1
	v_add_u32_e32 v1, s18, v8
	v_lshlrev_b64 v[3:4], 3, v[1:2]
	v_mov_b32_e32 v1, s15
	v_add_co_u32_e64 v3, s[0:1], s10, v3
	v_addc_co_u32_e64 v4, s[0:1], v1, v4, s[0:1]
	global_load_dwordx2 v[3:4], v[3:4], off
	s_waitcnt vmcnt(0)
	v_xor_b32_e32 v4, 0x80000000, v4
	v_xor_b32_e32 v1, s6, v3
	;; [unrolled: 1-line block ×3, first 2 shown]
	v_and_b32_e32 v14, s9, v13
	v_and_b32_e32 v13, s8, v1
	v_cmp_eq_u64_e64 s[0:1], 0, v[13:14]
	s_and_b64 exec, exec, s[0:1]
; %bb.15:                               ;   in Loop: Header=BB47_7 Depth=1
	v_lshrrev_b64 v[3:4], s14, v[3:4]
	v_lshlrev_b32_sdwa v1, v12, v3 dst_sel:DWORD dst_unused:UNUSED_PAD src0_sel:DWORD src1_sel:BYTE_0
	ds_add_u32 v1, v11
.LBB47_16:                              ;   in Loop: Header=BB47_7 Depth=1
	s_or_b64 exec, exec, s[4:5]
	v_cmp_gt_u32_e64 s[0:1], s12, v6
	s_and_saveexec_b64 s[4:5], s[0:1]
	s_cbranch_execz .LBB47_6
; %bb.17:                               ;   in Loop: Header=BB47_7 Depth=1
	v_add_u32_e32 v1, s18, v7
	v_lshlrev_b64 v[3:4], 3, v[1:2]
	v_mov_b32_e32 v1, s15
	v_add_co_u32_e64 v3, s[0:1], s10, v3
	v_addc_co_u32_e64 v4, s[0:1], v1, v4, s[0:1]
	global_load_dwordx2 v[3:4], v[3:4], off
	s_waitcnt vmcnt(0)
	v_xor_b32_e32 v4, 0x80000000, v4
	v_xor_b32_e32 v1, s6, v3
	;; [unrolled: 1-line block ×3, first 2 shown]
	v_and_b32_e32 v14, s9, v13
	v_and_b32_e32 v13, s8, v1
	v_cmp_eq_u64_e64 s[0:1], 0, v[13:14]
	s_and_b64 exec, exec, s[0:1]
	s_cbranch_execz .LBB47_6
; %bb.18:                               ;   in Loop: Header=BB47_7 Depth=1
	v_lshrrev_b64 v[3:4], s14, v[3:4]
	v_lshlrev_b32_sdwa v1, v12, v3 dst_sel:DWORD dst_unused:UNUSED_PAD src0_sel:DWORD src1_sel:BYTE_0
	ds_add_u32 v1, v11
	s_branch .LBB47_6
.LBB47_19:
	s_and_b32 s16, s21, 3
	s_cmp_eq_u32 s16, 0
	s_cbranch_scc1 .LBB47_25
; %bb.20:
	s_lshl_b32 s0, s11, 8
	s_add_i32 s0, s0, s17
	v_add_u32_e32 v6, s0, v0
	v_mul_lo_u32 v1, s13, v6
	s_lshl_b32 s11, s13, 8
	v_mov_b32_e32 v2, 0
	v_mov_b32_e32 v7, 1
	;; [unrolled: 1-line block ×3, first 2 shown]
	s_branch .LBB47_22
.LBB47_21:                              ;   in Loop: Header=BB47_22 Depth=1
	s_or_b64 exec, exec, s[4:5]
	s_add_i32 s16, s16, -1
	v_add_u32_e32 v1, s11, v1
	s_cmp_lg_u32 s16, 0
	v_add_u32_e32 v6, 0x100, v6
	s_cbranch_scc0 .LBB47_25
.LBB47_22:                              ; =>This Inner Loop Header: Depth=1
	v_cmp_gt_u32_e64 s[0:1], s12, v6
	s_and_saveexec_b64 s[4:5], s[0:1]
	s_cbranch_execz .LBB47_21
; %bb.23:                               ;   in Loop: Header=BB47_22 Depth=1
	v_lshlrev_b64 v[3:4], 3, v[1:2]
	v_mov_b32_e32 v9, s15
	v_add_co_u32_e64 v3, s[0:1], s10, v3
	v_addc_co_u32_e64 v4, s[0:1], v9, v4, s[0:1]
	global_load_dwordx2 v[3:4], v[3:4], off
	s_waitcnt vmcnt(0)
	v_xor_b32_e32 v4, 0x80000000, v4
	v_xor_b32_e32 v9, s6, v3
	;; [unrolled: 1-line block ×3, first 2 shown]
	v_and_b32_e32 v10, s9, v10
	v_and_b32_e32 v9, s8, v9
	v_cmp_eq_u64_e64 s[0:1], 0, v[9:10]
	s_and_b64 exec, exec, s[0:1]
	s_cbranch_execz .LBB47_21
; %bb.24:                               ;   in Loop: Header=BB47_22 Depth=1
	v_lshrrev_b64 v[3:4], s14, v[3:4]
	v_lshlrev_b32_sdwa v3, v8, v3 dst_sel:DWORD dst_unused:UNUSED_PAD src0_sel:DWORD src1_sel:BYTE_0
	ds_add_u32 v3, v7
	s_branch .LBB47_21
.LBB47_25:
	s_waitcnt lgkmcnt(0)
	s_barrier
	s_and_saveexec_b64 s[0:1], vcc
	s_cbranch_execz .LBB47_27
; %bb.26:
	v_lshl_or_b32 v0, s20, 8, v0
	v_mov_b32_e32 v1, 0
	ds_read_b32 v3, v5
	v_lshlrev_b64 v[0:1], 1, v[0:1]
	v_mov_b32_e32 v2, s3
	v_add_co_u32_e32 v0, vcc, s2, v0
	v_addc_co_u32_e32 v1, vcc, v2, v1, vcc
	s_waitcnt lgkmcnt(0)
	global_store_short v[0:1], v3, off
.LBB47_27:
	s_endpgm
	.section	.rodata,"a",@progbits
	.p2align	6, 0x0
	.amdhsa_kernel _ZN2at6native6mbtopk23computeBlockDigitCountsIljmLi3EEEvNS_4cuda6detail10TensorInfoIKT_T0_EEjPjjS8_iijT1_PSB_Ps
		.amdhsa_group_segment_fixed_size 1024
		.amdhsa_private_segment_fixed_size 0
		.amdhsa_kernarg_size 536
		.amdhsa_user_sgpr_count 6
		.amdhsa_user_sgpr_private_segment_buffer 1
		.amdhsa_user_sgpr_dispatch_ptr 0
		.amdhsa_user_sgpr_queue_ptr 0
		.amdhsa_user_sgpr_kernarg_segment_ptr 1
		.amdhsa_user_sgpr_dispatch_id 0
		.amdhsa_user_sgpr_flat_scratch_init 0
		.amdhsa_user_sgpr_private_segment_size 0
		.amdhsa_uses_dynamic_stack 0
		.amdhsa_system_sgpr_private_segment_wavefront_offset 0
		.amdhsa_system_sgpr_workgroup_id_x 1
		.amdhsa_system_sgpr_workgroup_id_y 1
		.amdhsa_system_sgpr_workgroup_id_z 1
		.amdhsa_system_sgpr_workgroup_info 0
		.amdhsa_system_vgpr_workitem_id 0
		.amdhsa_next_free_vgpr 15
		.amdhsa_next_free_sgpr 28
		.amdhsa_reserve_vcc 1
		.amdhsa_reserve_flat_scratch 0
		.amdhsa_float_round_mode_32 0
		.amdhsa_float_round_mode_16_64 0
		.amdhsa_float_denorm_mode_32 3
		.amdhsa_float_denorm_mode_16_64 3
		.amdhsa_dx10_clamp 1
		.amdhsa_ieee_mode 1
		.amdhsa_fp16_overflow 0
		.amdhsa_exception_fp_ieee_invalid_op 0
		.amdhsa_exception_fp_denorm_src 0
		.amdhsa_exception_fp_ieee_div_zero 0
		.amdhsa_exception_fp_ieee_overflow 0
		.amdhsa_exception_fp_ieee_underflow 0
		.amdhsa_exception_fp_ieee_inexact 0
		.amdhsa_exception_int_div_zero 0
	.end_amdhsa_kernel
	.section	.text._ZN2at6native6mbtopk23computeBlockDigitCountsIljmLi3EEEvNS_4cuda6detail10TensorInfoIKT_T0_EEjPjjS8_iijT1_PSB_Ps,"axG",@progbits,_ZN2at6native6mbtopk23computeBlockDigitCountsIljmLi3EEEvNS_4cuda6detail10TensorInfoIKT_T0_EEjPjjS8_iijT1_PSB_Ps,comdat
.Lfunc_end47:
	.size	_ZN2at6native6mbtopk23computeBlockDigitCountsIljmLi3EEEvNS_4cuda6detail10TensorInfoIKT_T0_EEjPjjS8_iijT1_PSB_Ps, .Lfunc_end47-_ZN2at6native6mbtopk23computeBlockDigitCountsIljmLi3EEEvNS_4cuda6detail10TensorInfoIKT_T0_EEjPjjS8_iijT1_PSB_Ps
                                        ; -- End function
	.set _ZN2at6native6mbtopk23computeBlockDigitCountsIljmLi3EEEvNS_4cuda6detail10TensorInfoIKT_T0_EEjPjjS8_iijT1_PSB_Ps.num_vgpr, 15
	.set _ZN2at6native6mbtopk23computeBlockDigitCountsIljmLi3EEEvNS_4cuda6detail10TensorInfoIKT_T0_EEjPjjS8_iijT1_PSB_Ps.num_agpr, 0
	.set _ZN2at6native6mbtopk23computeBlockDigitCountsIljmLi3EEEvNS_4cuda6detail10TensorInfoIKT_T0_EEjPjjS8_iijT1_PSB_Ps.numbered_sgpr, 28
	.set _ZN2at6native6mbtopk23computeBlockDigitCountsIljmLi3EEEvNS_4cuda6detail10TensorInfoIKT_T0_EEjPjjS8_iijT1_PSB_Ps.num_named_barrier, 0
	.set _ZN2at6native6mbtopk23computeBlockDigitCountsIljmLi3EEEvNS_4cuda6detail10TensorInfoIKT_T0_EEjPjjS8_iijT1_PSB_Ps.private_seg_size, 0
	.set _ZN2at6native6mbtopk23computeBlockDigitCountsIljmLi3EEEvNS_4cuda6detail10TensorInfoIKT_T0_EEjPjjS8_iijT1_PSB_Ps.uses_vcc, 1
	.set _ZN2at6native6mbtopk23computeBlockDigitCountsIljmLi3EEEvNS_4cuda6detail10TensorInfoIKT_T0_EEjPjjS8_iijT1_PSB_Ps.uses_flat_scratch, 0
	.set _ZN2at6native6mbtopk23computeBlockDigitCountsIljmLi3EEEvNS_4cuda6detail10TensorInfoIKT_T0_EEjPjjS8_iijT1_PSB_Ps.has_dyn_sized_stack, 0
	.set _ZN2at6native6mbtopk23computeBlockDigitCountsIljmLi3EEEvNS_4cuda6detail10TensorInfoIKT_T0_EEjPjjS8_iijT1_PSB_Ps.has_recursion, 0
	.set _ZN2at6native6mbtopk23computeBlockDigitCountsIljmLi3EEEvNS_4cuda6detail10TensorInfoIKT_T0_EEjPjjS8_iijT1_PSB_Ps.has_indirect_call, 0
	.section	.AMDGPU.csdata,"",@progbits
; Kernel info:
; codeLenInByte = 1472
; TotalNumSgprs: 32
; NumVgprs: 15
; ScratchSize: 0
; MemoryBound: 0
; FloatMode: 240
; IeeeMode: 1
; LDSByteSize: 1024 bytes/workgroup (compile time only)
; SGPRBlocks: 3
; VGPRBlocks: 3
; NumSGPRsForWavesPerEU: 32
; NumVGPRsForWavesPerEU: 15
; Occupancy: 10
; WaveLimiterHint : 1
; COMPUTE_PGM_RSRC2:SCRATCH_EN: 0
; COMPUTE_PGM_RSRC2:USER_SGPR: 6
; COMPUTE_PGM_RSRC2:TRAP_HANDLER: 0
; COMPUTE_PGM_RSRC2:TGID_X_EN: 1
; COMPUTE_PGM_RSRC2:TGID_Y_EN: 1
; COMPUTE_PGM_RSRC2:TGID_Z_EN: 1
; COMPUTE_PGM_RSRC2:TIDIG_COMP_CNT: 0
	.section	.text._ZN2at6native6mbtopk10gatherTopKIljLi3EEEvNS_4cuda6detail10TensorInfoIKT_T0_EES8_S8_bjS8_NS5_IS6_S8_EES8_NS5_IlS8_EES8_jjPS6_PjSD_j,"axG",@progbits,_ZN2at6native6mbtopk10gatherTopKIljLi3EEEvNS_4cuda6detail10TensorInfoIKT_T0_EES8_S8_bjS8_NS5_IS6_S8_EES8_NS5_IlS8_EES8_jjPS6_PjSD_j,comdat
	.protected	_ZN2at6native6mbtopk10gatherTopKIljLi3EEEvNS_4cuda6detail10TensorInfoIKT_T0_EES8_S8_bjS8_NS5_IS6_S8_EES8_NS5_IlS8_EES8_jjPS6_PjSD_j ; -- Begin function _ZN2at6native6mbtopk10gatherTopKIljLi3EEEvNS_4cuda6detail10TensorInfoIKT_T0_EES8_S8_bjS8_NS5_IS6_S8_EES8_NS5_IlS8_EES8_jjPS6_PjSD_j
	.globl	_ZN2at6native6mbtopk10gatherTopKIljLi3EEEvNS_4cuda6detail10TensorInfoIKT_T0_EES8_S8_bjS8_NS5_IS6_S8_EES8_NS5_IlS8_EES8_jjPS6_PjSD_j
	.p2align	8
	.type	_ZN2at6native6mbtopk10gatherTopKIljLi3EEEvNS_4cuda6detail10TensorInfoIKT_T0_EES8_S8_bjS8_NS5_IS6_S8_EES8_NS5_IlS8_EES8_jjPS6_PjSD_j,@function
_ZN2at6native6mbtopk10gatherTopKIljLi3EEEvNS_4cuda6detail10TensorInfoIKT_T0_EES8_S8_bjS8_NS5_IS6_S8_EES8_NS5_IlS8_EES8_jjPS6_PjSD_j: ; @_ZN2at6native6mbtopk10gatherTopKIljLi3EEEvNS_4cuda6detail10TensorInfoIKT_T0_EES8_S8_bjS8_NS5_IS6_S8_EES8_NS5_IlS8_EES8_jjPS6_PjSD_j
; %bb.0:
	s_load_dwordx2 s[0:1], s[4:5], 0x2d8
	s_load_dword s2, s[4:5], 0x2d0
	s_waitcnt lgkmcnt(0)
	s_mul_i32 s1, s1, s8
	s_add_i32 s1, s1, s7
	s_mul_i32 s0, s1, s0
	s_add_i32 s0, s0, s6
	s_cmp_ge_u32 s0, s2
	s_cbranch_scc1 .LBB48_40
; %bb.1:
	s_load_dwordx8 s[8:15], s[4:5], 0x2a8
	s_load_dwordx4 s[16:19], s[4:5], 0x23c
	s_load_dwordx2 s[40:41], s[4:5], 0x1dc
	s_load_dwordx2 s[6:7], s[4:5], 0x1d0
	s_load_dwordx4 s[20:23], s[4:5], 0x15c
	s_load_dwordx2 s[42:43], s[4:5], 0xfc
	s_load_dwordx2 s[36:37], s[4:5], 0xf0
	;; [unrolled: 3-line block ×3, first 2 shown]
	s_mov_b32 s45, 0
	s_waitcnt lgkmcnt(0)
	v_cvt_f32_u32_e32 v1, s10
	s_sub_i32 s1, 0, s10
	v_cvt_f32_u32_e32 v2, s47
	v_rcp_iflag_f32_e32 v1, v1
	v_mul_f32_e32 v1, 0x4f7ffffe, v1
	v_cvt_u32_f32_e32 v1, v1
	v_readfirstlane_b32 s2, v1
	s_mul_i32 s1, s1, s2
	s_mul_hi_u32 s1, s2, s1
	s_add_i32 s2, s2, s1
	v_rcp_iflag_f32_e32 v1, v2
	s_mul_hi_u32 s1, s0, s2
	s_mul_i32 s2, s1, s10
	s_sub_i32 s2, s0, s2
	s_add_i32 s3, s1, 1
	s_sub_i32 s11, s2, s10
	v_mul_f32_e32 v1, 0x4f7ffffe, v1
	s_cmp_ge_u32 s2, s10
	v_cvt_u32_f32_e32 v1, v1
	s_cselect_b32 s1, s3, s1
	s_cselect_b32 s2, s11, s2
	s_add_i32 s3, s1, 1
	s_cmp_ge_u32 s2, s10
	s_cselect_b32 s44, s3, s1
	v_readfirstlane_b32 s1, v1
	v_cvt_f32_u32_e32 v1, s46
	s_mul_i32 s28, s44, s10
	s_sub_i32 s11, s0, s28
	s_sub_i32 s0, 0, s47
	s_mul_i32 s0, s0, s1
	s_mul_hi_u32 s0, s1, s0
	v_rcp_iflag_f32_e32 v1, v1
	s_add_i32 s1, s1, s0
	v_cvt_f32_u32_e32 v2, s43
	s_mul_hi_u32 s0, s44, s1
	s_mul_i32 s1, s0, s47
	s_sub_i32 s1, s44, s1
	v_mul_f32_e32 v1, 0x4f7ffffe, v1
	s_add_i32 s2, s0, 1
	s_sub_i32 s3, s1, s47
	v_cvt_u32_f32_e32 v1, v1
	v_rcp_iflag_f32_e32 v2, v2
	s_cmp_ge_u32 s1, s47
	s_cselect_b32 s0, s2, s0
	s_cselect_b32 s1, s3, s1
	s_add_i32 s2, s0, 1
	s_cmp_ge_u32 s1, s47
	v_readfirstlane_b32 s1, v1
	v_mul_f32_e32 v1, 0x4f7ffffe, v2
	s_cselect_b32 s19, s2, s0
	s_sub_i32 s0, 0, s46
	v_cvt_u32_f32_e32 v1, v1
	s_mul_i32 s0, s0, s1
	s_mul_hi_u32 s0, s1, s0
	s_add_i32 s1, s1, s0
	s_mul_hi_u32 s23, s19, s1
	v_readfirstlane_b32 s1, v1
	v_cvt_f32_u32_e32 v1, s42
	s_sub_i32 s0, 0, s43
	s_mul_i32 s0, s0, s1
	s_mul_hi_u32 s0, s1, s0
	v_rcp_iflag_f32_e32 v1, v1
	s_add_i32 s1, s1, s0
	v_cvt_f32_u32_e32 v2, s41
	s_mul_hi_u32 s0, s44, s1
	s_mul_i32 s1, s0, s43
	s_sub_i32 s1, s44, s1
	v_mul_f32_e32 v1, 0x4f7ffffe, v1
	s_add_i32 s2, s0, 1
	s_sub_i32 s3, s1, s43
	v_cvt_u32_f32_e32 v1, v1
	v_rcp_iflag_f32_e32 v2, v2
	s_cmp_ge_u32 s1, s43
	s_cselect_b32 s0, s2, s0
	s_cselect_b32 s1, s3, s1
	s_add_i32 s2, s0, 1
	s_cmp_ge_u32 s1, s43
	v_readfirstlane_b32 s1, v1
	v_mul_f32_e32 v1, 0x4f7ffffe, v2
	v_cvt_u32_f32_e32 v1, v1
	s_cselect_b32 s27, s2, s0
	s_sub_i32 s0, 0, s42
	s_mul_i32 s0, s0, s1
	s_mul_hi_u32 s0, s1, s0
	s_add_i32 s2, s1, s0
	v_readfirstlane_b32 s1, v1
	v_cvt_f32_u32_e32 v1, s40
	s_sub_i32 s0, 0, s41
	s_mul_i32 s0, s0, s1
	s_mul_hi_u32 s0, s1, s0
	s_add_i32 s1, s1, s0
	v_rcp_iflag_f32_e32 v1, v1
	s_mul_hi_u32 s0, s44, s1
	s_mul_i32 s1, s0, s41
	s_sub_i32 s1, s44, s1
	s_add_i32 s3, s0, 1
	s_sub_i32 s29, s1, s41
	v_mul_f32_e32 v1, 0x4f7ffffe, v1
	s_cmp_ge_u32 s1, s41
	v_cvt_u32_f32_e32 v1, v1
	s_cselect_b32 s0, s3, s0
	s_cselect_b32 s1, s29, s1
	s_add_i32 s3, s0, 1
	s_cmp_ge_u32 s1, s41
	s_cselect_b32 s33, s3, s0
	s_sub_i32 s0, 0, s40
	v_readfirstlane_b32 s1, v1
	s_mul_i32 s0, s0, s1
	s_mul_hi_u32 s0, s1, s0
	s_add_i32 s3, s1, s0
	s_lshl_b64 s[0:1], s[44:45], 3
	s_add_u32 s0, s12, s0
	s_addc_u32 s1, s13, s1
	s_load_dwordx2 s[34:35], s[0:1], 0x0
	s_mul_hi_u32 s55, s27, s2
	s_mul_hi_u32 s54, s33, s3
	v_cmp_ne_u32_e64 s[0:1], 0, v0
	v_cmp_eq_u32_e64 s[2:3], 0, v0
	s_and_saveexec_b64 s[12:13], s[2:3]
	s_cbranch_execz .LBB48_17
; %bb.2:
	s_load_dwordx2 s[48:49], s[4:5], 0x2c8
	s_mov_b32 s29, s45
	s_lshl_b64 s[50:51], s[28:29], 2
	s_add_u32 s28, s14, s50
	s_addc_u32 s29, s15, s51
	s_waitcnt lgkmcnt(0)
	s_add_u32 s30, s48, s50
	s_addc_u32 s31, s49, s51
	s_cmp_lt_u32 s10, 4
	s_cbranch_scc1 .LBB48_14
; %bb.3:
	s_mov_b32 s56, s45
	s_mov_b32 s57, s45
	;; [unrolled: 1-line block ×3, first 2 shown]
.LBB48_4:                               ; =>This Inner Loop Header: Depth=1
	s_add_u32 s52, s14, s50
	s_addc_u32 s53, s15, s51
	s_load_dwordx4 s[28:31], s[52:53], 0x0
	s_add_u32 s52, s48, s50
	s_addc_u32 s53, s49, s51
	s_cmp_ge_u32 s58, s11
	s_cbranch_scc0 .LBB48_11
; %bb.5:                                ;   in Loop: Header=BB48_4 Depth=1
	s_add_i32 s59, s58, 1
	s_cmp_ge_u32 s59, s11
	s_cbranch_scc0 .LBB48_12
.LBB48_6:                               ;   in Loop: Header=BB48_4 Depth=1
	s_add_i32 s59, s59, 1
	s_cmp_ge_u32 s59, s11
	s_cbranch_scc0 .LBB48_13
.LBB48_7:                               ;   in Loop: Header=BB48_4 Depth=1
	s_add_i32 s59, s59, 1
	s_cmp_ge_u32 s59, s11
	s_cbranch_scc1 .LBB48_9
.LBB48_8:                               ;   in Loop: Header=BB48_4 Depth=1
	s_load_dword s52, s[52:53], 0xc
	s_waitcnt lgkmcnt(0)
	s_add_i32 s45, s45, s31
	s_add_i32 s56, s52, s56
.LBB48_9:                               ;   in Loop: Header=BB48_4 Depth=1
	s_waitcnt lgkmcnt(0)
	s_add_i32 s28, s28, s57
	s_add_i32 s28, s28, s29
	;; [unrolled: 1-line block ×4, first 2 shown]
	s_add_u32 s14, s14, 16
	s_addc_u32 s15, s15, 0
	s_add_u32 s48, s48, 16
	s_addc_u32 s49, s49, 0
	s_add_i32 s53, s59, 4
	s_add_u32 s30, s48, s50
	s_addc_u32 s31, s49, s51
	s_add_u32 s28, s14, s50
	s_addc_u32 s29, s15, s51
	s_add_i32 s52, s59, 1
	s_cmp_ge_u32 s53, s10
	s_cbranch_scc1 .LBB48_15
; %bb.10:                               ;   in Loop: Header=BB48_4 Depth=1
	s_mov_b32 s58, s52
	s_branch .LBB48_4
.LBB48_11:                              ;   in Loop: Header=BB48_4 Depth=1
	s_load_dword s59, s[52:53], 0x0
	s_waitcnt lgkmcnt(0)
	s_add_i32 s45, s28, s45
	s_add_i32 s56, s59, s56
	s_add_i32 s59, s58, 1
	s_cmp_ge_u32 s59, s11
	s_cbranch_scc1 .LBB48_6
.LBB48_12:                              ;   in Loop: Header=BB48_4 Depth=1
	s_load_dword s60, s[52:53], 0x4
	s_waitcnt lgkmcnt(0)
	s_add_i32 s45, s45, s29
	s_add_i32 s56, s60, s56
	;; [unrolled: 1-line block ×3, first 2 shown]
	s_cmp_ge_u32 s59, s11
	s_cbranch_scc1 .LBB48_7
.LBB48_13:                              ;   in Loop: Header=BB48_4 Depth=1
	s_load_dword s60, s[52:53], 0x8
	s_waitcnt lgkmcnt(0)
	s_add_i32 s45, s45, s30
	s_add_i32 s56, s60, s56
	;; [unrolled: 1-line block ×3, first 2 shown]
	s_cmp_ge_u32 s59, s11
	s_cbranch_scc0 .LBB48_8
	s_branch .LBB48_9
.LBB48_14:
	s_mov_b32 s56, 0
	s_mov_b32 s57, 0
	;; [unrolled: 1-line block ×3, first 2 shown]
	s_cmp_ge_u32 s14, s10
	s_cbranch_scc0 .LBB48_38
	s_branch .LBB48_16
.LBB48_15:
	s_add_i32 s14, s58, 4
	s_cmp_ge_u32 s14, s10
	s_cbranch_scc0 .LBB48_38
.LBB48_16:
	v_mov_b32_e32 v1, s56
	v_mov_b32_e32 v2, s57
	;; [unrolled: 1-line block ×4, first 2 shown]
	ds_write_b96 v4, v[1:3] offset:1056
.LBB48_17:
	s_or_b64 exec, exec, s[12:13]
	s_load_dwordx4 s[12:15], s[4:5], 0xd8
	s_waitcnt lgkmcnt(0)
	s_mul_i32 s15, s9, s11
	s_lshl_b32 s15, s15, 8
	s_add_i32 s30, s11, 1
	s_mov_b32 s11, 0
	s_sub_i32 s28, s12, s15
	s_add_u32 s28, s28, 0xff
	s_addc_u32 s29, 0, 0
	s_lshr_b64 s[28:29], s[28:29], 8
	s_cmp_lt_u32 s30, s10
	s_cselect_b32 s9, s9, s28
	s_cmp_eq_u32 s9, 0
	s_barrier
	s_cbranch_scc1 .LBB48_40
; %bb.18:
	s_mul_i32 s10, s19, s47
	s_sub_i32 s10, s44, s10
	s_mul_i32 s10, s10, s26
	s_mul_i32 s26, s23, s46
	s_sub_i32 s26, s19, s26
	s_add_i32 s28, s23, 1
	s_sub_i32 s29, s26, s46
	s_cmp_ge_u32 s26, s46
	s_cselect_b32 s23, s28, s23
	s_cselect_b32 s26, s29, s26
	s_add_i32 s28, s23, 1
	s_cmp_ge_u32 s26, s46
	s_cselect_b32 s23, s28, s23
	s_mul_i32 s26, s23, s46
	s_sub_i32 s19, s19, s26
	s_mul_i32 s19, s19, s25
	s_add_i32 s10, s19, s10
	s_mul_i32 s19, s27, s43
	s_sub_i32 s19, s44, s19
	s_mul_i32 s19, s19, s22
	s_mul_i32 s22, s55, s42
	;; [unrolled: 1-line block ×3, first 2 shown]
	s_sub_i32 s22, s27, s22
	s_add_i32 s10, s10, s23
	s_add_i32 s23, s55, 1
	s_sub_i32 s24, s22, s42
	s_cmp_ge_u32 s22, s42
	s_cselect_b32 s23, s23, s55
	s_cselect_b32 s22, s24, s22
	s_add_i32 s24, s23, 1
	s_cmp_ge_u32 s22, s42
	s_cselect_b32 s22, s24, s23
	s_mul_i32 s23, s22, s42
	s_sub_i32 s23, s27, s23
	s_mul_i32 s21, s23, s21
	s_add_i32 s19, s21, s19
	s_mul_i32 s22, s22, s20
	s_add_i32 s20, s19, s22
	s_mul_i32 s19, s33, s41
	s_sub_i32 s19, s44, s19
	s_mul_i32 s19, s19, s18
	s_mul_i32 s18, s54, s40
	s_sub_i32 s18, s33, s18
	s_add_i32 s21, s54, 1
	s_sub_i32 s22, s18, s40
	s_cmp_ge_u32 s18, s40
	s_cselect_b32 s21, s21, s54
	s_cselect_b32 s18, s22, s18
	s_add_i32 s22, s21, 1
	s_cmp_ge_u32 s18, s40
	s_cselect_b32 s18, s22, s21
	s_mul_i32 s21, s18, s40
	s_sub_i32 s21, s33, s21
	s_mul_i32 s17, s21, s17
	s_add_i32 s17, s17, s19
	s_mul_i32 s18, s18, s16
	v_mov_b32_e32 v5, 0
	s_add_i32 s22, s17, s18
	s_lshl_b64 s[16:17], s[10:11], 3
	ds_read_b96 v[1:3], v5 offset:1056
	s_add_u32 s16, s38, s16
	s_mov_b32 s21, s11
	s_addc_u32 s17, s39, s17
	s_lshl_b64 s[18:19], s[20:21], 3
	s_add_u32 s18, s36, s18
	s_mov_b32 s23, s11
	s_addc_u32 s19, s37, s19
	s_lshl_b64 s[10:11], s[22:23], 3
	s_add_u32 s20, s6, s10
	s_waitcnt lgkmcnt(0)
	v_add_u32_e32 v2, v1, v2
	v_lshrrev_b32_e32 v1, 3, v0
	s_addc_u32 s21, s7, s11
	s_xor_b32 s11, s35, 0x80000000
	v_and_b32_e32 v1, 28, v1
	s_bitcmp1_b32 s14, 0
	s_load_dword s14, s[4:5], 0xe8
	s_load_dword s22, s[4:5], 0x1c8
	v_lshl_add_u32 v8, v0, 2, v1
	v_lshrrev_b32_e32 v1, 1, v0
	v_and_b32_e32 v9, 0x7c, v1
	v_add_u32_e32 v1, -1, v0
	v_lshrrev_b32_e32 v4, 3, v1
	v_cmp_gt_u32_e64 s[4:5], 64, v0
	v_lshlrev_b32_e32 v10, 4, v0
	v_and_b32_e32 v4, 0x1ffffffc, v4
	v_add_u32_e32 v0, s15, v0
	v_lshl_add_u32 v11, v1, 2, v4
	s_waitcnt lgkmcnt(0)
	v_mul_lo_u32 v4, s14, v0
	v_mbcnt_lo_u32_b32 v1, -1, 0
	s_mov_b32 s10, s34
	s_cselect_b64 s[6:7], -1, 0
	s_lshl_b32 s23, s14, 8
	v_mbcnt_hi_u32_b32 v12, -1, v1
                                        ; implicit-def: $vgpr6_vgpr7
	s_branch .LBB48_21
.LBB48_19:                              ;   in Loop: Header=BB48_21 Depth=1
	s_or_b64 exec, exec, s[14:15]
	v_add_u32_e32 v2, v15, v2
.LBB48_20:                              ;   in Loop: Header=BB48_21 Depth=1
	s_add_i32 s9, s9, -1
	v_add_u32_e32 v3, v14, v3
	v_add_u32_e32 v4, s23, v4
	s_cmp_lg_u32 s9, 0
	v_add_u32_e32 v0, 0x100, v0
	s_cbranch_scc0 .LBB48_40
.LBB48_21:                              ; =>This Inner Loop Header: Depth=1
	v_cmp_gt_u32_e32 vcc, s12, v0
	v_mov_b32_e32 v1, 0
	v_mov_b32_e32 v13, 0
	s_and_saveexec_b64 s[14:15], vcc
	s_cbranch_execz .LBB48_23
; %bb.22:                               ;   in Loop: Header=BB48_21 Depth=1
	v_lshlrev_b64 v[6:7], 3, v[4:5]
	v_mov_b32_e32 v1, s17
	v_add_co_u32_e32 v6, vcc, s16, v6
	v_addc_co_u32_e32 v7, vcc, v1, v7, vcc
	global_load_dwordx2 v[6:7], v[6:7], off
	s_waitcnt vmcnt(0)
	v_xor_b32_e32 v14, 0x80000000, v7
	v_mov_b32_e32 v13, v6
	v_cmp_lt_u64_e32 vcc, s[10:11], v[13:14]
	v_cndmask_b32_e64 v1, 0, 1, vcc
	v_cmp_gt_u64_e32 vcc, s[10:11], v[13:14]
	v_cndmask_b32_e64 v13, 0, 1, vcc
	v_cmp_eq_u64_e32 vcc, s[34:35], v[6:7]
	v_cndmask_b32_e64 v1, v13, v1, s[6:7]
	v_and_b32_e32 v1, 1, v1
	v_cndmask_b32_e64 v13, 0, 1, vcc
.LBB48_23:                              ;   in Loop: Header=BB48_21 Depth=1
	s_or_b64 exec, exec, s[14:15]
	ds_write_b32 v8, v1
	s_waitcnt vmcnt(0) lgkmcnt(0)
	s_barrier
	s_and_saveexec_b64 s[14:15], s[4:5]
	s_cbranch_execz .LBB48_25
; %bb.24:                               ;   in Loop: Header=BB48_21 Depth=1
	v_add_u32_e32 v18, v9, v10
	ds_read2_b32 v[14:15], v18 offset1:1
	ds_read2_b32 v[16:17], v18 offset0:2 offset1:3
	v_and_b32_e32 v19, 15, v12
	v_cmp_ne_u32_e32 vcc, 0, v19
	s_waitcnt lgkmcnt(1)
	v_add_u32_e32 v15, v15, v14
	s_waitcnt lgkmcnt(0)
	v_add3_u32 v15, v15, v16, v17
	v_bfe_i32 v17, v12, 4, 1
	; wave barrier
	s_nop 0
	v_mov_b32_dpp v16, v15 row_shr:1 row_mask:0xf bank_mask:0xf
	v_cndmask_b32_e32 v16, 0, v16, vcc
	v_add_u32_e32 v15, v16, v15
	v_cmp_lt_u32_e32 vcc, 1, v19
	s_nop 0
	v_mov_b32_dpp v16, v15 row_shr:2 row_mask:0xf bank_mask:0xf
	v_cndmask_b32_e32 v16, 0, v16, vcc
	v_add_u32_e32 v15, v15, v16
	v_cmp_lt_u32_e32 vcc, 3, v19
	;; [unrolled: 5-line block ×4, first 2 shown]
	s_nop 0
	v_mov_b32_dpp v16, v15 row_bcast:15 row_mask:0xf bank_mask:0xf
	v_and_b32_e32 v16, v17, v16
	v_add_u32_e32 v15, v15, v16
	v_and_b32_e32 v17, 64, v12
	s_nop 0
	v_mov_b32_dpp v16, v15 row_bcast:31 row_mask:0xf bank_mask:0xf
	v_cndmask_b32_e32 v16, 0, v16, vcc
	v_add_u32_e32 v15, v15, v16
	v_add_u32_e32 v16, -1, v12
	v_cmp_lt_i32_e32 vcc, v16, v17
	v_cndmask_b32_e32 v16, v16, v12, vcc
	v_lshlrev_b32_e32 v16, 2, v16
	ds_bpermute_b32 v15, v16, v15
	s_waitcnt lgkmcnt(0)
	v_add_u32_e32 v14, v15, v14
	v_cndmask_b32_e64 v16, v14, v1, s[2:3]
	ds_write_b32 v18, v16
	; wave barrier
	ds_read2_b32 v[14:15], v18 offset0:1 offset1:2
	ds_read_b32 v17, v18 offset:12
	s_waitcnt lgkmcnt(1)
	v_add_u32_e32 v14, v14, v16
	v_add_u32_e32 v15, v15, v14
	ds_write2_b32 v18, v14, v15 offset0:1 offset1:2
	s_waitcnt lgkmcnt(1)
	v_add_u32_e32 v14, v17, v15
	ds_write_b32 v18, v14 offset:12
.LBB48_25:                              ;   in Loop: Header=BB48_21 Depth=1
	s_or_b64 exec, exec, s[14:15]
	v_mov_b32_e32 v15, 0
	s_waitcnt lgkmcnt(0)
	s_barrier
	s_and_saveexec_b64 s[14:15], s[0:1]
; %bb.26:                               ;   in Loop: Header=BB48_21 Depth=1
	ds_read_b32 v15, v11
; %bb.27:                               ;   in Loop: Header=BB48_21 Depth=1
	s_or_b64 exec, exec, s[14:15]
	ds_read_b32 v14, v5 offset:1048
	v_cmp_ne_u32_e32 vcc, 0, v1
	s_waitcnt lgkmcnt(0)
	s_barrier
	s_and_saveexec_b64 s[14:15], vcc
	s_cbranch_execz .LBB48_29
; %bb.28:                               ;   in Loop: Header=BB48_21 Depth=1
	v_add_u32_e32 v1, v15, v3
	v_mul_lo_u32 v15, v1, s22
	v_mov_b32_e32 v16, v5
	v_mov_b32_e32 v17, s19
	;; [unrolled: 1-line block ×3, first 2 shown]
	v_lshlrev_b64 v[15:16], 3, v[15:16]
	v_add_co_u32_e32 v15, vcc, s18, v15
	v_addc_co_u32_e32 v16, vcc, v17, v16, vcc
	v_mul_lo_u32 v17, v1, s8
	global_store_dwordx2 v[15:16], v[6:7], off
	v_mov_b32_e32 v1, v5
	v_lshlrev_b64 v[15:16], 3, v[17:18]
	v_mov_b32_e32 v17, s21
	v_add_co_u32_e32 v15, vcc, s20, v15
	v_addc_co_u32_e32 v16, vcc, v17, v16, vcc
	global_store_dwordx2 v[15:16], v[0:1], off
.LBB48_29:                              ;   in Loop: Header=BB48_21 Depth=1
	s_or_b64 exec, exec, s[14:15]
	v_cmp_le_u32_e32 vcc, s13, v2
	s_cbranch_vccnz .LBB48_20
; %bb.30:                               ;   in Loop: Header=BB48_21 Depth=1
	ds_write_b32 v8, v13
	s_waitcnt vmcnt(0) lgkmcnt(0)
	s_barrier
	s_and_saveexec_b64 s[14:15], s[4:5]
	s_cbranch_execz .LBB48_32
; %bb.31:                               ;   in Loop: Header=BB48_21 Depth=1
	v_add_u32_e32 v1, v9, v10
	ds_read2_b32 v[15:16], v1 offset1:1
	ds_read2_b32 v[17:18], v1 offset0:2 offset1:3
	v_and_b32_e32 v19, 15, v12
	v_cmp_ne_u32_e32 vcc, 0, v19
	s_waitcnt lgkmcnt(1)
	v_add_u32_e32 v16, v16, v15
	s_waitcnt lgkmcnt(0)
	v_add3_u32 v16, v16, v17, v18
	v_bfe_i32 v18, v12, 4, 1
	; wave barrier
	s_nop 0
	v_mov_b32_dpp v17, v16 row_shr:1 row_mask:0xf bank_mask:0xf
	v_cndmask_b32_e32 v17, 0, v17, vcc
	v_add_u32_e32 v16, v17, v16
	v_cmp_lt_u32_e32 vcc, 1, v19
	s_nop 0
	v_mov_b32_dpp v17, v16 row_shr:2 row_mask:0xf bank_mask:0xf
	v_cndmask_b32_e32 v17, 0, v17, vcc
	v_add_u32_e32 v16, v16, v17
	v_cmp_lt_u32_e32 vcc, 3, v19
	;; [unrolled: 5-line block ×4, first 2 shown]
	s_nop 0
	v_mov_b32_dpp v17, v16 row_bcast:15 row_mask:0xf bank_mask:0xf
	v_and_b32_e32 v17, v18, v17
	v_add_u32_e32 v16, v16, v17
	v_and_b32_e32 v18, 64, v12
	s_nop 0
	v_mov_b32_dpp v17, v16 row_bcast:31 row_mask:0xf bank_mask:0xf
	v_cndmask_b32_e32 v17, 0, v17, vcc
	v_add_u32_e32 v16, v16, v17
	v_add_u32_e32 v17, -1, v12
	v_cmp_lt_i32_e32 vcc, v17, v18
	v_cndmask_b32_e32 v17, v17, v12, vcc
	v_lshlrev_b32_e32 v17, 2, v17
	ds_bpermute_b32 v16, v17, v16
	s_waitcnt lgkmcnt(0)
	v_add_u32_e32 v15, v16, v15
	v_cndmask_b32_e64 v17, v15, v13, s[2:3]
	ds_write_b32 v1, v17
	; wave barrier
	ds_read2_b32 v[15:16], v1 offset0:1 offset1:2
	ds_read_b32 v18, v1 offset:12
	s_waitcnt lgkmcnt(1)
	v_add_u32_e32 v15, v15, v17
	v_add_u32_e32 v16, v16, v15
	ds_write2_b32 v1, v15, v16 offset0:1 offset1:2
	s_waitcnt lgkmcnt(1)
	v_add_u32_e32 v15, v18, v16
	ds_write_b32 v1, v15 offset:12
.LBB48_32:                              ;   in Loop: Header=BB48_21 Depth=1
	s_or_b64 exec, exec, s[14:15]
	v_mov_b32_e32 v1, 0
	s_waitcnt lgkmcnt(0)
	s_barrier
	s_and_saveexec_b64 s[14:15], s[0:1]
; %bb.33:                               ;   in Loop: Header=BB48_21 Depth=1
	ds_read_b32 v1, v11
; %bb.34:                               ;   in Loop: Header=BB48_21 Depth=1
	s_or_b64 exec, exec, s[14:15]
	ds_read_b32 v15, v5 offset:1048
	v_cmp_ne_u32_e32 vcc, 0, v13
	s_waitcnt lgkmcnt(0)
	s_barrier
	s_and_saveexec_b64 s[14:15], vcc
	s_cbranch_execz .LBB48_19
; %bb.35:                               ;   in Loop: Header=BB48_21 Depth=1
	v_add_u32_e32 v1, v1, v2
	v_cmp_gt_u32_e32 vcc, s13, v1
	s_and_b64 exec, exec, vcc
	s_cbranch_execz .LBB48_19
; %bb.36:                               ;   in Loop: Header=BB48_21 Depth=1
	v_mul_lo_u32 v16, v1, s22
	v_mov_b32_e32 v17, v5
	v_mul_lo_u32 v18, v1, s8
	v_mov_b32_e32 v13, s19
	v_lshlrev_b64 v[16:17], 3, v[16:17]
	v_mov_b32_e32 v19, v5
	v_add_co_u32_e32 v16, vcc, s18, v16
	v_addc_co_u32_e32 v17, vcc, v13, v17, vcc
	global_store_dwordx2 v[16:17], v[6:7], off
	v_lshlrev_b64 v[16:17], 3, v[18:19]
	v_mov_b32_e32 v13, s21
	v_add_co_u32_e32 v16, vcc, s20, v16
	v_mov_b32_e32 v1, v5
	v_addc_co_u32_e32 v17, vcc, v13, v17, vcc
	global_store_dwordx2 v[16:17], v[0:1], off
	s_branch .LBB48_19
.LBB48_37:                              ;   in Loop: Header=BB48_38 Depth=1
	s_add_u32 s28, s28, 4
	s_addc_u32 s29, s29, 0
	s_waitcnt lgkmcnt(0)
	s_add_i32 s57, s15, s57
	s_add_u32 s30, s30, 4
	s_addc_u32 s31, s31, 0
	s_add_i32 s14, s14, 1
	s_cmp_lt_u32 s14, s10
	s_cbranch_scc0 .LBB48_16
.LBB48_38:                              ; =>This Inner Loop Header: Depth=1
	s_load_dword s15, s[28:29], 0x0
	s_cmp_ge_u32 s14, s11
	s_cbranch_scc1 .LBB48_37
; %bb.39:                               ;   in Loop: Header=BB48_38 Depth=1
	s_load_dword s48, s[30:31], 0x0
	s_waitcnt lgkmcnt(0)
	s_add_i32 s45, s15, s45
	s_add_i32 s56, s48, s56
	s_branch .LBB48_37
.LBB48_40:
	s_endpgm
	.section	.rodata,"a",@progbits
	.p2align	6, 0x0
	.amdhsa_kernel _ZN2at6native6mbtopk10gatherTopKIljLi3EEEvNS_4cuda6detail10TensorInfoIKT_T0_EES8_S8_bjS8_NS5_IS6_S8_EES8_NS5_IlS8_EES8_jjPS6_PjSD_j
		.amdhsa_group_segment_fixed_size 1068
		.amdhsa_private_segment_fixed_size 0
		.amdhsa_kernarg_size 984
		.amdhsa_user_sgpr_count 6
		.amdhsa_user_sgpr_private_segment_buffer 1
		.amdhsa_user_sgpr_dispatch_ptr 0
		.amdhsa_user_sgpr_queue_ptr 0
		.amdhsa_user_sgpr_kernarg_segment_ptr 1
		.amdhsa_user_sgpr_dispatch_id 0
		.amdhsa_user_sgpr_flat_scratch_init 0
		.amdhsa_user_sgpr_private_segment_size 0
		.amdhsa_uses_dynamic_stack 0
		.amdhsa_system_sgpr_private_segment_wavefront_offset 0
		.amdhsa_system_sgpr_workgroup_id_x 1
		.amdhsa_system_sgpr_workgroup_id_y 1
		.amdhsa_system_sgpr_workgroup_id_z 1
		.amdhsa_system_sgpr_workgroup_info 0
		.amdhsa_system_vgpr_workitem_id 0
		.amdhsa_next_free_vgpr 20
		.amdhsa_next_free_sgpr 61
		.amdhsa_reserve_vcc 1
		.amdhsa_reserve_flat_scratch 0
		.amdhsa_float_round_mode_32 0
		.amdhsa_float_round_mode_16_64 0
		.amdhsa_float_denorm_mode_32 3
		.amdhsa_float_denorm_mode_16_64 3
		.amdhsa_dx10_clamp 1
		.amdhsa_ieee_mode 1
		.amdhsa_fp16_overflow 0
		.amdhsa_exception_fp_ieee_invalid_op 0
		.amdhsa_exception_fp_denorm_src 0
		.amdhsa_exception_fp_ieee_div_zero 0
		.amdhsa_exception_fp_ieee_overflow 0
		.amdhsa_exception_fp_ieee_underflow 0
		.amdhsa_exception_fp_ieee_inexact 0
		.amdhsa_exception_int_div_zero 0
	.end_amdhsa_kernel
	.section	.text._ZN2at6native6mbtopk10gatherTopKIljLi3EEEvNS_4cuda6detail10TensorInfoIKT_T0_EES8_S8_bjS8_NS5_IS6_S8_EES8_NS5_IlS8_EES8_jjPS6_PjSD_j,"axG",@progbits,_ZN2at6native6mbtopk10gatherTopKIljLi3EEEvNS_4cuda6detail10TensorInfoIKT_T0_EES8_S8_bjS8_NS5_IS6_S8_EES8_NS5_IlS8_EES8_jjPS6_PjSD_j,comdat
.Lfunc_end48:
	.size	_ZN2at6native6mbtopk10gatherTopKIljLi3EEEvNS_4cuda6detail10TensorInfoIKT_T0_EES8_S8_bjS8_NS5_IS6_S8_EES8_NS5_IlS8_EES8_jjPS6_PjSD_j, .Lfunc_end48-_ZN2at6native6mbtopk10gatherTopKIljLi3EEEvNS_4cuda6detail10TensorInfoIKT_T0_EES8_S8_bjS8_NS5_IS6_S8_EES8_NS5_IlS8_EES8_jjPS6_PjSD_j
                                        ; -- End function
	.set _ZN2at6native6mbtopk10gatherTopKIljLi3EEEvNS_4cuda6detail10TensorInfoIKT_T0_EES8_S8_bjS8_NS5_IS6_S8_EES8_NS5_IlS8_EES8_jjPS6_PjSD_j.num_vgpr, 20
	.set _ZN2at6native6mbtopk10gatherTopKIljLi3EEEvNS_4cuda6detail10TensorInfoIKT_T0_EES8_S8_bjS8_NS5_IS6_S8_EES8_NS5_IlS8_EES8_jjPS6_PjSD_j.num_agpr, 0
	.set _ZN2at6native6mbtopk10gatherTopKIljLi3EEEvNS_4cuda6detail10TensorInfoIKT_T0_EES8_S8_bjS8_NS5_IS6_S8_EES8_NS5_IlS8_EES8_jjPS6_PjSD_j.numbered_sgpr, 61
	.set _ZN2at6native6mbtopk10gatherTopKIljLi3EEEvNS_4cuda6detail10TensorInfoIKT_T0_EES8_S8_bjS8_NS5_IS6_S8_EES8_NS5_IlS8_EES8_jjPS6_PjSD_j.num_named_barrier, 0
	.set _ZN2at6native6mbtopk10gatherTopKIljLi3EEEvNS_4cuda6detail10TensorInfoIKT_T0_EES8_S8_bjS8_NS5_IS6_S8_EES8_NS5_IlS8_EES8_jjPS6_PjSD_j.private_seg_size, 0
	.set _ZN2at6native6mbtopk10gatherTopKIljLi3EEEvNS_4cuda6detail10TensorInfoIKT_T0_EES8_S8_bjS8_NS5_IS6_S8_EES8_NS5_IlS8_EES8_jjPS6_PjSD_j.uses_vcc, 1
	.set _ZN2at6native6mbtopk10gatherTopKIljLi3EEEvNS_4cuda6detail10TensorInfoIKT_T0_EES8_S8_bjS8_NS5_IS6_S8_EES8_NS5_IlS8_EES8_jjPS6_PjSD_j.uses_flat_scratch, 0
	.set _ZN2at6native6mbtopk10gatherTopKIljLi3EEEvNS_4cuda6detail10TensorInfoIKT_T0_EES8_S8_bjS8_NS5_IS6_S8_EES8_NS5_IlS8_EES8_jjPS6_PjSD_j.has_dyn_sized_stack, 0
	.set _ZN2at6native6mbtopk10gatherTopKIljLi3EEEvNS_4cuda6detail10TensorInfoIKT_T0_EES8_S8_bjS8_NS5_IS6_S8_EES8_NS5_IlS8_EES8_jjPS6_PjSD_j.has_recursion, 0
	.set _ZN2at6native6mbtopk10gatherTopKIljLi3EEEvNS_4cuda6detail10TensorInfoIKT_T0_EES8_S8_bjS8_NS5_IS6_S8_EES8_NS5_IlS8_EES8_jjPS6_PjSD_j.has_indirect_call, 0
	.section	.AMDGPU.csdata,"",@progbits
; Kernel info:
; codeLenInByte = 2732
; TotalNumSgprs: 65
; NumVgprs: 20
; ScratchSize: 0
; MemoryBound: 0
; FloatMode: 240
; IeeeMode: 1
; LDSByteSize: 1068 bytes/workgroup (compile time only)
; SGPRBlocks: 8
; VGPRBlocks: 4
; NumSGPRsForWavesPerEU: 65
; NumVGPRsForWavesPerEU: 20
; Occupancy: 10
; WaveLimiterHint : 1
; COMPUTE_PGM_RSRC2:SCRATCH_EN: 0
; COMPUTE_PGM_RSRC2:USER_SGPR: 6
; COMPUTE_PGM_RSRC2:TRAP_HANDLER: 0
; COMPUTE_PGM_RSRC2:TGID_X_EN: 1
; COMPUTE_PGM_RSRC2:TGID_Y_EN: 1
; COMPUTE_PGM_RSRC2:TGID_Z_EN: 1
; COMPUTE_PGM_RSRC2:TIDIG_COMP_CNT: 0
	.section	.text._ZN2at6native6sbtopk10gatherTopKIljLi3ELb0EEEvNS_4cuda6detail10TensorInfoIKT_T0_EES8_S8_bS8_S8_NS5_IS6_S8_EES8_NS5_IlS8_EES8_PS6_,"axG",@progbits,_ZN2at6native6sbtopk10gatherTopKIljLi3ELb0EEEvNS_4cuda6detail10TensorInfoIKT_T0_EES8_S8_bS8_S8_NS5_IS6_S8_EES8_NS5_IlS8_EES8_PS6_,comdat
	.protected	_ZN2at6native6sbtopk10gatherTopKIljLi3ELb0EEEvNS_4cuda6detail10TensorInfoIKT_T0_EES8_S8_bS8_S8_NS5_IS6_S8_EES8_NS5_IlS8_EES8_PS6_ ; -- Begin function _ZN2at6native6sbtopk10gatherTopKIljLi3ELb0EEEvNS_4cuda6detail10TensorInfoIKT_T0_EES8_S8_bS8_S8_NS5_IS6_S8_EES8_NS5_IlS8_EES8_PS6_
	.globl	_ZN2at6native6sbtopk10gatherTopKIljLi3ELb0EEEvNS_4cuda6detail10TensorInfoIKT_T0_EES8_S8_bS8_S8_NS5_IS6_S8_EES8_NS5_IlS8_EES8_PS6_
	.p2align	8
	.type	_ZN2at6native6sbtopk10gatherTopKIljLi3ELb0EEEvNS_4cuda6detail10TensorInfoIKT_T0_EES8_S8_bS8_S8_NS5_IS6_S8_EES8_NS5_IlS8_EES8_PS6_,@function
_ZN2at6native6sbtopk10gatherTopKIljLi3ELb0EEEvNS_4cuda6detail10TensorInfoIKT_T0_EES8_S8_bS8_S8_NS5_IS6_S8_EES8_NS5_IlS8_EES8_PS6_: ; @_ZN2at6native6sbtopk10gatherTopKIljLi3ELb0EEEvNS_4cuda6detail10TensorInfoIKT_T0_EES8_S8_bS8_S8_NS5_IS6_S8_EES8_NS5_IlS8_EES8_PS6_
; %bb.0:
	s_load_dwordx2 s[14:15], s[4:5], 0x2b8
	s_load_dwordx4 s[28:31], s[4:5], 0xd8
	s_add_u32 s12, s4, 0x2b8
	s_addc_u32 s13, s5, 0
	s_waitcnt lgkmcnt(0)
	s_mul_i32 s0, s15, s8
	s_add_i32 s0, s0, s7
	s_mul_i32 s0, s0, s14
	s_add_i32 s15, s0, s6
	s_cmp_ge_u32 s15, s31
	s_cbranch_scc1 .LBB49_398
; %bb.1:
	s_load_dwordx4 s[0:3], s[4:5], 0x23c
                                        ; implicit-def: $vgpr46 : SGPR spill to VGPR lane
	s_load_dwordx2 s[16:17], s[4:5], 0xc
	s_load_dwordx2 s[10:11], s[4:5], 0x0
	s_mov_b32 s49, 0
	s_load_dword s53, s[4:5], 0xe8
	s_waitcnt lgkmcnt(0)
	v_writelane_b32 v46, s0, 0
	v_writelane_b32 v46, s1, 1
	;; [unrolled: 1-line block ×4, first 2 shown]
	s_load_dwordx2 s[18:19], s[4:5], 0x1dc
	s_load_dwordx2 s[0:1], s[4:5], 0x1d0
	v_cvt_f32_u32_e32 v1, s17
	v_cvt_f32_u32_e32 v2, s16
	s_waitcnt lgkmcnt(0)
	v_writelane_b32 v46, s0, 4
	v_writelane_b32 v46, s1, 5
	s_load_dwordx4 s[0:3], s[4:5], 0x15c
	v_rcp_iflag_f32_e32 v1, v1
	v_mul_f32_e32 v1, 0x4f7ffffe, v1
	s_waitcnt lgkmcnt(0)
	v_writelane_b32 v46, s0, 6
	v_writelane_b32 v46, s1, 7
	;; [unrolled: 1-line block ×4, first 2 shown]
	s_load_dwordx2 s[20:21], s[4:5], 0xfc
	s_load_dwordx2 s[0:1], s[4:5], 0xf0
	v_cvt_u32_f32_e32 v1, v1
	s_waitcnt lgkmcnt(0)
	v_writelane_b32 v46, s0, 10
	v_writelane_b32 v46, s1, 11
	;; [unrolled: 1-line block ×3, first 2 shown]
	s_load_dwordx4 s[0:3], s[4:5], 0x6c
	v_writelane_b32 v46, s5, 13
	s_waitcnt lgkmcnt(0)
	s_sub_i32 s3, 0, s17
	v_readfirstlane_b32 s4, v1
	s_mul_i32 s3, s3, s4
	s_mul_hi_u32 s3, s4, s3
	s_add_i32 s4, s4, s3
	v_rcp_iflag_f32_e32 v1, v2
	s_mul_hi_u32 s3, s15, s4
	v_cvt_f32_u32_e32 v2, s21
	s_mul_i32 s4, s3, s17
	s_sub_i32 s4, s15, s4
	s_add_i32 s5, s3, 1
	s_sub_i32 s7, s4, s17
	v_mul_f32_e32 v1, 0x4f7ffffe, v1
	s_cmp_ge_u32 s4, s17
	v_cvt_u32_f32_e32 v1, v1
	v_rcp_iflag_f32_e32 v2, v2
	s_cselect_b32 s3, s5, s3
	s_cselect_b32 s4, s7, s4
	s_add_i32 s5, s3, 1
	s_cmp_ge_u32 s4, s17
	s_cselect_b32 s3, s5, s3
	v_readfirstlane_b32 s5, v1
	v_mul_f32_e32 v1, 0x4f7ffffe, v2
	v_cvt_u32_f32_e32 v1, v1
	s_sub_i32 s4, 0, s16
	s_mul_i32 s4, s4, s5
	s_mul_hi_u32 s4, s5, s4
	v_readfirstlane_b32 s7, v1
	v_cvt_f32_u32_e32 v1, s20
	s_add_i32 s5, s5, s4
	s_mul_hi_u32 s4, s3, s5
	s_sub_i32 s5, 0, s21
	s_mul_i32 s5, s5, s7
	s_mul_hi_u32 s5, s7, s5
	v_rcp_iflag_f32_e32 v1, v1
	s_add_i32 s7, s7, s5
	v_cvt_f32_u32_e32 v2, s19
	s_mul_hi_u32 s5, s15, s7
	s_mul_i32 s7, s5, s21
	s_sub_i32 s7, s15, s7
	v_mul_f32_e32 v1, 0x4f7ffffe, v1
	s_add_i32 s8, s5, 1
	s_sub_i32 s9, s7, s21
	v_cvt_u32_f32_e32 v1, v1
	v_rcp_iflag_f32_e32 v2, v2
	s_cmp_ge_u32 s7, s21
	s_cselect_b32 s5, s8, s5
	s_cselect_b32 s7, s9, s7
	s_add_i32 s8, s5, 1
	s_cmp_ge_u32 s7, s21
	v_readfirstlane_b32 s7, v1
	v_mul_f32_e32 v1, 0x4f7ffffe, v2
	s_cselect_b32 s8, s8, s5
	v_writelane_b32 v46, s20, 14
	s_sub_i32 s5, 0, s20
	v_cvt_u32_f32_e32 v1, v1
	s_mul_i32 s5, s5, s7
	s_mul_hi_u32 s5, s7, s5
	v_writelane_b32 v46, s21, 15
	s_add_i32 s7, s7, s5
	v_writelane_b32 v46, s8, 16
	s_mul_hi_u32 s5, s8, s7
	v_readfirstlane_b32 s7, v1
	v_cvt_f32_u32_e32 v1, s18
	v_writelane_b32 v46, s5, 17
	s_sub_i32 s5, 0, s19
	s_mul_i32 s5, s5, s7
	s_mul_hi_u32 s5, s7, s5
	s_add_i32 s7, s7, s5
	v_rcp_iflag_f32_e32 v1, v1
	s_mul_hi_u32 s5, s15, s7
	s_mul_i32 s7, s5, s19
	s_sub_i32 s7, s15, s7
	s_add_i32 s8, s5, 1
	s_sub_i32 s9, s7, s19
	v_mul_f32_e32 v1, 0x4f7ffffe, v1
	s_cmp_ge_u32 s7, s19
	v_cvt_u32_f32_e32 v1, v1
	s_cselect_b32 s5, s8, s5
	s_cselect_b32 s7, s9, s7
	s_add_i32 s8, s5, 1
	s_cmp_ge_u32 s7, s19
	s_cselect_b32 s8, s8, s5
	v_writelane_b32 v46, s18, 18
	s_sub_i32 s5, 0, s18
	v_readfirstlane_b32 s7, v1
	s_mul_i32 s5, s5, s7
	s_mul_hi_u32 s5, s7, s5
	v_writelane_b32 v46, s19, 19
	s_add_i32 s7, s7, s5
	v_writelane_b32 v46, s8, 20
	s_mul_hi_u32 s5, s8, s7
	v_writelane_b32 v46, s5, 21
	v_cmp_eq_u32_e64 s[18:19], 0, v0
	s_mov_b64 s[8:9], exec
	v_writelane_b32 v46, s18, 22
	v_writelane_b32 v46, s19, 23
	s_and_b64 s[18:19], s[8:9], s[18:19]
	s_mov_b64 exec, s[18:19]
; %bb.2:
	v_mov_b32_e32 v1, 0
	v_mov_b32_e32 v2, s28
	;; [unrolled: 1-line block ×3, first 2 shown]
	ds_write_b96 v1, v[1:3] offset:4096
; %bb.3:
	s_or_b64 exec, exec, s[8:9]
	s_mul_i32 s5, s3, s17
	s_sub_i32 s5, s15, s5
	s_mul_i32 s5, s5, s2
	s_mul_i32 s2, s4, s16
	s_sub_i32 s2, s3, s2
	s_add_i32 s7, s4, 1
	s_sub_i32 s8, s2, s16
	s_cmp_ge_u32 s2, s16
	s_cselect_b32 s4, s7, s4
	s_cselect_b32 s2, s8, s2
	s_add_i32 s7, s4, 1
	s_cmp_ge_u32 s2, s16
	s_cselect_b32 s2, s7, s4
	s_mul_i32 s4, s2, s16
	s_sub_i32 s3, s3, s4
	s_mul_i32 s1, s3, s1
	s_add_i32 s1, s1, s5
	s_mul_i32 s2, s2, s0
	s_add_i32 s48, s1, s2
	s_lshl_b64 s[0:1], s[48:49], 3
	s_add_u32 s33, s10, s0
	s_waitcnt lgkmcnt(0)
	s_barrier
	s_load_dword s0, s[12:13], 0xc
	s_addc_u32 s48, s11, s1
	s_bitcmp1_b32 s30, 0
	v_writelane_b32 v46, s15, 24
	s_cselect_b64 s[2:3], -1, 0
	v_mbcnt_lo_u32_b32 v1, -1, 0
	v_writelane_b32 v46, s2, 25
	v_mbcnt_hi_u32_b32 v29, -1, v1
	v_mul_lo_u32 v12, s53, v0
	v_writelane_b32 v46, s3, 26
	s_xor_b64 s[30:31], s[2:3], -1
	s_waitcnt lgkmcnt(0)
	s_and_b32 s54, s0, 0xffff
	v_cmp_gt_u32_e32 vcc, 64, v0
	v_cmp_gt_i32_e64 s[2:3], 4, v29
	s_lshl_b32 s15, s54, 2
	s_bfe_u32 s4, s0, 0xa0006
	s_and_b64 s[50:51], vcc, s[2:3]
	v_mov_b32_e32 v14, 0
	s_cmpk_gt_u32 s28, 0x180
	v_mov_b32_e32 v13, v14
	s_cselect_b64 s[2:3], -1, 0
	v_lshlrev_b64 v[1:2], 3, v[12:13]
	v_writelane_b32 v46, s2, 27
	v_writelane_b32 v46, s3, 28
	v_cmp_gt_u32_e64 s[2:3], s28, v0
	v_mov_b32_e32 v3, s48
	v_add_co_u32_e32 v10, vcc, s33, v1
	v_writelane_b32 v46, s2, 29
	v_addc_co_u32_e32 v11, vcc, v3, v2, vcc
	s_cmp_gt_u32 s54, 63
	v_lshlrev_b64 v[2:3], v29, -1
	v_writelane_b32 v46, s3, 30
	s_cselect_b64 s[2:3], -1, 0
	v_writelane_b32 v46, s2, 31
	v_not_b32_e32 v27, v2
	v_lshrrev_b32_e32 v2, 2, v0
	v_writelane_b32 v46, s3, 32
	v_cmp_gt_u32_e64 s[2:3], 2, v0
	v_and_b32_e32 v2, 0xf0, v2
	v_writelane_b32 v46, s2, 33
	s_add_i32 s52, s54, -1
	v_or_b32_e32 v32, 0xc00, v2
	v_cvt_f32_u32_e32 v2, s15
	v_writelane_b32 v46, s3, 34
	s_add_i32 s2, s52, s28
	s_cmp_lt_u32 s6, s14
	s_cselect_b32 s3, 12, 18
	s_add_u32 s6, s12, s3
	v_rcp_iflag_f32_e32 v2, v2
	s_addc_u32 s7, s13, 0
	s_add_i32 s3, s4, -1
	s_bfe_u32 s5, s54, 0x30006
	s_and_b32 s3, s3, 0xffff
	v_writelane_b32 v46, s6, 35
	s_cmp_gt_u32 s3, 6
	v_writelane_b32 v46, s7, 36
	s_cselect_b64 s[6:7], -1, 0
	v_mul_f32_e32 v2, 0x4f7ffffe, v2
	v_writelane_b32 v46, s6, 37
	s_and_b32 s14, s4, 0x3f8
	v_cvt_u32_f32_e32 v2, v2
	v_writelane_b32 v46, s7, 38
	s_cmp_lg_u32 s5, 0
	v_writelane_b32 v46, s5, 39
	s_cselect_b64 s[4:5], -1, 0
	v_writelane_b32 v46, s4, 40
	v_writelane_b32 v46, s5, 41
	s_sub_i32 s3, 0, s15
	v_readfirstlane_b32 s4, v2
	s_mul_i32 s3, s3, s4
	s_mul_hi_u32 s3, s4, s3
	s_add_i32 s3, s4, s3
	v_writelane_b32 v46, s3, 42
	s_mul_hi_u32 s3, s28, s3
	s_mul_i32 s3, s3, s15
	v_cvt_f32_u32_e32 v2, s54
	s_sub_i32 s3, s28, s3
	s_sub_i32 s4, s3, s15
	s_cmp_ge_u32 s3, s15
	s_cselect_b32 s3, s4, s3
	v_rcp_iflag_f32_e32 v4, v2
	s_sub_i32 s4, s3, s15
	s_cmp_ge_u32 s3, s15
	s_cselect_b32 s3, s4, s3
	v_lshlrev_b32_e32 v28, 2, v0
	s_sub_i32 s13, s28, s3
	v_mul_f32_e32 v4, 0x4f7ffffe, v4
	v_cmp_gt_u32_e64 s[4:5], s13, v28
	v_cvt_u32_f32_e32 v4, v4
	v_add_u32_e32 v33, s13, v0
	v_writelane_b32 v46, s4, 43
	v_writelane_b32 v46, s5, 44
	v_cmp_gt_u32_e64 s[4:5], s28, v33
	v_writelane_b32 v46, s4, 45
	v_writelane_b32 v46, s5, 46
	s_sub_i32 s4, 0, s54
	v_readfirstlane_b32 s5, v4
	s_mul_i32 s4, s4, s5
	v_mul_lo_u32 v13, v33, s53
	s_mul_hi_u32 s4, s5, s4
	s_add_i32 s4, s5, s4
	v_writelane_b32 v46, s4, 47
	s_mul_hi_u32 s4, s2, s4
	s_mul_i32 s4, s4, s54
	v_not_b32_e32 v26, v3
	v_lshlrev_b64 v[2:3], 3, v[13:14]
	s_sub_i32 s4, s2, s4
	s_sub_i32 s5, s4, s54
	v_add_co_u32_e32 v15, vcc, s33, v2
	s_cmp_ge_u32 s4, s54
	v_mul_lo_u32 v2, s53, v28
	s_cselect_b32 s4, s5, s4
	s_sub_i32 s5, s4, s54
	s_cmp_ge_u32 s4, s54
	s_cselect_b32 s4, s5, s4
	v_add_u32_e32 v34, s53, v2
	v_or_b32_e32 v2, 2, v28
	s_sub_i32 s12, s2, s4
	v_mul_lo_u32 v35, s53, v2
	v_or_b32_e32 v2, 3, v28
	s_add_i32 s2, s54, s28
	v_mul_lo_u32 v36, s53, v2
	v_add_u32_e32 v2, s2, v0
	v_subrev_u32_e32 v2, s3, v2
	v_mul_lo_u32 v38, s53, v2
	v_mov_b32_e32 v5, s48
	v_lshlrev_b32_e32 v30, 3, v0
	v_lshlrev_b32_e32 v1, 2, v29
	v_addc_co_u32_e32 v16, vcc, v5, v3, vcc
	v_cmp_gt_u32_e64 s[4:5], s12, v0
	s_mul_i32 s55, s53, s54
	v_mov_b32_e32 v17, 0
	v_mov_b32_e32 v19, 0
	;; [unrolled: 1-line block ×3, first 2 shown]
	v_cmp_eq_u32_e64 s[0:1], 0, v29
	v_add_u32_e32 v31, 0xc00, v30
	v_and_b32_e32 v25, 0x100, v1
	v_writelane_b32 v46, s4, 48
	s_lshl_b32 s56, s55, 2
	v_lshlrev_b32_e32 v37, 2, v12
	v_lshlrev_b32_e32 v39, 5, v0
	s_lshl_b32 s57, s54, 5
	s_lshl_b32 s10, s54, 3
	v_or_b32_e32 v40, 0xc00, v1
	s_mov_b32 s11, 62
	s_mov_b64 s[62:63], 0
	v_mov_b32_e32 v41, s29
	v_mov_b32_e32 v18, 0
	;; [unrolled: 1-line block ×5, first 2 shown]
	v_writelane_b32 v46, s5, 49
                                        ; implicit-def: $sgpr64_sgpr65
                                        ; implicit-def: $sgpr66_sgpr67
                                        ; implicit-def: $sgpr70_sgpr71
                                        ; implicit-def: $sgpr72_sgpr73
                                        ; implicit-def: $sgpr68_sgpr69
                                        ; implicit-def: $sgpr74_sgpr75
                                        ; implicit-def: $sgpr76_sgpr77
                                        ; implicit-def: $sgpr78_sgpr79
                                        ; implicit-def: $sgpr80_sgpr81
                                        ; implicit-def: $sgpr82_sgpr83
	s_branch .LBB49_6
.LBB49_4:                               ;   in Loop: Header=BB49_6 Depth=1
	s_or_b64 exec, exec, s[16:17]
	s_andn2_b64 s[4:5], s[82:83], exec
	s_and_b64 s[8:9], s[8:9], exec
	s_or_b64 s[82:83], s[4:5], s[8:9]
	s_andn2_b64 s[80:81], s[80:81], exec
	s_andn2_b64 s[78:79], s[78:79], exec
	;; [unrolled: 1-line block ×4, first 2 shown]
	s_orn2_b64 s[6:7], s[6:7], exec
	v_mov_b32_e32 v41, v24
.LBB49_5:                               ;   in Loop: Header=BB49_6 Depth=1
	s_or_b64 exec, exec, s[2:3]
	s_and_b64 s[2:3], exec, s[6:7]
	s_or_b64 s[62:63], s[2:3], s[62:63]
	s_andn2_b64 s[2:3], s[68:69], exec
	s_and_b64 s[4:5], s[82:83], exec
	s_or_b64 s[68:69], s[2:3], s[4:5]
	s_andn2_b64 s[2:3], s[72:73], exec
	s_and_b64 s[4:5], s[80:81], exec
	;; [unrolled: 3-line block ×5, first 2 shown]
	s_or_b64 s[64:65], s[2:3], s[4:5]
	s_andn2_b64 exec, exec, s[62:63]
	s_cbranch_execz .LBB49_394
.LBB49_6:                               ; =>This Loop Header: Depth=1
                                        ;     Child Loop BB49_12 Depth 2
                                        ;     Child Loop BB49_25 Depth 2
	;; [unrolled: 1-line block ×24, first 2 shown]
	ds_read_b64 v[1:2], v14 offset:4096
	s_waitcnt lgkmcnt(0)
	v_readfirstlane_b32 s4, v1
	s_cmp_lg_u32 s4, 0
	s_cbranch_scc1 .LBB49_33
; %bb.7:                                ;   in Loop: Header=BB49_6 Depth=1
	v_readlane_b32 s2, v46, 27
	v_readlane_b32 s3, v46, 28
	s_and_b64 vcc, exec, s[2:3]
	s_cbranch_vccz .LBB49_20
; %bb.8:                                ;   in Loop: Header=BB49_6 Depth=1
	s_movk_i32 s2, 0x181
	v_cmp_gt_u32_e32 vcc, s2, v2
	s_mov_b64 s[20:21], 0
	s_mov_b64 s[2:3], 0
	s_cbranch_vccz .LBB49_21
; %bb.9:                                ;   in Loop: Header=BB49_6 Depth=1
	s_mov_b64 s[22:23], exec
	v_readlane_b32 s2, v46, 29
	v_readlane_b32 s3, v46, 30
	s_and_b64 s[2:3], s[22:23], s[2:3]
	s_mov_b64 exec, s[2:3]
	s_cbranch_execz .LBB49_81
; %bb.10:                               ;   in Loop: Header=BB49_6 Depth=1
	v_readlane_b32 s2, v46, 35
	v_readlane_b32 s3, v46, 36
	s_nop 4
	global_load_ushort v8, v14, s[2:3]
	global_load_dwordx2 v[1:2], v[10:11], off
	s_mov_b64 s[2:3], 0
	v_mov_b32_e32 v21, v0
	s_waitcnt vmcnt(1)
	v_add_u32_e32 v6, v0, v8
	v_mul_lo_u32 v13, s53, v6
	v_mul_lo_u32 v9, s53, v8
	s_branch .LBB49_12
.LBB49_11:                              ;   in Loop: Header=BB49_12 Depth=2
	s_or_b64 exec, exec, s[6:7]
	v_mov_b32_e32 v1, v6
	v_add_u32_e32 v13, v13, v9
	v_mov_b32_e32 v2, v7
	s_andn2_b64 exec, exec, s[2:3]
	s_cbranch_execz .LBB49_81
.LBB49_12:                              ;   Parent Loop BB49_6 Depth=1
                                        ; =>  This Inner Loop Header: Depth=2
	v_add_u32_e32 v21, v21, v8
	v_mov_b32_e32 v6, 0
	v_cmp_gt_u32_e64 s[6:7], s28, v21
	v_mov_b32_e32 v7, 0
	v_cmp_le_u32_e32 vcc, s28, v21
	s_and_saveexec_b64 s[8:9], s[6:7]
	s_cbranch_execz .LBB49_14
; %bb.13:                               ;   in Loop: Header=BB49_12 Depth=2
	v_lshlrev_b64 v[6:7], 3, v[13:14]
	s_waitcnt lgkmcnt(0)
	v_mov_b32_e32 v22, s48
	v_add_co_u32_e64 v6, s[6:7], s33, v6
	v_addc_co_u32_e64 v7, s[6:7], v22, v7, s[6:7]
	global_load_dwordx2 v[6:7], v[6:7], off
.LBB49_14:                              ;   in Loop: Header=BB49_12 Depth=2
	s_or_b64 exec, exec, s[8:9]
	s_waitcnt vmcnt(0) lgkmcnt(0)
	v_xor_b32_e32 v22, 0x80000000, v2
	v_and_b32_e32 v23, v22, v20
	v_and_b32_e32 v22, v1, v19
	v_cmp_eq_u64_e64 s[18:19], v[22:23], v[17:18]
	v_mov_b32_e32 v22, 0
	s_cmp_lg_u64 s[18:19], 0
	s_cselect_b64 s[4:5], -1, 0
	s_and_b64 s[4:5], s[0:1], s[4:5]
	s_and_saveexec_b64 s[8:9], s[4:5]
	s_cbranch_execz .LBB49_18
; %bb.15:                               ;   in Loop: Header=BB49_12 Depth=2
	s_mov_b64 s[24:25], exec
	v_mbcnt_lo_u32_b32 v22, s24, 0
	v_mbcnt_hi_u32_b32 v22, s25, v22
	s_bcnt1_i32_b64 s4, s[18:19]
	v_cmp_eq_u32_e64 s[6:7], 0, v22
                                        ; implicit-def: $vgpr23
	s_and_saveexec_b64 s[16:17], s[6:7]
; %bb.16:                               ;   in Loop: Header=BB49_12 Depth=2
	s_bcnt1_i32_b64 s5, s[24:25]
	s_mul_i32 s5, s4, s5
	v_mov_b32_e32 v23, s5
	ds_add_rtn_u32 v23, v14, v23 offset:4104
; %bb.17:                               ;   in Loop: Header=BB49_12 Depth=2
	s_or_b64 exec, exec, s[16:17]
	s_waitcnt lgkmcnt(0)
	v_readfirstlane_b32 s5, v23
	v_mov_b32_e32 v23, s5
	v_mad_u32_u24 v22, s4, v22, v23
.LBB49_18:                              ;   in Loop: Header=BB49_12 Depth=2
	s_or_b64 exec, exec, s[8:9]
	ds_bpermute_b32 v22, v25, v22
	s_and_b64 s[4:5], exec, vcc
	s_or_b64 s[2:3], s[4:5], s[2:3]
	s_and_saveexec_b64 s[6:7], s[18:19]
	s_cbranch_execz .LBB49_11
; %bb.19:                               ;   in Loop: Header=BB49_12 Depth=2
	v_and_b32_e32 v24, s18, v27
	v_and_b32_e32 v23, s19, v26
	v_bcnt_u32_b32 v24, v24, 0
	v_bcnt_u32_b32 v23, v23, v24
	v_lshlrev_b32_e32 v23, 3, v23
	s_waitcnt lgkmcnt(0)
	v_lshl_add_u32 v22, v22, 3, v23
	ds_write_b64 v22, v[1:2]
	s_branch .LBB49_11
.LBB49_20:                              ;   in Loop: Header=BB49_6 Depth=1
	s_mov_b64 s[20:21], -1
	s_mov_b64 s[2:3], 0
.LBB49_21:                              ;   in Loop: Header=BB49_6 Depth=1
	s_and_b64 vcc, exec, s[20:21]
	s_cbranch_vccz .LBB49_31
.LBB49_22:                              ;   in Loop: Header=BB49_6 Depth=1
	s_mov_b64 s[2:3], exec
	v_readlane_b32 s4, v46, 29
	v_readlane_b32 s5, v46, 30
	s_and_b64 s[4:5], s[2:3], s[4:5]
	s_mov_b64 exec, s[4:5]
	s_cbranch_execz .LBB49_28
; %bb.23:                               ;   in Loop: Header=BB49_6 Depth=1
	v_readlane_b32 s4, v46, 35
	v_readlane_b32 s5, v46, 36
	s_nop 4
	global_load_ushort v8, v14, s[4:5]
	global_load_dwordx2 v[1:2], v[10:11], off
	v_mov_b32_e32 v9, v0
	s_waitcnt vmcnt(1)
	v_add_u32_e32 v6, v0, v8
	v_cmp_gt_u32_e32 vcc, s28, v6
	s_and_saveexec_b64 s[6:7], vcc
	s_cbranch_execz .LBB49_27
; %bb.24:                               ;   in Loop: Header=BB49_6 Depth=1
	v_mul_lo_u32 v13, s53, v6
	v_mul_lo_u32 v22, s53, v8
	v_lshlrev_b32_e32 v21, 3, v8
	s_mov_b64 s[8:9], 0
	v_mov_b32_e32 v23, v30
	v_mov_b32_e32 v9, v0
.LBB49_25:                              ;   Parent Loop BB49_6 Depth=1
                                        ; =>  This Inner Loop Header: Depth=2
	v_lshlrev_b64 v[6:7], 3, v[13:14]
	v_mov_b32_e32 v24, s48
	v_add_co_u32_e32 v6, vcc, s33, v6
	v_addc_co_u32_e32 v7, vcc, v24, v7, vcc
	global_load_dwordx2 v[6:7], v[6:7], off
	v_add_u32_e32 v9, v9, v8
	s_waitcnt vmcnt(1)
	ds_write_b64 v23, v[1:2]
	v_add_u32_e32 v1, v8, v9
	v_cmp_le_u32_e32 vcc, s28, v1
	v_add_u32_e32 v23, v23, v21
	v_add_u32_e32 v13, v13, v22
	s_or_b64 s[8:9], vcc, s[8:9]
	s_waitcnt vmcnt(0)
	v_mov_b32_e32 v1, v6
	v_mov_b32_e32 v2, v7
	s_andn2_b64 exec, exec, s[8:9]
	s_cbranch_execnz .LBB49_25
; %bb.26:                               ;   in Loop: Header=BB49_6 Depth=1
	s_or_b64 exec, exec, s[8:9]
	v_mov_b32_e32 v1, v6
	v_mov_b32_e32 v2, v7
.LBB49_27:                              ;   in Loop: Header=BB49_6 Depth=1
	s_or_b64 exec, exec, s[6:7]
	v_lshlrev_b32_e32 v6, 3, v9
	s_waitcnt vmcnt(0)
	ds_write_b64 v6, v[1:2]
.LBB49_28:                              ;   in Loop: Header=BB49_6 Depth=1
	s_or_b64 exec, exec, s[2:3]
	s_waitcnt lgkmcnt(0)
	s_barrier
	s_mov_b64 s[2:3], exec
	v_readlane_b32 s4, v46, 22
	v_readlane_b32 s5, v46, 23
	s_and_b64 s[4:5], s[2:3], s[4:5]
	s_mov_b64 exec, s[4:5]
; %bb.29:                               ;   in Loop: Header=BB49_6 Depth=1
	v_mov_b32_e32 v1, s28
	ds_write_b32 v14, v1 offset:4096
; %bb.30:                               ;   in Loop: Header=BB49_6 Depth=1
	s_or_b64 exec, exec, s[2:3]
	s_mov_b64 s[2:3], -1
	s_waitcnt lgkmcnt(0)
	s_barrier
.LBB49_31:                              ;   in Loop: Header=BB49_6 Depth=1
	s_mov_b32 s4, 0
	s_and_b64 vcc, exec, s[2:3]
	s_cbranch_vccz .LBB49_33
; %bb.32:                               ;   in Loop: Header=BB49_6 Depth=1
	ds_read_b32 v1, v14 offset:4096
	s_waitcnt lgkmcnt(0)
	v_readfirstlane_b32 s4, v1
.LBB49_33:                              ;   in Loop: Header=BB49_6 Depth=1
	s_cmp_lt_i32 s4, 1
	s_mov_b64 s[2:3], -1
                                        ; implicit-def: $vgpr6
	s_cbranch_scc1 .LBB49_43
; %bb.34:                               ;   in Loop: Header=BB49_6 Depth=1
	s_and_b64 vcc, exec, s[2:3]
	s_cbranch_vccnz .LBB49_54
.LBB49_35:                              ;   in Loop: Header=BB49_6 Depth=1
	s_lshl_b32 s4, s49, 6
	s_and_saveexec_b64 s[2:3], s[0:1]
.LBB49_36:                              ;   in Loop: Header=BB49_6 Depth=1
	v_lshl_add_u32 v1, s4, 2, v32
	ds_write_b128 v1, v[6:9]
.LBB49_37:                              ;   in Loop: Header=BB49_6 Depth=1
	s_or_b64 exec, exec, s[2:3]
	s_waitcnt lgkmcnt(0)
	s_barrier
	s_and_saveexec_b64 s[2:3], s[50:51]
	s_cbranch_execz .LBB49_68
; %bb.38:                               ;   in Loop: Header=BB49_6 Depth=1
	v_readlane_b32 s6, v46, 31
	v_readlane_b32 s7, v46, 32
	s_andn2_b64 vcc, exec, s[6:7]
	v_mov_b32_e32 v1, 0
	s_cbranch_vccnz .LBB49_67
; %bb.39:                               ;   in Loop: Header=BB49_6 Depth=1
	v_readlane_b32 s6, v46, 37
	v_readlane_b32 s7, v46, 38
	s_andn2_b64 vcc, exec, s[6:7]
	s_cbranch_vccnz .LBB49_63
; %bb.40:                               ;   in Loop: Header=BB49_6 Depth=1
	v_lshl_add_u32 v2, s49, 8, v40
	s_mov_b32 s5, 0
	v_mov_b32_e32 v1, 0
.LBB49_41:                              ;   Parent Loop BB49_6 Depth=1
                                        ; =>  This Inner Loop Header: Depth=2
	ds_read2_b32 v[6:7], v2 offset1:4
	ds_read2_b32 v[8:9], v2 offset0:8 offset1:12
	ds_read2_b32 v[21:22], v2 offset0:16 offset1:20
	;; [unrolled: 1-line block ×3, first 2 shown]
	s_add_i32 s5, s5, 8
	s_waitcnt lgkmcnt(3)
	v_add3_u32 v1, v6, v1, v7
	s_waitcnt lgkmcnt(2)
	v_add3_u32 v1, v8, v1, v9
	;; [unrolled: 2-line block ×3, first 2 shown]
	v_add_u32_e32 v2, 0x80, v2
	s_cmp_eq_u32 s14, s5
	s_waitcnt lgkmcnt(0)
	v_add3_u32 v1, v23, v1, v24
	s_cbranch_scc0 .LBB49_41
; %bb.42:                               ;   in Loop: Header=BB49_6 Depth=1
	s_mov_b32 s5, s14
	s_branch .LBB49_64
.LBB49_43:                              ;   in Loop: Header=BB49_6 Depth=1
	v_mov_b32_e32 v6, 0
	v_mov_b32_e32 v7, 0
	;; [unrolled: 1-line block ×4, first 2 shown]
	s_mov_b64 s[26:27], exec
	v_readlane_b32 s2, v46, 43
	v_readlane_b32 s3, v46, 44
	s_and_b64 s[2:3], s[26:27], s[2:3]
	s_mov_b64 exec, s[2:3]
	s_cbranch_execz .LBB49_47
; %bb.44:                               ;   in Loop: Header=BB49_6 Depth=1
	s_mov_b32 s2, 0
	s_mov_b64 s[84:85], 0
	s_mov_b32 s3, 0
	s_mov_b32 s5, 0
	;; [unrolled: 1-line block ×4, first 2 shown]
	v_mov_b32_e32 v21, v28
.LBB49_45:                              ;   Parent Loop BB49_6 Depth=1
                                        ; =>  This Inner Loop Header: Depth=2
	v_add_u32_e32 v13, s2, v37
	v_lshlrev_b64 v[1:2], 3, v[13:14]
	v_add_u32_e32 v13, s2, v34
	v_add_co_u32_e32 v1, vcc, s33, v1
	v_mov_b32_e32 v24, s48
	v_lshlrev_b64 v[6:7], 3, v[13:14]
	v_addc_co_u32_e32 v2, vcc, v24, v2, vcc
	v_add_co_u32_e32 v6, vcc, s33, v6
	v_addc_co_u32_e32 v7, vcc, v24, v7, vcc
	v_add_u32_e32 v13, s2, v35
	global_load_dwordx2 v[1:2], v[1:2], off
	v_add_u32_e32 v21, s15, v21
	global_load_dwordx2 v[22:23], v[6:7], off
	v_lshlrev_b64 v[6:7], 3, v[13:14]
	v_add_u32_e32 v13, s2, v36
	v_add_co_u32_e32 v6, vcc, s33, v6
	v_addc_co_u32_e32 v7, vcc, v24, v7, vcc
	global_load_dwordx2 v[8:9], v[6:7], off
	v_lshlrev_b64 v[6:7], 3, v[13:14]
	s_add_i32 s2, s2, s56
	v_add_co_u32_e32 v6, vcc, s33, v6
	v_addc_co_u32_e32 v7, vcc, v24, v7, vcc
	global_load_dwordx2 v[6:7], v[6:7], off
	s_waitcnt vmcnt(3)
	v_xor_b32_e32 v2, 0x80000000, v2
	v_and_b32_e32 v43, v2, v20
	v_and_b32_e32 v42, v1, v19
	v_lshrrev_b64 v[1:2], s11, v[1:2]
	s_waitcnt vmcnt(2)
	v_xor_b32_e32 v23, 0x80000000, v23
	v_and_b32_e32 v13, 3, v1
	v_lshrrev_b64 v[1:2], s11, v[22:23]
	v_cmp_eq_u64_e32 vcc, v[42:43], v[17:18]
	v_and_b32_e32 v43, v23, v20
	s_waitcnt vmcnt(1)
	v_xor_b32_e32 v9, 0x80000000, v9
	v_and_b32_e32 v42, v22, v19
	v_cmp_eq_u64_e64 s[6:7], 0, v[13:14]
	v_cmp_eq_u64_e64 s[18:19], v[42:43], v[17:18]
	v_and_b32_e32 v43, v9, v20
	v_and_b32_e32 v42, v8, v19
	;; [unrolled: 1-line block ×3, first 2 shown]
	v_mov_b32_e32 v2, v14
	v_lshrrev_b64 v[8:9], s11, v[8:9]
	s_waitcnt vmcnt(0)
	v_xor_b32_e32 v7, 0x80000000, v7
	s_and_b64 s[16:17], vcc, s[6:7]
	v_cmp_eq_u64_e64 s[6:7], 0, v[1:2]
	v_cmp_eq_u64_e64 s[20:21], v[42:43], v[17:18]
	v_and_b32_e32 v43, v7, v20
	v_and_b32_e32 v42, v6, v19
	;; [unrolled: 1-line block ×3, first 2 shown]
	v_mov_b32_e32 v9, v14
	v_lshrrev_b64 v[6:7], s11, v[6:7]
	s_and_b64 s[24:25], s[18:19], s[6:7]
	v_cmp_eq_u64_e64 s[6:7], 0, v[8:9]
	v_and_b32_e32 v6, 3, v6
	v_mov_b32_e32 v7, v14
	v_cmp_eq_u64_e64 s[22:23], v[42:43], v[17:18]
	s_and_b64 s[34:35], s[20:21], s[6:7]
	v_cmp_eq_u64_e64 s[6:7], 0, v[6:7]
	v_cndmask_b32_e64 v22, 0, 1, s[16:17]
	s_and_b64 s[36:37], s[22:23], s[6:7]
	v_cmp_ne_u32_e64 s[6:7], 0, v22
	v_cndmask_b32_e64 v22, 0, 1, s[24:25]
	s_bcnt1_i32_b64 s16, s[6:7]
	v_cmp_ne_u32_e64 s[6:7], 0, v22
	v_cndmask_b32_e64 v22, 0, 1, s[34:35]
	s_bcnt1_i32_b64 s17, s[6:7]
	;; [unrolled: 3-line block ×3, first 2 shown]
	v_cmp_ne_u32_e64 s[6:7], 0, v22
	s_bcnt1_i32_b64 s6, s[6:7]
	s_add_i32 s7, s9, s16
	s_add_i32 s7, s7, s17
	;; [unrolled: 1-line block ×4, first 2 shown]
	v_cmp_eq_u64_e64 s[6:7], 1, v[13:14]
	s_and_b64 s[16:17], vcc, s[6:7]
	v_cmp_eq_u64_e64 s[6:7], 1, v[1:2]
	v_cndmask_b32_e64 v22, 0, 1, s[16:17]
	s_and_b64 s[24:25], s[18:19], s[6:7]
	v_cmp_eq_u64_e64 s[6:7], 1, v[8:9]
	s_and_b64 s[34:35], s[20:21], s[6:7]
	v_cmp_eq_u64_e64 s[6:7], 1, v[6:7]
	s_and_b64 s[36:37], s[22:23], s[6:7]
	v_cmp_ne_u32_e64 s[6:7], 0, v22
	v_cndmask_b32_e64 v22, 0, 1, s[24:25]
	s_bcnt1_i32_b64 s16, s[6:7]
	v_cmp_ne_u32_e64 s[6:7], 0, v22
	v_cndmask_b32_e64 v22, 0, 1, s[34:35]
	s_bcnt1_i32_b64 s17, s[6:7]
	v_cmp_ne_u32_e64 s[6:7], 0, v22
	v_cndmask_b32_e64 v22, 0, 1, s[36:37]
	s_bcnt1_i32_b64 s24, s[6:7]
	v_cmp_ne_u32_e64 s[6:7], 0, v22
	s_bcnt1_i32_b64 s6, s[6:7]
	s_add_i32 s7, s8, s16
	s_add_i32 s7, s7, s17
	;; [unrolled: 1-line block ×4, first 2 shown]
	v_cmp_eq_u64_e64 s[6:7], 2, v[13:14]
	s_and_b64 s[16:17], vcc, s[6:7]
	v_cmp_eq_u64_e64 s[6:7], 2, v[1:2]
	v_cndmask_b32_e64 v22, 0, 1, s[16:17]
	s_and_b64 s[24:25], s[18:19], s[6:7]
	v_cmp_eq_u64_e64 s[6:7], 2, v[8:9]
	s_and_b64 s[34:35], s[20:21], s[6:7]
	v_cmp_eq_u64_e64 s[6:7], 2, v[6:7]
	s_and_b64 s[36:37], s[22:23], s[6:7]
	v_cmp_ne_u32_e64 s[6:7], 0, v22
	v_cndmask_b32_e64 v22, 0, 1, s[24:25]
	s_bcnt1_i32_b64 s16, s[6:7]
	v_cmp_ne_u32_e64 s[6:7], 0, v22
	v_cndmask_b32_e64 v22, 0, 1, s[34:35]
	s_bcnt1_i32_b64 s17, s[6:7]
	v_cmp_ne_u32_e64 s[6:7], 0, v22
	v_cndmask_b32_e64 v22, 0, 1, s[36:37]
	s_add_i32 s5, s5, s16
	s_bcnt1_i32_b64 s24, s[6:7]
	v_cmp_ne_u32_e64 s[6:7], 0, v22
	s_add_i32 s5, s5, s17
	s_bcnt1_i32_b64 s6, s[6:7]
	s_add_i32 s5, s5, s24
	s_add_i32 s5, s5, s6
	v_cmp_eq_u64_e64 s[6:7], 3, v[13:14]
	s_and_b64 s[6:7], vcc, s[6:7]
	v_cmp_eq_u64_e32 vcc, 3, v[1:2]
	v_cndmask_b32_e64 v1, 0, 1, s[6:7]
	s_and_b64 s[16:17], s[18:19], vcc
	v_cmp_eq_u64_e32 vcc, 3, v[8:9]
	v_mov_b32_e32 v8, s5
	s_and_b64 s[18:19], s[20:21], vcc
	v_cmp_eq_u64_e32 vcc, 3, v[6:7]
	v_mov_b32_e32 v6, s9
	s_and_b64 s[20:21], s[22:23], vcc
	v_cmp_ne_u32_e32 vcc, 0, v1
	v_cndmask_b32_e64 v1, 0, 1, s[16:17]
	s_bcnt1_i32_b64 s6, vcc
	v_cmp_ne_u32_e32 vcc, 0, v1
	v_cndmask_b32_e64 v1, 0, 1, s[18:19]
	s_bcnt1_i32_b64 s7, vcc
	v_cmp_ne_u32_e32 vcc, 0, v1
	v_cndmask_b32_e64 v1, 0, 1, s[20:21]
	s_add_i32 s3, s3, s6
	s_bcnt1_i32_b64 s16, vcc
	v_cmp_ne_u32_e32 vcc, 0, v1
	s_add_i32 s3, s3, s7
	s_bcnt1_i32_b64 s17, vcc
	s_add_i32 s3, s3, s16
	s_add_i32 s3, s3, s17
	v_cmp_le_u32_e32 vcc, s13, v21
	s_or_b64 s[84:85], vcc, s[84:85]
	v_mov_b32_e32 v7, s8
	v_mov_b32_e32 v9, s3
	s_andn2_b64 exec, exec, s[84:85]
	s_cbranch_execnz .LBB49_45
; %bb.46:                               ;   in Loop: Header=BB49_6 Depth=1
	s_or_b64 exec, exec, s[84:85]
.LBB49_47:                              ;   in Loop: Header=BB49_6 Depth=1
	s_or_b64 exec, exec, s[26:27]
	s_mov_b64 s[18:19], exec
	v_readlane_b32 s2, v46, 45
	v_readlane_b32 s3, v46, 46
	s_and_b64 s[2:3], s[18:19], s[2:3]
	s_mov_b64 exec, s[2:3]
	s_cbranch_execz .LBB49_53
; %bb.48:                               ;   in Loop: Header=BB49_6 Depth=1
	global_load_dwordx2 v[23:24], v[15:16], off
	s_mov_b64 s[20:21], 0
	v_mov_b32_e32 v1, v38
	v_mov_b32_e32 v42, v33
	s_branch .LBB49_50
.LBB49_49:                              ;   in Loop: Header=BB49_50 Depth=2
	s_or_b64 exec, exec, s[2:3]
	s_waitcnt vmcnt(0)
	v_xor_b32_e32 v24, 0x80000000, v24
	v_and_b32_e32 v44, v24, v20
	v_and_b32_e32 v43, v23, v19
	v_lshrrev_b64 v[23:24], s11, v[23:24]
	s_and_b64 s[2:3], exec, vcc
	v_and_b32_e32 v13, 3, v23
	v_cmp_eq_u64_e32 vcc, v[43:44], v[17:18]
	v_cmp_eq_u64_e64 s[6:7], 0, v[13:14]
	s_or_b64 s[20:21], s[2:3], s[20:21]
	s_and_b64 s[2:3], vcc, s[6:7]
	v_cndmask_b32_e64 v2, 0, 1, s[2:3]
	v_cmp_ne_u32_e64 s[6:7], 0, v2
	s_bcnt1_i32_b64 s2, s[6:7]
	v_cmp_eq_u64_e64 s[6:7], 1, v[13:14]
	v_add_u32_e32 v6, s2, v6
	s_and_b64 s[2:3], vcc, s[6:7]
	v_cndmask_b32_e64 v2, 0, 1, s[2:3]
	v_cmp_ne_u32_e64 s[6:7], 0, v2
	s_bcnt1_i32_b64 s2, s[6:7]
	v_cmp_eq_u64_e64 s[6:7], 2, v[13:14]
	v_add_u32_e32 v7, s2, v7
	;; [unrolled: 6-line block ×3, first 2 shown]
	s_and_b64 s[2:3], vcc, s[6:7]
	v_cndmask_b32_e64 v2, 0, 1, s[2:3]
	v_cmp_ne_u32_e32 vcc, 0, v2
	s_bcnt1_i32_b64 s2, vcc
	v_mov_b32_e32 v24, v22
	v_add_u32_e32 v9, s2, v9
	v_add_u32_e32 v1, s55, v1
	v_mov_b32_e32 v23, v21
	s_andn2_b64 exec, exec, s[20:21]
	s_cbranch_execz .LBB49_52
.LBB49_50:                              ;   Parent Loop BB49_6 Depth=1
                                        ; =>  This Inner Loop Header: Depth=2
	v_add_u32_e32 v42, s54, v42
	v_mov_b32_e32 v21, 0
	v_cmp_gt_u32_e64 s[6:7], s28, v42
	v_mov_b32_e32 v22, 0
	v_cmp_le_u32_e32 vcc, s28, v42
	s_and_saveexec_b64 s[2:3], s[6:7]
	s_cbranch_execz .LBB49_49
; %bb.51:                               ;   in Loop: Header=BB49_50 Depth=2
	v_mov_b32_e32 v2, v14
	v_lshlrev_b64 v[21:22], 3, v[1:2]
	v_mov_b32_e32 v2, s48
	v_add_co_u32_e64 v21, s[6:7], s33, v21
	v_addc_co_u32_e64 v22, s[6:7], v2, v22, s[6:7]
	global_load_dwordx2 v[21:22], v[21:22], off
	s_branch .LBB49_49
.LBB49_52:                              ;   in Loop: Header=BB49_6 Depth=1
	s_or_b64 exec, exec, s[20:21]
.LBB49_53:                              ;   in Loop: Header=BB49_6 Depth=1
	s_or_b64 exec, exec, s[18:19]
	s_branch .LBB49_35
.LBB49_54:                              ;   in Loop: Header=BB49_6 Depth=1
	v_readlane_b32 s2, v46, 42
	s_mul_hi_u32 s2, s4, s2
	s_mul_i32 s2, s2, s15
	s_sub_i32 s2, s4, s2
	s_sub_i32 s3, s2, s15
	s_cmp_ge_u32 s2, s15
	s_cselect_b32 s2, s3, s2
	s_sub_i32 s3, s2, s15
	s_cmp_ge_u32 s2, s15
	s_cselect_b32 s2, s3, s2
	s_sub_i32 s2, s4, s2
	v_cmp_gt_u32_e32 vcc, s2, v28
	v_mov_b32_e32 v6, 0
	v_mov_b32_e32 v7, 0
	;; [unrolled: 1-line block ×4, first 2 shown]
	s_and_saveexec_b64 s[26:27], vcc
	s_cbranch_execz .LBB49_58
; %bb.55:                               ;   in Loop: Header=BB49_6 Depth=1
	s_mov_b32 s3, 0
	s_mov_b64 s[34:35], 0
	v_mov_b32_e32 v21, v39
	s_mov_b32 s5, 0
	s_mov_b32 s8, 0
	;; [unrolled: 1-line block ×3, first 2 shown]
	v_mov_b32_e32 v22, v28
.LBB49_56:                              ;   Parent Loop BB49_6 Depth=1
                                        ; =>  This Inner Loop Header: Depth=2
	ds_read_b128 v[42:45], v21
	ds_read_b128 v[6:9], v21 offset:16
	v_add_u32_e32 v22, s15, v22
	v_add_u32_e32 v21, s57, v21
	s_waitcnt lgkmcnt(1)
	v_xor_b32_e32 v43, 0x80000000, v43
	v_xor_b32_e32 v45, 0x80000000, v45
	v_and_b32_e32 v2, v43, v20
	v_and_b32_e32 v1, v42, v19
	s_waitcnt lgkmcnt(0)
	v_xor_b32_e32 v7, 0x80000000, v7
	v_cmp_eq_u64_e32 vcc, v[1:2], v[17:18]
	v_and_b32_e32 v2, v45, v20
	v_and_b32_e32 v1, v44, v19
	v_xor_b32_e32 v9, 0x80000000, v9
	v_cmp_eq_u64_e64 s[18:19], v[1:2], v[17:18]
	v_and_b32_e32 v2, v7, v20
	v_and_b32_e32 v1, v6, v19
	v_cmp_eq_u64_e64 s[20:21], v[1:2], v[17:18]
	v_and_b32_e32 v2, v9, v20
	v_and_b32_e32 v1, v8, v19
	v_cmp_eq_u64_e64 s[22:23], v[1:2], v[17:18]
	v_lshrrev_b64 v[1:2], s11, v[42:43]
	v_lshrrev_b64 v[6:7], s11, v[6:7]
	v_and_b32_e32 v13, 3, v1
	v_lshrrev_b64 v[1:2], s11, v[44:45]
	v_cmp_eq_u64_e64 s[6:7], 0, v[13:14]
	v_and_b32_e32 v1, 3, v1
	v_mov_b32_e32 v2, v14
	s_and_b64 s[16:17], vcc, s[6:7]
	v_cmp_eq_u64_e64 s[6:7], 0, v[1:2]
	v_and_b32_e32 v6, 3, v6
	v_mov_b32_e32 v7, v14
	v_lshrrev_b64 v[8:9], s11, v[8:9]
	s_and_b64 s[24:25], s[18:19], s[6:7]
	v_cmp_eq_u64_e64 s[6:7], 0, v[6:7]
	v_and_b32_e32 v8, 3, v8
	v_mov_b32_e32 v9, v14
	s_and_b64 s[36:37], s[20:21], s[6:7]
	v_cmp_eq_u64_e64 s[6:7], 0, v[8:9]
	v_cndmask_b32_e64 v23, 0, 1, s[16:17]
	s_and_b64 s[38:39], s[22:23], s[6:7]
	v_cmp_ne_u32_e64 s[6:7], 0, v23
	v_cndmask_b32_e64 v23, 0, 1, s[24:25]
	s_bcnt1_i32_b64 s16, s[6:7]
	v_cmp_ne_u32_e64 s[6:7], 0, v23
	v_cndmask_b32_e64 v23, 0, 1, s[36:37]
	s_bcnt1_i32_b64 s17, s[6:7]
	;; [unrolled: 3-line block ×3, first 2 shown]
	v_cmp_ne_u32_e64 s[6:7], 0, v23
	s_bcnt1_i32_b64 s6, s[6:7]
	s_add_i32 s7, s9, s16
	s_add_i32 s7, s7, s17
	s_add_i32 s7, s7, s24
	s_add_i32 s9, s7, s6
	v_cmp_eq_u64_e64 s[6:7], 1, v[13:14]
	s_and_b64 s[16:17], vcc, s[6:7]
	v_cmp_eq_u64_e64 s[6:7], 1, v[1:2]
	v_cndmask_b32_e64 v23, 0, 1, s[16:17]
	s_and_b64 s[24:25], s[18:19], s[6:7]
	v_cmp_eq_u64_e64 s[6:7], 1, v[6:7]
	s_and_b64 s[36:37], s[20:21], s[6:7]
	v_cmp_eq_u64_e64 s[6:7], 1, v[8:9]
	s_and_b64 s[38:39], s[22:23], s[6:7]
	v_cmp_ne_u32_e64 s[6:7], 0, v23
	v_cndmask_b32_e64 v23, 0, 1, s[24:25]
	s_bcnt1_i32_b64 s16, s[6:7]
	v_cmp_ne_u32_e64 s[6:7], 0, v23
	v_cndmask_b32_e64 v23, 0, 1, s[36:37]
	s_bcnt1_i32_b64 s17, s[6:7]
	;; [unrolled: 3-line block ×3, first 2 shown]
	v_cmp_ne_u32_e64 s[6:7], 0, v23
	s_bcnt1_i32_b64 s6, s[6:7]
	s_add_i32 s7, s8, s16
	s_add_i32 s7, s7, s17
	;; [unrolled: 1-line block ×4, first 2 shown]
	v_cmp_eq_u64_e64 s[6:7], 2, v[13:14]
	s_and_b64 s[16:17], vcc, s[6:7]
	v_cmp_eq_u64_e64 s[6:7], 2, v[1:2]
	v_cndmask_b32_e64 v23, 0, 1, s[16:17]
	s_and_b64 s[24:25], s[18:19], s[6:7]
	v_cmp_eq_u64_e64 s[6:7], 2, v[6:7]
	s_and_b64 s[36:37], s[20:21], s[6:7]
	v_cmp_eq_u64_e64 s[6:7], 2, v[8:9]
	s_and_b64 s[38:39], s[22:23], s[6:7]
	v_cmp_ne_u32_e64 s[6:7], 0, v23
	v_cndmask_b32_e64 v23, 0, 1, s[24:25]
	s_bcnt1_i32_b64 s16, s[6:7]
	v_cmp_ne_u32_e64 s[6:7], 0, v23
	v_cndmask_b32_e64 v23, 0, 1, s[36:37]
	s_bcnt1_i32_b64 s17, s[6:7]
	v_cmp_ne_u32_e64 s[6:7], 0, v23
	v_cndmask_b32_e64 v23, 0, 1, s[38:39]
	s_add_i32 s5, s5, s16
	s_bcnt1_i32_b64 s24, s[6:7]
	v_cmp_ne_u32_e64 s[6:7], 0, v23
	s_add_i32 s5, s5, s17
	s_bcnt1_i32_b64 s6, s[6:7]
	s_add_i32 s5, s5, s24
	s_add_i32 s5, s5, s6
	v_cmp_eq_u64_e64 s[6:7], 3, v[13:14]
	s_and_b64 s[6:7], vcc, s[6:7]
	v_cmp_eq_u64_e32 vcc, 3, v[1:2]
	v_cndmask_b32_e64 v1, 0, 1, s[6:7]
	s_and_b64 s[16:17], s[18:19], vcc
	v_cmp_eq_u64_e32 vcc, 3, v[6:7]
	v_mov_b32_e32 v6, s9
	s_and_b64 s[18:19], s[20:21], vcc
	v_cmp_eq_u64_e32 vcc, 3, v[8:9]
	v_mov_b32_e32 v7, s8
	s_and_b64 s[20:21], s[22:23], vcc
	v_cmp_ne_u32_e32 vcc, 0, v1
	v_cndmask_b32_e64 v1, 0, 1, s[16:17]
	s_bcnt1_i32_b64 s6, vcc
	v_cmp_ne_u32_e32 vcc, 0, v1
	v_cndmask_b32_e64 v1, 0, 1, s[18:19]
	s_bcnt1_i32_b64 s7, vcc
	v_cmp_ne_u32_e32 vcc, 0, v1
	v_cndmask_b32_e64 v1, 0, 1, s[20:21]
	s_add_i32 s3, s3, s6
	s_bcnt1_i32_b64 s16, vcc
	v_cmp_ne_u32_e32 vcc, 0, v1
	s_add_i32 s3, s3, s7
	s_bcnt1_i32_b64 s17, vcc
	s_add_i32 s3, s3, s16
	s_add_i32 s3, s3, s17
	v_cmp_le_u32_e32 vcc, s2, v22
	s_or_b64 s[34:35], vcc, s[34:35]
	v_mov_b32_e32 v8, s5
	v_mov_b32_e32 v9, s3
	s_andn2_b64 exec, exec, s[34:35]
	s_cbranch_execnz .LBB49_56
; %bb.57:                               ;   in Loop: Header=BB49_6 Depth=1
	s_or_b64 exec, exec, s[34:35]
.LBB49_58:                              ;   in Loop: Header=BB49_6 Depth=1
	s_or_b64 exec, exec, s[26:27]
	v_add_u32_e32 v1, s2, v0
	v_cmp_gt_u32_e32 vcc, s4, v1
	s_and_saveexec_b64 s[18:19], vcc
	s_cbranch_execz .LBB49_62
; %bb.59:                               ;   in Loop: Header=BB49_6 Depth=1
	v_lshlrev_b32_e32 v2, 3, v1
	s_mov_b64 s[20:21], 0
.LBB49_60:                              ;   Parent Loop BB49_6 Depth=1
                                        ; =>  This Inner Loop Header: Depth=2
	ds_read_b64 v[21:22], v2
	v_add_u32_e32 v1, s54, v1
	v_add_u32_e32 v2, s10, v2
	s_waitcnt lgkmcnt(0)
	v_xor_b32_e32 v22, 0x80000000, v22
	v_and_b32_e32 v24, v22, v20
	v_and_b32_e32 v23, v21, v19
	v_lshrrev_b64 v[21:22], s11, v[21:22]
	v_cmp_eq_u64_e32 vcc, v[23:24], v[17:18]
	v_and_b32_e32 v13, 3, v21
	v_cmp_eq_u64_e64 s[6:7], 0, v[13:14]
	s_and_b64 s[2:3], vcc, s[6:7]
	v_cndmask_b32_e64 v21, 0, 1, s[2:3]
	v_cmp_ne_u32_e64 s[6:7], 0, v21
	s_bcnt1_i32_b64 s2, s[6:7]
	v_cmp_eq_u64_e64 s[6:7], 1, v[13:14]
	v_add_u32_e32 v6, s2, v6
	s_and_b64 s[2:3], vcc, s[6:7]
	v_cndmask_b32_e64 v21, 0, 1, s[2:3]
	v_cmp_ne_u32_e64 s[6:7], 0, v21
	s_bcnt1_i32_b64 s2, s[6:7]
	v_cmp_eq_u64_e64 s[6:7], 2, v[13:14]
	v_add_u32_e32 v7, s2, v7
	;; [unrolled: 6-line block ×3, first 2 shown]
	s_and_b64 s[2:3], vcc, s[6:7]
	v_cndmask_b32_e64 v13, 0, 1, s[2:3]
	v_cmp_ne_u32_e32 vcc, 0, v13
	s_bcnt1_i32_b64 s2, vcc
	v_cmp_le_u32_e32 vcc, s4, v1
	v_add_u32_e32 v9, s2, v9
	s_or_b64 s[20:21], vcc, s[20:21]
	s_andn2_b64 exec, exec, s[20:21]
	s_cbranch_execnz .LBB49_60
; %bb.61:                               ;   in Loop: Header=BB49_6 Depth=1
	s_or_b64 exec, exec, s[20:21]
.LBB49_62:                              ;   in Loop: Header=BB49_6 Depth=1
	s_or_b64 exec, exec, s[18:19]
	s_lshl_b32 s4, s49, 6
	s_and_saveexec_b64 s[2:3], s[0:1]
	s_cbranch_execnz .LBB49_36
	s_branch .LBB49_37
.LBB49_63:                              ;   in Loop: Header=BB49_6 Depth=1
	v_mov_b32_e32 v1, 0
	s_mov_b32 s5, 0
.LBB49_64:                              ;   in Loop: Header=BB49_6 Depth=1
	v_readlane_b32 s6, v46, 40
	v_readlane_b32 s7, v46, 41
	s_andn2_b64 vcc, exec, s[6:7]
	s_cbranch_vccnz .LBB49_67
; %bb.65:                               ;   in Loop: Header=BB49_6 Depth=1
	s_lshl_b32 s6, s49, 8
	s_lshl_b32 s5, s5, 4
	s_add_i32 s6, s6, s5
	v_add_u32_e32 v2, s6, v40
	v_readlane_b32 s5, v46, 39
.LBB49_66:                              ;   Parent Loop BB49_6 Depth=1
                                        ; =>  This Inner Loop Header: Depth=2
	ds_read_b32 v6, v2
	s_add_i32 s5, s5, -1
	v_add_u32_e32 v2, 16, v2
	s_cmp_lg_u32 s5, 0
	s_waitcnt lgkmcnt(0)
	v_add_u32_e32 v1, v6, v1
	s_cbranch_scc1 .LBB49_66
.LBB49_67:                              ;   in Loop: Header=BB49_6 Depth=1
	v_add_lshl_u32 v2, s4, v29, 2
	ds_write_b32 v2, v1 offset:3072
.LBB49_68:                              ;   in Loop: Header=BB49_6 Depth=1
	s_or_b64 exec, exec, s[2:3]
	s_lshl_b32 s2, s4, 2
	v_mov_b32_e32 v1, s2
	s_waitcnt lgkmcnt(0)
	s_barrier
	ds_read_b128 v[6:9], v1 offset:3072
	s_lshl_b64 s[22:23], 3, s11
	s_not_b64 s[84:85], s[22:23]
	v_cmp_eq_u32_e64 s[18:19], 1, v41
	s_mov_b64 s[94:95], -1
	s_waitcnt lgkmcnt(0)
	v_readfirstlane_b32 s4, v6
	v_readfirstlane_b32 s5, v7
	;; [unrolled: 1-line block ×4, first 2 shown]
	s_mov_b64 s[20:21], 0
	s_andn2_b64 vcc, exec, s[30:31]
	s_mov_b64 s[88:89], 0
	s_mov_b64 s[86:87], 0
                                        ; implicit-def: $sgpr90_sgpr91
                                        ; implicit-def: $sgpr92_sgpr93
                                        ; implicit-def: $vgpr24
                                        ; implicit-def: $vgpr23
                                        ; implicit-def: $vgpr1_vgpr2
                                        ; implicit-def: $vgpr21_vgpr22
                                        ; implicit-def: $vgpr8_vgpr9
	s_cbranch_vccnz .LBB49_230
; %bb.69:                               ;   in Loop: Header=BB49_6 Depth=1
	s_cmp_eq_u32 s4, 1
	s_cselect_b64 s[2:3], -1, 0
	v_mov_b32_e32 v1, v17
	v_mov_b32_e32 v22, v20
	;; [unrolled: 1-line block ×3, first 2 shown]
	s_and_b64 s[6:7], s[2:3], s[18:19]
	s_mov_b64 s[2:3], -1
	v_mov_b32_e32 v2, v18
	v_mov_b32_e32 v21, v19
	;; [unrolled: 1-line block ×3, first 2 shown]
                                        ; implicit-def: $sgpr92_sgpr93
                                        ; implicit-def: $sgpr90_sgpr91
	s_and_saveexec_b64 s[24:25], s[6:7]
	s_cbranch_execz .LBB49_98
; %bb.70:                               ;   in Loop: Header=BB49_6 Depth=1
	ds_read_b32 v1, v14 offset:4096
	s_waitcnt lgkmcnt(0)
	s_barrier
	v_readfirstlane_b32 s38, v1
	s_mov_b64 s[2:3], exec
	v_readlane_b32 s8, v46, 33
	v_readlane_b32 s9, v46, 34
	s_and_b64 s[8:9], s[2:3], s[8:9]
	s_mov_b64 exec, s[8:9]
; %bb.71:                               ;   in Loop: Header=BB49_6 Depth=1
	v_mov_b32_e32 v13, v14
	ds_write_b64 v31, v[13:14]
; %bb.72:                               ;   in Loop: Header=BB49_6 Depth=1
	s_or_b64 exec, exec, s[2:3]
	v_and_b32_e32 v2, s85, v18
	v_and_b32_e32 v1, s84, v17
	v_or_b32_e32 v22, s23, v20
	v_or_b32_e32 v21, s22, v19
	s_mov_b64 s[90:91], -1
	s_mov_b64 s[92:93], 0
	s_cmp_eq_u32 s38, 0
	s_mov_b64 s[26:27], 0
	s_mov_b64 s[34:35], -1
	s_waitcnt lgkmcnt(0)
	s_barrier
                                        ; implicit-def: $vgpr8_vgpr9
	s_cbranch_scc1 .LBB49_86
; %bb.73:                               ;   in Loop: Header=BB49_6 Depth=1
	s_add_i32 s2, s38, s52
	v_readlane_b32 s3, v46, 47
	s_mul_hi_u32 s3, s2, s3
	s_mul_i32 s3, s3, s54
	s_sub_i32 s3, s2, s3
	s_sub_i32 s8, s3, s54
	s_cmp_ge_u32 s3, s54
	s_cselect_b32 s3, s8, s3
	s_sub_i32 s8, s3, s54
	s_cmp_ge_u32 s3, s54
	s_cselect_b32 s3, s8, s3
	s_sub_i32 s39, s2, s3
	v_cmp_gt_u32_e32 vcc, s39, v0
	s_mov_b64 s[34:35], 0
                                        ; implicit-def: $vgpr8_vgpr9
	s_and_saveexec_b64 s[2:3], vcc
	s_cbranch_execz .LBB49_85
; %bb.74:                               ;   in Loop: Header=BB49_6 Depth=1
	s_mov_b64 s[16:17], 0
	v_mov_b32_e32 v13, v30
	v_mov_b32_e32 v23, v0
                                        ; implicit-def: $sgpr8_sgpr9
	s_branch .LBB49_77
.LBB49_75:                              ;   in Loop: Header=BB49_77 Depth=2
	s_or_b64 exec, exec, s[26:27]
	s_waitcnt lgkmcnt(0)
	s_barrier
	ds_read_b128 v[6:9], v14 offset:3072
	s_mov_b64 s[26:27], -1
	s_mov_b64 s[36:37], -1
	s_waitcnt lgkmcnt(0)
	s_barrier
	v_cmp_ne_u64_e32 vcc, 0, v[6:7]
	s_cbranch_vccz .LBB49_80
.LBB49_76:                              ;   in Loop: Header=BB49_77 Depth=2
	s_and_b64 s[26:27], exec, s[26:27]
	s_or_b64 s[16:17], s[26:27], s[16:17]
	s_andn2_b64 s[8:9], s[8:9], exec
	s_and_b64 s[26:27], s[36:37], exec
	s_or_b64 s[8:9], s[8:9], s[26:27]
	s_andn2_b64 exec, exec, s[16:17]
	s_cbranch_execz .LBB49_84
.LBB49_77:                              ;   Parent Loop BB49_6 Depth=1
                                        ; =>  This Inner Loop Header: Depth=2
	v_cmp_gt_u32_e32 vcc, s38, v23
	s_and_saveexec_b64 s[26:27], vcc
	s_cbranch_execz .LBB49_75
; %bb.78:                               ;   in Loop: Header=BB49_77 Depth=2
	ds_read_b64 v[7:8], v13
	s_waitcnt lgkmcnt(0)
	v_xor_b32_e32 v6, 0x80000000, v8
	v_and_b32_e32 v43, v6, v22
	v_and_b32_e32 v42, v7, v21
	v_cmp_eq_u64_e32 vcc, v[42:43], v[1:2]
	s_and_b64 exec, exec, vcc
	s_cbranch_execz .LBB49_75
; %bb.79:                               ;   in Loop: Header=BB49_77 Depth=2
	v_mov_b32_e32 v6, v14
	ds_write_b128 v14, v[5:8] offset:3072
	s_branch .LBB49_75
.LBB49_80:                              ;   in Loop: Header=BB49_77 Depth=2
	v_add_u32_e32 v23, s54, v23
	v_cmp_le_u32_e32 vcc, s39, v23
	v_add_u32_e32 v13, s10, v13
	s_mov_b64 s[36:37], 0
	s_orn2_b64 s[26:27], vcc, exec
	s_branch .LBB49_76
.LBB49_81:                              ;   in Loop: Header=BB49_6 Depth=1
	s_or_b64 exec, exec, s[22:23]
	s_waitcnt lgkmcnt(0)
	s_barrier
	s_mov_b64 s[2:3], exec
	v_readlane_b32 s4, v46, 22
	v_readlane_b32 s5, v46, 23
	s_and_b64 s[4:5], s[2:3], s[4:5]
	s_mov_b64 exec, s[4:5]
	s_cbranch_execz .LBB49_83
; %bb.82:                               ;   in Loop: Header=BB49_6 Depth=1
	ds_read_b32 v1, v14 offset:4104
	s_waitcnt lgkmcnt(0)
	ds_write_b32 v14, v1 offset:4096
.LBB49_83:                              ;   in Loop: Header=BB49_6 Depth=1
	s_or_b64 exec, exec, s[2:3]
	s_waitcnt lgkmcnt(0)
	s_barrier
	s_mov_b64 s[2:3], -1
	s_and_b64 vcc, exec, s[20:21]
	s_cbranch_vccnz .LBB49_22
	s_branch .LBB49_31
.LBB49_84:                              ;   in Loop: Header=BB49_6 Depth=1
	s_or_b64 exec, exec, s[16:17]
	s_and_b64 s[26:27], s[8:9], exec
.LBB49_85:                              ;   in Loop: Header=BB49_6 Depth=1
	s_or_b64 exec, exec, s[2:3]
.LBB49_86:                              ;   in Loop: Header=BB49_6 Depth=1
	s_and_b64 vcc, exec, s[34:35]
	s_cbranch_vccz .LBB49_97
; %bb.87:                               ;   in Loop: Header=BB49_6 Depth=1
                                        ; implicit-def: $vgpr8_vgpr9
	s_mov_b64 s[2:3], exec
	v_readlane_b32 s8, v46, 48
	v_readlane_b32 s9, v46, 49
	s_and_b64 s[8:9], s[2:3], s[8:9]
	s_mov_b64 exec, s[8:9]
	s_cbranch_execz .LBB49_96
; %bb.88:                               ;   in Loop: Header=BB49_6 Depth=1
	s_mov_b64 s[34:35], 0
	v_mov_b32_e32 v13, v12
	v_mov_b32_e32 v23, v0
                                        ; implicit-def: $sgpr16_sgpr17
	s_branch .LBB49_91
.LBB49_89:                              ;   in Loop: Header=BB49_91 Depth=2
	s_or_b64 exec, exec, s[8:9]
	s_waitcnt lgkmcnt(0)
	s_barrier
	ds_read_b128 v[6:9], v14 offset:3072
	s_mov_b64 s[8:9], -1
	s_mov_b64 s[36:37], -1
	s_waitcnt lgkmcnt(0)
	s_barrier
	v_cmp_ne_u64_e32 vcc, 0, v[6:7]
	s_cbranch_vccz .LBB49_94
.LBB49_90:                              ;   in Loop: Header=BB49_91 Depth=2
	s_and_b64 s[8:9], exec, s[8:9]
	s_or_b64 s[34:35], s[8:9], s[34:35]
	s_andn2_b64 s[8:9], s[16:17], exec
	s_and_b64 s[16:17], s[36:37], exec
	s_or_b64 s[16:17], s[8:9], s[16:17]
	s_andn2_b64 exec, exec, s[34:35]
	s_cbranch_execz .LBB49_95
.LBB49_91:                              ;   Parent Loop BB49_6 Depth=1
                                        ; =>  This Inner Loop Header: Depth=2
	v_cmp_gt_u32_e32 vcc, s28, v23
	s_and_saveexec_b64 s[8:9], vcc
	s_cbranch_execz .LBB49_89
; %bb.92:                               ;   in Loop: Header=BB49_91 Depth=2
	v_lshlrev_b64 v[6:7], 3, v[13:14]
	v_mov_b32_e32 v8, s48
	v_add_co_u32_e32 v6, vcc, s33, v6
	v_addc_co_u32_e32 v7, vcc, v8, v7, vcc
	global_load_dwordx2 v[7:8], v[6:7], off
	s_waitcnt vmcnt(0)
	v_xor_b32_e32 v6, 0x80000000, v8
	v_and_b32_e32 v43, v6, v22
	v_and_b32_e32 v42, v7, v21
	v_cmp_eq_u64_e32 vcc, v[42:43], v[1:2]
	s_and_b64 exec, exec, vcc
	s_cbranch_execz .LBB49_89
; %bb.93:                               ;   in Loop: Header=BB49_91 Depth=2
	v_mov_b32_e32 v6, v14
	ds_write_b128 v14, v[5:8] offset:3072
	s_branch .LBB49_89
.LBB49_94:                              ;   in Loop: Header=BB49_91 Depth=2
	v_add_u32_e32 v23, s54, v23
	v_cmp_le_u32_e32 vcc, s12, v23
	v_add_u32_e32 v13, s55, v13
	s_mov_b64 s[36:37], 0
	s_orn2_b64 s[8:9], vcc, exec
	s_branch .LBB49_90
.LBB49_95:                              ;   in Loop: Header=BB49_6 Depth=1
	s_or_b64 exec, exec, s[34:35]
	s_andn2_b64 s[8:9], s[26:27], exec
	s_and_b64 s[16:17], s[16:17], exec
	s_or_b64 s[26:27], s[8:9], s[16:17]
.LBB49_96:                              ;   in Loop: Header=BB49_6 Depth=1
	s_or_b64 exec, exec, s[2:3]
	s_mov_b64 s[90:91], 0
	s_mov_b64 s[92:93], -1
.LBB49_97:                              ;   in Loop: Header=BB49_6 Depth=1
	s_orn2_b64 s[2:3], s[26:27], exec
.LBB49_98:                              ;   in Loop: Header=BB49_6 Depth=1
	s_or_b64 exec, exec, s[24:25]
	s_mov_b64 s[94:95], 0
	s_mov_b64 s[88:89], 0
	;; [unrolled: 1-line block ×3, first 2 shown]
                                        ; implicit-def: $vgpr24
                                        ; implicit-def: $vgpr23
	s_and_saveexec_b64 s[26:27], s[2:3]
	s_cbranch_execz .LBB49_229
; %bb.99:                               ;   in Loop: Header=BB49_6 Depth=1
	s_xor_b64 s[8:9], s[6:7], -1
	s_mov_b64 s[6:7], 0
	v_mov_b32_e32 v24, 1
	v_mov_b32_e32 v23, 1
	s_and_saveexec_b64 s[2:3], s[8:9]
	s_cbranch_execz .LBB49_108
; %bb.100:                              ;   in Loop: Header=BB49_6 Depth=1
	v_cmp_ge_u32_e32 vcc, s4, v41
	s_and_saveexec_b64 s[6:7], vcc
	s_xor_b64 s[6:7], exec, s[6:7]
	s_cbranch_execz .LBB49_105
; %bb.101:                              ;   in Loop: Header=BB49_6 Depth=1
	ds_read_b32 v6, v14 offset:4096
	v_and_b32_e32 v2, s85, v2
	v_and_b32_e32 v1, s84, v1
	v_or_b32_e32 v22, s23, v22
	v_or_b32_e32 v21, s22, v21
	s_waitcnt lgkmcnt(0)
	v_cmp_ne_u32_e32 vcc, 0, v6
	s_cbranch_vccnz .LBB49_105
; %bb.102:                              ;   in Loop: Header=BB49_6 Depth=1
	s_mov_b64 s[8:9], exec
	v_readlane_b32 s16, v46, 22
	v_readlane_b32 s17, v46, 23
	s_and_b64 s[16:17], s[8:9], s[16:17]
	s_mov_b64 exec, s[16:17]
; %bb.103:                              ;   in Loop: Header=BB49_6 Depth=1
	v_mov_b32_e32 v6, s4
	ds_write_b32 v14, v6 offset:4100
; %bb.104:                              ;   in Loop: Header=BB49_6 Depth=1
	s_or_b64 exec, exec, s[8:9]
	s_waitcnt lgkmcnt(0)
	s_barrier
.LBB49_105:                             ;   in Loop: Header=BB49_6 Depth=1
	s_or_saveexec_b64 s[6:7], s[6:7]
	s_mov_b64 s[8:9], 0
	v_mov_b32_e32 v23, 8
	v_mov_b32_e32 v24, v41
	s_xor_b64 exec, exec, s[6:7]
; %bb.106:                              ;   in Loop: Header=BB49_6 Depth=1
	s_mov_b64 s[8:9], exec
	v_subrev_u32_e32 v24, s4, v41
	v_mov_b32_e32 v23, 0
; %bb.107:                              ;   in Loop: Header=BB49_6 Depth=1
	s_or_b64 exec, exec, s[6:7]
	s_and_b64 s[6:7], s[8:9], exec
.LBB49_108:                             ;   in Loop: Header=BB49_6 Depth=1
	s_or_b64 exec, exec, s[2:3]
	s_mov_b64 s[2:3], -1
                                        ; implicit-def: $sgpr86_sgpr87
                                        ; implicit-def: $sgpr88_sgpr89
	s_and_saveexec_b64 s[8:9], s[6:7]
	s_xor_b64 s[6:7], exec, s[8:9]
	s_cbranch_execz .LBB49_226
; %bb.109:                              ;   in Loop: Header=BB49_6 Depth=1
	s_cmp_eq_u32 s5, 1
	s_cselect_b64 s[2:3], -1, 0
	v_cmp_eq_u32_e32 vcc, 1, v24
	s_and_b64 s[24:25], s[2:3], vcc
	s_mov_b64 s[2:3], -1
                                        ; implicit-def: $sgpr88_sgpr89
                                        ; implicit-def: $sgpr86_sgpr87
	s_and_saveexec_b64 s[34:35], s[24:25]
	s_cbranch_execz .LBB49_135
; %bb.110:                              ;   in Loop: Header=BB49_6 Depth=1
	ds_read_b32 v6, v14 offset:4096
	s_waitcnt lgkmcnt(0)
	s_barrier
	v_readfirstlane_b32 s42, v6
	s_mov_b64 s[2:3], exec
	v_readlane_b32 s8, v46, 33
	v_readlane_b32 s9, v46, 34
	s_and_b64 s[8:9], s[2:3], s[8:9]
	s_mov_b64 exec, s[8:9]
; %bb.111:                              ;   in Loop: Header=BB49_6 Depth=1
	v_mov_b32_e32 v13, v14
	ds_write_b64 v31, v[13:14]
; %bb.112:                              ;   in Loop: Header=BB49_6 Depth=1
	s_or_b64 exec, exec, s[2:3]
	s_lshl_b64 s[2:3], 1, s11
	v_and_b32_e32 v2, s85, v2
	v_and_b32_e32 v1, s84, v1
	v_or_b32_e32 v2, s3, v2
	v_or_b32_e32 v1, s2, v1
	;; [unrolled: 1-line block ×4, first 2 shown]
	s_mov_b64 s[86:87], -1
	s_mov_b64 s[88:89], 0
	s_cmp_eq_u32 s42, 0
	s_mov_b64 s[36:37], 0
	s_mov_b64 s[38:39], -1
	s_waitcnt lgkmcnt(0)
	s_barrier
                                        ; implicit-def: $vgpr8_vgpr9
	s_cbranch_scc1 .LBB49_123
; %bb.113:                              ;   in Loop: Header=BB49_6 Depth=1
	s_add_i32 s2, s42, s52
	v_readlane_b32 s3, v46, 47
	s_mul_hi_u32 s3, s2, s3
	s_mul_i32 s3, s3, s54
	s_sub_i32 s3, s2, s3
	s_sub_i32 s8, s3, s54
	s_cmp_ge_u32 s3, s54
	s_cselect_b32 s3, s8, s3
	s_sub_i32 s8, s3, s54
	s_cmp_ge_u32 s3, s54
	s_cselect_b32 s3, s8, s3
	s_sub_i32 s43, s2, s3
	v_cmp_gt_u32_e32 vcc, s43, v0
	s_mov_b64 s[38:39], 0
                                        ; implicit-def: $vgpr8_vgpr9
	s_and_saveexec_b64 s[2:3], vcc
	s_cbranch_execz .LBB49_122
; %bb.114:                              ;   in Loop: Header=BB49_6 Depth=1
	s_mov_b64 s[16:17], 0
	v_mov_b32_e32 v13, v30
	v_mov_b32_e32 v42, v0
                                        ; implicit-def: $sgpr36_sgpr37
	s_branch .LBB49_117
.LBB49_115:                             ;   in Loop: Header=BB49_117 Depth=2
	s_or_b64 exec, exec, s[8:9]
	s_waitcnt lgkmcnt(0)
	s_barrier
	ds_read_b128 v[6:9], v14 offset:3072
	s_mov_b64 s[8:9], -1
	s_mov_b64 s[40:41], -1
	s_waitcnt lgkmcnt(0)
	s_barrier
	v_cmp_ne_u64_e32 vcc, 0, v[6:7]
	s_cbranch_vccz .LBB49_120
.LBB49_116:                             ;   in Loop: Header=BB49_117 Depth=2
	s_and_b64 s[8:9], exec, s[8:9]
	s_or_b64 s[16:17], s[8:9], s[16:17]
	s_andn2_b64 s[8:9], s[36:37], exec
	s_and_b64 s[36:37], s[40:41], exec
	s_or_b64 s[36:37], s[8:9], s[36:37]
	s_andn2_b64 exec, exec, s[16:17]
	s_cbranch_execz .LBB49_121
.LBB49_117:                             ;   Parent Loop BB49_6 Depth=1
                                        ; =>  This Inner Loop Header: Depth=2
	v_cmp_gt_u32_e32 vcc, s42, v42
	s_and_saveexec_b64 s[8:9], vcc
	s_cbranch_execz .LBB49_115
; %bb.118:                              ;   in Loop: Header=BB49_117 Depth=2
	ds_read_b64 v[7:8], v13
	s_waitcnt lgkmcnt(0)
	v_xor_b32_e32 v6, 0x80000000, v8
	v_and_b32_e32 v44, v6, v22
	v_and_b32_e32 v43, v7, v21
	v_cmp_eq_u64_e32 vcc, v[43:44], v[1:2]
	s_and_b64 exec, exec, vcc
	s_cbranch_execz .LBB49_115
; %bb.119:                              ;   in Loop: Header=BB49_117 Depth=2
	v_mov_b32_e32 v6, v14
	ds_write_b128 v14, v[5:8] offset:3072
	s_branch .LBB49_115
.LBB49_120:                             ;   in Loop: Header=BB49_117 Depth=2
	v_add_u32_e32 v42, s54, v42
	v_cmp_le_u32_e32 vcc, s43, v42
	v_add_u32_e32 v13, s10, v13
	s_mov_b64 s[40:41], 0
	s_orn2_b64 s[8:9], vcc, exec
	s_branch .LBB49_116
.LBB49_121:                             ;   in Loop: Header=BB49_6 Depth=1
	s_or_b64 exec, exec, s[16:17]
	s_and_b64 s[36:37], s[36:37], exec
.LBB49_122:                             ;   in Loop: Header=BB49_6 Depth=1
	s_or_b64 exec, exec, s[2:3]
.LBB49_123:                             ;   in Loop: Header=BB49_6 Depth=1
	s_and_b64 vcc, exec, s[38:39]
	s_cbranch_vccz .LBB49_134
; %bb.124:                              ;   in Loop: Header=BB49_6 Depth=1
                                        ; implicit-def: $vgpr8_vgpr9
	s_mov_b64 s[2:3], exec
	v_readlane_b32 s8, v46, 48
	v_readlane_b32 s9, v46, 49
	s_and_b64 s[8:9], s[2:3], s[8:9]
	s_mov_b64 exec, s[8:9]
	s_cbranch_execz .LBB49_133
; %bb.125:                              ;   in Loop: Header=BB49_6 Depth=1
	s_mov_b64 s[16:17], 0
	v_mov_b32_e32 v13, v12
	v_mov_b32_e32 v42, v0
                                        ; implicit-def: $sgpr38_sgpr39
	s_branch .LBB49_128
.LBB49_126:                             ;   in Loop: Header=BB49_128 Depth=2
	s_or_b64 exec, exec, s[8:9]
	s_waitcnt lgkmcnt(0)
	s_barrier
	ds_read_b128 v[6:9], v14 offset:3072
	s_mov_b64 s[8:9], -1
	s_mov_b64 s[40:41], -1
	s_waitcnt lgkmcnt(0)
	s_barrier
	v_cmp_eq_u64_e32 vcc, 0, v[6:7]
	s_cbranch_vccnz .LBB49_131
.LBB49_127:                             ;   in Loop: Header=BB49_128 Depth=2
	s_and_b64 s[8:9], exec, s[8:9]
	s_or_b64 s[16:17], s[8:9], s[16:17]
	s_andn2_b64 s[8:9], s[38:39], exec
	s_and_b64 s[38:39], s[40:41], exec
	s_or_b64 s[38:39], s[8:9], s[38:39]
	s_andn2_b64 exec, exec, s[16:17]
	s_cbranch_execz .LBB49_132
.LBB49_128:                             ;   Parent Loop BB49_6 Depth=1
                                        ; =>  This Inner Loop Header: Depth=2
	v_cmp_gt_u32_e32 vcc, s28, v42
	s_and_saveexec_b64 s[8:9], vcc
	s_cbranch_execz .LBB49_126
; %bb.129:                              ;   in Loop: Header=BB49_128 Depth=2
	v_lshlrev_b64 v[6:7], 3, v[13:14]
	v_mov_b32_e32 v8, s48
	v_add_co_u32_e32 v6, vcc, s33, v6
	v_addc_co_u32_e32 v7, vcc, v8, v7, vcc
	global_load_dwordx2 v[7:8], v[6:7], off
	s_waitcnt vmcnt(0)
	v_xor_b32_e32 v6, 0x80000000, v8
	v_and_b32_e32 v44, v6, v22
	v_and_b32_e32 v43, v7, v21
	v_cmp_eq_u64_e32 vcc, v[43:44], v[1:2]
	s_and_b64 exec, exec, vcc
	s_cbranch_execz .LBB49_126
; %bb.130:                              ;   in Loop: Header=BB49_128 Depth=2
	v_mov_b32_e32 v6, v14
	ds_write_b128 v14, v[5:8] offset:3072
	s_branch .LBB49_126
.LBB49_131:                             ;   in Loop: Header=BB49_128 Depth=2
	v_add_u32_e32 v42, s54, v42
	v_cmp_le_u32_e32 vcc, s12, v42
	v_add_u32_e32 v13, s55, v13
	s_mov_b64 s[40:41], 0
	s_orn2_b64 s[8:9], vcc, exec
	s_branch .LBB49_127
.LBB49_132:                             ;   in Loop: Header=BB49_6 Depth=1
	s_or_b64 exec, exec, s[16:17]
	s_andn2_b64 s[8:9], s[36:37], exec
	s_and_b64 s[16:17], s[38:39], exec
	s_or_b64 s[36:37], s[8:9], s[16:17]
.LBB49_133:                             ;   in Loop: Header=BB49_6 Depth=1
	s_or_b64 exec, exec, s[2:3]
	s_mov_b64 s[86:87], 0
	s_mov_b64 s[88:89], -1
.LBB49_134:                             ;   in Loop: Header=BB49_6 Depth=1
	s_orn2_b64 s[2:3], s[36:37], exec
.LBB49_135:                             ;   in Loop: Header=BB49_6 Depth=1
	s_or_b64 exec, exec, s[34:35]
	s_mov_b64 s[8:9], 0
	s_and_saveexec_b64 s[34:35], s[2:3]
	s_cbranch_execz .LBB49_225
; %bb.136:                              ;   in Loop: Header=BB49_6 Depth=1
	s_xor_b64 s[2:3], s[24:25], -1
	v_mov_b32_e32 v42, 1
	v_mov_b32_e32 v23, 1
	s_and_saveexec_b64 s[24:25], s[2:3]
	s_cbranch_execz .LBB49_145
; %bb.137:                              ;   in Loop: Header=BB49_6 Depth=1
	v_cmp_ge_u32_e32 vcc, s5, v24
	s_and_saveexec_b64 s[2:3], vcc
	s_xor_b64 s[2:3], exec, s[2:3]
	s_cbranch_execz .LBB49_142
; %bb.138:                              ;   in Loop: Header=BB49_6 Depth=1
	ds_read_b32 v6, v14 offset:4096
	s_lshl_b64 s[8:9], 1, s11
	v_and_b32_e32 v2, s85, v2
	v_and_b32_e32 v1, s84, v1
	v_or_b32_e32 v2, s9, v2
	s_waitcnt lgkmcnt(0)
	v_cmp_ne_u32_e32 vcc, 0, v6
	v_or_b32_e32 v1, s8, v1
	v_or_b32_e32 v22, s23, v22
	;; [unrolled: 1-line block ×3, first 2 shown]
	s_cbranch_vccnz .LBB49_142
; %bb.139:                              ;   in Loop: Header=BB49_6 Depth=1
	s_mov_b64 s[8:9], exec
	v_readlane_b32 s16, v46, 22
	v_readlane_b32 s17, v46, 23
	s_and_b64 s[16:17], s[8:9], s[16:17]
	s_mov_b64 exec, s[16:17]
; %bb.140:                              ;   in Loop: Header=BB49_6 Depth=1
	v_mov_b32_e32 v6, s5
	ds_write_b32 v14, v6 offset:4100
; %bb.141:                              ;   in Loop: Header=BB49_6 Depth=1
	s_or_b64 exec, exec, s[8:9]
	s_waitcnt lgkmcnt(0)
	s_barrier
.LBB49_142:                             ;   in Loop: Header=BB49_6 Depth=1
	s_or_saveexec_b64 s[2:3], s[2:3]
	s_mov_b64 s[8:9], 0
	v_mov_b32_e32 v23, 8
	s_xor_b64 exec, exec, s[2:3]
; %bb.143:                              ;   in Loop: Header=BB49_6 Depth=1
	s_mov_b64 s[8:9], exec
	v_subrev_u32_e32 v24, s5, v24
	v_mov_b32_e32 v23, 0
; %bb.144:                              ;   in Loop: Header=BB49_6 Depth=1
	s_or_b64 exec, exec, s[2:3]
	s_and_b64 s[8:9], s[8:9], exec
	v_mov_b32_e32 v42, v24
.LBB49_145:                             ;   in Loop: Header=BB49_6 Depth=1
	s_or_b64 exec, exec, s[24:25]
	s_mov_b64 s[2:3], -1
                                        ; implicit-def: $sgpr38_sgpr39
                                        ; implicit-def: $sgpr40_sgpr41
	s_and_saveexec_b64 s[36:37], s[8:9]
	s_cbranch_execz .LBB49_224
; %bb.146:                              ;   in Loop: Header=BB49_6 Depth=1
	s_cmp_eq_u32 s58, 1
	s_cselect_b64 s[2:3], -1, 0
	v_cmp_eq_u32_e32 vcc, 1, v42
	s_and_b64 s[24:25], s[2:3], vcc
	s_mov_b64 s[2:3], -1
                                        ; implicit-def: $sgpr40_sgpr41
                                        ; implicit-def: $sgpr38_sgpr39
	s_and_saveexec_b64 s[42:43], s[24:25]
	s_cbranch_execz .LBB49_172
; %bb.147:                              ;   in Loop: Header=BB49_6 Depth=1
	ds_read_b32 v6, v14 offset:4096
	s_waitcnt lgkmcnt(0)
	s_barrier
	v_readfirstlane_b32 s60, v6
	s_mov_b64 s[2:3], exec
	v_readlane_b32 s8, v46, 33
	v_readlane_b32 s9, v46, 34
	s_and_b64 s[8:9], s[2:3], s[8:9]
	s_mov_b64 exec, s[8:9]
; %bb.148:                              ;   in Loop: Header=BB49_6 Depth=1
	v_mov_b32_e32 v13, v14
	ds_write_b64 v31, v[13:14]
; %bb.149:                              ;   in Loop: Header=BB49_6 Depth=1
	s_or_b64 exec, exec, s[2:3]
	s_lshl_b64 s[2:3], 2, s11
	v_and_b32_e32 v2, s85, v2
	v_and_b32_e32 v1, s84, v1
	v_or_b32_e32 v2, s3, v2
	v_or_b32_e32 v1, s2, v1
	;; [unrolled: 1-line block ×4, first 2 shown]
	s_mov_b64 s[38:39], -1
	s_mov_b64 s[40:41], 0
	s_cmp_eq_u32 s60, 0
	s_mov_b64 s[44:45], 0
	s_mov_b64 s[46:47], -1
	s_waitcnt lgkmcnt(0)
	s_barrier
                                        ; implicit-def: $vgpr8_vgpr9
	s_cbranch_scc1 .LBB49_160
; %bb.150:                              ;   in Loop: Header=BB49_6 Depth=1
	s_add_i32 s2, s60, s52
	v_readlane_b32 s3, v46, 47
	s_mul_hi_u32 s3, s2, s3
	s_mul_i32 s3, s3, s54
	s_sub_i32 s3, s2, s3
	s_sub_i32 s8, s3, s54
	s_cmp_ge_u32 s3, s54
	s_cselect_b32 s3, s8, s3
	s_sub_i32 s8, s3, s54
	s_cmp_ge_u32 s3, s54
	s_cselect_b32 s3, s8, s3
	s_sub_i32 s61, s2, s3
	v_cmp_gt_u32_e32 vcc, s61, v0
	s_mov_b64 s[46:47], 0
                                        ; implicit-def: $vgpr8_vgpr9
	s_and_saveexec_b64 s[2:3], vcc
	s_cbranch_execz .LBB49_159
; %bb.151:                              ;   in Loop: Header=BB49_6 Depth=1
	s_mov_b64 s[16:17], 0
	v_mov_b32_e32 v13, v30
	v_mov_b32_e32 v24, v0
	v_writelane_b32 v46, s52, 54
                                        ; implicit-def: $sgpr44_sgpr45
	s_branch .LBB49_154
.LBB49_152:                             ;   in Loop: Header=BB49_154 Depth=2
	s_or_b64 exec, exec, s[8:9]
	s_waitcnt lgkmcnt(0)
	s_barrier
	ds_read_b128 v[6:9], v14 offset:3072
	s_mov_b64 s[8:9], -1
	s_mov_b64 s[52:53], -1
	s_waitcnt lgkmcnt(0)
	s_barrier
	v_cmp_ne_u64_e32 vcc, 0, v[6:7]
	s_cbranch_vccz .LBB49_157
.LBB49_153:                             ;   in Loop: Header=BB49_154 Depth=2
	s_and_b64 s[8:9], exec, s[8:9]
	s_or_b64 s[16:17], s[8:9], s[16:17]
	s_andn2_b64 s[8:9], s[44:45], exec
	s_and_b64 s[44:45], s[52:53], exec
	s_or_b64 s[44:45], s[8:9], s[44:45]
	s_andn2_b64 exec, exec, s[16:17]
	s_cbranch_execz .LBB49_158
.LBB49_154:                             ;   Parent Loop BB49_6 Depth=1
                                        ; =>  This Inner Loop Header: Depth=2
	v_cmp_gt_u32_e32 vcc, s60, v24
	s_and_saveexec_b64 s[8:9], vcc
	s_cbranch_execz .LBB49_152
; %bb.155:                              ;   in Loop: Header=BB49_154 Depth=2
	ds_read_b64 v[7:8], v13
	s_waitcnt lgkmcnt(0)
	v_xor_b32_e32 v6, 0x80000000, v8
	v_and_b32_e32 v44, v6, v22
	v_and_b32_e32 v43, v7, v21
	v_cmp_eq_u64_e32 vcc, v[43:44], v[1:2]
	s_and_b64 exec, exec, vcc
	s_cbranch_execz .LBB49_152
; %bb.156:                              ;   in Loop: Header=BB49_154 Depth=2
	v_mov_b32_e32 v6, v14
	ds_write_b128 v14, v[5:8] offset:3072
	s_branch .LBB49_152
.LBB49_157:                             ;   in Loop: Header=BB49_154 Depth=2
	v_add_u32_e32 v24, s54, v24
	v_cmp_le_u32_e32 vcc, s61, v24
	v_add_u32_e32 v13, s10, v13
	s_mov_b64 s[52:53], 0
	s_orn2_b64 s[8:9], vcc, exec
	s_branch .LBB49_153
.LBB49_158:                             ;   in Loop: Header=BB49_6 Depth=1
	s_or_b64 exec, exec, s[16:17]
	v_readlane_b32 s8, v46, 12
	v_readlane_b32 s9, v46, 13
	s_load_dword s53, s[8:9], 0xe8
	s_and_b64 s[44:45], s[44:45], exec
	v_readlane_b32 s52, v46, 54
.LBB49_159:                             ;   in Loop: Header=BB49_6 Depth=1
	s_or_b64 exec, exec, s[2:3]
.LBB49_160:                             ;   in Loop: Header=BB49_6 Depth=1
	s_and_b64 vcc, exec, s[46:47]
	s_cbranch_vccz .LBB49_171
; %bb.161:                              ;   in Loop: Header=BB49_6 Depth=1
                                        ; implicit-def: $vgpr8_vgpr9
	s_mov_b64 s[2:3], exec
	v_readlane_b32 s8, v46, 48
	v_readlane_b32 s9, v46, 49
	s_and_b64 s[8:9], s[2:3], s[8:9]
	s_mov_b64 exec, s[8:9]
	s_cbranch_execz .LBB49_170
; %bb.162:                              ;   in Loop: Header=BB49_6 Depth=1
	s_mov_b64 s[16:17], 0
	v_mov_b32_e32 v13, v12
	v_mov_b32_e32 v24, v0
                                        ; implicit-def: $sgpr38_sgpr39
	s_branch .LBB49_165
.LBB49_163:                             ;   in Loop: Header=BB49_165 Depth=2
	s_or_b64 exec, exec, s[8:9]
	s_waitcnt lgkmcnt(0)
	s_barrier
	ds_read_b128 v[6:9], v14 offset:3072
	s_mov_b64 s[8:9], -1
	s_mov_b64 s[40:41], -1
	s_waitcnt lgkmcnt(0)
	s_barrier
	v_cmp_eq_u64_e32 vcc, 0, v[6:7]
	s_cbranch_vccnz .LBB49_168
.LBB49_164:                             ;   in Loop: Header=BB49_165 Depth=2
	s_and_b64 s[8:9], exec, s[8:9]
	s_or_b64 s[16:17], s[8:9], s[16:17]
	s_andn2_b64 s[8:9], s[38:39], exec
	s_and_b64 s[38:39], s[40:41], exec
	s_or_b64 s[38:39], s[8:9], s[38:39]
	s_andn2_b64 exec, exec, s[16:17]
	s_cbranch_execz .LBB49_169
.LBB49_165:                             ;   Parent Loop BB49_6 Depth=1
                                        ; =>  This Inner Loop Header: Depth=2
	v_cmp_gt_u32_e32 vcc, s28, v24
	s_and_saveexec_b64 s[8:9], vcc
	s_cbranch_execz .LBB49_163
; %bb.166:                              ;   in Loop: Header=BB49_165 Depth=2
	v_lshlrev_b64 v[6:7], 3, v[13:14]
	v_mov_b32_e32 v8, s48
	v_add_co_u32_e32 v6, vcc, s33, v6
	v_addc_co_u32_e32 v7, vcc, v8, v7, vcc
	global_load_dwordx2 v[7:8], v[6:7], off
	s_waitcnt vmcnt(0)
	v_xor_b32_e32 v6, 0x80000000, v8
	v_and_b32_e32 v44, v6, v22
	v_and_b32_e32 v43, v7, v21
	v_cmp_eq_u64_e32 vcc, v[43:44], v[1:2]
	s_and_b64 exec, exec, vcc
	s_cbranch_execz .LBB49_163
; %bb.167:                              ;   in Loop: Header=BB49_165 Depth=2
	v_mov_b32_e32 v6, v14
	ds_write_b128 v14, v[5:8] offset:3072
	s_branch .LBB49_163
.LBB49_168:                             ;   in Loop: Header=BB49_165 Depth=2
	v_add_u32_e32 v24, s54, v24
	v_cmp_le_u32_e32 vcc, s12, v24
	v_add_u32_e32 v13, s55, v13
	s_mov_b64 s[40:41], 0
	s_orn2_b64 s[8:9], vcc, exec
	s_branch .LBB49_164
.LBB49_169:                             ;   in Loop: Header=BB49_6 Depth=1
	s_or_b64 exec, exec, s[16:17]
	s_andn2_b64 s[8:9], s[44:45], exec
	s_and_b64 s[16:17], s[38:39], exec
	s_or_b64 s[44:45], s[8:9], s[16:17]
.LBB49_170:                             ;   in Loop: Header=BB49_6 Depth=1
	s_or_b64 exec, exec, s[2:3]
	s_mov_b64 s[38:39], 0
	s_mov_b64 s[40:41], -1
.LBB49_171:                             ;   in Loop: Header=BB49_6 Depth=1
	s_orn2_b64 s[2:3], s[44:45], exec
.LBB49_172:                             ;   in Loop: Header=BB49_6 Depth=1
	s_or_b64 exec, exec, s[42:43]
	s_mov_b64 s[8:9], 0
	s_and_saveexec_b64 s[42:43], s[2:3]
	s_cbranch_execz .LBB49_223
; %bb.173:                              ;   in Loop: Header=BB49_6 Depth=1
	s_xor_b64 s[2:3], s[24:25], -1
	v_mov_b32_e32 v24, 1
	v_mov_b32_e32 v23, 1
	s_and_saveexec_b64 s[24:25], s[2:3]
	s_cbranch_execz .LBB49_182
; %bb.174:                              ;   in Loop: Header=BB49_6 Depth=1
	v_cmp_ge_u32_e32 vcc, s58, v42
	s_and_saveexec_b64 s[2:3], vcc
	s_xor_b64 s[2:3], exec, s[2:3]
	s_cbranch_execz .LBB49_179
; %bb.175:                              ;   in Loop: Header=BB49_6 Depth=1
	ds_read_b32 v6, v14 offset:4096
	s_lshl_b64 s[8:9], 2, s11
	v_and_b32_e32 v2, s85, v2
	v_and_b32_e32 v1, s84, v1
	v_or_b32_e32 v2, s9, v2
	s_waitcnt lgkmcnt(0)
	v_cmp_ne_u32_e32 vcc, 0, v6
	v_or_b32_e32 v1, s8, v1
	v_or_b32_e32 v22, s23, v22
	;; [unrolled: 1-line block ×3, first 2 shown]
	s_cbranch_vccnz .LBB49_179
; %bb.176:                              ;   in Loop: Header=BB49_6 Depth=1
	s_mov_b64 s[8:9], exec
	v_readlane_b32 s16, v46, 22
	v_readlane_b32 s17, v46, 23
	s_and_b64 s[16:17], s[8:9], s[16:17]
	s_mov_b64 exec, s[16:17]
; %bb.177:                              ;   in Loop: Header=BB49_6 Depth=1
	v_mov_b32_e32 v6, s58
	ds_write_b32 v14, v6 offset:4100
; %bb.178:                              ;   in Loop: Header=BB49_6 Depth=1
	s_or_b64 exec, exec, s[8:9]
	s_waitcnt lgkmcnt(0)
	s_barrier
.LBB49_179:                             ;   in Loop: Header=BB49_6 Depth=1
	s_or_saveexec_b64 s[2:3], s[2:3]
	s_mov_b64 s[8:9], 0
	v_mov_b32_e32 v23, 8
	s_xor_b64 exec, exec, s[2:3]
; %bb.180:                              ;   in Loop: Header=BB49_6 Depth=1
	s_mov_b64 s[8:9], exec
	v_subrev_u32_e32 v42, s58, v42
	v_mov_b32_e32 v23, 0
; %bb.181:                              ;   in Loop: Header=BB49_6 Depth=1
	s_or_b64 exec, exec, s[2:3]
	s_and_b64 s[8:9], s[8:9], exec
	v_mov_b32_e32 v24, v42
.LBB49_182:                             ;   in Loop: Header=BB49_6 Depth=1
	s_or_b64 exec, exec, s[24:25]
	s_mov_b64 s[2:3], -1
                                        ; implicit-def: $sgpr46_sgpr47
                                        ; implicit-def: $vcc
	s_and_saveexec_b64 s[24:25], s[8:9]
	s_cbranch_execz .LBB49_222
; %bb.183:                              ;   in Loop: Header=BB49_6 Depth=1
	s_cmp_eq_u32 s59, 1
	s_cselect_b64 s[2:3], -1, 0
	v_cmp_eq_u32_e32 vcc, 1, v24
	s_and_b64 s[44:45], s[2:3], vcc
	s_mov_b64 s[8:9], -1
                                        ; implicit-def: $sgpr46_sgpr47
                                        ; implicit-def: $vcc
	s_mov_b64 s[2:3], exec
	v_writelane_b32 v46, s2, 50
	v_writelane_b32 v46, s3, 51
	s_and_b64 s[2:3], s[2:3], s[44:45]
	s_mov_b64 exec, s[2:3]
	s_cbranch_execz .LBB49_210
; %bb.184:                              ;   in Loop: Header=BB49_6 Depth=1
	ds_read_b32 v6, v14 offset:4096
	s_waitcnt lgkmcnt(0)
	s_barrier
	v_readfirstlane_b32 s16, v6
	s_mov_b64 s[2:3], exec
	v_readlane_b32 s8, v46, 33
	v_readlane_b32 s9, v46, 34
	s_and_b64 s[8:9], s[2:3], s[8:9]
	s_mov_b64 exec, s[8:9]
; %bb.185:                              ;   in Loop: Header=BB49_6 Depth=1
	v_mov_b32_e32 v13, v14
	ds_write_b64 v31, v[13:14]
; %bb.186:                              ;   in Loop: Header=BB49_6 Depth=1
	s_or_b64 exec, exec, s[2:3]
	v_or_b32_e32 v2, s23, v2
	v_or_b32_e32 v1, s22, v1
	v_or_b32_e32 v22, s23, v22
	v_or_b32_e32 v21, s22, v21
	s_mov_b64 s[46:47], 0
	s_cmp_eq_u32 s16, 0
	s_mov_b64 s[60:61], 0
	s_mov_b64 s[2:3], -1
	s_waitcnt lgkmcnt(0)
	s_barrier
                                        ; implicit-def: $vgpr8_vgpr9
	s_cbranch_scc1 .LBB49_197
; %bb.187:                              ;   in Loop: Header=BB49_6 Depth=1
	s_add_i32 s2, s16, s52
	v_readlane_b32 s3, v46, 47
	s_mul_hi_u32 s3, s2, s3
	s_mul_i32 s3, s3, s54
	s_sub_i32 s3, s2, s3
	s_sub_i32 s8, s3, s54
	s_cmp_ge_u32 s3, s54
	s_cselect_b32 s3, s8, s3
	s_sub_i32 s8, s3, s54
	s_cmp_ge_u32 s3, s54
	s_cselect_b32 s3, s8, s3
	s_sub_i32 s17, s2, s3
	s_mov_b64 s[2:3], 0
	v_cmp_gt_u32_e32 vcc, s17, v0
                                        ; implicit-def: $vgpr8_vgpr9
	s_mov_b64 s[8:9], exec
	v_writelane_b32 v46, s8, 52
	v_writelane_b32 v46, s9, 53
	s_and_b64 s[8:9], s[8:9], vcc
	s_mov_b64 exec, s[8:9]
	s_cbranch_execz .LBB49_196
; %bb.188:                              ;   in Loop: Header=BB49_6 Depth=1
	v_writelane_b32 v46, s44, 55
	v_writelane_b32 v46, s45, 56
	v_mov_b32_e32 v13, v30
	v_mov_b32_e32 v42, v0
	v_writelane_b32 v46, s52, 54
                                        ; implicit-def: $sgpr8_sgpr9
	s_branch .LBB49_191
.LBB49_189:                             ;   in Loop: Header=BB49_191 Depth=2
	s_or_b64 exec, exec, s[52:53]
	s_waitcnt lgkmcnt(0)
	s_barrier
	ds_read_b128 v[6:9], v14 offset:3072
	s_mov_b64 s[52:53], -1
	s_mov_b64 s[44:45], -1
	s_waitcnt lgkmcnt(0)
	s_barrier
	v_cmp_ne_u64_e32 vcc, 0, v[6:7]
	s_cbranch_vccz .LBB49_194
.LBB49_190:                             ;   in Loop: Header=BB49_191 Depth=2
	s_and_b64 s[52:53], exec, s[52:53]
	s_or_b64 s[60:61], s[52:53], s[60:61]
	s_andn2_b64 s[8:9], s[8:9], exec
	s_and_b64 s[44:45], s[44:45], exec
	s_or_b64 s[8:9], s[8:9], s[44:45]
	s_andn2_b64 exec, exec, s[60:61]
	s_cbranch_execz .LBB49_195
.LBB49_191:                             ;   Parent Loop BB49_6 Depth=1
                                        ; =>  This Inner Loop Header: Depth=2
	v_cmp_gt_u32_e32 vcc, s16, v42
	s_and_saveexec_b64 s[52:53], vcc
	s_cbranch_execz .LBB49_189
; %bb.192:                              ;   in Loop: Header=BB49_191 Depth=2
	ds_read_b64 v[7:8], v13
	s_waitcnt lgkmcnt(0)
	v_xor_b32_e32 v6, 0x80000000, v8
	v_and_b32_e32 v44, v6, v22
	v_and_b32_e32 v43, v7, v21
	v_cmp_eq_u64_e32 vcc, v[43:44], v[1:2]
	s_and_b64 exec, exec, vcc
	s_cbranch_execz .LBB49_189
; %bb.193:                              ;   in Loop: Header=BB49_191 Depth=2
	v_mov_b32_e32 v6, v14
	ds_write_b128 v14, v[5:8] offset:3072
	s_branch .LBB49_189
.LBB49_194:                             ;   in Loop: Header=BB49_191 Depth=2
	v_add_u32_e32 v42, s54, v42
	v_cmp_le_u32_e32 vcc, s17, v42
	v_add_u32_e32 v13, s10, v13
	s_mov_b64 s[44:45], 0
	s_orn2_b64 s[52:53], vcc, exec
	s_branch .LBB49_190
.LBB49_195:                             ;   in Loop: Header=BB49_6 Depth=1
	s_or_b64 exec, exec, s[60:61]
	s_and_b64 s[60:61], s[8:9], exec
	v_readlane_b32 s8, v46, 12
	v_readlane_b32 s9, v46, 13
	s_load_dword s53, s[8:9], 0xe8
	v_readlane_b32 s44, v46, 55
	v_readlane_b32 s52, v46, 54
	;; [unrolled: 1-line block ×3, first 2 shown]
.LBB49_196:                             ;   in Loop: Header=BB49_6 Depth=1
	v_readlane_b32 s8, v46, 52
	v_readlane_b32 s9, v46, 53
	s_or_b64 exec, exec, s[8:9]
.LBB49_197:                             ;   in Loop: Header=BB49_6 Depth=1
	s_and_b64 vcc, exec, s[2:3]
	s_cbranch_vccz .LBB49_206
; %bb.198:                              ;   in Loop: Header=BB49_6 Depth=1
                                        ; implicit-def: $vgpr8_vgpr9
	s_mov_b64 s[2:3], exec
	v_readlane_b32 s8, v46, 48
	v_readlane_b32 s9, v46, 49
	s_and_b64 s[8:9], s[2:3], s[8:9]
	s_mov_b64 exec, s[8:9]
	s_cbranch_execz .LBB49_208
; %bb.199:                              ;   in Loop: Header=BB49_6 Depth=1
	v_writelane_b32 v46, s44, 55
	s_mov_b64 s[16:17], 0
	v_mov_b32_e32 v13, v12
	v_mov_b32_e32 v42, v0
	v_writelane_b32 v46, s45, 56
                                        ; implicit-def: $sgpr46_sgpr47
	s_branch .LBB49_202
.LBB49_200:                             ;   in Loop: Header=BB49_202 Depth=2
	s_or_b64 exec, exec, s[8:9]
	s_waitcnt lgkmcnt(0)
	s_barrier
	ds_read_b128 v[6:9], v14 offset:3072
	s_mov_b64 s[8:9], -1
	s_mov_b64 s[44:45], -1
	s_waitcnt lgkmcnt(0)
	s_barrier
	v_cmp_eq_u64_e32 vcc, 0, v[6:7]
	s_cbranch_vccnz .LBB49_205
.LBB49_201:                             ;   in Loop: Header=BB49_202 Depth=2
	s_and_b64 s[8:9], exec, s[8:9]
	s_or_b64 s[16:17], s[8:9], s[16:17]
	s_andn2_b64 s[8:9], s[46:47], exec
	s_and_b64 s[44:45], s[44:45], exec
	s_or_b64 s[46:47], s[8:9], s[44:45]
	s_andn2_b64 exec, exec, s[16:17]
	s_cbranch_execz .LBB49_207
.LBB49_202:                             ;   Parent Loop BB49_6 Depth=1
                                        ; =>  This Inner Loop Header: Depth=2
	v_cmp_gt_u32_e32 vcc, s28, v42
	s_and_saveexec_b64 s[8:9], vcc
	s_cbranch_execz .LBB49_200
; %bb.203:                              ;   in Loop: Header=BB49_202 Depth=2
	v_lshlrev_b64 v[6:7], 3, v[13:14]
	v_mov_b32_e32 v8, s48
	v_add_co_u32_e32 v6, vcc, s33, v6
	v_addc_co_u32_e32 v7, vcc, v8, v7, vcc
	global_load_dwordx2 v[7:8], v[6:7], off
	s_waitcnt vmcnt(0)
	v_xor_b32_e32 v6, 0x80000000, v8
	v_and_b32_e32 v44, v6, v22
	v_and_b32_e32 v43, v7, v21
	v_cmp_eq_u64_e32 vcc, v[43:44], v[1:2]
	s_and_b64 exec, exec, vcc
	s_cbranch_execz .LBB49_200
; %bb.204:                              ;   in Loop: Header=BB49_202 Depth=2
	v_mov_b32_e32 v6, v14
	ds_write_b128 v14, v[5:8] offset:3072
	s_branch .LBB49_200
.LBB49_205:                             ;   in Loop: Header=BB49_202 Depth=2
	v_add_u32_e32 v42, s54, v42
	v_cmp_le_u32_e32 vcc, s12, v42
	v_add_u32_e32 v13, s55, v13
	s_mov_b64 s[44:45], 0
	s_orn2_b64 s[8:9], vcc, exec
	s_branch .LBB49_201
.LBB49_206:                             ;   in Loop: Header=BB49_6 Depth=1
	s_mov_b64 vcc, -1
	s_branch .LBB49_209
.LBB49_207:                             ;   in Loop: Header=BB49_6 Depth=1
	s_or_b64 exec, exec, s[16:17]
	s_andn2_b64 s[8:9], s[60:61], exec
	s_and_b64 s[16:17], s[46:47], exec
	v_readlane_b32 s44, v46, 55
	s_or_b64 s[60:61], s[8:9], s[16:17]
	v_readlane_b32 s45, v46, 56
.LBB49_208:                             ;   in Loop: Header=BB49_6 Depth=1
	s_or_b64 exec, exec, s[2:3]
	s_mov_b64 vcc, 0
	s_mov_b64 s[46:47], -1
.LBB49_209:                             ;   in Loop: Header=BB49_6 Depth=1
	s_orn2_b64 s[8:9], s[60:61], exec
.LBB49_210:                             ;   in Loop: Header=BB49_6 Depth=1
	v_readlane_b32 s2, v46, 50
	v_readlane_b32 s3, v46, 51
	s_or_b64 exec, exec, s[2:3]
	s_mov_b64 s[16:17], 0
	s_and_saveexec_b64 s[2:3], s[8:9]
	s_cbranch_execz .LBB49_221
; %bb.211:                              ;   in Loop: Header=BB49_6 Depth=1
	s_xor_b64 s[8:9], s[44:45], -1
	v_mov_b32_e32 v23, 1
	v_mov_b32_e32 v6, 1
	s_and_saveexec_b64 s[16:17], s[8:9]
	s_cbranch_execz .LBB49_220
; %bb.212:                              ;   in Loop: Header=BB49_6 Depth=1
	s_mov_b64 s[60:61], vcc
	v_cmp_ge_u32_e32 vcc, s59, v24
	s_and_saveexec_b64 s[8:9], vcc
	s_xor_b64 s[8:9], exec, s[8:9]
	s_cbranch_execz .LBB49_217
; %bb.213:                              ;   in Loop: Header=BB49_6 Depth=1
	ds_read_b32 v6, v14 offset:4096
	v_or_b32_e32 v2, s23, v2
	v_or_b32_e32 v1, s22, v1
	;; [unrolled: 1-line block ×4, first 2 shown]
	s_waitcnt lgkmcnt(0)
	v_cmp_ne_u32_e32 vcc, 0, v6
	s_cbranch_vccnz .LBB49_217
; %bb.214:                              ;   in Loop: Header=BB49_6 Depth=1
	s_mov_b32 vcc_lo, s52
	s_mov_b32 vcc_hi, s53
	s_mov_b64 s[44:45], exec
	v_readlane_b32 s52, v46, 22
	v_readlane_b32 s53, v46, 23
	s_and_b64 s[52:53], s[44:45], s[52:53]
	s_mov_b64 exec, s[52:53]
; %bb.215:                              ;   in Loop: Header=BB49_6 Depth=1
	v_mov_b32_e32 v6, s59
	ds_write_b32 v14, v6 offset:4100
; %bb.216:                              ;   in Loop: Header=BB49_6 Depth=1
	s_or_b64 exec, exec, s[44:45]
	s_mov_b32 s53, vcc_hi
	s_mov_b32 s52, vcc_lo
	s_waitcnt lgkmcnt(0)
	s_barrier
.LBB49_217:                             ;   in Loop: Header=BB49_6 Depth=1
	s_andn2_saveexec_b64 s[8:9], s[8:9]
; %bb.218:                              ;   in Loop: Header=BB49_6 Depth=1
	v_subrev_u32_e32 v24, s59, v24
; %bb.219:                              ;   in Loop: Header=BB49_6 Depth=1
	s_or_b64 exec, exec, s[8:9]
	v_mov_b32_e32 v23, 8
	v_mov_b32_e32 v6, v24
	s_mov_b64 vcc, s[60:61]
.LBB49_220:                             ;   in Loop: Header=BB49_6 Depth=1
	s_or_b64 exec, exec, s[16:17]
	s_mov_b64 s[16:17], exec
	v_mov_b32_e32 v24, v6
.LBB49_221:                             ;   in Loop: Header=BB49_6 Depth=1
	s_or_b64 exec, exec, s[2:3]
	s_orn2_b64 s[2:3], s[16:17], exec
.LBB49_222:                             ;   in Loop: Header=BB49_6 Depth=1
	s_or_b64 exec, exec, s[24:25]
	s_andn2_b64 s[8:9], s[40:41], exec
	s_and_b64 s[16:17], s[46:47], exec
	s_or_b64 s[40:41], s[8:9], s[16:17]
	s_andn2_b64 s[8:9], s[38:39], exec
	s_and_b64 s[16:17], vcc, exec
	s_or_b64 s[38:39], s[8:9], s[16:17]
	s_and_b64 s[8:9], s[2:3], exec
	v_mov_b32_e32 v42, v24
.LBB49_223:                             ;   in Loop: Header=BB49_6 Depth=1
	s_or_b64 exec, exec, s[42:43]
	s_orn2_b64 s[2:3], s[8:9], exec
.LBB49_224:                             ;   in Loop: Header=BB49_6 Depth=1
	s_or_b64 exec, exec, s[36:37]
	s_andn2_b64 s[8:9], s[88:89], exec
	s_and_b64 s[16:17], s[40:41], exec
	s_or_b64 s[88:89], s[8:9], s[16:17]
	s_andn2_b64 s[8:9], s[86:87], exec
	s_and_b64 s[16:17], s[38:39], exec
	s_or_b64 s[86:87], s[8:9], s[16:17]
	s_and_b64 s[8:9], s[2:3], exec
	v_mov_b32_e32 v24, v42
.LBB49_225:                             ;   in Loop: Header=BB49_6 Depth=1
	s_or_b64 exec, exec, s[34:35]
	s_orn2_b64 s[2:3], s[8:9], exec
.LBB49_226:                             ;   in Loop: Header=BB49_6 Depth=1
	s_or_b64 exec, exec, s[6:7]
	s_mov_b64 s[6:7], 0
	s_mov_b64 s[8:9], 0
	s_and_saveexec_b64 s[16:17], s[2:3]
	s_xor_b64 s[2:3], exec, s[16:17]
; %bb.227:                              ;   in Loop: Header=BB49_6 Depth=1
	v_cmp_eq_u32_e32 vcc, 8, v23
	v_cmp_ne_u32_e64 s[6:7], 8, v23
	s_and_b64 s[8:9], s[6:7], exec
	s_and_b64 s[6:7], vcc, exec
; %bb.228:                              ;   in Loop: Header=BB49_6 Depth=1
	s_or_b64 exec, exec, s[2:3]
	s_andn2_b64 s[2:3], s[92:93], exec
	s_and_b64 s[16:17], s[88:89], exec
	s_or_b64 s[92:93], s[2:3], s[16:17]
	s_andn2_b64 s[2:3], s[90:91], exec
	s_and_b64 s[16:17], s[86:87], exec
	s_or_b64 s[90:91], s[2:3], s[16:17]
	s_and_b64 s[86:87], s[8:9], exec
	s_and_b64 s[88:89], s[6:7], exec
.LBB49_229:                             ;   in Loop: Header=BB49_6 Depth=1
	s_or_b64 exec, exec, s[26:27]
.LBB49_230:                             ;   in Loop: Header=BB49_6 Depth=1
	s_and_b64 vcc, exec, s[94:95]
	s_cbranch_vccz .LBB49_243
; %bb.231:                              ;   in Loop: Header=BB49_6 Depth=1
	s_cmp_eq_u32 s59, 1
	s_cselect_b64 s[2:3], -1, 0
	s_and_b64 s[6:7], s[2:3], s[18:19]
	s_mov_b64 s[2:3], -1
                                        ; implicit-def: $sgpr18_sgpr19
                                        ; implicit-def: $sgpr20_sgpr21
	s_and_saveexec_b64 s[24:25], s[6:7]
	s_cbranch_execz .LBB49_258
; %bb.232:                              ;   in Loop: Header=BB49_6 Depth=1
	ds_read_b32 v1, v14 offset:4096
	s_waitcnt lgkmcnt(0)
	s_barrier
	v_readfirstlane_b32 s38, v1
	s_mov_b64 s[2:3], exec
	v_readlane_b32 s8, v46, 33
	v_readlane_b32 s9, v46, 34
	s_and_b64 s[8:9], s[2:3], s[8:9]
	s_mov_b64 exec, s[8:9]
; %bb.233:                              ;   in Loop: Header=BB49_6 Depth=1
	v_mov_b32_e32 v13, v14
	ds_write_b64 v31, v[13:14]
; %bb.234:                              ;   in Loop: Header=BB49_6 Depth=1
	s_or_b64 exec, exec, s[2:3]
	v_or_b32_e32 v18, s23, v18
	v_or_b32_e32 v17, s22, v17
	;; [unrolled: 1-line block ×4, first 2 shown]
	s_mov_b64 s[20:21], -1
	s_mov_b64 s[18:19], 0
	s_cmp_eq_u32 s38, 0
	s_mov_b64 s[26:27], 0
	s_mov_b64 s[2:3], -1
	s_waitcnt lgkmcnt(0)
	s_barrier
                                        ; implicit-def: $vgpr3_vgpr4
	s_cbranch_scc1 .LBB49_246
; %bb.235:                              ;   in Loop: Header=BB49_6 Depth=1
	s_add_i32 s2, s38, s52
	v_readlane_b32 s3, v46, 47
	s_mul_hi_u32 s3, s2, s3
	s_mul_i32 s3, s3, s54
	s_sub_i32 s3, s2, s3
	s_sub_i32 s8, s3, s54
	s_cmp_ge_u32 s3, s54
	s_cselect_b32 s3, s8, s3
	s_sub_i32 s8, s3, s54
	s_cmp_ge_u32 s3, s54
	s_cselect_b32 s3, s8, s3
	s_sub_i32 s39, s2, s3
	v_cmp_gt_u32_e32 vcc, s39, v0
	s_mov_b64 s[2:3], 0
                                        ; implicit-def: $vgpr3_vgpr4
	s_and_saveexec_b64 s[34:35], vcc
	s_cbranch_execz .LBB49_245
; %bb.236:                              ;   in Loop: Header=BB49_6 Depth=1
	s_mov_b64 s[16:17], 0
	v_mov_b32_e32 v9, v30
	v_mov_b32_e32 v13, v0
                                        ; implicit-def: $sgpr26_sgpr27
	s_branch .LBB49_239
.LBB49_237:                             ;   in Loop: Header=BB49_239 Depth=2
	s_or_b64 exec, exec, s[8:9]
	s_waitcnt lgkmcnt(0)
	s_barrier
	ds_read_b128 v[1:4], v14 offset:3072
	s_mov_b64 s[8:9], -1
	s_mov_b64 s[36:37], -1
	s_waitcnt lgkmcnt(0)
	s_barrier
	v_cmp_ne_u64_e32 vcc, 0, v[1:2]
	s_cbranch_vccz .LBB49_242
.LBB49_238:                             ;   in Loop: Header=BB49_239 Depth=2
	s_and_b64 s[8:9], exec, s[8:9]
	s_or_b64 s[16:17], s[8:9], s[16:17]
	s_andn2_b64 s[8:9], s[26:27], exec
	s_and_b64 s[26:27], s[36:37], exec
	s_or_b64 s[26:27], s[8:9], s[26:27]
	s_andn2_b64 exec, exec, s[16:17]
	s_cbranch_execz .LBB49_244
.LBB49_239:                             ;   Parent Loop BB49_6 Depth=1
                                        ; =>  This Inner Loop Header: Depth=2
	v_cmp_gt_u32_e32 vcc, s38, v13
	s_and_saveexec_b64 s[8:9], vcc
	s_cbranch_execz .LBB49_237
; %bb.240:                              ;   in Loop: Header=BB49_239 Depth=2
	ds_read_b64 v[7:8], v9
	s_waitcnt lgkmcnt(0)
	v_xor_b32_e32 v1, 0x80000000, v8
	v_and_b32_e32 v2, v1, v20
	v_and_b32_e32 v1, v7, v19
	v_cmp_eq_u64_e32 vcc, v[1:2], v[17:18]
	s_and_b64 exec, exec, vcc
	s_cbranch_execz .LBB49_237
; %bb.241:                              ;   in Loop: Header=BB49_239 Depth=2
	v_mov_b32_e32 v6, v14
	ds_write_b128 v14, v[5:8] offset:3072
	s_branch .LBB49_237
.LBB49_242:                             ;   in Loop: Header=BB49_239 Depth=2
	v_add_u32_e32 v13, s54, v13
	v_cmp_le_u32_e32 vcc, s39, v13
	v_add_u32_e32 v9, s10, v9
	s_mov_b64 s[36:37], 0
	s_orn2_b64 s[8:9], vcc, exec
	s_branch .LBB49_238
.LBB49_243:                             ;   in Loop: Header=BB49_6 Depth=1
	v_mov_b32_e32 v18, v2
	v_mov_b32_e32 v19, v21
	;; [unrolled: 1-line block ×3, first 2 shown]
	s_mov_b64 s[18:19], 0
	v_mov_b32_e32 v17, v1
	v_mov_b32_e32 v20, v22
	;; [unrolled: 1-line block ×3, first 2 shown]
	s_and_saveexec_b64 s[2:3], s[88:89]
	s_cbranch_execnz .LBB49_390
	s_branch .LBB49_391
.LBB49_244:                             ;   in Loop: Header=BB49_6 Depth=1
	s_or_b64 exec, exec, s[16:17]
	s_and_b64 s[26:27], s[26:27], exec
.LBB49_245:                             ;   in Loop: Header=BB49_6 Depth=1
	s_or_b64 exec, exec, s[34:35]
.LBB49_246:                             ;   in Loop: Header=BB49_6 Depth=1
	s_and_b64 vcc, exec, s[2:3]
	s_cbranch_vccz .LBB49_257
; %bb.247:                              ;   in Loop: Header=BB49_6 Depth=1
                                        ; implicit-def: $vgpr3_vgpr4
	s_mov_b64 s[2:3], exec
	v_readlane_b32 s8, v46, 48
	v_readlane_b32 s9, v46, 49
	s_and_b64 s[8:9], s[2:3], s[8:9]
	s_mov_b64 exec, s[8:9]
	s_cbranch_execz .LBB49_256
; %bb.248:                              ;   in Loop: Header=BB49_6 Depth=1
	s_mov_b64 s[18:19], 0
	v_mov_b32_e32 v13, v12
	v_mov_b32_e32 v9, v0
                                        ; implicit-def: $sgpr16_sgpr17
	s_branch .LBB49_251
.LBB49_249:                             ;   in Loop: Header=BB49_251 Depth=2
	s_or_b64 exec, exec, s[8:9]
	s_waitcnt lgkmcnt(0)
	s_barrier
	ds_read_b128 v[1:4], v14 offset:3072
	s_mov_b64 s[8:9], -1
	s_mov_b64 s[20:21], -1
	s_waitcnt lgkmcnt(0)
	s_barrier
	v_cmp_ne_u64_e32 vcc, 0, v[1:2]
	s_cbranch_vccz .LBB49_254
.LBB49_250:                             ;   in Loop: Header=BB49_251 Depth=2
	s_and_b64 s[8:9], exec, s[8:9]
	s_or_b64 s[18:19], s[8:9], s[18:19]
	s_andn2_b64 s[8:9], s[16:17], exec
	s_and_b64 s[16:17], s[20:21], exec
	s_or_b64 s[16:17], s[8:9], s[16:17]
	s_andn2_b64 exec, exec, s[18:19]
	s_cbranch_execz .LBB49_255
.LBB49_251:                             ;   Parent Loop BB49_6 Depth=1
                                        ; =>  This Inner Loop Header: Depth=2
	v_cmp_gt_u32_e32 vcc, s28, v9
	s_and_saveexec_b64 s[8:9], vcc
	s_cbranch_execz .LBB49_249
; %bb.252:                              ;   in Loop: Header=BB49_251 Depth=2
	v_lshlrev_b64 v[1:2], 3, v[13:14]
	v_mov_b32_e32 v3, s48
	v_add_co_u32_e32 v1, vcc, s33, v1
	v_addc_co_u32_e32 v2, vcc, v3, v2, vcc
	global_load_dwordx2 v[7:8], v[1:2], off
	s_waitcnt vmcnt(0)
	v_xor_b32_e32 v1, 0x80000000, v8
	v_and_b32_e32 v2, v1, v20
	v_and_b32_e32 v1, v7, v19
	v_cmp_eq_u64_e32 vcc, v[1:2], v[17:18]
	s_and_b64 exec, exec, vcc
	s_cbranch_execz .LBB49_249
; %bb.253:                              ;   in Loop: Header=BB49_251 Depth=2
	v_mov_b32_e32 v6, v14
	ds_write_b128 v14, v[5:8] offset:3072
	s_branch .LBB49_249
.LBB49_254:                             ;   in Loop: Header=BB49_251 Depth=2
	v_add_u32_e32 v9, s54, v9
	v_cmp_le_u32_e32 vcc, s12, v9
	v_add_u32_e32 v13, s55, v13
	s_mov_b64 s[20:21], 0
	s_orn2_b64 s[8:9], vcc, exec
	s_branch .LBB49_250
.LBB49_255:                             ;   in Loop: Header=BB49_6 Depth=1
	s_or_b64 exec, exec, s[18:19]
	s_andn2_b64 s[8:9], s[26:27], exec
	s_and_b64 s[16:17], s[16:17], exec
	s_or_b64 s[26:27], s[8:9], s[16:17]
.LBB49_256:                             ;   in Loop: Header=BB49_6 Depth=1
	s_or_b64 exec, exec, s[2:3]
	s_mov_b64 s[20:21], 0
	s_mov_b64 s[18:19], -1
.LBB49_257:                             ;   in Loop: Header=BB49_6 Depth=1
	s_orn2_b64 s[2:3], s[26:27], exec
.LBB49_258:                             ;   in Loop: Header=BB49_6 Depth=1
	s_or_b64 exec, exec, s[24:25]
                                        ; implicit-def: $vgpr24
                                        ; implicit-def: $vgpr23
	s_and_saveexec_b64 s[90:91], s[2:3]
	s_cbranch_execz .LBB49_389
; %bb.259:                              ;   in Loop: Header=BB49_6 Depth=1
	s_xor_b64 s[8:9], s[6:7], -1
	s_mov_b64 s[6:7], 0
	v_mov_b32_e32 v24, 1
	v_mov_b32_e32 v23, 1
	s_and_saveexec_b64 s[2:3], s[8:9]
	s_cbranch_execz .LBB49_268
; %bb.260:                              ;   in Loop: Header=BB49_6 Depth=1
	v_cmp_ge_u32_e32 vcc, s59, v41
	s_and_saveexec_b64 s[6:7], vcc
	s_xor_b64 s[6:7], exec, s[6:7]
	s_cbranch_execz .LBB49_265
; %bb.261:                              ;   in Loop: Header=BB49_6 Depth=1
	ds_read_b32 v1, v14 offset:4096
	v_or_b32_e32 v18, s23, v18
	v_or_b32_e32 v17, s22, v17
	;; [unrolled: 1-line block ×4, first 2 shown]
	s_waitcnt lgkmcnt(0)
	v_cmp_ne_u32_e32 vcc, 0, v1
	s_cbranch_vccnz .LBB49_265
; %bb.262:                              ;   in Loop: Header=BB49_6 Depth=1
	s_mov_b64 s[8:9], exec
	v_readlane_b32 s16, v46, 22
	v_readlane_b32 s17, v46, 23
	s_and_b64 s[16:17], s[8:9], s[16:17]
	s_mov_b64 exec, s[16:17]
; %bb.263:                              ;   in Loop: Header=BB49_6 Depth=1
	v_mov_b32_e32 v1, s59
	ds_write_b32 v14, v1 offset:4100
; %bb.264:                              ;   in Loop: Header=BB49_6 Depth=1
	s_or_b64 exec, exec, s[8:9]
	s_waitcnt lgkmcnt(0)
	s_barrier
.LBB49_265:                             ;   in Loop: Header=BB49_6 Depth=1
	s_or_saveexec_b64 s[6:7], s[6:7]
	s_mov_b64 s[8:9], 0
	v_mov_b32_e32 v23, 5
	s_xor_b64 exec, exec, s[6:7]
; %bb.266:                              ;   in Loop: Header=BB49_6 Depth=1
	v_subrev_u32_e32 v41, s59, v41
	v_mov_b32_e32 v23, 0
	s_mov_b64 s[8:9], exec
; %bb.267:                              ;   in Loop: Header=BB49_6 Depth=1
	s_or_b64 exec, exec, s[6:7]
	s_and_b64 s[6:7], s[8:9], exec
	v_mov_b32_e32 v24, v41
.LBB49_268:                             ;   in Loop: Header=BB49_6 Depth=1
	s_or_b64 exec, exec, s[2:3]
	s_mov_b64 s[2:3], -1
                                        ; implicit-def: $sgpr26_sgpr27
                                        ; implicit-def: $sgpr92_sgpr93
	s_and_saveexec_b64 s[8:9], s[6:7]
	s_xor_b64 s[6:7], exec, s[8:9]
	s_cbranch_execz .LBB49_386
; %bb.269:                              ;   in Loop: Header=BB49_6 Depth=1
	s_cmp_eq_u32 s58, 1
	s_cselect_b64 s[2:3], -1, 0
	v_cmp_eq_u32_e32 vcc, 1, v24
	s_and_b64 s[24:25], s[2:3], vcc
	s_mov_b64 s[2:3], -1
                                        ; implicit-def: $sgpr92_sgpr93
                                        ; implicit-def: $sgpr26_sgpr27
	s_and_saveexec_b64 s[34:35], s[24:25]
	s_cbranch_execz .LBB49_295
; %bb.270:                              ;   in Loop: Header=BB49_6 Depth=1
	ds_read_b32 v1, v14 offset:4096
	s_waitcnt lgkmcnt(0)
	s_barrier
	v_readfirstlane_b32 s42, v1
	s_mov_b64 s[2:3], exec
	v_readlane_b32 s8, v46, 33
	v_readlane_b32 s9, v46, 34
	s_and_b64 s[8:9], s[2:3], s[8:9]
	s_mov_b64 exec, s[8:9]
; %bb.271:                              ;   in Loop: Header=BB49_6 Depth=1
	v_mov_b32_e32 v13, v14
	ds_write_b64 v31, v[13:14]
; %bb.272:                              ;   in Loop: Header=BB49_6 Depth=1
	s_or_b64 exec, exec, s[2:3]
	s_lshl_b64 s[2:3], 2, s11
	v_and_b32_e32 v1, s85, v18
	v_and_b32_e32 v2, s84, v17
	v_or_b32_e32 v18, s3, v1
	v_or_b32_e32 v17, s2, v2
	;; [unrolled: 1-line block ×4, first 2 shown]
	s_mov_b64 s[26:27], -1
	s_mov_b64 s[92:93], 0
	s_cmp_eq_u32 s42, 0
	s_mov_b64 s[36:37], 0
	s_mov_b64 s[2:3], -1
	s_waitcnt lgkmcnt(0)
	s_barrier
                                        ; implicit-def: $vgpr3_vgpr4
	s_cbranch_scc1 .LBB49_283
; %bb.273:                              ;   in Loop: Header=BB49_6 Depth=1
	s_add_i32 s2, s42, s52
	v_readlane_b32 s3, v46, 47
	s_mul_hi_u32 s3, s2, s3
	s_mul_i32 s3, s3, s54
	s_sub_i32 s3, s2, s3
	s_sub_i32 s8, s3, s54
	s_cmp_ge_u32 s3, s54
	s_cselect_b32 s3, s8, s3
	s_sub_i32 s8, s3, s54
	s_cmp_ge_u32 s3, s54
	s_cselect_b32 s3, s8, s3
	s_sub_i32 s43, s2, s3
	v_cmp_gt_u32_e32 vcc, s43, v0
	s_mov_b64 s[2:3], 0
                                        ; implicit-def: $vgpr3_vgpr4
	s_and_saveexec_b64 s[38:39], vcc
	s_cbranch_execz .LBB49_282
; %bb.274:                              ;   in Loop: Header=BB49_6 Depth=1
	s_mov_b64 s[16:17], 0
	v_mov_b32_e32 v9, v30
	v_mov_b32_e32 v13, v0
                                        ; implicit-def: $sgpr36_sgpr37
	s_branch .LBB49_277
.LBB49_275:                             ;   in Loop: Header=BB49_277 Depth=2
	s_or_b64 exec, exec, s[8:9]
	s_waitcnt lgkmcnt(0)
	s_barrier
	ds_read_b128 v[1:4], v14 offset:3072
	s_mov_b64 s[8:9], -1
	s_mov_b64 s[40:41], -1
	s_waitcnt lgkmcnt(0)
	s_barrier
	v_cmp_ne_u64_e32 vcc, 0, v[1:2]
	s_cbranch_vccz .LBB49_280
.LBB49_276:                             ;   in Loop: Header=BB49_277 Depth=2
	s_and_b64 s[8:9], exec, s[8:9]
	s_or_b64 s[16:17], s[8:9], s[16:17]
	s_andn2_b64 s[8:9], s[36:37], exec
	s_and_b64 s[36:37], s[40:41], exec
	s_or_b64 s[36:37], s[8:9], s[36:37]
	s_andn2_b64 exec, exec, s[16:17]
	s_cbranch_execz .LBB49_281
.LBB49_277:                             ;   Parent Loop BB49_6 Depth=1
                                        ; =>  This Inner Loop Header: Depth=2
	v_cmp_gt_u32_e32 vcc, s42, v13
	s_and_saveexec_b64 s[8:9], vcc
	s_cbranch_execz .LBB49_275
; %bb.278:                              ;   in Loop: Header=BB49_277 Depth=2
	ds_read_b64 v[7:8], v9
	s_waitcnt lgkmcnt(0)
	v_xor_b32_e32 v1, 0x80000000, v8
	v_and_b32_e32 v2, v1, v20
	v_and_b32_e32 v1, v7, v19
	v_cmp_eq_u64_e32 vcc, v[1:2], v[17:18]
	s_and_b64 exec, exec, vcc
	s_cbranch_execz .LBB49_275
; %bb.279:                              ;   in Loop: Header=BB49_277 Depth=2
	v_mov_b32_e32 v6, v14
	ds_write_b128 v14, v[5:8] offset:3072
	s_branch .LBB49_275
.LBB49_280:                             ;   in Loop: Header=BB49_277 Depth=2
	v_add_u32_e32 v13, s54, v13
	v_cmp_le_u32_e32 vcc, s43, v13
	v_add_u32_e32 v9, s10, v9
	s_mov_b64 s[40:41], 0
	s_orn2_b64 s[8:9], vcc, exec
	s_branch .LBB49_276
.LBB49_281:                             ;   in Loop: Header=BB49_6 Depth=1
	s_or_b64 exec, exec, s[16:17]
	s_and_b64 s[36:37], s[36:37], exec
.LBB49_282:                             ;   in Loop: Header=BB49_6 Depth=1
	s_or_b64 exec, exec, s[38:39]
.LBB49_283:                             ;   in Loop: Header=BB49_6 Depth=1
	s_and_b64 vcc, exec, s[2:3]
	s_cbranch_vccz .LBB49_294
; %bb.284:                              ;   in Loop: Header=BB49_6 Depth=1
                                        ; implicit-def: $vgpr3_vgpr4
	s_mov_b64 s[2:3], exec
	v_readlane_b32 s8, v46, 48
	v_readlane_b32 s9, v46, 49
	s_and_b64 s[8:9], s[2:3], s[8:9]
	s_mov_b64 exec, s[8:9]
	s_cbranch_execz .LBB49_293
; %bb.285:                              ;   in Loop: Header=BB49_6 Depth=1
	s_mov_b64 s[16:17], 0
	v_mov_b32_e32 v13, v12
	v_mov_b32_e32 v9, v0
                                        ; implicit-def: $sgpr26_sgpr27
	s_branch .LBB49_288
.LBB49_286:                             ;   in Loop: Header=BB49_288 Depth=2
	s_or_b64 exec, exec, s[8:9]
	s_waitcnt lgkmcnt(0)
	s_barrier
	ds_read_b128 v[1:4], v14 offset:3072
	s_mov_b64 s[8:9], -1
	s_mov_b64 s[38:39], -1
	s_waitcnt lgkmcnt(0)
	s_barrier
	v_cmp_eq_u64_e32 vcc, 0, v[1:2]
	s_cbranch_vccnz .LBB49_291
.LBB49_287:                             ;   in Loop: Header=BB49_288 Depth=2
	s_and_b64 s[8:9], exec, s[8:9]
	s_or_b64 s[16:17], s[8:9], s[16:17]
	s_andn2_b64 s[8:9], s[26:27], exec
	s_and_b64 s[26:27], s[38:39], exec
	s_or_b64 s[26:27], s[8:9], s[26:27]
	s_andn2_b64 exec, exec, s[16:17]
	s_cbranch_execz .LBB49_292
.LBB49_288:                             ;   Parent Loop BB49_6 Depth=1
                                        ; =>  This Inner Loop Header: Depth=2
	v_cmp_gt_u32_e32 vcc, s28, v9
	s_and_saveexec_b64 s[8:9], vcc
	s_cbranch_execz .LBB49_286
; %bb.289:                              ;   in Loop: Header=BB49_288 Depth=2
	v_lshlrev_b64 v[1:2], 3, v[13:14]
	v_mov_b32_e32 v3, s48
	v_add_co_u32_e32 v1, vcc, s33, v1
	v_addc_co_u32_e32 v2, vcc, v3, v2, vcc
	global_load_dwordx2 v[7:8], v[1:2], off
	s_waitcnt vmcnt(0)
	v_xor_b32_e32 v1, 0x80000000, v8
	v_and_b32_e32 v2, v1, v20
	v_and_b32_e32 v1, v7, v19
	v_cmp_eq_u64_e32 vcc, v[1:2], v[17:18]
	s_and_b64 exec, exec, vcc
	s_cbranch_execz .LBB49_286
; %bb.290:                              ;   in Loop: Header=BB49_288 Depth=2
	v_mov_b32_e32 v6, v14
	ds_write_b128 v14, v[5:8] offset:3072
	s_branch .LBB49_286
.LBB49_291:                             ;   in Loop: Header=BB49_288 Depth=2
	v_add_u32_e32 v9, s54, v9
	v_cmp_le_u32_e32 vcc, s12, v9
	v_add_u32_e32 v13, s55, v13
	s_mov_b64 s[38:39], 0
	s_orn2_b64 s[8:9], vcc, exec
	s_branch .LBB49_287
.LBB49_292:                             ;   in Loop: Header=BB49_6 Depth=1
	s_or_b64 exec, exec, s[16:17]
	s_andn2_b64 s[8:9], s[36:37], exec
	s_and_b64 s[16:17], s[26:27], exec
	s_or_b64 s[36:37], s[8:9], s[16:17]
.LBB49_293:                             ;   in Loop: Header=BB49_6 Depth=1
	s_or_b64 exec, exec, s[2:3]
	s_mov_b64 s[26:27], 0
	s_mov_b64 s[92:93], -1
.LBB49_294:                             ;   in Loop: Header=BB49_6 Depth=1
	s_orn2_b64 s[2:3], s[36:37], exec
.LBB49_295:                             ;   in Loop: Header=BB49_6 Depth=1
	s_or_b64 exec, exec, s[34:35]
	s_mov_b64 s[8:9], 0
	s_and_saveexec_b64 s[94:95], s[2:3]
	s_cbranch_execz .LBB49_385
; %bb.296:                              ;   in Loop: Header=BB49_6 Depth=1
	s_xor_b64 s[2:3], s[24:25], -1
	v_mov_b32_e32 v9, 1
	v_mov_b32_e32 v23, 1
	s_and_saveexec_b64 s[24:25], s[2:3]
	s_cbranch_execz .LBB49_305
; %bb.297:                              ;   in Loop: Header=BB49_6 Depth=1
	v_cmp_ge_u32_e32 vcc, s58, v24
	s_and_saveexec_b64 s[2:3], vcc
	s_xor_b64 s[2:3], exec, s[2:3]
	s_cbranch_execz .LBB49_302
; %bb.298:                              ;   in Loop: Header=BB49_6 Depth=1
	s_lshl_b64 s[8:9], 2, s11
	v_and_b32_e32 v1, s85, v18
	v_or_b32_e32 v18, s9, v1
	ds_read_b32 v1, v14 offset:4096
	v_and_b32_e32 v2, s84, v17
	v_or_b32_e32 v17, s8, v2
	v_or_b32_e32 v20, s23, v20
	v_or_b32_e32 v19, s22, v19
	s_waitcnt lgkmcnt(0)
	v_cmp_ne_u32_e32 vcc, 0, v1
	s_cbranch_vccnz .LBB49_302
; %bb.299:                              ;   in Loop: Header=BB49_6 Depth=1
	s_mov_b64 s[8:9], exec
	v_readlane_b32 s16, v46, 22
	v_readlane_b32 s17, v46, 23
	s_and_b64 s[16:17], s[8:9], s[16:17]
	s_mov_b64 exec, s[16:17]
; %bb.300:                              ;   in Loop: Header=BB49_6 Depth=1
	v_mov_b32_e32 v1, s58
	ds_write_b32 v14, v1 offset:4100
; %bb.301:                              ;   in Loop: Header=BB49_6 Depth=1
	s_or_b64 exec, exec, s[8:9]
	s_waitcnt lgkmcnt(0)
	s_barrier
.LBB49_302:                             ;   in Loop: Header=BB49_6 Depth=1
	s_or_saveexec_b64 s[2:3], s[2:3]
	s_mov_b64 s[8:9], 0
	v_mov_b32_e32 v23, 5
	s_xor_b64 exec, exec, s[2:3]
; %bb.303:                              ;   in Loop: Header=BB49_6 Depth=1
	v_subrev_u32_e32 v24, s58, v24
	v_mov_b32_e32 v23, 0
	s_mov_b64 s[8:9], exec
; %bb.304:                              ;   in Loop: Header=BB49_6 Depth=1
	s_or_b64 exec, exec, s[2:3]
	s_and_b64 s[8:9], s[8:9], exec
	v_mov_b32_e32 v9, v24
.LBB49_305:                             ;   in Loop: Header=BB49_6 Depth=1
	s_or_b64 exec, exec, s[24:25]
	s_mov_b64 s[2:3], -1
                                        ; implicit-def: $sgpr36_sgpr37
                                        ; implicit-def: $sgpr38_sgpr39
	s_and_saveexec_b64 s[34:35], s[8:9]
	s_cbranch_execz .LBB49_384
; %bb.306:                              ;   in Loop: Header=BB49_6 Depth=1
	s_cmp_eq_u32 s5, 1
	s_cselect_b64 s[2:3], -1, 0
	v_cmp_eq_u32_e32 vcc, 1, v9
	s_and_b64 s[24:25], s[2:3], vcc
	s_mov_b64 s[2:3], -1
                                        ; implicit-def: $sgpr38_sgpr39
                                        ; implicit-def: $sgpr36_sgpr37
	s_and_saveexec_b64 s[40:41], s[24:25]
	s_cbranch_execz .LBB49_333
; %bb.307:                              ;   in Loop: Header=BB49_6 Depth=1
	ds_read_b32 v1, v14 offset:4096
	s_mov_b32 s59, s52
	s_waitcnt lgkmcnt(0)
	s_barrier
	v_readfirstlane_b32 s52, v1
	s_mov_b64 s[2:3], exec
	v_readlane_b32 s8, v46, 33
	v_readlane_b32 s9, v46, 34
	s_and_b64 s[8:9], s[2:3], s[8:9]
	s_mov_b64 exec, s[8:9]
; %bb.308:                              ;   in Loop: Header=BB49_6 Depth=1
	v_mov_b32_e32 v13, v14
	ds_write_b64 v31, v[13:14]
; %bb.309:                              ;   in Loop: Header=BB49_6 Depth=1
	s_or_b64 exec, exec, s[2:3]
	s_lshl_b64 s[2:3], 1, s11
	v_and_b32_e32 v1, s85, v18
	v_and_b32_e32 v2, s84, v17
	v_or_b32_e32 v18, s3, v1
	v_or_b32_e32 v17, s2, v2
	;; [unrolled: 1-line block ×4, first 2 shown]
	s_mov_b64 s[36:37], -1
	s_mov_b64 s[38:39], 0
	s_cmp_eq_u32 s52, 0
	s_mov_b64 s[42:43], 0
	s_mov_b64 s[2:3], -1
	s_waitcnt lgkmcnt(0)
	s_barrier
                                        ; implicit-def: $vgpr3_vgpr4
	s_cbranch_scc1 .LBB49_320
; %bb.310:                              ;   in Loop: Header=BB49_6 Depth=1
	s_add_i32 s2, s52, s59
	v_readlane_b32 s3, v46, 47
	s_mul_hi_u32 s3, s2, s3
	s_mul_i32 s3, s3, s54
	s_sub_i32 s3, s2, s3
	s_sub_i32 s8, s3, s54
	s_cmp_ge_u32 s3, s54
	s_cselect_b32 s3, s8, s3
	s_sub_i32 s8, s3, s54
	s_cmp_ge_u32 s3, s54
	s_cselect_b32 s3, s8, s3
	s_mov_b32 s58, s53
	s_sub_i32 s53, s2, s3
	v_cmp_gt_u32_e32 vcc, s53, v0
	s_mov_b64 s[2:3], 0
                                        ; implicit-def: $vgpr3_vgpr4
	s_and_saveexec_b64 s[44:45], vcc
	s_cbranch_execz .LBB49_319
; %bb.311:                              ;   in Loop: Header=BB49_6 Depth=1
	s_mov_b64 s[16:17], 0
	v_mov_b32_e32 v13, v30
	v_mov_b32_e32 v21, v0
                                        ; implicit-def: $sgpr42_sgpr43
	s_branch .LBB49_314
.LBB49_312:                             ;   in Loop: Header=BB49_314 Depth=2
	s_or_b64 exec, exec, s[8:9]
	s_waitcnt lgkmcnt(0)
	s_barrier
	ds_read_b128 v[1:4], v14 offset:3072
	s_mov_b64 s[8:9], -1
	s_mov_b64 s[46:47], -1
	s_waitcnt lgkmcnt(0)
	s_barrier
	v_cmp_ne_u64_e32 vcc, 0, v[1:2]
	s_cbranch_vccz .LBB49_317
.LBB49_313:                             ;   in Loop: Header=BB49_314 Depth=2
	s_and_b64 s[8:9], exec, s[8:9]
	s_or_b64 s[16:17], s[8:9], s[16:17]
	s_andn2_b64 s[8:9], s[42:43], exec
	s_and_b64 s[42:43], s[46:47], exec
	s_or_b64 s[42:43], s[8:9], s[42:43]
	s_andn2_b64 exec, exec, s[16:17]
	s_cbranch_execz .LBB49_318
.LBB49_314:                             ;   Parent Loop BB49_6 Depth=1
                                        ; =>  This Inner Loop Header: Depth=2
	v_cmp_gt_u32_e32 vcc, s52, v21
	s_and_saveexec_b64 s[8:9], vcc
	s_cbranch_execz .LBB49_312
; %bb.315:                              ;   in Loop: Header=BB49_314 Depth=2
	ds_read_b64 v[7:8], v13
	s_waitcnt lgkmcnt(0)
	v_xor_b32_e32 v1, 0x80000000, v8
	v_and_b32_e32 v2, v1, v20
	v_and_b32_e32 v1, v7, v19
	v_cmp_eq_u64_e32 vcc, v[1:2], v[17:18]
	s_and_b64 exec, exec, vcc
	s_cbranch_execz .LBB49_312
; %bb.316:                              ;   in Loop: Header=BB49_314 Depth=2
	v_mov_b32_e32 v6, v14
	ds_write_b128 v14, v[5:8] offset:3072
	s_branch .LBB49_312
.LBB49_317:                             ;   in Loop: Header=BB49_314 Depth=2
	v_add_u32_e32 v21, s54, v21
	v_cmp_le_u32_e32 vcc, s53, v21
	v_add_u32_e32 v13, s10, v13
	s_mov_b64 s[46:47], 0
	s_orn2_b64 s[8:9], vcc, exec
	s_branch .LBB49_313
.LBB49_318:                             ;   in Loop: Header=BB49_6 Depth=1
	s_or_b64 exec, exec, s[16:17]
	s_and_b64 s[42:43], s[42:43], exec
.LBB49_319:                             ;   in Loop: Header=BB49_6 Depth=1
	s_or_b64 exec, exec, s[44:45]
	s_mov_b32 s53, s58
.LBB49_320:                             ;   in Loop: Header=BB49_6 Depth=1
	s_and_b64 vcc, exec, s[2:3]
	s_cbranch_vccz .LBB49_329
; %bb.321:                              ;   in Loop: Header=BB49_6 Depth=1
                                        ; implicit-def: $vgpr3_vgpr4
	s_mov_b64 s[2:3], exec
	v_readlane_b32 s8, v46, 48
	v_readlane_b32 s9, v46, 49
	s_and_b64 s[8:9], s[2:3], s[8:9]
	s_mov_b32 s52, s59
	s_mov_b64 exec, s[8:9]
	s_cbranch_execz .LBB49_331
; %bb.322:                              ;   in Loop: Header=BB49_6 Depth=1
	s_mov_b64 s[16:17], 0
	v_mov_b32_e32 v13, v12
	v_mov_b32_e32 v21, v0
                                        ; implicit-def: $sgpr36_sgpr37
	s_branch .LBB49_325
.LBB49_323:                             ;   in Loop: Header=BB49_325 Depth=2
	s_or_b64 exec, exec, s[8:9]
	s_waitcnt lgkmcnt(0)
	s_barrier
	ds_read_b128 v[1:4], v14 offset:3072
	s_mov_b64 s[8:9], -1
	s_mov_b64 s[38:39], -1
	s_waitcnt lgkmcnt(0)
	s_barrier
	v_cmp_eq_u64_e32 vcc, 0, v[1:2]
	s_cbranch_vccnz .LBB49_328
.LBB49_324:                             ;   in Loop: Header=BB49_325 Depth=2
	s_and_b64 s[8:9], exec, s[8:9]
	s_or_b64 s[16:17], s[8:9], s[16:17]
	s_andn2_b64 s[8:9], s[36:37], exec
	s_and_b64 s[36:37], s[38:39], exec
	s_or_b64 s[36:37], s[8:9], s[36:37]
	s_andn2_b64 exec, exec, s[16:17]
	s_cbranch_execz .LBB49_330
.LBB49_325:                             ;   Parent Loop BB49_6 Depth=1
                                        ; =>  This Inner Loop Header: Depth=2
	v_cmp_gt_u32_e32 vcc, s28, v21
	s_and_saveexec_b64 s[8:9], vcc
	s_cbranch_execz .LBB49_323
; %bb.326:                              ;   in Loop: Header=BB49_325 Depth=2
	v_lshlrev_b64 v[1:2], 3, v[13:14]
	v_mov_b32_e32 v3, s48
	v_add_co_u32_e32 v1, vcc, s33, v1
	v_addc_co_u32_e32 v2, vcc, v3, v2, vcc
	global_load_dwordx2 v[7:8], v[1:2], off
	s_waitcnt vmcnt(0)
	v_xor_b32_e32 v1, 0x80000000, v8
	v_and_b32_e32 v2, v1, v20
	v_and_b32_e32 v1, v7, v19
	v_cmp_eq_u64_e32 vcc, v[1:2], v[17:18]
	s_and_b64 exec, exec, vcc
	s_cbranch_execz .LBB49_323
; %bb.327:                              ;   in Loop: Header=BB49_325 Depth=2
	v_mov_b32_e32 v6, v14
	ds_write_b128 v14, v[5:8] offset:3072
	s_branch .LBB49_323
.LBB49_328:                             ;   in Loop: Header=BB49_325 Depth=2
	v_add_u32_e32 v21, s54, v21
	v_cmp_le_u32_e32 vcc, s12, v21
	v_add_u32_e32 v13, s55, v13
	s_mov_b64 s[38:39], 0
	s_orn2_b64 s[8:9], vcc, exec
	s_branch .LBB49_324
.LBB49_329:                             ;   in Loop: Header=BB49_6 Depth=1
	s_mov_b32 s52, s59
	s_branch .LBB49_332
.LBB49_330:                             ;   in Loop: Header=BB49_6 Depth=1
	s_or_b64 exec, exec, s[16:17]
	s_andn2_b64 s[8:9], s[42:43], exec
	s_and_b64 s[16:17], s[36:37], exec
	s_or_b64 s[42:43], s[8:9], s[16:17]
.LBB49_331:                             ;   in Loop: Header=BB49_6 Depth=1
	s_or_b64 exec, exec, s[2:3]
	s_mov_b64 s[36:37], 0
	s_mov_b64 s[38:39], -1
.LBB49_332:                             ;   in Loop: Header=BB49_6 Depth=1
	s_orn2_b64 s[2:3], s[42:43], exec
.LBB49_333:                             ;   in Loop: Header=BB49_6 Depth=1
	s_or_b64 exec, exec, s[40:41]
	s_mov_b64 s[8:9], 0
	s_and_saveexec_b64 s[40:41], s[2:3]
	s_cbranch_execz .LBB49_383
; %bb.334:                              ;   in Loop: Header=BB49_6 Depth=1
	s_xor_b64 s[2:3], s[24:25], -1
	v_mov_b32_e32 v21, 1
	v_mov_b32_e32 v23, 1
	s_and_saveexec_b64 s[24:25], s[2:3]
	s_cbranch_execz .LBB49_343
; %bb.335:                              ;   in Loop: Header=BB49_6 Depth=1
	v_cmp_ge_u32_e32 vcc, s5, v9
	s_and_saveexec_b64 s[2:3], vcc
	s_xor_b64 s[2:3], exec, s[2:3]
	s_cbranch_execz .LBB49_340
; %bb.336:                              ;   in Loop: Header=BB49_6 Depth=1
	s_lshl_b64 s[8:9], 1, s11
	v_and_b32_e32 v1, s85, v18
	v_or_b32_e32 v18, s9, v1
	ds_read_b32 v1, v14 offset:4096
	v_and_b32_e32 v2, s84, v17
	v_or_b32_e32 v17, s8, v2
	v_or_b32_e32 v20, s23, v20
	;; [unrolled: 1-line block ×3, first 2 shown]
	s_waitcnt lgkmcnt(0)
	v_cmp_ne_u32_e32 vcc, 0, v1
	s_cbranch_vccnz .LBB49_340
; %bb.337:                              ;   in Loop: Header=BB49_6 Depth=1
	s_mov_b64 s[8:9], exec
	v_readlane_b32 s16, v46, 22
	v_readlane_b32 s17, v46, 23
	s_and_b64 s[16:17], s[8:9], s[16:17]
	s_mov_b64 exec, s[16:17]
; %bb.338:                              ;   in Loop: Header=BB49_6 Depth=1
	v_mov_b32_e32 v1, s5
	ds_write_b32 v14, v1 offset:4100
; %bb.339:                              ;   in Loop: Header=BB49_6 Depth=1
	s_or_b64 exec, exec, s[8:9]
	s_waitcnt lgkmcnt(0)
	s_barrier
.LBB49_340:                             ;   in Loop: Header=BB49_6 Depth=1
	s_or_saveexec_b64 s[2:3], s[2:3]
	s_mov_b64 s[8:9], 0
	v_mov_b32_e32 v23, 5
	s_xor_b64 exec, exec, s[2:3]
; %bb.341:                              ;   in Loop: Header=BB49_6 Depth=1
	v_subrev_u32_e32 v9, s5, v9
	v_mov_b32_e32 v23, 0
	s_mov_b64 s[8:9], exec
; %bb.342:                              ;   in Loop: Header=BB49_6 Depth=1
	s_or_b64 exec, exec, s[2:3]
	s_and_b64 s[8:9], s[8:9], exec
	v_mov_b32_e32 v21, v9
.LBB49_343:                             ;   in Loop: Header=BB49_6 Depth=1
	s_or_b64 exec, exec, s[24:25]
	s_mov_b64 s[2:3], -1
                                        ; implicit-def: $sgpr46_sgpr47
                                        ; implicit-def: $sgpr44_sgpr45
	s_and_saveexec_b64 s[42:43], s[8:9]
	s_cbranch_execz .LBB49_382
; %bb.344:                              ;   in Loop: Header=BB49_6 Depth=1
	s_cmp_eq_u32 s4, 1
	s_cselect_b64 s[2:3], -1, 0
	v_cmp_eq_u32_e32 vcc, 1, v21
	s_and_b64 s[60:61], s[2:3], vcc
	s_mov_b64 s[8:9], -1
                                        ; implicit-def: $sgpr46_sgpr47
                                        ; implicit-def: $sgpr44_sgpr45
	s_and_saveexec_b64 s[24:25], s[60:61]
	s_cbranch_execz .LBB49_370
; %bb.345:                              ;   in Loop: Header=BB49_6 Depth=1
	ds_read_b32 v1, v14 offset:4096
	s_waitcnt lgkmcnt(0)
	s_barrier
	v_readfirstlane_b32 s5, v1
	s_mov_b64 s[2:3], exec
	v_readlane_b32 s8, v46, 33
	v_readlane_b32 s9, v46, 34
	s_and_b64 s[8:9], s[2:3], s[8:9]
	s_mov_b64 exec, s[8:9]
; %bb.346:                              ;   in Loop: Header=BB49_6 Depth=1
	v_mov_b32_e32 v13, v14
	ds_write_b64 v31, v[13:14]
; %bb.347:                              ;   in Loop: Header=BB49_6 Depth=1
	s_or_b64 exec, exec, s[2:3]
	v_and_b32_e32 v18, s85, v18
	v_and_b32_e32 v17, s84, v17
	v_or_b32_e32 v20, s23, v20
	v_or_b32_e32 v19, s22, v19
	s_mov_b64 s[44:45], -1
	s_mov_b64 s[46:47], 0
	s_cmp_eq_u32 s5, 0
	s_mov_b64 s[58:59], 0
	s_mov_b64 s[2:3], -1
	s_waitcnt lgkmcnt(0)
	s_barrier
                                        ; implicit-def: $vgpr3_vgpr4
	s_cbranch_scc1 .LBB49_358
; %bb.348:                              ;   in Loop: Header=BB49_6 Depth=1
	v_writelane_b32 v46, s60, 50
	v_writelane_b32 v46, s61, 51
	s_add_i32 s2, s5, s52
	v_readlane_b32 s3, v46, 47
	s_mul_hi_u32 s3, s2, s3
	s_mul_i32 s3, s3, s54
	s_sub_i32 s3, s2, s3
	s_sub_i32 s8, s3, s54
	s_cmp_ge_u32 s3, s54
	s_cselect_b32 s3, s8, s3
	s_sub_i32 s8, s3, s54
	s_cmp_ge_u32 s3, s54
	s_cselect_b32 s3, s8, s3
	s_sub_i32 s60, s2, s3
	s_mov_b64 s[2:3], 0
	v_cmp_gt_u32_e32 vcc, s60, v0
                                        ; implicit-def: $vgpr3_vgpr4
	s_mov_b64 s[8:9], exec
	v_writelane_b32 v46, s8, 52
	v_writelane_b32 v46, s9, 53
	s_and_b64 s[8:9], s[8:9], vcc
	s_mov_b64 exec, s[8:9]
	s_cbranch_execz .LBB49_357
; %bb.349:                              ;   in Loop: Header=BB49_6 Depth=1
	s_mov_b32 s61, s53
	s_mov_b64 s[16:17], 0
	v_mov_b32_e32 v9, v30
	v_mov_b32_e32 v13, v0
	v_writelane_b32 v46, s52, 54
                                        ; implicit-def: $sgpr58_sgpr59
	s_branch .LBB49_352
.LBB49_350:                             ;   in Loop: Header=BB49_352 Depth=2
	s_or_b64 exec, exec, s[8:9]
	s_waitcnt lgkmcnt(0)
	s_barrier
	ds_read_b128 v[1:4], v14 offset:3072
	s_mov_b64 s[8:9], -1
	s_mov_b64 s[52:53], -1
	s_waitcnt lgkmcnt(0)
	s_barrier
	v_cmp_ne_u64_e32 vcc, 0, v[1:2]
	s_cbranch_vccz .LBB49_355
.LBB49_351:                             ;   in Loop: Header=BB49_352 Depth=2
	s_and_b64 s[8:9], exec, s[8:9]
	s_or_b64 s[16:17], s[8:9], s[16:17]
	s_andn2_b64 s[8:9], s[58:59], exec
	s_and_b64 s[52:53], s[52:53], exec
	s_or_b64 s[58:59], s[8:9], s[52:53]
	s_andn2_b64 exec, exec, s[16:17]
	s_cbranch_execz .LBB49_356
.LBB49_352:                             ;   Parent Loop BB49_6 Depth=1
                                        ; =>  This Inner Loop Header: Depth=2
	v_cmp_gt_u32_e32 vcc, s5, v13
	s_and_saveexec_b64 s[8:9], vcc
	s_cbranch_execz .LBB49_350
; %bb.353:                              ;   in Loop: Header=BB49_352 Depth=2
	ds_read_b64 v[7:8], v9
	s_waitcnt lgkmcnt(0)
	v_xor_b32_e32 v1, 0x80000000, v8
	v_and_b32_e32 v2, v1, v20
	v_and_b32_e32 v1, v7, v19
	v_cmp_eq_u64_e32 vcc, v[1:2], v[17:18]
	s_and_b64 exec, exec, vcc
	s_cbranch_execz .LBB49_350
; %bb.354:                              ;   in Loop: Header=BB49_352 Depth=2
	v_mov_b32_e32 v6, v14
	ds_write_b128 v14, v[5:8] offset:3072
	s_branch .LBB49_350
.LBB49_355:                             ;   in Loop: Header=BB49_352 Depth=2
	v_add_u32_e32 v13, s54, v13
	v_cmp_le_u32_e32 vcc, s60, v13
	v_add_u32_e32 v9, s10, v9
	s_mov_b64 s[52:53], 0
	s_orn2_b64 s[8:9], vcc, exec
	s_branch .LBB49_351
.LBB49_356:                             ;   in Loop: Header=BB49_6 Depth=1
	s_or_b64 exec, exec, s[16:17]
	s_and_b64 s[58:59], s[58:59], exec
	s_mov_b32 s53, s61
	v_readlane_b32 s52, v46, 54
.LBB49_357:                             ;   in Loop: Header=BB49_6 Depth=1
	v_readlane_b32 s8, v46, 52
	v_readlane_b32 s9, v46, 53
	s_or_b64 exec, exec, s[8:9]
	v_readlane_b32 s60, v46, 50
	v_readlane_b32 s61, v46, 51
.LBB49_358:                             ;   in Loop: Header=BB49_6 Depth=1
	s_and_b64 vcc, exec, s[2:3]
	s_cbranch_vccz .LBB49_369
; %bb.359:                              ;   in Loop: Header=BB49_6 Depth=1
                                        ; implicit-def: $vgpr3_vgpr4
	s_mov_b64 s[2:3], exec
	v_readlane_b32 s8, v46, 48
	v_readlane_b32 s9, v46, 49
	s_and_b64 s[8:9], s[2:3], s[8:9]
	s_mov_b64 exec, s[8:9]
	s_cbranch_execz .LBB49_368
; %bb.360:                              ;   in Loop: Header=BB49_6 Depth=1
	s_mov_b64 s[16:17], 0
	v_mov_b32_e32 v13, v12
	v_mov_b32_e32 v9, v0
                                        ; implicit-def: $sgpr44_sgpr45
	s_branch .LBB49_363
.LBB49_361:                             ;   in Loop: Header=BB49_363 Depth=2
	s_or_b64 exec, exec, s[8:9]
	s_waitcnt lgkmcnt(0)
	s_barrier
	ds_read_b128 v[1:4], v14 offset:3072
	s_mov_b64 s[8:9], -1
	s_mov_b64 s[46:47], -1
	s_waitcnt lgkmcnt(0)
	s_barrier
	v_cmp_eq_u64_e32 vcc, 0, v[1:2]
	s_cbranch_vccnz .LBB49_366
.LBB49_362:                             ;   in Loop: Header=BB49_363 Depth=2
	s_and_b64 s[8:9], exec, s[8:9]
	s_or_b64 s[16:17], s[8:9], s[16:17]
	s_andn2_b64 s[8:9], s[44:45], exec
	s_and_b64 s[44:45], s[46:47], exec
	s_or_b64 s[44:45], s[8:9], s[44:45]
	s_andn2_b64 exec, exec, s[16:17]
	s_cbranch_execz .LBB49_367
.LBB49_363:                             ;   Parent Loop BB49_6 Depth=1
                                        ; =>  This Inner Loop Header: Depth=2
	v_cmp_gt_u32_e32 vcc, s28, v9
	s_and_saveexec_b64 s[8:9], vcc
	s_cbranch_execz .LBB49_361
; %bb.364:                              ;   in Loop: Header=BB49_363 Depth=2
	v_lshlrev_b64 v[1:2], 3, v[13:14]
	v_mov_b32_e32 v3, s48
	v_add_co_u32_e32 v1, vcc, s33, v1
	v_addc_co_u32_e32 v2, vcc, v3, v2, vcc
	global_load_dwordx2 v[7:8], v[1:2], off
	s_waitcnt vmcnt(0)
	v_xor_b32_e32 v1, 0x80000000, v8
	v_and_b32_e32 v2, v1, v20
	v_and_b32_e32 v1, v7, v19
	v_cmp_eq_u64_e32 vcc, v[1:2], v[17:18]
	s_and_b64 exec, exec, vcc
	s_cbranch_execz .LBB49_361
; %bb.365:                              ;   in Loop: Header=BB49_363 Depth=2
	v_mov_b32_e32 v6, v14
	ds_write_b128 v14, v[5:8] offset:3072
	s_branch .LBB49_361
.LBB49_366:                             ;   in Loop: Header=BB49_363 Depth=2
	v_add_u32_e32 v9, s54, v9
	v_cmp_le_u32_e32 vcc, s12, v9
	v_add_u32_e32 v13, s55, v13
	s_mov_b64 s[46:47], 0
	s_orn2_b64 s[8:9], vcc, exec
	s_branch .LBB49_362
.LBB49_367:                             ;   in Loop: Header=BB49_6 Depth=1
	s_or_b64 exec, exec, s[16:17]
	s_andn2_b64 s[8:9], s[58:59], exec
	s_and_b64 s[16:17], s[44:45], exec
	s_or_b64 s[58:59], s[8:9], s[16:17]
.LBB49_368:                             ;   in Loop: Header=BB49_6 Depth=1
	s_or_b64 exec, exec, s[2:3]
	s_mov_b64 s[44:45], 0
	s_mov_b64 s[46:47], -1
.LBB49_369:                             ;   in Loop: Header=BB49_6 Depth=1
	s_orn2_b64 s[8:9], s[58:59], exec
.LBB49_370:                             ;   in Loop: Header=BB49_6 Depth=1
	s_or_b64 exec, exec, s[24:25]
	s_mov_b64 s[16:17], 0
	s_and_saveexec_b64 s[2:3], s[8:9]
	s_cbranch_execz .LBB49_381
; %bb.371:                              ;   in Loop: Header=BB49_6 Depth=1
	s_xor_b64 s[8:9], s[60:61], -1
	v_mov_b32_e32 v23, 1
	v_mov_b32_e32 v1, 1
	s_and_saveexec_b64 s[16:17], s[8:9]
	s_cbranch_execz .LBB49_380
; %bb.372:                              ;   in Loop: Header=BB49_6 Depth=1
	v_cmp_ge_u32_e32 vcc, s4, v21
	s_and_saveexec_b64 s[8:9], vcc
	s_xor_b64 s[8:9], exec, s[8:9]
	s_cbranch_execz .LBB49_377
; %bb.373:                              ;   in Loop: Header=BB49_6 Depth=1
	ds_read_b32 v1, v14 offset:4096
	v_and_b32_e32 v18, s85, v18
	v_and_b32_e32 v17, s84, v17
	v_or_b32_e32 v20, s23, v20
	v_or_b32_e32 v19, s22, v19
	s_waitcnt lgkmcnt(0)
	v_cmp_ne_u32_e32 vcc, 0, v1
	s_cbranch_vccnz .LBB49_377
; %bb.374:                              ;   in Loop: Header=BB49_6 Depth=1
	s_mov_b64 s[22:23], exec
	v_readlane_b32 s24, v46, 22
	v_readlane_b32 s25, v46, 23
	s_and_b64 s[24:25], s[22:23], s[24:25]
	s_mov_b64 exec, s[24:25]
; %bb.375:                              ;   in Loop: Header=BB49_6 Depth=1
	v_mov_b32_e32 v1, s4
	ds_write_b32 v14, v1 offset:4100
; %bb.376:                              ;   in Loop: Header=BB49_6 Depth=1
	s_or_b64 exec, exec, s[22:23]
	s_waitcnt lgkmcnt(0)
	s_barrier
.LBB49_377:                             ;   in Loop: Header=BB49_6 Depth=1
	s_andn2_saveexec_b64 s[8:9], s[8:9]
; %bb.378:                              ;   in Loop: Header=BB49_6 Depth=1
	v_subrev_u32_e32 v21, s4, v21
; %bb.379:                              ;   in Loop: Header=BB49_6 Depth=1
	s_or_b64 exec, exec, s[8:9]
	v_mov_b32_e32 v23, 5
	v_mov_b32_e32 v1, v21
.LBB49_380:                             ;   in Loop: Header=BB49_6 Depth=1
	s_or_b64 exec, exec, s[16:17]
	s_mov_b64 s[16:17], exec
	v_mov_b32_e32 v21, v1
.LBB49_381:                             ;   in Loop: Header=BB49_6 Depth=1
	s_or_b64 exec, exec, s[2:3]
	s_orn2_b64 s[2:3], s[16:17], exec
.LBB49_382:                             ;   in Loop: Header=BB49_6 Depth=1
	s_or_b64 exec, exec, s[42:43]
	s_andn2_b64 s[4:5], s[38:39], exec
	s_and_b64 s[8:9], s[46:47], exec
	s_or_b64 s[38:39], s[4:5], s[8:9]
	s_andn2_b64 s[4:5], s[36:37], exec
	s_and_b64 s[8:9], s[44:45], exec
	s_or_b64 s[36:37], s[4:5], s[8:9]
	s_and_b64 s[8:9], s[2:3], exec
	v_mov_b32_e32 v9, v21
.LBB49_383:                             ;   in Loop: Header=BB49_6 Depth=1
	s_or_b64 exec, exec, s[40:41]
	s_orn2_b64 s[2:3], s[8:9], exec
.LBB49_384:                             ;   in Loop: Header=BB49_6 Depth=1
	s_or_b64 exec, exec, s[34:35]
	s_andn2_b64 s[4:5], s[92:93], exec
	s_and_b64 s[8:9], s[38:39], exec
	s_or_b64 s[92:93], s[4:5], s[8:9]
	s_andn2_b64 s[4:5], s[26:27], exec
	s_and_b64 s[8:9], s[36:37], exec
	s_or_b64 s[26:27], s[4:5], s[8:9]
	s_and_b64 s[8:9], s[2:3], exec
	v_mov_b32_e32 v24, v9
.LBB49_385:                             ;   in Loop: Header=BB49_6 Depth=1
	s_or_b64 exec, exec, s[94:95]
	s_orn2_b64 s[2:3], s[8:9], exec
.LBB49_386:                             ;   in Loop: Header=BB49_6 Depth=1
	s_or_b64 exec, exec, s[6:7]
	s_mov_b64 s[6:7], s[88:89]
	s_mov_b64 s[8:9], s[86:87]
	s_and_saveexec_b64 s[16:17], s[2:3]
; %bb.387:                              ;   in Loop: Header=BB49_6 Depth=1
	v_cmp_ne_u32_e64 s[6:7], 5, v23
	v_cmp_eq_u32_e32 vcc, 5, v23
	s_andn2_b64 s[2:3], s[86:87], exec
	s_and_b64 s[4:5], s[6:7], exec
	s_or_b64 s[8:9], s[2:3], s[4:5]
	s_andn2_b64 s[2:3], s[88:89], exec
	s_and_b64 s[4:5], vcc, exec
	s_or_b64 s[6:7], s[2:3], s[4:5]
; %bb.388:                              ;   in Loop: Header=BB49_6 Depth=1
	s_or_b64 exec, exec, s[16:17]
	s_andn2_b64 s[2:3], s[18:19], exec
	s_and_b64 s[4:5], s[92:93], exec
	s_or_b64 s[18:19], s[2:3], s[4:5]
	s_andn2_b64 s[2:3], s[20:21], exec
	s_and_b64 s[4:5], s[26:27], exec
	s_or_b64 s[20:21], s[2:3], s[4:5]
	;; [unrolled: 3-line block ×4, first 2 shown]
.LBB49_389:                             ;   in Loop: Header=BB49_6 Depth=1
	s_or_b64 exec, exec, s[90:91]
	s_mov_b64 s[90:91], 0
	s_mov_b64 s[92:93], 0
	s_and_saveexec_b64 s[2:3], s[88:89]
.LBB49_390:                             ;   in Loop: Header=BB49_6 Depth=1
	v_mov_b32_e32 v23, 0
	s_or_b64 s[86:87], s[86:87], exec
.LBB49_391:                             ;   in Loop: Header=BB49_6 Depth=1
	s_or_b64 exec, exec, s[2:3]
	s_andn2_b64 s[2:3], s[80:81], exec
	s_and_b64 s[4:5], s[18:19], exec
	s_or_b64 s[80:81], s[2:3], s[4:5]
	s_andn2_b64 s[2:3], s[78:79], exec
	s_and_b64 s[4:5], s[20:21], exec
	s_or_b64 s[78:79], s[2:3], s[4:5]
	;; [unrolled: 3-line block ×3, first 2 shown]
	s_andn2_b64 s[2:3], s[74:75], exec
	s_and_b64 s[4:5], s[90:91], exec
	s_mov_b64 s[6:7], -1
	s_andn2_b64 s[82:83], s[82:83], exec
	s_or_b64 s[74:75], s[2:3], s[4:5]
	v_mov_b32_e32 v41, v24
	s_and_saveexec_b64 s[2:3], s[86:87]
	s_xor_b64 s[2:3], exec, s[2:3]
	s_cbranch_execz .LBB49_5
; %bb.392:                              ;   in Loop: Header=BB49_6 Depth=1
	v_cmp_eq_u32_e32 vcc, 0, v23
	s_mov_b64 s[8:9], -1
	s_and_saveexec_b64 s[16:17], vcc
	s_cbranch_execz .LBB49_4
; %bb.393:                              ;   in Loop: Header=BB49_6 Depth=1
	s_xor_b32 s49, s49, 1
	s_add_i32 s18, s11, -2
	s_cmp_eq_u32 s11, 0
	s_cselect_b64 s[4:5], -1, 0
	s_xor_b64 s[8:9], exec, -1
	s_orn2_b64 s[6:7], s[4:5], exec
	s_mov_b32 s11, s18
	s_branch .LBB49_4
.LBB49_394:
	s_or_b64 exec, exec, s[62:63]
	s_xor_b64 s[6:7], s[72:73], -1
	s_xor_b64 s[14:15], s[70:71], -1
	;; [unrolled: 1-line block ×5, first 2 shown]
	s_mov_b64 s[8:9], 0
	s_and_saveexec_b64 s[10:11], s[4:5]
	s_xor_b64 s[10:11], exec, s[10:11]
	s_cbranch_execnz .LBB49_399
; %bb.395:
	s_andn2_saveexec_b64 s[0:1], s[10:11]
	s_cbranch_execnz .LBB49_418
.LBB49_396:
	s_or_b64 exec, exec, s[0:1]
	s_and_saveexec_b64 s[0:1], s[8:9]
.LBB49_397:
	; divergent unreachable
.LBB49_398:
	s_endpgm
.LBB49_399:
	s_and_saveexec_b64 s[4:5], s[12:13]
	s_xor_b64 s[12:13], exec, s[4:5]
	s_cbranch_execz .LBB49_416
; %bb.400:
	s_and_saveexec_b64 s[4:5], s[14:15]
	s_xor_b64 s[14:15], exec, s[4:5]
	s_cbranch_execz .LBB49_414
; %bb.401:
	;; [unrolled: 4-line block ×3, first 2 shown]
	s_and_saveexec_b64 s[4:5], s[2:3]
	s_xor_b64 s[2:3], exec, s[4:5]
; %bb.403:
	v_xor_b32_e32 v18, 0x80000000, v18
	v_mov_b32_e32 v3, v17
	v_mov_b32_e32 v4, v18
; %bb.404:
	s_or_b64 exec, exec, s[2:3]
	s_mov_b64 s[2:3], exec
	v_readlane_b32 s4, v46, 22
	v_readlane_b32 s5, v46, 23
	;; [unrolled: 1-line block ×3, first 2 shown]
	s_and_b64 s[4:5], s[2:3], s[4:5]
	v_readlane_b32 s43, v46, 26
	s_mov_b64 exec, s[4:5]
; %bb.405:
	v_mov_b32_e32 v1, 0
	ds_write_b32 v1, v1 offset:4108
; %bb.406:
	s_or_b64 exec, exec, s[2:3]
	v_mov_b32_e32 v1, 0
	v_mov_b32_e32 v2, 0
	s_waitcnt lgkmcnt(0)
	s_barrier
	s_mov_b64 s[2:3], exec
	v_readlane_b32 s4, v46, 29
	v_readlane_b32 s5, v46, 30
	s_and_b64 s[4:5], s[2:3], s[4:5]
	s_mov_b64 exec, s[4:5]
	s_cbranch_execz .LBB49_408
; %bb.407:
	global_load_dwordx2 v[1:2], v[10:11], off
.LBB49_408:
	s_or_b64 exec, exec, s[2:3]
	v_readlane_b32 s8, v46, 14
	v_readlane_b32 s9, v46, 15
	;; [unrolled: 1-line block ×3, first 2 shown]
	s_mul_i32 s2, s7, s9
	v_readlane_b32 s9, v46, 17
	s_mul_i32 s3, s9, s8
	s_add_i32 s34, s28, 63
	v_readlane_b32 s6, v46, 24
	s_sub_i32 s3, s7, s3
	s_andn2_b32 s34, s34, 63
	s_sub_i32 s2, s6, s2
	s_add_i32 s4, s9, 1
	s_sub_i32 s5, s3, s8
	s_cmp_ge_u32 s3, s8
	s_cselect_b32 s4, s4, s9
	s_cselect_b32 s3, s5, s3
	s_add_i32 s5, s4, 1
	s_cmp_ge_u32 s3, s8
	s_cselect_b32 s3, s5, s4
	v_readlane_b32 s20, v46, 6
	s_mul_i32 s4, s3, s8
	v_readlane_b32 s21, v46, 7
	v_readlane_b32 s22, v46, 8
	s_sub_i32 s4, s7, s4
	s_mul_i32 s2, s2, s22
	s_mul_i32 s4, s4, s21
	v_readlane_b32 s8, v46, 18
	s_add_i32 s2, s4, s2
	s_mul_i32 s3, s3, s20
	v_readlane_b32 s9, v46, 19
	v_readlane_b32 s18, v46, 20
	s_add_i32 s2, s2, s3
	s_mul_i32 s3, s18, s9
	s_sub_i32 s3, s6, s3
	v_readlane_b32 s4, v46, 0
	v_readlane_b32 s6, v46, 2
	;; [unrolled: 1-line block ×4, first 2 shown]
	s_mov_b32 s22, s6
	v_readlane_b32 s7, v46, 21
	s_mov_b64 s[20:21], s[4:5]
	s_mul_i32 s4, s7, s8
	s_sub_i32 s4, s18, s4
	s_add_i32 s5, s7, 1
	s_sub_i32 s6, s4, s8
	s_cmp_ge_u32 s4, s8
	s_cselect_b32 s5, s5, s7
	s_cselect_b32 s4, s6, s4
	s_add_i32 s6, s5, 1
	s_cmp_ge_u32 s4, s8
	s_cselect_b32 s4, s6, s5
	s_mul_i32 s5, s4, s8
	s_sub_i32 s5, s18, s5
	s_mul_i32 s3, s3, s22
	s_mul_i32 s5, s5, s21
	s_add_i32 s3, s5, s3
	s_mul_i32 s4, s4, s20
	s_add_i32 s4, s3, s4
	s_mov_b32 s3, 0
	s_lshl_b64 s[6:7], s[2:3], 3
	v_readlane_b32 s8, v46, 10
	v_readlane_b32 s9, v46, 11
	s_add_u32 s35, s8, s6
	s_mov_b32 s5, s3
	s_addc_u32 s36, s9, s7
	s_lshl_b64 s[2:3], s[4:5], 3
	v_readlane_b32 s4, v46, 4
	v_readlane_b32 s5, v46, 5
	s_add_u32 s37, s4, s2
	s_addc_u32 s38, s5, s3
	v_readlane_b32 s2, v46, 12
	v_readlane_b32 s3, v46, 13
	s_load_dword s39, s[2:3], 0x1c8
	s_load_dword s40, s[2:3], 0x2a8
	v_cmp_gt_u32_e32 vcc, s34, v0
	s_mov_b64 s[2:3], -1
	s_mov_b64 s[8:9], 0
	s_mov_b64 s[4:5], 0
	v_readlane_b32 s23, v46, 9
	s_and_saveexec_b64 s[18:19], vcc
	s_cbranch_execnz .LBB49_419
; %bb.409:
	s_or_b64 exec, exec, s[18:19]
	s_and_saveexec_b64 s[6:7], s[2:3]
	s_cbranch_execnz .LBB49_434
.LBB49_410:
	s_or_b64 exec, exec, s[6:7]
	s_and_saveexec_b64 s[0:1], s[4:5]
	s_xor_b64 s[0:1], exec, s[0:1]
	s_cbranch_execnz .LBB49_457
.LBB49_411:
	s_or_b64 exec, exec, s[0:1]
	s_and_b64 s[8:9], s[8:9], exec
.LBB49_412:
	s_andn2_saveexec_b64 s[0:1], s[16:17]
	s_cbranch_execnz .LBB49_459
.LBB49_413:
	s_or_b64 exec, exec, s[0:1]
	s_and_b64 s[8:9], s[8:9], exec
.LBB49_414:
	s_andn2_saveexec_b64 s[0:1], s[14:15]
	s_cbranch_execnz .LBB49_458
.LBB49_415:
	s_or_b64 exec, exec, s[0:1]
	s_and_b64 s[8:9], s[8:9], exec
.LBB49_416:
	s_andn2_saveexec_b64 s[0:1], s[12:13]
	s_cbranch_execnz .LBB49_453
.LBB49_417:
	s_or_b64 exec, exec, s[0:1]
	s_and_b64 s[8:9], s[8:9], exec
	s_andn2_saveexec_b64 s[0:1], s[10:11]
	s_cbranch_execz .LBB49_396
.LBB49_418:
	s_or_b64 s[8:9], s[8:9], exec
	s_trap 2
	s_or_b64 exec, exec, s[0:1]
	s_and_saveexec_b64 s[0:1], s[8:9]
	s_cbranch_execnz .LBB49_397
	s_branch .LBB49_398
.LBB49_419:
	v_add_u32_e32 v7, s54, v0
	v_mul_lo_u32 v7, s53, v7
	v_xor_b32_e32 v6, 0x80000000, v4
	v_mov_b32_e32 v5, v3
	s_mov_b64 s[20:21], 0
	v_mov_b32_e32 v8, 0
	v_mov_b32_e32 v14, v0
                                        ; implicit-def: $sgpr22_sgpr23
                                        ; implicit-def: $vgpr16
	s_branch .LBB49_421
.LBB49_420:                             ;   in Loop: Header=BB49_421 Depth=1
	s_or_b64 exec, exec, s[24:25]
	s_xor_b64 s[4:5], s[6:7], -1
	s_and_b64 s[2:3], exec, s[2:3]
	s_or_b64 s[20:21], s[2:3], s[20:21]
	s_andn2_b64 s[2:3], s[22:23], exec
	s_and_b64 s[4:5], s[4:5], exec
	v_mov_b32_e32 v1, v12
	s_or_b64 s[22:23], s[2:3], s[4:5]
	v_mov_b32_e32 v2, v13
	v_mov_b32_e32 v14, v9
	s_andn2_b64 exec, exec, s[20:21]
	s_cbranch_execz .LBB49_433
.LBB49_421:                             ; =>This Inner Loop Header: Depth=1
	v_add_u32_e32 v9, s54, v14
	v_mov_b32_e32 v12, 0
	v_mov_b32_e32 v13, 0
	v_cmp_gt_u32_e64 s[4:5], s28, v9
	s_and_saveexec_b64 s[2:3], s[4:5]
	s_cbranch_execz .LBB49_423
; %bb.422:                              ;   in Loop: Header=BB49_421 Depth=1
	v_lshlrev_b64 v[12:13], 3, v[7:8]
	v_mov_b32_e32 v15, s48
	v_add_co_u32_e64 v12, s[4:5], s33, v12
	v_addc_co_u32_e64 v13, s[4:5], v15, v13, s[4:5]
	global_load_dwordx2 v[12:13], v[12:13], off
.LBB49_423:                             ;   in Loop: Header=BB49_421 Depth=1
	s_or_b64 exec, exec, s[2:3]
	s_waitcnt vmcnt(0)
	v_xor_b32_e32 v18, 0x80000000, v2
	v_mov_b32_e32 v17, v1
	v_cmp_gt_u64_e64 s[6:7], v[17:18], v[5:6]
	v_cmp_gt_u32_e64 s[4:5], s28, v14
	v_cndmask_b32_e64 v15, 0, 1, s[6:7]
	v_cmp_lt_u64_e64 s[6:7], v[17:18], v[5:6]
	v_cndmask_b32_e64 v17, 0, 1, s[6:7]
	v_cndmask_b32_e64 v15, v17, v15, s[42:43]
	v_and_b32_e32 v15, 1, v15
	v_cmp_eq_u32_e64 s[6:7], 1, v15
	s_and_b64 s[24:25], s[4:5], s[6:7]
	v_cndmask_b32_e64 v15, 0, 1, s[24:25]
	v_cmp_ne_u32_e64 s[4:5], 0, v15
	s_cmp_lg_u64 s[4:5], 0
	s_cselect_b64 s[2:3], -1, 0
	s_and_b64 s[6:7], s[0:1], s[2:3]
	s_and_saveexec_b64 s[2:3], s[6:7]
	s_cbranch_execz .LBB49_427
; %bb.424:                              ;   in Loop: Header=BB49_421 Depth=1
	s_mov_b64 s[30:31], exec
	v_mbcnt_lo_u32_b32 v15, s30, 0
	v_mbcnt_hi_u32_b32 v15, s31, v15
	s_bcnt1_i32_b64 s41, s[4:5]
	v_cmp_eq_u32_e64 s[6:7], 0, v15
                                        ; implicit-def: $vgpr16
	s_and_saveexec_b64 s[26:27], s[6:7]
	s_cbranch_execz .LBB49_426
; %bb.425:                              ;   in Loop: Header=BB49_421 Depth=1
	s_bcnt1_i32_b64 s6, s[30:31]
	s_mul_i32 s6, s41, s6
	s_waitcnt lgkmcnt(0)
	v_mov_b32_e32 v16, s6
	ds_add_rtn_u32 v16, v8, v16 offset:4108
.LBB49_426:                             ;   in Loop: Header=BB49_421 Depth=1
	s_or_b64 exec, exec, s[26:27]
	s_waitcnt lgkmcnt(0)
	v_readfirstlane_b32 s6, v16
	v_mov_b32_e32 v16, s6
	v_mad_u32_u24 v16, s41, v15, v16
.LBB49_427:                             ;   in Loop: Header=BB49_421 Depth=1
	s_or_b64 exec, exec, s[2:3]
	s_waitcnt lgkmcnt(0)
	ds_bpermute_b32 v16, v25, v16
	s_mov_b64 s[2:3], -1
	s_mov_b64 s[26:27], -1
	s_and_saveexec_b64 s[6:7], s[24:25]
	s_cbranch_execz .LBB49_431
; %bb.428:                              ;   in Loop: Header=BB49_421 Depth=1
	v_and_b32_e32 v17, s4, v27
	v_and_b32_e32 v15, s5, v26
	v_bcnt_u32_b32 v17, v17, 0
	v_bcnt_u32_b32 v15, v15, v17
	s_waitcnt lgkmcnt(0)
	v_add_u32_e32 v15, v16, v15
	v_cmp_gt_u32_e64 s[4:5], s29, v15
	s_mov_b64 s[24:25], 0
	s_and_saveexec_b64 s[26:27], s[4:5]
; %bb.429:                              ;   in Loop: Header=BB49_421 Depth=1
	v_mul_lo_u32 v17, v15, s39
	v_mov_b32_e32 v18, v8
	v_mul_lo_u32 v19, v15, s40
	v_mov_b32_e32 v15, s36
	v_lshlrev_b64 v[17:18], 3, v[17:18]
	v_mov_b32_e32 v20, v8
	v_add_co_u32_e64 v17, s[4:5], s35, v17
	v_addc_co_u32_e64 v18, s[4:5], v15, v18, s[4:5]
	global_store_dwordx2 v[17:18], v[1:2], off
	v_lshlrev_b64 v[1:2], 3, v[19:20]
	v_mov_b32_e32 v17, s38
	v_add_co_u32_e64 v1, s[4:5], s37, v1
	s_mov_b64 s[24:25], exec
	v_mov_b32_e32 v15, v8
	v_addc_co_u32_e64 v2, s[4:5], v17, v2, s[4:5]
	global_store_dwordx2 v[1:2], v[14:15], off
; %bb.430:                              ;   in Loop: Header=BB49_421 Depth=1
	s_or_b64 exec, exec, s[26:27]
	s_orn2_b64 s[26:27], s[24:25], exec
.LBB49_431:                             ;   in Loop: Header=BB49_421 Depth=1
	s_or_b64 exec, exec, s[6:7]
	s_mov_b64 s[6:7], -1
	s_and_saveexec_b64 s[24:25], s[26:27]
	s_cbranch_execz .LBB49_420
; %bb.432:                              ;   in Loop: Header=BB49_421 Depth=1
	v_cmp_le_u32_e64 s[4:5], s34, v9
	v_add_u32_e32 v7, s55, v7
	s_xor_b64 s[6:7], exec, -1
	s_orn2_b64 s[2:3], s[4:5], exec
	s_branch .LBB49_420
.LBB49_433:
	s_or_b64 exec, exec, s[20:21]
	s_mov_b64 s[4:5], exec
	s_orn2_b64 s[2:3], s[22:23], exec
	s_or_b64 exec, exec, s[18:19]
	s_and_saveexec_b64 s[6:7], s[2:3]
	s_cbranch_execz .LBB49_410
.LBB49_434:
	s_waitcnt vmcnt(0)
	v_mov_b32_e32 v1, 0
	v_mov_b32_e32 v2, 0
	s_waitcnt lgkmcnt(0)
	s_barrier
	s_mov_b64 s[2:3], exec
	v_readlane_b32 s8, v46, 29
	v_readlane_b32 s9, v46, 30
	s_and_b64 s[8:9], s[2:3], s[8:9]
	s_mov_b64 exec, s[8:9]
	s_cbranch_execz .LBB49_436
; %bb.435:
	global_load_dwordx2 v[1:2], v[10:11], off
.LBB49_436:
	s_or_b64 exec, exec, s[2:3]
	s_mov_b64 s[2:3], 0
	s_and_saveexec_b64 s[8:9], vcc
	s_cbranch_execz .LBB49_456
; %bb.437:
	v_add_u32_e32 v5, s54, v0
	v_mul_lo_u32 v5, s53, v5
	s_mov_b64 s[18:19], 0
	v_mov_b32_e32 v6, 0
                                        ; implicit-def: $sgpr20_sgpr21
                                        ; implicit-def: $vgpr10
	s_branch .LBB49_440
.LBB49_438:                             ;   in Loop: Header=BB49_440 Depth=1
	s_or_b64 exec, exec, s[24:25]
	s_orn2_b64 s[26:27], s[30:31], exec
	s_orn2_b64 s[24:25], s[22:23], exec
.LBB49_439:                             ;   in Loop: Header=BB49_440 Depth=1
	s_or_b64 exec, exec, s[2:3]
	s_xor_b64 s[2:3], s[26:27], -1
	s_and_b64 s[22:23], exec, s[24:25]
	s_or_b64 s[18:19], s[22:23], s[18:19]
	s_andn2_b64 s[20:21], s[20:21], exec
	s_and_b64 s[2:3], s[2:3], exec
	v_mov_b32_e32 v1, v7
	s_or_b64 s[20:21], s[20:21], s[2:3]
	v_mov_b32_e32 v0, v9
	v_mov_b32_e32 v2, v8
	s_andn2_b64 exec, exec, s[18:19]
	s_cbranch_execz .LBB49_454
.LBB49_440:                             ; =>This Inner Loop Header: Depth=1
	v_add_u32_e32 v9, s54, v0
	v_mov_b32_e32 v7, 0
	v_mov_b32_e32 v8, 0
	v_cmp_gt_u32_e32 vcc, s28, v9
	s_and_saveexec_b64 s[2:3], vcc
	s_cbranch_execz .LBB49_442
; %bb.441:                              ;   in Loop: Header=BB49_440 Depth=1
	v_lshlrev_b64 v[7:8], 3, v[5:6]
	v_mov_b32_e32 v11, s48
	v_add_co_u32_e32 v7, vcc, s33, v7
	v_addc_co_u32_e32 v8, vcc, v11, v8, vcc
	global_load_dwordx2 v[7:8], v[7:8], off
.LBB49_442:                             ;   in Loop: Header=BB49_440 Depth=1
	s_or_b64 exec, exec, s[2:3]
	s_waitcnt vmcnt(0)
	v_cmp_eq_u64_e32 vcc, v[1:2], v[3:4]
	v_cmp_gt_u32_e64 s[2:3], s28, v0
	s_and_b64 s[22:23], s[2:3], vcc
	v_cndmask_b32_e64 v1, 0, 1, s[22:23]
	v_cmp_ne_u32_e32 vcc, 0, v1
	s_cmp_lg_u64 vcc, 0
	s_cselect_b64 s[2:3], -1, 0
	s_and_b64 s[2:3], s[0:1], s[2:3]
	s_and_saveexec_b64 s[24:25], s[2:3]
	s_cbranch_execz .LBB49_446
; %bb.443:                              ;   in Loop: Header=BB49_440 Depth=1
	s_mov_b64 s[30:31], exec
	v_mbcnt_lo_u32_b32 v1, s30, 0
	v_mbcnt_hi_u32_b32 v1, s31, v1
	s_bcnt1_i32_b64 s41, vcc
	v_cmp_eq_u32_e64 s[2:3], 0, v1
                                        ; implicit-def: $vgpr2
	s_and_saveexec_b64 s[26:27], s[2:3]
; %bb.444:                              ;   in Loop: Header=BB49_440 Depth=1
	s_bcnt1_i32_b64 s2, s[30:31]
	s_mul_i32 s2, s41, s2
	v_mov_b32_e32 v2, s2
	ds_add_rtn_u32 v2, v6, v2 offset:4108
; %bb.445:                              ;   in Loop: Header=BB49_440 Depth=1
	s_or_b64 exec, exec, s[26:27]
	s_waitcnt lgkmcnt(0)
	v_readfirstlane_b32 s2, v2
	v_mov_b32_e32 v2, s2
	v_mad_u32_u24 v10, s41, v1, v2
.LBB49_446:                             ;   in Loop: Header=BB49_440 Depth=1
	s_or_b64 exec, exec, s[24:25]
	ds_bpermute_b32 v10, v25, v10
	s_cmp_eq_u64 vcc, 0
	s_cselect_b64 s[26:27], -1, 0
	s_mov_b64 s[24:25], -1
	s_waitcnt lgkmcnt(0)
	v_cmp_gt_u32_e64 s[2:3], s29, v10
	s_or_b64 s[30:31], s[26:27], s[2:3]
	s_mov_b64 s[26:27], -1
	s_and_saveexec_b64 s[2:3], s[30:31]
	s_cbranch_execz .LBB49_439
; %bb.447:                              ;   in Loop: Header=BB49_440 Depth=1
	v_and_b32_e32 v2, vcc_lo, v27
	v_and_b32_e32 v1, vcc_hi, v26
	v_bcnt_u32_b32 v2, v2, 0
	v_bcnt_u32_b32 v1, v1, v2
	v_sub_u32_e32 v2, s29, v10
	v_cmp_gt_u32_e32 vcc, v2, v1
	s_and_b64 s[42:43], s[22:23], vcc
	s_mov_b64 s[22:23], -1
	s_mov_b64 s[30:31], -1
	s_and_saveexec_b64 s[24:25], s[42:43]
	s_cbranch_execz .LBB49_451
; %bb.448:                              ;   in Loop: Header=BB49_440 Depth=1
	v_add_u32_e32 v1, v10, v1
	v_cmp_gt_u32_e32 vcc, s29, v1
	s_mov_b64 s[26:27], 0
	s_and_saveexec_b64 s[30:31], vcc
; %bb.449:                              ;   in Loop: Header=BB49_440 Depth=1
	v_mul_lo_u32 v11, v1, s39
	v_mul_lo_u32 v13, v1, s40
	v_mov_b32_e32 v12, v6
	v_mov_b32_e32 v14, v6
	v_lshlrev_b64 v[1:2], 3, v[11:12]
	v_mov_b32_e32 v11, s36
	v_add_co_u32_e32 v1, vcc, s35, v1
	v_addc_co_u32_e32 v2, vcc, v11, v2, vcc
	v_lshlrev_b64 v[11:12], 3, v[13:14]
	global_store_dwordx2 v[1:2], v[3:4], off
	v_mov_b32_e32 v2, s38
	v_add_co_u32_e32 v11, vcc, s37, v11
	s_mov_b64 s[26:27], exec
	v_mov_b32_e32 v1, v6
	v_addc_co_u32_e32 v12, vcc, v2, v12, vcc
	global_store_dwordx2 v[11:12], v[0:1], off
; %bb.450:                              ;   in Loop: Header=BB49_440 Depth=1
	s_or_b64 exec, exec, s[30:31]
	s_xor_b64 s[30:31], exec, -1
	s_orn2_b64 s[26:27], s[26:27], exec
.LBB49_451:                             ;   in Loop: Header=BB49_440 Depth=1
	s_or_b64 exec, exec, s[24:25]
	s_and_saveexec_b64 s[24:25], s[26:27]
	s_cbranch_execz .LBB49_438
; %bb.452:                              ;   in Loop: Header=BB49_440 Depth=1
	v_cmp_le_u32_e32 vcc, s34, v9
	v_add_u32_e32 v5, s55, v5
	s_or_b64 s[30:31], s[30:31], exec
	s_orn2_b64 s[22:23], vcc, exec
	s_branch .LBB49_438
.LBB49_453:
	s_or_b64 s[8:9], s[8:9], exec
	s_trap 2
	s_branch .LBB49_417
.LBB49_454:
	s_or_b64 exec, exec, s[18:19]
	s_mov_b64 s[0:1], 0
	s_and_saveexec_b64 s[2:3], s[20:21]
	s_xor_b64 s[2:3], exec, s[2:3]
	s_cbranch_execnz .LBB49_460
.LBB49_455:
	s_or_b64 exec, exec, s[2:3]
	s_and_b64 s[2:3], s[0:1], exec
.LBB49_456:
	s_or_b64 exec, exec, s[8:9]
	s_and_b64 s[8:9], s[2:3], exec
	s_andn2_b64 s[4:5], s[4:5], exec
	s_or_b64 exec, exec, s[6:7]
	s_and_saveexec_b64 s[0:1], s[4:5]
	s_xor_b64 s[0:1], exec, s[0:1]
	s_cbranch_execz .LBB49_411
.LBB49_457:
	s_trap 2
	s_or_b64 s[8:9], s[8:9], exec
	s_branch .LBB49_411
.LBB49_458:
	s_or_b64 s[8:9], s[8:9], exec
	s_trap 2
	s_branch .LBB49_415
.LBB49_459:
	s_trap 2
	s_or_b64 s[8:9], s[8:9], exec
	s_branch .LBB49_413
.LBB49_460:
	s_mov_b64 s[0:1], exec
	s_trap 2
	s_branch .LBB49_455
	.section	.rodata,"a",@progbits
	.p2align	6, 0x0
	.amdhsa_kernel _ZN2at6native6sbtopk10gatherTopKIljLi3ELb0EEEvNS_4cuda6detail10TensorInfoIKT_T0_EES8_S8_bS8_S8_NS5_IS6_S8_EES8_NS5_IlS8_EES8_PS6_
		.amdhsa_group_segment_fixed_size 4112
		.amdhsa_private_segment_fixed_size 0
		.amdhsa_kernarg_size 952
		.amdhsa_user_sgpr_count 6
		.amdhsa_user_sgpr_private_segment_buffer 1
		.amdhsa_user_sgpr_dispatch_ptr 0
		.amdhsa_user_sgpr_queue_ptr 0
		.amdhsa_user_sgpr_kernarg_segment_ptr 1
		.amdhsa_user_sgpr_dispatch_id 0
		.amdhsa_user_sgpr_flat_scratch_init 0
		.amdhsa_user_sgpr_private_segment_size 0
		.amdhsa_uses_dynamic_stack 0
		.amdhsa_system_sgpr_private_segment_wavefront_offset 0
		.amdhsa_system_sgpr_workgroup_id_x 1
		.amdhsa_system_sgpr_workgroup_id_y 1
		.amdhsa_system_sgpr_workgroup_id_z 1
		.amdhsa_system_sgpr_workgroup_info 0
		.amdhsa_system_vgpr_workitem_id 0
		.amdhsa_next_free_vgpr 47
		.amdhsa_next_free_sgpr 96
		.amdhsa_reserve_vcc 1
		.amdhsa_reserve_flat_scratch 0
		.amdhsa_float_round_mode_32 0
		.amdhsa_float_round_mode_16_64 0
		.amdhsa_float_denorm_mode_32 3
		.amdhsa_float_denorm_mode_16_64 3
		.amdhsa_dx10_clamp 1
		.amdhsa_ieee_mode 1
		.amdhsa_fp16_overflow 0
		.amdhsa_exception_fp_ieee_invalid_op 0
		.amdhsa_exception_fp_denorm_src 0
		.amdhsa_exception_fp_ieee_div_zero 0
		.amdhsa_exception_fp_ieee_overflow 0
		.amdhsa_exception_fp_ieee_underflow 0
		.amdhsa_exception_fp_ieee_inexact 0
		.amdhsa_exception_int_div_zero 0
	.end_amdhsa_kernel
	.section	.text._ZN2at6native6sbtopk10gatherTopKIljLi3ELb0EEEvNS_4cuda6detail10TensorInfoIKT_T0_EES8_S8_bS8_S8_NS5_IS6_S8_EES8_NS5_IlS8_EES8_PS6_,"axG",@progbits,_ZN2at6native6sbtopk10gatherTopKIljLi3ELb0EEEvNS_4cuda6detail10TensorInfoIKT_T0_EES8_S8_bS8_S8_NS5_IS6_S8_EES8_NS5_IlS8_EES8_PS6_,comdat
.Lfunc_end49:
	.size	_ZN2at6native6sbtopk10gatherTopKIljLi3ELb0EEEvNS_4cuda6detail10TensorInfoIKT_T0_EES8_S8_bS8_S8_NS5_IS6_S8_EES8_NS5_IlS8_EES8_PS6_, .Lfunc_end49-_ZN2at6native6sbtopk10gatherTopKIljLi3ELb0EEEvNS_4cuda6detail10TensorInfoIKT_T0_EES8_S8_bS8_S8_NS5_IS6_S8_EES8_NS5_IlS8_EES8_PS6_
                                        ; -- End function
	.set _ZN2at6native6sbtopk10gatherTopKIljLi3ELb0EEEvNS_4cuda6detail10TensorInfoIKT_T0_EES8_S8_bS8_S8_NS5_IS6_S8_EES8_NS5_IlS8_EES8_PS6_.num_vgpr, 47
	.set _ZN2at6native6sbtopk10gatherTopKIljLi3ELb0EEEvNS_4cuda6detail10TensorInfoIKT_T0_EES8_S8_bS8_S8_NS5_IS6_S8_EES8_NS5_IlS8_EES8_PS6_.num_agpr, 0
	.set _ZN2at6native6sbtopk10gatherTopKIljLi3ELb0EEEvNS_4cuda6detail10TensorInfoIKT_T0_EES8_S8_bS8_S8_NS5_IS6_S8_EES8_NS5_IlS8_EES8_PS6_.numbered_sgpr, 96
	.set _ZN2at6native6sbtopk10gatherTopKIljLi3ELb0EEEvNS_4cuda6detail10TensorInfoIKT_T0_EES8_S8_bS8_S8_NS5_IS6_S8_EES8_NS5_IlS8_EES8_PS6_.num_named_barrier, 0
	.set _ZN2at6native6sbtopk10gatherTopKIljLi3ELb0EEEvNS_4cuda6detail10TensorInfoIKT_T0_EES8_S8_bS8_S8_NS5_IS6_S8_EES8_NS5_IlS8_EES8_PS6_.private_seg_size, 0
	.set _ZN2at6native6sbtopk10gatherTopKIljLi3ELb0EEEvNS_4cuda6detail10TensorInfoIKT_T0_EES8_S8_bS8_S8_NS5_IS6_S8_EES8_NS5_IlS8_EES8_PS6_.uses_vcc, 1
	.set _ZN2at6native6sbtopk10gatherTopKIljLi3ELb0EEEvNS_4cuda6detail10TensorInfoIKT_T0_EES8_S8_bS8_S8_NS5_IS6_S8_EES8_NS5_IlS8_EES8_PS6_.uses_flat_scratch, 0
	.set _ZN2at6native6sbtopk10gatherTopKIljLi3ELb0EEEvNS_4cuda6detail10TensorInfoIKT_T0_EES8_S8_bS8_S8_NS5_IS6_S8_EES8_NS5_IlS8_EES8_PS6_.has_dyn_sized_stack, 0
	.set _ZN2at6native6sbtopk10gatherTopKIljLi3ELb0EEEvNS_4cuda6detail10TensorInfoIKT_T0_EES8_S8_bS8_S8_NS5_IS6_S8_EES8_NS5_IlS8_EES8_PS6_.has_recursion, 0
	.set _ZN2at6native6sbtopk10gatherTopKIljLi3ELb0EEEvNS_4cuda6detail10TensorInfoIKT_T0_EES8_S8_bS8_S8_NS5_IS6_S8_EES8_NS5_IlS8_EES8_PS6_.has_indirect_call, 0
	.section	.AMDGPU.csdata,"",@progbits
; Kernel info:
; codeLenInByte = 15720
; TotalNumSgprs: 100
; NumVgprs: 47
; ScratchSize: 0
; MemoryBound: 0
; FloatMode: 240
; IeeeMode: 1
; LDSByteSize: 4112 bytes/workgroup (compile time only)
; SGPRBlocks: 12
; VGPRBlocks: 11
; NumSGPRsForWavesPerEU: 100
; NumVGPRsForWavesPerEU: 47
; Occupancy: 5
; WaveLimiterHint : 1
; COMPUTE_PGM_RSRC2:SCRATCH_EN: 0
; COMPUTE_PGM_RSRC2:USER_SGPR: 6
; COMPUTE_PGM_RSRC2:TRAP_HANDLER: 0
; COMPUTE_PGM_RSRC2:TGID_X_EN: 1
; COMPUTE_PGM_RSRC2:TGID_Y_EN: 1
; COMPUTE_PGM_RSRC2:TGID_Z_EN: 1
; COMPUTE_PGM_RSRC2:TIDIG_COMP_CNT: 0
	.section	.text._ZN2at6native6mbtopk23computeBlockDigitCountsIljmLin1EEEvNS_4cuda6detail10TensorInfoIKT_T0_EEjPjjS8_iijT1_PSB_Ps,"axG",@progbits,_ZN2at6native6mbtopk23computeBlockDigitCountsIljmLin1EEEvNS_4cuda6detail10TensorInfoIKT_T0_EEjPjjS8_iijT1_PSB_Ps,comdat
	.protected	_ZN2at6native6mbtopk23computeBlockDigitCountsIljmLin1EEEvNS_4cuda6detail10TensorInfoIKT_T0_EEjPjjS8_iijT1_PSB_Ps ; -- Begin function _ZN2at6native6mbtopk23computeBlockDigitCountsIljmLin1EEEvNS_4cuda6detail10TensorInfoIKT_T0_EEjPjjS8_iijT1_PSB_Ps
	.globl	_ZN2at6native6mbtopk23computeBlockDigitCountsIljmLin1EEEvNS_4cuda6detail10TensorInfoIKT_T0_EEjPjjS8_iijT1_PSB_Ps
	.p2align	8
	.type	_ZN2at6native6mbtopk23computeBlockDigitCountsIljmLin1EEEvNS_4cuda6detail10TensorInfoIKT_T0_EEjPjjS8_iijT1_PSB_Ps,@function
_ZN2at6native6mbtopk23computeBlockDigitCountsIljmLin1EEEvNS_4cuda6detail10TensorInfoIKT_T0_EEjPjjS8_iijT1_PSB_Ps: ; @_ZN2at6native6mbtopk23computeBlockDigitCountsIljmLin1EEEvNS_4cuda6detail10TensorInfoIKT_T0_EEjPjjS8_iijT1_PSB_Ps
; %bb.0:
	s_load_dword s18, s[4:5], 0xf8
	s_load_dwordx4 s[12:15], s[4:5], 0xe8
	s_load_dwordx2 s[0:1], s[4:5], 0x118
	s_waitcnt lgkmcnt(0)
	v_cvt_f32_u32_e32 v1, s18
	s_sub_i32 s2, 0, s18
	s_mul_i32 s1, s1, s8
	s_add_i32 s1, s1, s7
	v_rcp_iflag_f32_e32 v1, v1
	s_mul_i32 s16, s1, s0
	s_add_i32 s16, s16, s6
	v_mul_f32_e32 v1, 0x4f7ffffe, v1
	v_cvt_u32_f32_e32 v1, v1
	v_readfirstlane_b32 s0, v1
	s_mul_i32 s2, s2, s0
	s_mul_hi_u32 s1, s0, s2
	s_add_i32 s0, s0, s1
	s_mul_hi_u32 s0, s16, s0
	s_mul_i32 s1, s0, s18
	s_sub_i32 s1, s16, s1
	s_add_i32 s2, s0, 1
	s_sub_i32 s3, s1, s18
	s_cmp_ge_u32 s1, s18
	s_cselect_b32 s0, s2, s0
	s_cselect_b32 s1, s3, s1
	s_add_i32 s2, s0, 1
	s_cmp_ge_u32 s1, s18
	s_cselect_b32 s0, s2, s0
	s_cmp_ge_u32 s0, s12
	s_mov_b32 s1, 0
	s_cbranch_scc1 .LBB50_30
; %bb.1:
	s_load_dwordx4 s[8:11], s[4:5], 0x100
	s_load_dword s17, s[4:5], 0xd0
	s_load_dwordx2 s[2:3], s[4:5], 0x110
	s_lshl_b64 s[6:7], s[0:1], 3
	s_mov_b32 s19, s0
	s_waitcnt lgkmcnt(0)
	s_add_u32 s6, s10, s6
	s_addc_u32 s7, s11, s7
	s_load_dwordx2 s[6:7], s[6:7], 0x0
	s_cmp_lt_i32 s17, 2
	s_cbranch_scc1 .LBB50_4
; %bb.2:
	s_add_i32 s20, s17, -1
	s_mov_b32 s21, 0
	s_add_i32 s12, s17, 1
	s_lshl_b64 s[10:11], s[20:21], 2
	s_add_u32 s1, s4, s10
	s_addc_u32 s11, s5, s11
	s_add_u32 s10, s1, 8
	s_addc_u32 s11, s11, 0
	s_mov_b32 s19, s0
	s_mov_b32 s1, s21
.LBB50_3:                               ; =>This Inner Loop Header: Depth=1
	s_load_dword s17, s[10:11], 0x0
	s_load_dword s21, s[10:11], 0x64
	s_mov_b32 s20, s19
	s_waitcnt lgkmcnt(0)
	v_cvt_f32_u32_e32 v1, s17
	s_sub_i32 s19, 0, s17
	v_rcp_iflag_f32_e32 v1, v1
	v_mul_f32_e32 v1, 0x4f7ffffe, v1
	v_cvt_u32_f32_e32 v1, v1
	v_readfirstlane_b32 s22, v1
	s_mul_i32 s19, s19, s22
	s_mul_hi_u32 s19, s22, s19
	s_add_i32 s22, s22, s19
	s_mul_hi_u32 s19, s20, s22
	s_mul_i32 s22, s19, s17
	s_sub_i32 s22, s20, s22
	s_add_i32 s23, s19, 1
	s_sub_i32 s24, s22, s17
	s_cmp_ge_u32 s22, s17
	s_cselect_b32 s19, s23, s19
	s_cselect_b32 s22, s24, s22
	s_add_i32 s23, s19, 1
	s_cmp_ge_u32 s22, s17
	s_cselect_b32 s19, s23, s19
	s_mul_i32 s17, s19, s17
	s_sub_i32 s17, s20, s17
	s_mul_i32 s17, s21, s17
	s_add_i32 s12, s12, -1
	s_add_i32 s1, s17, s1
	s_add_u32 s10, s10, -4
	s_addc_u32 s11, s11, -1
	s_cmp_gt_u32 s12, 2
	s_cbranch_scc1 .LBB50_3
.LBB50_4:
	s_movk_i32 s10, 0x100
	v_cmp_gt_u32_e32 vcc, s10, v0
	v_lshlrev_b32_e32 v5, 2, v0
	s_and_saveexec_b64 s[10:11], vcc
; %bb.5:
	v_mov_b32_e32 v1, 0
	ds_write_b32 v5, v1
; %bb.6:
	s_or_b64 exec, exec, s[10:11]
	s_load_dword s12, s[4:5], 0xd8
	s_mul_i32 s0, s0, s18
	s_sub_i32 s0, s16, s0
	s_add_i32 s20, s0, 1
	s_mul_i32 s0, s15, s0
	s_lshl_b32 s17, s0, 8
	s_waitcnt lgkmcnt(0)
	s_sub_i32 s0, s12, s17
	s_add_u32 s10, s0, 0xff
	s_addc_u32 s11, 0, 0
	s_lshr_b64 s[10:11], s[10:11], 8
	s_cmp_lt_u32 s20, s18
	s_cselect_b32 s18, s15, s10
	s_cmp_lt_i32 s18, 1
	s_mov_b32 s11, 0
	s_barrier
	s_cbranch_scc1 .LBB50_28
; %bb.7:
	s_load_dword s0, s[4:5], 0x6c
	s_load_dwordx2 s[20:21], s[4:5], 0x0
	s_waitcnt lgkmcnt(0)
	s_mul_i32 s0, s0, s19
	s_add_i32 s10, s0, s1
	s_lshl_b64 s[0:1], s[10:11], 3
	s_add_u32 s10, s20, s0
	s_addc_u32 s15, s21, s1
	s_and_b32 s14, s14, 0xff
	s_cmp_lt_u32 s18, 4
	s_cbranch_scc1 .LBB50_22
; %bb.8:
	v_add_u32_e32 v1, s17, v0
	v_add_u32_e32 v2, 0x200, v1
	;; [unrolled: 1-line block ×3, first 2 shown]
	v_mul_lo_u32 v8, s13, v2
	v_add_u32_e32 v2, 0x100, v1
	v_mul_lo_u32 v7, s13, v6
	v_mul_lo_u32 v9, s13, v2
	;; [unrolled: 1-line block ×3, first 2 shown]
	s_and_b32 s11, s18, 0x7ffffffc
	s_lshl_b32 s19, s13, 10
	s_mov_b32 s20, 0
	v_mov_b32_e32 v2, 0
	v_mov_b32_e32 v11, 1
	;; [unrolled: 1-line block ×3, first 2 shown]
	s_mov_b32 s21, 0
	s_branch .LBB50_10
.LBB50_9:                               ;   in Loop: Header=BB50_10 Depth=1
	s_or_b64 exec, exec, s[4:5]
	s_add_i32 s21, s21, 4
	s_add_i32 s20, s20, s19
	s_cmp_eq_u32 s11, s21
	v_add_u32_e32 v6, 0x400, v6
	s_cbranch_scc1 .LBB50_22
.LBB50_10:                              ; =>This Inner Loop Header: Depth=1
	v_add_u32_e32 v1, 0xfffffd00, v6
	v_cmp_gt_u32_e64 s[0:1], s12, v1
	s_and_saveexec_b64 s[4:5], s[0:1]
	s_cbranch_execz .LBB50_13
; %bb.11:                               ;   in Loop: Header=BB50_10 Depth=1
	v_add_u32_e32 v1, s20, v10
	v_lshlrev_b64 v[3:4], 3, v[1:2]
	v_mov_b32_e32 v1, s15
	v_add_co_u32_e64 v3, s[0:1], s10, v3
	v_addc_co_u32_e64 v4, s[0:1], v1, v4, s[0:1]
	global_load_dwordx2 v[3:4], v[3:4], off
	s_waitcnt vmcnt(0)
	v_xor_b32_e32 v4, 0x80000000, v4
	v_xor_b32_e32 v1, s6, v3
	v_xor_b32_e32 v13, s7, v4
	v_and_b32_e32 v14, s9, v13
	v_and_b32_e32 v13, s8, v1
	v_cmp_eq_u64_e64 s[0:1], 0, v[13:14]
	s_and_b64 exec, exec, s[0:1]
; %bb.12:                               ;   in Loop: Header=BB50_10 Depth=1
	v_lshrrev_b64 v[3:4], s14, v[3:4]
	v_lshlrev_b32_sdwa v1, v12, v3 dst_sel:DWORD dst_unused:UNUSED_PAD src0_sel:DWORD src1_sel:BYTE_0
	ds_add_u32 v1, v11
.LBB50_13:                              ;   in Loop: Header=BB50_10 Depth=1
	s_or_b64 exec, exec, s[4:5]
	v_add_u32_e32 v1, 0xfffffe00, v6
	v_cmp_gt_u32_e64 s[0:1], s12, v1
	s_and_saveexec_b64 s[4:5], s[0:1]
	s_cbranch_execz .LBB50_16
; %bb.14:                               ;   in Loop: Header=BB50_10 Depth=1
	v_add_u32_e32 v1, s20, v9
	v_lshlrev_b64 v[3:4], 3, v[1:2]
	v_mov_b32_e32 v1, s15
	v_add_co_u32_e64 v3, s[0:1], s10, v3
	v_addc_co_u32_e64 v4, s[0:1], v1, v4, s[0:1]
	global_load_dwordx2 v[3:4], v[3:4], off
	s_waitcnt vmcnt(0)
	v_xor_b32_e32 v4, 0x80000000, v4
	v_xor_b32_e32 v1, s6, v3
	v_xor_b32_e32 v13, s7, v4
	v_and_b32_e32 v14, s9, v13
	v_and_b32_e32 v13, s8, v1
	v_cmp_eq_u64_e64 s[0:1], 0, v[13:14]
	s_and_b64 exec, exec, s[0:1]
; %bb.15:                               ;   in Loop: Header=BB50_10 Depth=1
	v_lshrrev_b64 v[3:4], s14, v[3:4]
	v_lshlrev_b32_sdwa v1, v12, v3 dst_sel:DWORD dst_unused:UNUSED_PAD src0_sel:DWORD src1_sel:BYTE_0
	ds_add_u32 v1, v11
.LBB50_16:                              ;   in Loop: Header=BB50_10 Depth=1
	s_or_b64 exec, exec, s[4:5]
	;; [unrolled: 25-line block ×3, first 2 shown]
	v_cmp_gt_u32_e64 s[0:1], s12, v6
	s_and_saveexec_b64 s[4:5], s[0:1]
	s_cbranch_execz .LBB50_9
; %bb.20:                               ;   in Loop: Header=BB50_10 Depth=1
	v_add_u32_e32 v1, s20, v7
	v_lshlrev_b64 v[3:4], 3, v[1:2]
	v_mov_b32_e32 v1, s15
	v_add_co_u32_e64 v3, s[0:1], s10, v3
	v_addc_co_u32_e64 v4, s[0:1], v1, v4, s[0:1]
	global_load_dwordx2 v[3:4], v[3:4], off
	s_waitcnt vmcnt(0)
	v_xor_b32_e32 v4, 0x80000000, v4
	v_xor_b32_e32 v1, s6, v3
	;; [unrolled: 1-line block ×3, first 2 shown]
	v_and_b32_e32 v14, s9, v13
	v_and_b32_e32 v13, s8, v1
	v_cmp_eq_u64_e64 s[0:1], 0, v[13:14]
	s_and_b64 exec, exec, s[0:1]
	s_cbranch_execz .LBB50_9
; %bb.21:                               ;   in Loop: Header=BB50_10 Depth=1
	v_lshrrev_b64 v[3:4], s14, v[3:4]
	v_lshlrev_b32_sdwa v1, v12, v3 dst_sel:DWORD dst_unused:UNUSED_PAD src0_sel:DWORD src1_sel:BYTE_0
	ds_add_u32 v1, v11
	s_branch .LBB50_9
.LBB50_22:
	s_and_b32 s18, s18, 3
	s_cmp_eq_u32 s18, 0
	s_cbranch_scc1 .LBB50_28
; %bb.23:
	s_lshl_b32 s0, s11, 8
	s_add_i32 s0, s0, s17
	v_add_u32_e32 v6, s0, v0
	v_mul_lo_u32 v1, s13, v6
	s_lshl_b32 s11, s13, 8
	v_mov_b32_e32 v2, 0
	v_mov_b32_e32 v7, 1
	;; [unrolled: 1-line block ×3, first 2 shown]
	s_branch .LBB50_25
.LBB50_24:                              ;   in Loop: Header=BB50_25 Depth=1
	s_or_b64 exec, exec, s[4:5]
	s_add_i32 s18, s18, -1
	v_add_u32_e32 v1, s11, v1
	s_cmp_lg_u32 s18, 0
	v_add_u32_e32 v6, 0x100, v6
	s_cbranch_scc0 .LBB50_28
.LBB50_25:                              ; =>This Inner Loop Header: Depth=1
	v_cmp_gt_u32_e64 s[0:1], s12, v6
	s_and_saveexec_b64 s[4:5], s[0:1]
	s_cbranch_execz .LBB50_24
; %bb.26:                               ;   in Loop: Header=BB50_25 Depth=1
	v_lshlrev_b64 v[3:4], 3, v[1:2]
	v_mov_b32_e32 v9, s15
	v_add_co_u32_e64 v3, s[0:1], s10, v3
	v_addc_co_u32_e64 v4, s[0:1], v9, v4, s[0:1]
	global_load_dwordx2 v[3:4], v[3:4], off
	s_waitcnt vmcnt(0)
	v_xor_b32_e32 v4, 0x80000000, v4
	v_xor_b32_e32 v9, s6, v3
	;; [unrolled: 1-line block ×3, first 2 shown]
	v_and_b32_e32 v10, s9, v10
	v_and_b32_e32 v9, s8, v9
	v_cmp_eq_u64_e64 s[0:1], 0, v[9:10]
	s_and_b64 exec, exec, s[0:1]
	s_cbranch_execz .LBB50_24
; %bb.27:                               ;   in Loop: Header=BB50_25 Depth=1
	v_lshrrev_b64 v[3:4], s14, v[3:4]
	v_lshlrev_b32_sdwa v3, v8, v3 dst_sel:DWORD dst_unused:UNUSED_PAD src0_sel:DWORD src1_sel:BYTE_0
	ds_add_u32 v3, v7
	s_branch .LBB50_24
.LBB50_28:
	s_waitcnt lgkmcnt(0)
	s_barrier
	s_and_saveexec_b64 s[0:1], vcc
	s_cbranch_execz .LBB50_30
; %bb.29:
	v_lshl_or_b32 v0, s16, 8, v0
	v_mov_b32_e32 v1, 0
	ds_read_b32 v3, v5
	v_lshlrev_b64 v[0:1], 1, v[0:1]
	v_mov_b32_e32 v2, s3
	v_add_co_u32_e32 v0, vcc, s2, v0
	v_addc_co_u32_e32 v1, vcc, v2, v1, vcc
	s_waitcnt lgkmcnt(0)
	global_store_short v[0:1], v3, off
.LBB50_30:
	s_endpgm
	.section	.rodata,"a",@progbits
	.p2align	6, 0x0
	.amdhsa_kernel _ZN2at6native6mbtopk23computeBlockDigitCountsIljmLin1EEEvNS_4cuda6detail10TensorInfoIKT_T0_EEjPjjS8_iijT1_PSB_Ps
		.amdhsa_group_segment_fixed_size 1024
		.amdhsa_private_segment_fixed_size 0
		.amdhsa_kernarg_size 536
		.amdhsa_user_sgpr_count 6
		.amdhsa_user_sgpr_private_segment_buffer 1
		.amdhsa_user_sgpr_dispatch_ptr 0
		.amdhsa_user_sgpr_queue_ptr 0
		.amdhsa_user_sgpr_kernarg_segment_ptr 1
		.amdhsa_user_sgpr_dispatch_id 0
		.amdhsa_user_sgpr_flat_scratch_init 0
		.amdhsa_user_sgpr_private_segment_size 0
		.amdhsa_uses_dynamic_stack 0
		.amdhsa_system_sgpr_private_segment_wavefront_offset 0
		.amdhsa_system_sgpr_workgroup_id_x 1
		.amdhsa_system_sgpr_workgroup_id_y 1
		.amdhsa_system_sgpr_workgroup_id_z 1
		.amdhsa_system_sgpr_workgroup_info 0
		.amdhsa_system_vgpr_workitem_id 0
		.amdhsa_next_free_vgpr 15
		.amdhsa_next_free_sgpr 25
		.amdhsa_reserve_vcc 1
		.amdhsa_reserve_flat_scratch 0
		.amdhsa_float_round_mode_32 0
		.amdhsa_float_round_mode_16_64 0
		.amdhsa_float_denorm_mode_32 3
		.amdhsa_float_denorm_mode_16_64 3
		.amdhsa_dx10_clamp 1
		.amdhsa_ieee_mode 1
		.amdhsa_fp16_overflow 0
		.amdhsa_exception_fp_ieee_invalid_op 0
		.amdhsa_exception_fp_denorm_src 0
		.amdhsa_exception_fp_ieee_div_zero 0
		.amdhsa_exception_fp_ieee_overflow 0
		.amdhsa_exception_fp_ieee_underflow 0
		.amdhsa_exception_fp_ieee_inexact 0
		.amdhsa_exception_int_div_zero 0
	.end_amdhsa_kernel
	.section	.text._ZN2at6native6mbtopk23computeBlockDigitCountsIljmLin1EEEvNS_4cuda6detail10TensorInfoIKT_T0_EEjPjjS8_iijT1_PSB_Ps,"axG",@progbits,_ZN2at6native6mbtopk23computeBlockDigitCountsIljmLin1EEEvNS_4cuda6detail10TensorInfoIKT_T0_EEjPjjS8_iijT1_PSB_Ps,comdat
.Lfunc_end50:
	.size	_ZN2at6native6mbtopk23computeBlockDigitCountsIljmLin1EEEvNS_4cuda6detail10TensorInfoIKT_T0_EEjPjjS8_iijT1_PSB_Ps, .Lfunc_end50-_ZN2at6native6mbtopk23computeBlockDigitCountsIljmLin1EEEvNS_4cuda6detail10TensorInfoIKT_T0_EEjPjjS8_iijT1_PSB_Ps
                                        ; -- End function
	.set _ZN2at6native6mbtopk23computeBlockDigitCountsIljmLin1EEEvNS_4cuda6detail10TensorInfoIKT_T0_EEjPjjS8_iijT1_PSB_Ps.num_vgpr, 15
	.set _ZN2at6native6mbtopk23computeBlockDigitCountsIljmLin1EEEvNS_4cuda6detail10TensorInfoIKT_T0_EEjPjjS8_iijT1_PSB_Ps.num_agpr, 0
	.set _ZN2at6native6mbtopk23computeBlockDigitCountsIljmLin1EEEvNS_4cuda6detail10TensorInfoIKT_T0_EEjPjjS8_iijT1_PSB_Ps.numbered_sgpr, 25
	.set _ZN2at6native6mbtopk23computeBlockDigitCountsIljmLin1EEEvNS_4cuda6detail10TensorInfoIKT_T0_EEjPjjS8_iijT1_PSB_Ps.num_named_barrier, 0
	.set _ZN2at6native6mbtopk23computeBlockDigitCountsIljmLin1EEEvNS_4cuda6detail10TensorInfoIKT_T0_EEjPjjS8_iijT1_PSB_Ps.private_seg_size, 0
	.set _ZN2at6native6mbtopk23computeBlockDigitCountsIljmLin1EEEvNS_4cuda6detail10TensorInfoIKT_T0_EEjPjjS8_iijT1_PSB_Ps.uses_vcc, 1
	.set _ZN2at6native6mbtopk23computeBlockDigitCountsIljmLin1EEEvNS_4cuda6detail10TensorInfoIKT_T0_EEjPjjS8_iijT1_PSB_Ps.uses_flat_scratch, 0
	.set _ZN2at6native6mbtopk23computeBlockDigitCountsIljmLin1EEEvNS_4cuda6detail10TensorInfoIKT_T0_EEjPjjS8_iijT1_PSB_Ps.has_dyn_sized_stack, 0
	.set _ZN2at6native6mbtopk23computeBlockDigitCountsIljmLin1EEEvNS_4cuda6detail10TensorInfoIKT_T0_EEjPjjS8_iijT1_PSB_Ps.has_recursion, 0
	.set _ZN2at6native6mbtopk23computeBlockDigitCountsIljmLin1EEEvNS_4cuda6detail10TensorInfoIKT_T0_EEjPjjS8_iijT1_PSB_Ps.has_indirect_call, 0
	.section	.AMDGPU.csdata,"",@progbits
; Kernel info:
; codeLenInByte = 1472
; TotalNumSgprs: 29
; NumVgprs: 15
; ScratchSize: 0
; MemoryBound: 0
; FloatMode: 240
; IeeeMode: 1
; LDSByteSize: 1024 bytes/workgroup (compile time only)
; SGPRBlocks: 3
; VGPRBlocks: 3
; NumSGPRsForWavesPerEU: 29
; NumVGPRsForWavesPerEU: 15
; Occupancy: 10
; WaveLimiterHint : 1
; COMPUTE_PGM_RSRC2:SCRATCH_EN: 0
; COMPUTE_PGM_RSRC2:USER_SGPR: 6
; COMPUTE_PGM_RSRC2:TRAP_HANDLER: 0
; COMPUTE_PGM_RSRC2:TGID_X_EN: 1
; COMPUTE_PGM_RSRC2:TGID_Y_EN: 1
; COMPUTE_PGM_RSRC2:TGID_Z_EN: 1
; COMPUTE_PGM_RSRC2:TIDIG_COMP_CNT: 0
	.section	.text._ZN2at6native6mbtopk10gatherTopKIljLin1EEEvNS_4cuda6detail10TensorInfoIKT_T0_EES8_S8_bjS8_NS5_IS6_S8_EES8_NS5_IlS8_EES8_jjPS6_PjSD_j,"axG",@progbits,_ZN2at6native6mbtopk10gatherTopKIljLin1EEEvNS_4cuda6detail10TensorInfoIKT_T0_EES8_S8_bjS8_NS5_IS6_S8_EES8_NS5_IlS8_EES8_jjPS6_PjSD_j,comdat
	.protected	_ZN2at6native6mbtopk10gatherTopKIljLin1EEEvNS_4cuda6detail10TensorInfoIKT_T0_EES8_S8_bjS8_NS5_IS6_S8_EES8_NS5_IlS8_EES8_jjPS6_PjSD_j ; -- Begin function _ZN2at6native6mbtopk10gatherTopKIljLin1EEEvNS_4cuda6detail10TensorInfoIKT_T0_EES8_S8_bjS8_NS5_IS6_S8_EES8_NS5_IlS8_EES8_jjPS6_PjSD_j
	.globl	_ZN2at6native6mbtopk10gatherTopKIljLin1EEEvNS_4cuda6detail10TensorInfoIKT_T0_EES8_S8_bjS8_NS5_IS6_S8_EES8_NS5_IlS8_EES8_jjPS6_PjSD_j
	.p2align	8
	.type	_ZN2at6native6mbtopk10gatherTopKIljLin1EEEvNS_4cuda6detail10TensorInfoIKT_T0_EES8_S8_bjS8_NS5_IS6_S8_EES8_NS5_IlS8_EES8_jjPS6_PjSD_j,@function
_ZN2at6native6mbtopk10gatherTopKIljLin1EEEvNS_4cuda6detail10TensorInfoIKT_T0_EES8_S8_bjS8_NS5_IS6_S8_EES8_NS5_IlS8_EES8_jjPS6_PjSD_j: ; @_ZN2at6native6mbtopk10gatherTopKIljLin1EEEvNS_4cuda6detail10TensorInfoIKT_T0_EES8_S8_bjS8_NS5_IS6_S8_EES8_NS5_IlS8_EES8_jjPS6_PjSD_j
; %bb.0:
	s_load_dwordx2 s[0:1], s[4:5], 0x2d8
	s_load_dword s2, s[4:5], 0x2d0
	s_waitcnt lgkmcnt(0)
	s_mul_i32 s1, s1, s8
	s_add_i32 s1, s1, s7
	s_mul_i32 s12, s1, s0
	s_add_i32 s12, s12, s6
	s_cmp_ge_u32 s12, s2
	s_cbranch_scc1 .LBB51_49
; %bb.1:
	s_load_dwordx4 s[8:11], s[4:5], 0x2a8
	s_load_dword s0, s[4:5], 0xd0
	s_mov_b32 s7, 0
	s_waitcnt lgkmcnt(0)
	v_cvt_f32_u32_e32 v1, s10
	s_sub_i32 s1, 0, s10
	v_rcp_iflag_f32_e32 v1, v1
	v_mul_f32_e32 v1, 0x4f7ffffe, v1
	v_cvt_u32_f32_e32 v1, v1
	v_readfirstlane_b32 s2, v1
	s_mul_i32 s1, s1, s2
	s_mul_hi_u32 s1, s2, s1
	s_add_i32 s2, s2, s1
	s_mul_hi_u32 s1, s12, s2
	s_mul_i32 s2, s1, s10
	s_sub_i32 s2, s12, s2
	s_add_i32 s3, s1, 1
	s_sub_i32 s6, s2, s10
	s_cmp_ge_u32 s2, s10
	s_cselect_b32 s1, s3, s1
	s_cselect_b32 s2, s6, s2
	s_add_i32 s3, s1, 1
	s_cmp_ge_u32 s2, s10
	s_cselect_b32 s22, s3, s1
	s_cmp_lt_i32 s0, 2
	s_mov_b32 s6, s22
	s_cbranch_scc1 .LBB51_4
; %bb.2:
	s_add_i32 s6, s0, -1
	s_add_i32 s2, s0, 1
	s_lshl_b64 s[0:1], s[6:7], 2
	s_add_u32 s0, s4, s0
	s_addc_u32 s1, s5, s1
	s_add_u32 s0, s0, 8
	s_addc_u32 s1, s1, 0
	s_mov_b32 s6, s22
.LBB51_3:                               ; =>This Inner Loop Header: Depth=1
	s_load_dword s3, s[0:1], 0x0
	s_load_dword s13, s[0:1], 0x64
	s_mov_b32 s11, s6
	s_waitcnt lgkmcnt(0)
	v_cvt_f32_u32_e32 v1, s3
	s_sub_i32 s6, 0, s3
	v_rcp_iflag_f32_e32 v1, v1
	v_mul_f32_e32 v1, 0x4f7ffffe, v1
	v_cvt_u32_f32_e32 v1, v1
	v_readfirstlane_b32 s14, v1
	s_mul_i32 s6, s6, s14
	s_mul_hi_u32 s6, s14, s6
	s_add_i32 s14, s14, s6
	s_mul_hi_u32 s6, s11, s14
	s_mul_i32 s14, s6, s3
	s_sub_i32 s14, s11, s14
	s_add_i32 s15, s6, 1
	s_sub_i32 s16, s14, s3
	s_cmp_ge_u32 s14, s3
	s_cselect_b32 s6, s15, s6
	s_cselect_b32 s14, s16, s14
	s_add_i32 s15, s6, 1
	s_cmp_ge_u32 s14, s3
	s_cselect_b32 s6, s15, s6
	s_mul_i32 s3, s6, s3
	s_sub_i32 s3, s11, s3
	s_mul_i32 s3, s13, s3
	s_add_i32 s2, s2, -1
	s_add_i32 s7, s3, s7
	s_add_u32 s0, s0, -4
	s_addc_u32 s1, s1, -1
	s_cmp_gt_u32 s2, 2
	s_cbranch_scc1 .LBB51_3
.LBB51_4:
	s_load_dword s2, s[4:5], 0x1c0
	s_add_u32 s0, s4, 0xf0
	s_addc_u32 s1, s5, 0
	s_mov_b32 s25, 0
	s_mov_b32 s24, s22
	s_waitcnt lgkmcnt(0)
	s_cmp_lt_i32 s2, 2
	s_cbranch_scc1 .LBB51_7
; %bb.5:
	s_add_i32 s24, s2, -1
	s_add_i32 s11, s2, 1
	s_lshl_b64 s[2:3], s[24:25], 2
	s_add_u32 s2, s0, s2
	s_addc_u32 s3, s1, s3
	s_add_u32 s2, s2, 8
	s_addc_u32 s3, s3, 0
	s_mov_b32 s24, s22
.LBB51_6:                               ; =>This Inner Loop Header: Depth=1
	s_load_dword s13, s[2:3], 0x0
	s_load_dword s15, s[2:3], 0x64
	s_mov_b32 s14, s24
	s_waitcnt lgkmcnt(0)
	v_cvt_f32_u32_e32 v1, s13
	s_sub_i32 s16, 0, s13
	v_rcp_iflag_f32_e32 v1, v1
	v_mul_f32_e32 v1, 0x4f7ffffe, v1
	v_cvt_u32_f32_e32 v1, v1
	v_readfirstlane_b32 s17, v1
	s_mul_i32 s16, s16, s17
	s_mul_hi_u32 s16, s17, s16
	s_add_i32 s17, s17, s16
	s_mul_hi_u32 s16, s24, s17
	s_mul_i32 s17, s16, s13
	s_sub_i32 s17, s24, s17
	s_add_i32 s18, s16, 1
	s_sub_i32 s19, s17, s13
	s_cmp_ge_u32 s17, s13
	s_cselect_b32 s16, s18, s16
	s_cselect_b32 s17, s19, s17
	s_add_i32 s18, s16, 1
	s_cmp_ge_u32 s17, s13
	s_cselect_b32 s24, s18, s16
	s_mul_i32 s13, s24, s13
	s_sub_i32 s13, s14, s13
	s_mul_i32 s13, s15, s13
	s_add_i32 s11, s11, -1
	s_add_i32 s25, s13, s25
	s_add_u32 s2, s2, -4
	s_addc_u32 s3, s3, -1
	s_cmp_gt_u32 s11, 2
	s_cbranch_scc1 .LBB51_6
.LBB51_7:
	s_load_dword s33, s[4:5], 0x6c
	s_load_dword s13, s[4:5], 0x2a0
	s_add_u32 s2, s4, 0x1d0
	s_addc_u32 s3, s5, 0
	s_mov_b32 s27, 0
	s_mov_b32 s26, s22
	s_waitcnt lgkmcnt(0)
	s_cmp_lt_i32 s13, 2
	s_cbranch_scc1 .LBB51_10
; %bb.8:
	s_add_i32 s26, s13, -1
	s_add_i32 s11, s13, 1
	s_lshl_b64 s[14:15], s[26:27], 2
	s_add_u32 s2, s2, s14
	s_addc_u32 s3, s3, s15
	s_add_u32 s2, s2, 8
	s_addc_u32 s3, s3, 0
	s_mov_b32 s26, s22
.LBB51_9:                               ; =>This Inner Loop Header: Depth=1
	s_load_dword s13, s[2:3], 0x0
	s_load_dword s15, s[2:3], 0x64
	s_mov_b32 s14, s26
	s_waitcnt lgkmcnt(0)
	v_cvt_f32_u32_e32 v1, s13
	s_sub_i32 s16, 0, s13
	v_rcp_iflag_f32_e32 v1, v1
	v_mul_f32_e32 v1, 0x4f7ffffe, v1
	v_cvt_u32_f32_e32 v1, v1
	v_readfirstlane_b32 s17, v1
	s_mul_i32 s16, s16, s17
	s_mul_hi_u32 s16, s17, s16
	s_add_i32 s17, s17, s16
	s_mul_hi_u32 s16, s26, s17
	s_mul_i32 s17, s16, s13
	s_sub_i32 s17, s26, s17
	s_add_i32 s18, s16, 1
	s_sub_i32 s19, s17, s13
	s_cmp_ge_u32 s17, s13
	s_cselect_b32 s16, s18, s16
	s_cselect_b32 s17, s19, s17
	s_add_i32 s18, s16, 1
	s_cmp_ge_u32 s17, s13
	s_cselect_b32 s26, s18, s16
	s_mul_i32 s13, s26, s13
	s_sub_i32 s13, s14, s13
	s_mul_i32 s13, s15, s13
	s_add_i32 s11, s11, -1
	s_add_i32 s27, s13, s27
	s_add_u32 s2, s2, -4
	s_addc_u32 s3, s3, -1
	s_cmp_gt_u32 s11, 2
	s_cbranch_scc1 .LBB51_9
.LBB51_10:
	s_mul_i32 s16, s22, s10
	s_sub_i32 s11, s12, s16
	s_load_dwordx4 s[12:15], s[4:5], 0x2b8
	s_load_dwordx2 s[34:35], s[4:5], 0x0
	s_load_dwordx2 s[30:31], s[4:5], 0xf0
	s_load_dwordx2 s[28:29], s[4:5], 0x1d0
	s_mov_b32 s23, 0
	s_load_dword s42, s[0:1], 0x6c
	s_lshl_b64 s[0:1], s[22:23], 3
	s_waitcnt lgkmcnt(0)
	s_add_u32 s0, s12, s0
	s_addc_u32 s1, s13, s1
	s_load_dwordx2 s[20:21], s[0:1], 0x0
	v_cmp_ne_u32_e64 s[0:1], 0, v0
	v_cmp_eq_u32_e64 s[2:3], 0, v0
	s_and_saveexec_b64 s[12:13], s[2:3]
	s_cbranch_execz .LBB51_26
; %bb.11:
	s_load_dwordx2 s[36:37], s[4:5], 0x2c8
	s_mov_b32 s17, s23
	s_lshl_b64 s[38:39], s[16:17], 2
	s_add_u32 s16, s14, s38
	s_addc_u32 s17, s15, s39
	s_waitcnt lgkmcnt(0)
	s_add_u32 s18, s36, s38
	s_addc_u32 s19, s37, s39
	s_mov_b32 s22, 0
	s_mov_b32 s43, 0
	s_cmp_lt_u32 s10, 4
	s_cbranch_scc1 .LBB51_23
; %bb.12:
	s_mov_b32 s44, 0
.LBB51_13:                              ; =>This Inner Loop Header: Depth=1
	s_add_u32 s40, s14, s38
	s_addc_u32 s41, s15, s39
	s_load_dwordx4 s[16:19], s[40:41], 0x0
	s_add_u32 s40, s36, s38
	s_addc_u32 s41, s37, s39
	s_cmp_ge_u32 s44, s11
	s_cbranch_scc0 .LBB51_20
; %bb.14:                               ;   in Loop: Header=BB51_13 Depth=1
	s_add_i32 s45, s44, 1
	s_cmp_ge_u32 s45, s11
	s_cbranch_scc0 .LBB51_21
.LBB51_15:                              ;   in Loop: Header=BB51_13 Depth=1
	s_add_i32 s45, s45, 1
	s_cmp_ge_u32 s45, s11
	s_cbranch_scc0 .LBB51_22
.LBB51_16:                              ;   in Loop: Header=BB51_13 Depth=1
	s_add_i32 s45, s45, 1
	s_cmp_ge_u32 s45, s11
	s_cbranch_scc1 .LBB51_18
.LBB51_17:                              ;   in Loop: Header=BB51_13 Depth=1
	s_load_dword s40, s[40:41], 0xc
	s_waitcnt lgkmcnt(0)
	s_add_i32 s23, s23, s19
	s_add_i32 s22, s40, s22
.LBB51_18:                              ;   in Loop: Header=BB51_13 Depth=1
	s_waitcnt lgkmcnt(0)
	s_add_i32 s16, s16, s43
	s_add_i32 s16, s16, s17
	s_add_i32 s16, s16, s18
	s_add_i32 s43, s16, s19
	s_add_u32 s14, s14, 16
	s_addc_u32 s15, s15, 0
	s_add_u32 s36, s36, 16
	s_addc_u32 s37, s37, 0
	s_add_i32 s41, s45, 4
	s_add_u32 s18, s36, s38
	s_addc_u32 s19, s37, s39
	s_add_u32 s16, s14, s38
	s_addc_u32 s17, s15, s39
	s_add_i32 s40, s45, 1
	s_cmp_ge_u32 s41, s10
	s_cbranch_scc1 .LBB51_24
; %bb.19:                               ;   in Loop: Header=BB51_13 Depth=1
	s_mov_b32 s44, s40
	s_branch .LBB51_13
.LBB51_20:                              ;   in Loop: Header=BB51_13 Depth=1
	s_load_dword s45, s[40:41], 0x0
	s_waitcnt lgkmcnt(0)
	s_add_i32 s23, s16, s23
	s_add_i32 s22, s45, s22
	;; [unrolled: 1-line block ×3, first 2 shown]
	s_cmp_ge_u32 s45, s11
	s_cbranch_scc1 .LBB51_15
.LBB51_21:                              ;   in Loop: Header=BB51_13 Depth=1
	s_load_dword s46, s[40:41], 0x4
	s_waitcnt lgkmcnt(0)
	s_add_i32 s23, s23, s17
	s_add_i32 s22, s46, s22
	;; [unrolled: 1-line block ×3, first 2 shown]
	s_cmp_ge_u32 s45, s11
	s_cbranch_scc1 .LBB51_16
.LBB51_22:                              ;   in Loop: Header=BB51_13 Depth=1
	s_load_dword s46, s[40:41], 0x8
	s_waitcnt lgkmcnt(0)
	s_add_i32 s23, s23, s18
	s_add_i32 s22, s46, s22
	;; [unrolled: 1-line block ×3, first 2 shown]
	s_cmp_ge_u32 s45, s11
	s_cbranch_scc0 .LBB51_17
	s_branch .LBB51_18
.LBB51_23:
	s_mov_b32 s14, 0
	s_cmp_ge_u32 s14, s10
	s_cbranch_scc0 .LBB51_47
	s_branch .LBB51_25
.LBB51_24:
	s_add_i32 s14, s44, 4
	s_cmp_ge_u32 s14, s10
	s_cbranch_scc0 .LBB51_47
.LBB51_25:
	v_mov_b32_e32 v1, s22
	v_mov_b32_e32 v2, s43
	;; [unrolled: 1-line block ×4, first 2 shown]
	ds_write_b96 v4, v[1:3] offset:1056
.LBB51_26:
	s_or_b64 exec, exec, s[12:13]
	s_load_dword s16, s[4:5], 0x23c
	s_load_dwordx4 s[12:15], s[4:5], 0xd8
	s_waitcnt lgkmcnt(0)
	s_mul_i32 s15, s9, s11
	s_lshl_b32 s15, s15, 8
	s_add_i32 s17, s11, 1
	s_mov_b32 s11, 0
	s_sub_i32 s18, s12, s15
	s_add_u32 s18, s18, 0xff
	s_addc_u32 s19, 0, 0
	s_lshr_b64 s[18:19], s[18:19], 8
	s_cmp_lt_u32 s17, s10
	s_cselect_b32 s9, s9, s18
	s_cmp_eq_u32 s9, 0
	s_barrier
	s_cbranch_scc1 .LBB51_49
; %bb.27:
	s_mul_i32 s10, s42, s24
	s_mul_i32 s6, s33, s6
	s_add_i32 s18, s10, s25
	s_add_i32 s10, s6, s7
	s_mul_i32 s6, s16, s26
	v_mov_b32_e32 v5, 0
	s_add_i32 s6, s6, s27
	s_lshl_b64 s[16:17], s[10:11], 3
	ds_read_b96 v[1:3], v5 offset:1056
	s_add_u32 s16, s34, s16
	s_mov_b32 s19, s11
	s_addc_u32 s17, s35, s17
	s_lshl_b64 s[18:19], s[18:19], 3
	s_add_u32 s18, s30, s18
	s_mov_b32 s7, s11
	s_addc_u32 s19, s31, s19
	s_lshl_b64 s[6:7], s[6:7], 3
	s_add_u32 s22, s28, s6
	s_waitcnt lgkmcnt(0)
	v_add_u32_e32 v2, v1, v2
	v_lshrrev_b32_e32 v1, 3, v0
	s_addc_u32 s23, s29, s7
	s_xor_b32 s11, s21, 0x80000000
	v_and_b32_e32 v1, 28, v1
	s_bitcmp1_b32 s14, 0
	s_load_dword s14, s[4:5], 0xe8
	s_load_dword s24, s[4:5], 0x1c8
	v_lshl_add_u32 v8, v0, 2, v1
	v_lshrrev_b32_e32 v1, 1, v0
	v_and_b32_e32 v9, 0x7c, v1
	v_add_u32_e32 v1, -1, v0
	v_lshrrev_b32_e32 v4, 3, v1
	v_cmp_gt_u32_e64 s[4:5], 64, v0
	v_lshlrev_b32_e32 v10, 4, v0
	v_and_b32_e32 v4, 0x1ffffffc, v4
	v_add_u32_e32 v0, s15, v0
	v_lshl_add_u32 v11, v1, 2, v4
	s_waitcnt lgkmcnt(0)
	v_mul_lo_u32 v4, s14, v0
	v_mbcnt_lo_u32_b32 v1, -1, 0
	s_mov_b32 s10, s20
	s_cselect_b64 s[6:7], -1, 0
	s_lshl_b32 s25, s14, 8
	v_mbcnt_hi_u32_b32 v12, -1, v1
                                        ; implicit-def: $vgpr6_vgpr7
	s_branch .LBB51_30
.LBB51_28:                              ;   in Loop: Header=BB51_30 Depth=1
	s_or_b64 exec, exec, s[14:15]
	v_add_u32_e32 v2, v15, v2
.LBB51_29:                              ;   in Loop: Header=BB51_30 Depth=1
	s_add_i32 s9, s9, -1
	v_add_u32_e32 v3, v14, v3
	v_add_u32_e32 v4, s25, v4
	s_cmp_lg_u32 s9, 0
	v_add_u32_e32 v0, 0x100, v0
	s_cbranch_scc0 .LBB51_49
.LBB51_30:                              ; =>This Inner Loop Header: Depth=1
	v_cmp_gt_u32_e32 vcc, s12, v0
	v_mov_b32_e32 v1, 0
	v_mov_b32_e32 v13, 0
	s_and_saveexec_b64 s[14:15], vcc
	s_cbranch_execz .LBB51_32
; %bb.31:                               ;   in Loop: Header=BB51_30 Depth=1
	v_lshlrev_b64 v[6:7], 3, v[4:5]
	v_mov_b32_e32 v1, s17
	v_add_co_u32_e32 v6, vcc, s16, v6
	v_addc_co_u32_e32 v7, vcc, v1, v7, vcc
	global_load_dwordx2 v[6:7], v[6:7], off
	s_waitcnt vmcnt(0)
	v_xor_b32_e32 v14, 0x80000000, v7
	v_mov_b32_e32 v13, v6
	v_cmp_lt_u64_e32 vcc, s[10:11], v[13:14]
	v_cndmask_b32_e64 v1, 0, 1, vcc
	v_cmp_gt_u64_e32 vcc, s[10:11], v[13:14]
	v_cndmask_b32_e64 v13, 0, 1, vcc
	v_cmp_eq_u64_e32 vcc, s[20:21], v[6:7]
	v_cndmask_b32_e64 v1, v13, v1, s[6:7]
	v_and_b32_e32 v1, 1, v1
	v_cndmask_b32_e64 v13, 0, 1, vcc
.LBB51_32:                              ;   in Loop: Header=BB51_30 Depth=1
	s_or_b64 exec, exec, s[14:15]
	ds_write_b32 v8, v1
	s_waitcnt vmcnt(0) lgkmcnt(0)
	s_barrier
	s_and_saveexec_b64 s[14:15], s[4:5]
	s_cbranch_execz .LBB51_34
; %bb.33:                               ;   in Loop: Header=BB51_30 Depth=1
	v_add_u32_e32 v18, v9, v10
	ds_read2_b32 v[14:15], v18 offset1:1
	ds_read2_b32 v[16:17], v18 offset0:2 offset1:3
	v_and_b32_e32 v19, 15, v12
	v_cmp_ne_u32_e32 vcc, 0, v19
	s_waitcnt lgkmcnt(1)
	v_add_u32_e32 v15, v15, v14
	s_waitcnt lgkmcnt(0)
	v_add3_u32 v15, v15, v16, v17
	v_bfe_i32 v17, v12, 4, 1
	; wave barrier
	s_nop 0
	v_mov_b32_dpp v16, v15 row_shr:1 row_mask:0xf bank_mask:0xf
	v_cndmask_b32_e32 v16, 0, v16, vcc
	v_add_u32_e32 v15, v16, v15
	v_cmp_lt_u32_e32 vcc, 1, v19
	s_nop 0
	v_mov_b32_dpp v16, v15 row_shr:2 row_mask:0xf bank_mask:0xf
	v_cndmask_b32_e32 v16, 0, v16, vcc
	v_add_u32_e32 v15, v15, v16
	v_cmp_lt_u32_e32 vcc, 3, v19
	;; [unrolled: 5-line block ×4, first 2 shown]
	s_nop 0
	v_mov_b32_dpp v16, v15 row_bcast:15 row_mask:0xf bank_mask:0xf
	v_and_b32_e32 v16, v17, v16
	v_add_u32_e32 v15, v15, v16
	v_and_b32_e32 v17, 64, v12
	s_nop 0
	v_mov_b32_dpp v16, v15 row_bcast:31 row_mask:0xf bank_mask:0xf
	v_cndmask_b32_e32 v16, 0, v16, vcc
	v_add_u32_e32 v15, v15, v16
	v_add_u32_e32 v16, -1, v12
	v_cmp_lt_i32_e32 vcc, v16, v17
	v_cndmask_b32_e32 v16, v16, v12, vcc
	v_lshlrev_b32_e32 v16, 2, v16
	ds_bpermute_b32 v15, v16, v15
	s_waitcnt lgkmcnt(0)
	v_add_u32_e32 v14, v15, v14
	v_cndmask_b32_e64 v16, v14, v1, s[2:3]
	ds_write_b32 v18, v16
	; wave barrier
	ds_read2_b32 v[14:15], v18 offset0:1 offset1:2
	ds_read_b32 v17, v18 offset:12
	s_waitcnt lgkmcnt(1)
	v_add_u32_e32 v14, v14, v16
	v_add_u32_e32 v15, v15, v14
	ds_write2_b32 v18, v14, v15 offset0:1 offset1:2
	s_waitcnt lgkmcnt(1)
	v_add_u32_e32 v14, v17, v15
	ds_write_b32 v18, v14 offset:12
.LBB51_34:                              ;   in Loop: Header=BB51_30 Depth=1
	s_or_b64 exec, exec, s[14:15]
	v_mov_b32_e32 v15, 0
	s_waitcnt lgkmcnt(0)
	s_barrier
	s_and_saveexec_b64 s[14:15], s[0:1]
; %bb.35:                               ;   in Loop: Header=BB51_30 Depth=1
	ds_read_b32 v15, v11
; %bb.36:                               ;   in Loop: Header=BB51_30 Depth=1
	s_or_b64 exec, exec, s[14:15]
	ds_read_b32 v14, v5 offset:1048
	v_cmp_ne_u32_e32 vcc, 0, v1
	s_waitcnt lgkmcnt(0)
	s_barrier
	s_and_saveexec_b64 s[14:15], vcc
	s_cbranch_execz .LBB51_38
; %bb.37:                               ;   in Loop: Header=BB51_30 Depth=1
	v_add_u32_e32 v1, v15, v3
	v_mul_lo_u32 v15, v1, s24
	v_mov_b32_e32 v16, v5
	v_mov_b32_e32 v17, s19
	;; [unrolled: 1-line block ×3, first 2 shown]
	v_lshlrev_b64 v[15:16], 3, v[15:16]
	v_add_co_u32_e32 v15, vcc, s18, v15
	v_addc_co_u32_e32 v16, vcc, v17, v16, vcc
	v_mul_lo_u32 v17, v1, s8
	global_store_dwordx2 v[15:16], v[6:7], off
	v_mov_b32_e32 v1, v5
	v_lshlrev_b64 v[15:16], 3, v[17:18]
	v_mov_b32_e32 v17, s23
	v_add_co_u32_e32 v15, vcc, s22, v15
	v_addc_co_u32_e32 v16, vcc, v17, v16, vcc
	global_store_dwordx2 v[15:16], v[0:1], off
.LBB51_38:                              ;   in Loop: Header=BB51_30 Depth=1
	s_or_b64 exec, exec, s[14:15]
	v_cmp_le_u32_e32 vcc, s13, v2
	s_cbranch_vccnz .LBB51_29
; %bb.39:                               ;   in Loop: Header=BB51_30 Depth=1
	ds_write_b32 v8, v13
	s_waitcnt vmcnt(0) lgkmcnt(0)
	s_barrier
	s_and_saveexec_b64 s[14:15], s[4:5]
	s_cbranch_execz .LBB51_41
; %bb.40:                               ;   in Loop: Header=BB51_30 Depth=1
	v_add_u32_e32 v1, v9, v10
	ds_read2_b32 v[15:16], v1 offset1:1
	ds_read2_b32 v[17:18], v1 offset0:2 offset1:3
	v_and_b32_e32 v19, 15, v12
	v_cmp_ne_u32_e32 vcc, 0, v19
	s_waitcnt lgkmcnt(1)
	v_add_u32_e32 v16, v16, v15
	s_waitcnt lgkmcnt(0)
	v_add3_u32 v16, v16, v17, v18
	v_bfe_i32 v18, v12, 4, 1
	; wave barrier
	s_nop 0
	v_mov_b32_dpp v17, v16 row_shr:1 row_mask:0xf bank_mask:0xf
	v_cndmask_b32_e32 v17, 0, v17, vcc
	v_add_u32_e32 v16, v17, v16
	v_cmp_lt_u32_e32 vcc, 1, v19
	s_nop 0
	v_mov_b32_dpp v17, v16 row_shr:2 row_mask:0xf bank_mask:0xf
	v_cndmask_b32_e32 v17, 0, v17, vcc
	v_add_u32_e32 v16, v16, v17
	v_cmp_lt_u32_e32 vcc, 3, v19
	;; [unrolled: 5-line block ×4, first 2 shown]
	s_nop 0
	v_mov_b32_dpp v17, v16 row_bcast:15 row_mask:0xf bank_mask:0xf
	v_and_b32_e32 v17, v18, v17
	v_add_u32_e32 v16, v16, v17
	v_and_b32_e32 v18, 64, v12
	s_nop 0
	v_mov_b32_dpp v17, v16 row_bcast:31 row_mask:0xf bank_mask:0xf
	v_cndmask_b32_e32 v17, 0, v17, vcc
	v_add_u32_e32 v16, v16, v17
	v_add_u32_e32 v17, -1, v12
	v_cmp_lt_i32_e32 vcc, v17, v18
	v_cndmask_b32_e32 v17, v17, v12, vcc
	v_lshlrev_b32_e32 v17, 2, v17
	ds_bpermute_b32 v16, v17, v16
	s_waitcnt lgkmcnt(0)
	v_add_u32_e32 v15, v16, v15
	v_cndmask_b32_e64 v17, v15, v13, s[2:3]
	ds_write_b32 v1, v17
	; wave barrier
	ds_read2_b32 v[15:16], v1 offset0:1 offset1:2
	ds_read_b32 v18, v1 offset:12
	s_waitcnt lgkmcnt(1)
	v_add_u32_e32 v15, v15, v17
	v_add_u32_e32 v16, v16, v15
	ds_write2_b32 v1, v15, v16 offset0:1 offset1:2
	s_waitcnt lgkmcnt(1)
	v_add_u32_e32 v15, v18, v16
	ds_write_b32 v1, v15 offset:12
.LBB51_41:                              ;   in Loop: Header=BB51_30 Depth=1
	s_or_b64 exec, exec, s[14:15]
	v_mov_b32_e32 v1, 0
	s_waitcnt lgkmcnt(0)
	s_barrier
	s_and_saveexec_b64 s[14:15], s[0:1]
; %bb.42:                               ;   in Loop: Header=BB51_30 Depth=1
	ds_read_b32 v1, v11
; %bb.43:                               ;   in Loop: Header=BB51_30 Depth=1
	s_or_b64 exec, exec, s[14:15]
	ds_read_b32 v15, v5 offset:1048
	v_cmp_ne_u32_e32 vcc, 0, v13
	s_waitcnt lgkmcnt(0)
	s_barrier
	s_and_saveexec_b64 s[14:15], vcc
	s_cbranch_execz .LBB51_28
; %bb.44:                               ;   in Loop: Header=BB51_30 Depth=1
	v_add_u32_e32 v1, v1, v2
	v_cmp_gt_u32_e32 vcc, s13, v1
	s_and_b64 exec, exec, vcc
	s_cbranch_execz .LBB51_28
; %bb.45:                               ;   in Loop: Header=BB51_30 Depth=1
	v_mul_lo_u32 v16, v1, s24
	v_mov_b32_e32 v17, v5
	v_mul_lo_u32 v18, v1, s8
	v_mov_b32_e32 v13, s19
	v_lshlrev_b64 v[16:17], 3, v[16:17]
	v_mov_b32_e32 v19, v5
	v_add_co_u32_e32 v16, vcc, s18, v16
	v_addc_co_u32_e32 v17, vcc, v13, v17, vcc
	global_store_dwordx2 v[16:17], v[6:7], off
	v_lshlrev_b64 v[16:17], 3, v[18:19]
	v_mov_b32_e32 v13, s23
	v_add_co_u32_e32 v16, vcc, s22, v16
	v_mov_b32_e32 v1, v5
	v_addc_co_u32_e32 v17, vcc, v13, v17, vcc
	global_store_dwordx2 v[16:17], v[0:1], off
	s_branch .LBB51_28
.LBB51_46:                              ;   in Loop: Header=BB51_47 Depth=1
	s_add_u32 s16, s16, 4
	s_addc_u32 s17, s17, 0
	s_waitcnt lgkmcnt(0)
	s_add_i32 s43, s15, s43
	s_add_u32 s18, s18, 4
	s_addc_u32 s19, s19, 0
	s_add_i32 s14, s14, 1
	s_cmp_lt_u32 s14, s10
	s_cbranch_scc0 .LBB51_25
.LBB51_47:                              ; =>This Inner Loop Header: Depth=1
	s_load_dword s15, s[16:17], 0x0
	s_cmp_ge_u32 s14, s11
	s_cbranch_scc1 .LBB51_46
; %bb.48:                               ;   in Loop: Header=BB51_47 Depth=1
	s_load_dword s36, s[18:19], 0x0
	s_waitcnt lgkmcnt(0)
	s_add_i32 s23, s15, s23
	s_add_i32 s22, s36, s22
	s_branch .LBB51_46
.LBB51_49:
	s_endpgm
	.section	.rodata,"a",@progbits
	.p2align	6, 0x0
	.amdhsa_kernel _ZN2at6native6mbtopk10gatherTopKIljLin1EEEvNS_4cuda6detail10TensorInfoIKT_T0_EES8_S8_bjS8_NS5_IS6_S8_EES8_NS5_IlS8_EES8_jjPS6_PjSD_j
		.amdhsa_group_segment_fixed_size 1068
		.amdhsa_private_segment_fixed_size 0
		.amdhsa_kernarg_size 984
		.amdhsa_user_sgpr_count 6
		.amdhsa_user_sgpr_private_segment_buffer 1
		.amdhsa_user_sgpr_dispatch_ptr 0
		.amdhsa_user_sgpr_queue_ptr 0
		.amdhsa_user_sgpr_kernarg_segment_ptr 1
		.amdhsa_user_sgpr_dispatch_id 0
		.amdhsa_user_sgpr_flat_scratch_init 0
		.amdhsa_user_sgpr_private_segment_size 0
		.amdhsa_uses_dynamic_stack 0
		.amdhsa_system_sgpr_private_segment_wavefront_offset 0
		.amdhsa_system_sgpr_workgroup_id_x 1
		.amdhsa_system_sgpr_workgroup_id_y 1
		.amdhsa_system_sgpr_workgroup_id_z 1
		.amdhsa_system_sgpr_workgroup_info 0
		.amdhsa_system_vgpr_workitem_id 0
		.amdhsa_next_free_vgpr 20
		.amdhsa_next_free_sgpr 47
		.amdhsa_reserve_vcc 1
		.amdhsa_reserve_flat_scratch 0
		.amdhsa_float_round_mode_32 0
		.amdhsa_float_round_mode_16_64 0
		.amdhsa_float_denorm_mode_32 3
		.amdhsa_float_denorm_mode_16_64 3
		.amdhsa_dx10_clamp 1
		.amdhsa_ieee_mode 1
		.amdhsa_fp16_overflow 0
		.amdhsa_exception_fp_ieee_invalid_op 0
		.amdhsa_exception_fp_denorm_src 0
		.amdhsa_exception_fp_ieee_div_zero 0
		.amdhsa_exception_fp_ieee_overflow 0
		.amdhsa_exception_fp_ieee_underflow 0
		.amdhsa_exception_fp_ieee_inexact 0
		.amdhsa_exception_int_div_zero 0
	.end_amdhsa_kernel
	.section	.text._ZN2at6native6mbtopk10gatherTopKIljLin1EEEvNS_4cuda6detail10TensorInfoIKT_T0_EES8_S8_bjS8_NS5_IS6_S8_EES8_NS5_IlS8_EES8_jjPS6_PjSD_j,"axG",@progbits,_ZN2at6native6mbtopk10gatherTopKIljLin1EEEvNS_4cuda6detail10TensorInfoIKT_T0_EES8_S8_bjS8_NS5_IS6_S8_EES8_NS5_IlS8_EES8_jjPS6_PjSD_j,comdat
.Lfunc_end51:
	.size	_ZN2at6native6mbtopk10gatherTopKIljLin1EEEvNS_4cuda6detail10TensorInfoIKT_T0_EES8_S8_bjS8_NS5_IS6_S8_EES8_NS5_IlS8_EES8_jjPS6_PjSD_j, .Lfunc_end51-_ZN2at6native6mbtopk10gatherTopKIljLin1EEEvNS_4cuda6detail10TensorInfoIKT_T0_EES8_S8_bjS8_NS5_IS6_S8_EES8_NS5_IlS8_EES8_jjPS6_PjSD_j
                                        ; -- End function
	.set _ZN2at6native6mbtopk10gatherTopKIljLin1EEEvNS_4cuda6detail10TensorInfoIKT_T0_EES8_S8_bjS8_NS5_IS6_S8_EES8_NS5_IlS8_EES8_jjPS6_PjSD_j.num_vgpr, 20
	.set _ZN2at6native6mbtopk10gatherTopKIljLin1EEEvNS_4cuda6detail10TensorInfoIKT_T0_EES8_S8_bjS8_NS5_IS6_S8_EES8_NS5_IlS8_EES8_jjPS6_PjSD_j.num_agpr, 0
	.set _ZN2at6native6mbtopk10gatherTopKIljLin1EEEvNS_4cuda6detail10TensorInfoIKT_T0_EES8_S8_bjS8_NS5_IS6_S8_EES8_NS5_IlS8_EES8_jjPS6_PjSD_j.numbered_sgpr, 47
	.set _ZN2at6native6mbtopk10gatherTopKIljLin1EEEvNS_4cuda6detail10TensorInfoIKT_T0_EES8_S8_bjS8_NS5_IS6_S8_EES8_NS5_IlS8_EES8_jjPS6_PjSD_j.num_named_barrier, 0
	.set _ZN2at6native6mbtopk10gatherTopKIljLin1EEEvNS_4cuda6detail10TensorInfoIKT_T0_EES8_S8_bjS8_NS5_IS6_S8_EES8_NS5_IlS8_EES8_jjPS6_PjSD_j.private_seg_size, 0
	.set _ZN2at6native6mbtopk10gatherTopKIljLin1EEEvNS_4cuda6detail10TensorInfoIKT_T0_EES8_S8_bjS8_NS5_IS6_S8_EES8_NS5_IlS8_EES8_jjPS6_PjSD_j.uses_vcc, 1
	.set _ZN2at6native6mbtopk10gatherTopKIljLin1EEEvNS_4cuda6detail10TensorInfoIKT_T0_EES8_S8_bjS8_NS5_IS6_S8_EES8_NS5_IlS8_EES8_jjPS6_PjSD_j.uses_flat_scratch, 0
	.set _ZN2at6native6mbtopk10gatherTopKIljLin1EEEvNS_4cuda6detail10TensorInfoIKT_T0_EES8_S8_bjS8_NS5_IS6_S8_EES8_NS5_IlS8_EES8_jjPS6_PjSD_j.has_dyn_sized_stack, 0
	.set _ZN2at6native6mbtopk10gatherTopKIljLin1EEEvNS_4cuda6detail10TensorInfoIKT_T0_EES8_S8_bjS8_NS5_IS6_S8_EES8_NS5_IlS8_EES8_jjPS6_PjSD_j.has_recursion, 0
	.set _ZN2at6native6mbtopk10gatherTopKIljLin1EEEvNS_4cuda6detail10TensorInfoIKT_T0_EES8_S8_bjS8_NS5_IS6_S8_EES8_NS5_IlS8_EES8_jjPS6_PjSD_j.has_indirect_call, 0
	.section	.AMDGPU.csdata,"",@progbits
; Kernel info:
; codeLenInByte = 2756
; TotalNumSgprs: 51
; NumVgprs: 20
; ScratchSize: 0
; MemoryBound: 0
; FloatMode: 240
; IeeeMode: 1
; LDSByteSize: 1068 bytes/workgroup (compile time only)
; SGPRBlocks: 6
; VGPRBlocks: 4
; NumSGPRsForWavesPerEU: 51
; NumVGPRsForWavesPerEU: 20
; Occupancy: 10
; WaveLimiterHint : 1
; COMPUTE_PGM_RSRC2:SCRATCH_EN: 0
; COMPUTE_PGM_RSRC2:USER_SGPR: 6
; COMPUTE_PGM_RSRC2:TRAP_HANDLER: 0
; COMPUTE_PGM_RSRC2:TGID_X_EN: 1
; COMPUTE_PGM_RSRC2:TGID_Y_EN: 1
; COMPUTE_PGM_RSRC2:TGID_Z_EN: 1
; COMPUTE_PGM_RSRC2:TIDIG_COMP_CNT: 0
	.section	.text._ZN2at6native6sbtopk10gatherTopKIljLin1ELb0EEEvNS_4cuda6detail10TensorInfoIKT_T0_EES8_S8_bS8_S8_NS5_IS6_S8_EES8_NS5_IlS8_EES8_PS6_,"axG",@progbits,_ZN2at6native6sbtopk10gatherTopKIljLin1ELb0EEEvNS_4cuda6detail10TensorInfoIKT_T0_EES8_S8_bS8_S8_NS5_IS6_S8_EES8_NS5_IlS8_EES8_PS6_,comdat
	.protected	_ZN2at6native6sbtopk10gatherTopKIljLin1ELb0EEEvNS_4cuda6detail10TensorInfoIKT_T0_EES8_S8_bS8_S8_NS5_IS6_S8_EES8_NS5_IlS8_EES8_PS6_ ; -- Begin function _ZN2at6native6sbtopk10gatherTopKIljLin1ELb0EEEvNS_4cuda6detail10TensorInfoIKT_T0_EES8_S8_bS8_S8_NS5_IS6_S8_EES8_NS5_IlS8_EES8_PS6_
	.globl	_ZN2at6native6sbtopk10gatherTopKIljLin1ELb0EEEvNS_4cuda6detail10TensorInfoIKT_T0_EES8_S8_bS8_S8_NS5_IS6_S8_EES8_NS5_IlS8_EES8_PS6_
	.p2align	8
	.type	_ZN2at6native6sbtopk10gatherTopKIljLin1ELb0EEEvNS_4cuda6detail10TensorInfoIKT_T0_EES8_S8_bS8_S8_NS5_IS6_S8_EES8_NS5_IlS8_EES8_PS6_,@function
_ZN2at6native6sbtopk10gatherTopKIljLin1ELb0EEEvNS_4cuda6detail10TensorInfoIKT_T0_EES8_S8_bS8_S8_NS5_IS6_S8_EES8_NS5_IlS8_EES8_PS6_: ; @_ZN2at6native6sbtopk10gatherTopKIljLin1ELb0EEEvNS_4cuda6detail10TensorInfoIKT_T0_EES8_S8_bS8_S8_NS5_IS6_S8_EES8_NS5_IlS8_EES8_PS6_
; %bb.0:
	s_load_dwordx2 s[14:15], s[4:5], 0x2b8
	s_load_dwordx4 s[28:31], s[4:5], 0xd8
	s_mov_b64 s[20:21], s[4:5]
	s_add_u32 s12, s20, 0x2b8
	s_addc_u32 s13, s21, 0
	s_waitcnt lgkmcnt(0)
	s_mul_i32 s0, s15, s8
	s_add_i32 s0, s0, s7
	s_mul_i32 s0, s0, s14
	s_add_i32 s47, s0, s6
	s_cmp_ge_u32 s47, s31
	s_cbranch_scc1 .LBB52_406
; %bb.1:
	s_load_dword s2, s[20:21], 0xd0
	s_load_dword s0, s[20:21], 0xe8
                                        ; implicit-def: $vgpr47 : SGPR spill to VGPR lane
	s_mov_b32 s1, 0
	s_waitcnt lgkmcnt(0)
	s_cmp_lt_i32 s2, 2
	v_writelane_b32 v47, s0, 0
	s_mov_b32 s0, s47
	s_cbranch_scc1 .LBB52_4
; %bb.2:
	s_add_i32 s0, s2, -1
	s_add_i32 s4, s2, 1
	s_lshl_b64 s[2:3], s[0:1], 2
	s_add_u32 s0, s20, s2
	s_addc_u32 s3, s21, s3
	s_add_u32 s2, s0, 8
	s_addc_u32 s3, s3, 0
	s_mov_b32 s0, s47
.LBB52_3:                               ; =>This Inner Loop Header: Depth=1
	s_load_dword s5, s[2:3], 0x0
	s_load_dword s8, s[2:3], 0x64
	s_mov_b32 s7, s0
	s_waitcnt lgkmcnt(0)
	v_cvt_f32_u32_e32 v1, s5
	s_sub_i32 s0, 0, s5
	v_rcp_iflag_f32_e32 v1, v1
	v_mul_f32_e32 v1, 0x4f7ffffe, v1
	v_cvt_u32_f32_e32 v1, v1
	v_readfirstlane_b32 s9, v1
	s_mul_i32 s0, s0, s9
	s_mul_hi_u32 s0, s9, s0
	s_add_i32 s9, s9, s0
	s_mul_hi_u32 s0, s7, s9
	s_mul_i32 s9, s0, s5
	s_sub_i32 s9, s7, s9
	s_add_i32 s10, s0, 1
	s_sub_i32 s11, s9, s5
	s_cmp_ge_u32 s9, s5
	s_cselect_b32 s0, s10, s0
	s_cselect_b32 s9, s11, s9
	s_add_i32 s10, s0, 1
	s_cmp_ge_u32 s9, s5
	s_cselect_b32 s0, s10, s0
	s_mul_i32 s5, s0, s5
	s_sub_i32 s5, s7, s5
	s_mul_i32 s5, s8, s5
	s_add_i32 s4, s4, -1
	s_add_i32 s1, s5, s1
	s_add_u32 s2, s2, -4
	s_addc_u32 s3, s3, -1
	s_cmp_gt_u32 s4, 2
	s_cbranch_scc1 .LBB52_3
.LBB52_4:
	s_load_dword s5, s[20:21], 0x1c0
	s_add_u32 s2, s20, 0xf0
	s_addc_u32 s3, s21, 0
	s_mov_b32 s27, 0
	s_mov_b32 s26, s47
	s_waitcnt lgkmcnt(0)
	s_cmp_lt_i32 s5, 2
	s_cbranch_scc1 .LBB52_7
; %bb.5:
	s_add_i32 s26, s5, -1
	s_add_i32 s4, s5, 1
	s_lshl_b64 s[8:9], s[26:27], 2
	s_add_u32 s5, s2, s8
	s_addc_u32 s7, s3, s9
	s_add_u32 s8, s5, 8
	s_addc_u32 s9, s7, 0
	s_mov_b32 s26, s47
.LBB52_6:                               ; =>This Inner Loop Header: Depth=1
	s_load_dword s5, s[8:9], 0x0
	s_load_dword s10, s[8:9], 0x64
	s_mov_b32 s7, s26
	s_waitcnt lgkmcnt(0)
	v_cvt_f32_u32_e32 v1, s5
	s_sub_i32 s11, 0, s5
	v_rcp_iflag_f32_e32 v1, v1
	v_mul_f32_e32 v1, 0x4f7ffffe, v1
	v_cvt_u32_f32_e32 v1, v1
	v_readfirstlane_b32 s15, v1
	s_mul_i32 s11, s11, s15
	s_mul_hi_u32 s11, s15, s11
	s_add_i32 s15, s15, s11
	s_mul_hi_u32 s11, s26, s15
	s_mul_i32 s15, s11, s5
	s_sub_i32 s15, s26, s15
	s_add_i32 s16, s11, 1
	s_sub_i32 s17, s15, s5
	s_cmp_ge_u32 s15, s5
	s_cselect_b32 s11, s16, s11
	s_cselect_b32 s15, s17, s15
	s_add_i32 s16, s11, 1
	s_cmp_ge_u32 s15, s5
	s_cselect_b32 s26, s16, s11
	s_mul_i32 s5, s26, s5
	s_sub_i32 s5, s7, s5
	s_mul_i32 s5, s10, s5
	s_add_i32 s4, s4, -1
	s_add_i32 s27, s5, s27
	s_add_u32 s8, s8, -4
	s_addc_u32 s9, s9, -1
	s_cmp_gt_u32 s4, 2
	s_cbranch_scc1 .LBB52_6
.LBB52_7:
	s_load_dword s4, s[20:21], 0x6c
	s_load_dword s9, s[20:21], 0x2a0
	s_add_u32 s7, s20, 0x1d0
	s_addc_u32 s8, s21, 0
	s_mov_b32 s35, 0
	s_waitcnt lgkmcnt(0)
	s_cmp_lt_i32 s9, 2
	s_cbranch_scc1 .LBB52_10
; %bb.8:
	s_add_i32 s34, s9, -1
	s_add_i32 s5, s9, 1
	s_lshl_b64 s[10:11], s[34:35], 2
	s_add_u32 s7, s7, s10
	s_addc_u32 s9, s8, s11
	s_add_u32 s8, s7, 8
	s_addc_u32 s9, s9, 0
.LBB52_9:                               ; =>This Inner Loop Header: Depth=1
	s_load_dword s7, s[8:9], 0x0
	s_load_dword s11, s[8:9], 0x64
	s_mov_b32 s10, s47
	s_waitcnt lgkmcnt(0)
	v_cvt_f32_u32_e32 v1, s7
	s_sub_i32 s15, 0, s7
	v_rcp_iflag_f32_e32 v1, v1
	v_mul_f32_e32 v1, 0x4f7ffffe, v1
	v_cvt_u32_f32_e32 v1, v1
	v_readfirstlane_b32 s16, v1
	s_mul_i32 s15, s15, s16
	s_mul_hi_u32 s15, s16, s15
	s_add_i32 s16, s16, s15
	s_mul_hi_u32 s15, s47, s16
	s_mul_i32 s16, s15, s7
	s_sub_i32 s16, s47, s16
	s_add_i32 s17, s15, 1
	s_sub_i32 s18, s16, s7
	s_cmp_ge_u32 s16, s7
	s_cselect_b32 s15, s17, s15
	s_cselect_b32 s16, s18, s16
	s_add_i32 s17, s15, 1
	s_cmp_ge_u32 s16, s7
	s_cselect_b32 s47, s17, s15
	s_mul_i32 s7, s47, s7
	s_sub_i32 s7, s10, s7
	s_mul_i32 s7, s11, s7
	s_add_i32 s5, s5, -1
	s_add_i32 s35, s7, s35
	s_add_u32 s8, s8, -4
	s_addc_u32 s9, s9, -1
	s_cmp_gt_u32 s5, 2
	s_cbranch_scc1 .LBB52_9
.LBB52_10:
	s_load_dword s2, s[2:3], 0x6c
	s_mov_b32 s41, 0
	v_cmp_eq_u32_e64 s[10:11], 0, v0
	s_waitcnt lgkmcnt(0)
	v_writelane_b32 v47, s2, 1
	s_load_dwordx2 s[2:3], s[20:21], 0x0
	s_load_dwordx2 s[8:9], s[20:21], 0xf0
	s_waitcnt lgkmcnt(0)
	v_writelane_b32 v47, s8, 2
	v_writelane_b32 v47, s9, 3
	s_load_dwordx2 s[8:9], s[20:21], 0x1d0
	s_waitcnt lgkmcnt(0)
	v_writelane_b32 v47, s8, 4
	v_writelane_b32 v47, s9, 5
	s_mov_b64 s[8:9], exec
	v_writelane_b32 v47, s10, 6
	v_writelane_b32 v47, s11, 7
	s_and_b64 s[10:11], s[8:9], s[10:11]
	s_mov_b64 exec, s[10:11]
; %bb.11:
	v_mov_b32_e32 v1, 0
	v_mov_b32_e32 v2, s28
	v_mov_b32_e32 v3, v1
	ds_write_b96 v1, v[1:3] offset:4096
; %bb.12:
	s_or_b64 exec, exec, s[8:9]
	s_mul_i32 s0, s4, s0
	s_add_i32 s40, s0, s1
	s_lshl_b64 s[0:1], s[40:41], 3
	s_add_u32 s34, s2, s0
	s_addc_u32 s40, s3, s1
	s_waitcnt lgkmcnt(0)
	s_barrier
	s_load_dword s0, s[12:13], 0xc
	s_bitcmp1_b32 s30, 0
	s_cselect_b64 s[2:3], -1, 0
	v_writelane_b32 v47, s2, 8
	v_writelane_b32 v47, s3, 9
	s_xor_b64 s[2:3], s[2:3], -1
	v_mbcnt_lo_u32_b32 v1, -1, 0
	v_writelane_b32 v47, s2, 10
	v_mbcnt_hi_u32_b32 v30, -1, v1
	v_writelane_b32 v47, s3, 11
	s_waitcnt lgkmcnt(0)
	s_and_b32 s33, s0, 0xffff
	v_cmp_gt_u32_e32 vcc, 64, v0
	v_cmp_gt_i32_e64 s[2:3], 4, v30
	s_lshl_b32 s15, s33, 2
	s_bfe_u32 s4, s0, 0xa0006
	s_and_b64 s[2:3], vcc, s[2:3]
	v_writelane_b32 v47, s2, 12
	s_cmpk_gt_u32 s28, 0x180
	v_writelane_b32 v47, s3, 13
	s_cselect_b64 s[2:3], -1, 0
	v_writelane_b32 v47, s2, 14
	v_writelane_b32 v47, s3, 15
	;; [unrolled: 1-line block ×3, first 2 shown]
	s_load_dword s7, s[20:21], 0xe8
	v_mov_b32_e32 v15, 0
	v_mov_b32_e32 v14, v15
	v_writelane_b32 v47, s21, 17
	v_cmp_gt_u32_e64 s[2:3], s28, v0
	s_waitcnt lgkmcnt(0)
	v_mul_lo_u32 v13, s7, v0
	v_writelane_b32 v47, s2, 18
	v_mov_b32_e32 v3, s40
	s_cmp_gt_u32 s33, 63
	v_lshlrev_b64 v[1:2], 3, v[13:14]
	v_writelane_b32 v47, s3, 19
	v_add_co_u32_e32 v11, vcc, s34, v1
	v_addc_co_u32_e32 v12, vcc, v3, v2, vcc
	s_cselect_b64 s[2:3], -1, 0
	v_lshlrev_b64 v[2:3], v30, -1
	v_writelane_b32 v47, s2, 20
	v_writelane_b32 v47, s3, 21
	v_cmp_gt_u32_e64 s[2:3], 2, v0
	v_not_b32_e32 v28, v2
	v_lshrrev_b32_e32 v2, 2, v0
	v_writelane_b32 v47, s2, 22
	v_and_b32_e32 v2, 0xf0, v2
	v_writelane_b32 v47, s3, 23
	s_add_i32 s2, s33, -1
	v_or_b32_e32 v33, 0xc00, v2
	v_cvt_f32_u32_e32 v2, s15
	v_writelane_b32 v47, s2, 24
	s_add_i32 s2, s2, s28
	s_cmp_lt_u32 s6, s14
	s_cselect_b32 s3, 12, 18
	s_add_u32 s8, s12, s3
	v_rcp_iflag_f32_e32 v2, v2
	s_addc_u32 s9, s13, 0
	s_add_i32 s3, s4, -1
	s_bfe_u32 s5, s33, 0x30006
	s_and_b32 s3, s3, 0xffff
	v_writelane_b32 v47, s8, 25
	s_cmp_gt_u32 s3, 6
	v_writelane_b32 v47, s9, 26
	s_cselect_b64 s[8:9], -1, 0
	v_mul_f32_e32 v2, 0x4f7ffffe, v2
	v_writelane_b32 v47, s8, 27
	s_and_b32 s14, s4, 0x3f8
	v_cvt_u32_f32_e32 v2, v2
	v_writelane_b32 v47, s9, 28
	s_cmp_lg_u32 s5, 0
	v_writelane_b32 v47, s5, 29
	s_cselect_b64 s[4:5], -1, 0
	v_writelane_b32 v47, s4, 30
	v_writelane_b32 v47, s5, 31
	s_sub_i32 s3, 0, s15
	v_readfirstlane_b32 s4, v2
	s_mul_i32 s3, s3, s4
	s_mul_hi_u32 s3, s4, s3
	s_add_i32 s3, s4, s3
	v_writelane_b32 v47, s3, 32
	s_mul_hi_u32 s3, s28, s3
	s_mul_i32 s3, s3, s15
	v_cvt_f32_u32_e32 v2, s33
	s_sub_i32 s3, s28, s3
	s_sub_i32 s4, s3, s15
	s_cmp_ge_u32 s3, s15
	s_cselect_b32 s3, s4, s3
	v_rcp_iflag_f32_e32 v4, v2
	s_sub_i32 s4, s3, s15
	s_cmp_ge_u32 s3, s15
	s_cselect_b32 s3, s4, s3
	v_lshlrev_b32_e32 v29, 2, v0
	s_sub_i32 s13, s28, s3
	v_mul_f32_e32 v4, 0x4f7ffffe, v4
	v_cmp_gt_u32_e64 s[4:5], s13, v29
	v_cvt_u32_f32_e32 v4, v4
	v_add_u32_e32 v34, s13, v0
	v_writelane_b32 v47, s4, 33
	v_writelane_b32 v47, s5, 34
	v_cmp_gt_u32_e64 s[4:5], s28, v34
	v_writelane_b32 v47, s4, 35
	v_writelane_b32 v47, s5, 36
	s_sub_i32 s4, 0, s33
	v_readfirstlane_b32 s5, v4
	s_mul_i32 s4, s4, s5
	v_mul_lo_u32 v14, v34, s7
	s_mul_hi_u32 s4, s5, s4
	s_add_i32 s4, s5, s4
	v_writelane_b32 v47, s4, 37
	s_mul_hi_u32 s4, s2, s4
	s_mul_i32 s4, s4, s33
	v_not_b32_e32 v27, v3
	v_lshlrev_b64 v[2:3], 3, v[14:15]
	s_sub_i32 s4, s2, s4
	s_sub_i32 s5, s4, s33
	v_add_co_u32_e32 v16, vcc, s34, v2
	s_cmp_ge_u32 s4, s33
	v_mul_lo_u32 v2, s7, v29
	s_cselect_b32 s4, s5, s4
	s_sub_i32 s5, s4, s33
	s_cmp_ge_u32 s4, s33
	s_cselect_b32 s4, s5, s4
	v_add_u32_e32 v35, s7, v2
	v_or_b32_e32 v2, 2, v29
	s_sub_i32 s12, s2, s4
	v_mul_lo_u32 v36, s7, v2
	v_or_b32_e32 v2, 3, v29
	s_add_i32 s2, s33, s28
	v_mul_lo_u32 v37, s7, v2
	v_add_u32_e32 v2, s2, v0
	v_subrev_u32_e32 v2, s3, v2
	v_mul_lo_u32 v39, s7, v2
	v_mov_b32_e32 v5, s40
	v_cmp_gt_u32_e64 s[4:5], s12, v0
	v_lshlrev_b32_e32 v31, 3, v0
	v_lshlrev_b32_e32 v1, 2, v30
	v_addc_co_u32_e32 v17, vcc, v5, v3, vcc
	v_writelane_b32 v47, s4, 38
	s_mul_i32 s46, s7, s33
	v_mov_b32_e32 v18, 0
	v_mov_b32_e32 v20, 0
	;; [unrolled: 1-line block ×3, first 2 shown]
	v_cmp_eq_u32_e64 s[0:1], 0, v30
	v_add_u32_e32 v32, 0xc00, v31
	v_and_b32_e32 v26, 0x100, v1
	v_writelane_b32 v47, s5, 39
	s_lshl_b32 s10, s46, 2
	v_lshlrev_b32_e32 v38, 2, v13
	v_lshlrev_b32_e32 v40, 5, v0
	s_lshl_b32 s11, s33, 5
	s_lshl_b32 s4, s33, 3
	v_or_b32_e32 v41, 0xc00, v1
	s_mov_b32 s5, 62
	s_mov_b64 s[54:55], 0
	v_mov_b32_e32 v42, s29
	v_mov_b32_e32 v19, 0
	;; [unrolled: 1-line block ×5, first 2 shown]
                                        ; implicit-def: $sgpr56_sgpr57
                                        ; implicit-def: $sgpr58_sgpr59
                                        ; implicit-def: $sgpr62_sgpr63
                                        ; implicit-def: $sgpr64_sgpr65
                                        ; implicit-def: $sgpr60_sgpr61
                                        ; implicit-def: $sgpr66_sgpr67
                                        ; implicit-def: $sgpr68_sgpr69
                                        ; implicit-def: $sgpr70_sgpr71
                                        ; implicit-def: $sgpr72_sgpr73
                                        ; implicit-def: $sgpr74_sgpr75
	s_branch .LBB52_15
.LBB52_13:                              ;   in Loop: Header=BB52_15 Depth=1
	s_or_b64 exec, exec, s[16:17]
	s_andn2_b64 s[16:17], s[74:75], exec
	s_and_b64 s[8:9], s[8:9], exec
	s_or_b64 s[74:75], s[16:17], s[8:9]
	s_andn2_b64 s[72:73], s[72:73], exec
	s_andn2_b64 s[70:71], s[70:71], exec
	;; [unrolled: 1-line block ×4, first 2 shown]
	s_orn2_b64 s[6:7], s[6:7], exec
	v_mov_b32_e32 v42, v44
.LBB52_14:                              ;   in Loop: Header=BB52_15 Depth=1
	s_or_b64 exec, exec, s[2:3]
	s_and_b64 s[2:3], exec, s[6:7]
	s_or_b64 s[54:55], s[2:3], s[54:55]
	s_andn2_b64 s[2:3], s[60:61], exec
	s_and_b64 s[6:7], s[74:75], exec
	s_or_b64 s[60:61], s[2:3], s[6:7]
	s_andn2_b64 s[2:3], s[64:65], exec
	s_and_b64 s[6:7], s[72:73], exec
	s_or_b64 s[64:65], s[2:3], s[6:7]
	s_andn2_b64 s[2:3], s[62:63], exec
	s_and_b64 s[6:7], s[70:71], exec
	s_or_b64 s[62:63], s[2:3], s[6:7]
	s_andn2_b64 s[2:3], s[58:59], exec
	s_and_b64 s[6:7], s[68:69], exec
	s_or_b64 s[58:59], s[2:3], s[6:7]
	s_andn2_b64 s[2:3], s[56:57], exec
	s_and_b64 s[6:7], s[66:67], exec
	s_or_b64 s[56:57], s[2:3], s[6:7]
	s_andn2_b64 exec, exec, s[54:55]
	s_cbranch_execz .LBB52_402
.LBB52_15:                              ; =>This Loop Header: Depth=1
                                        ;     Child Loop BB52_21 Depth 2
                                        ;     Child Loop BB52_34 Depth 2
	;; [unrolled: 1-line block ×24, first 2 shown]
	ds_read_b64 v[2:3], v15 offset:4096
	s_waitcnt lgkmcnt(0)
	v_readfirstlane_b32 s24, v2
	s_cmp_lg_u32 s24, 0
	s_cbranch_scc1 .LBB52_42
; %bb.16:                               ;   in Loop: Header=BB52_15 Depth=1
	v_readlane_b32 s2, v47, 14
	v_readlane_b32 s3, v47, 15
	s_and_b64 vcc, exec, s[2:3]
	s_cbranch_vccz .LBB52_29
; %bb.17:                               ;   in Loop: Header=BB52_15 Depth=1
	s_movk_i32 s6, 0x181
	v_cmp_gt_u32_e32 vcc, s6, v3
	s_mov_b64 s[2:3], 0
	s_mov_b64 s[6:7], 0
	s_cbranch_vccz .LBB52_30
; %bb.18:                               ;   in Loop: Header=BB52_15 Depth=1
	s_mov_b64 s[16:17], exec
	v_readlane_b32 s6, v47, 18
	v_readlane_b32 s7, v47, 19
	s_and_b64 s[6:7], s[16:17], s[6:7]
	s_mov_b64 exec, s[6:7]
	s_cbranch_execz .LBB52_90
; %bb.19:                               ;   in Loop: Header=BB52_15 Depth=1
	v_readlane_b32 s6, v47, 25
	v_readlane_b32 s7, v47, 26
	s_nop 4
	global_load_ushort v4, v15, s[6:7]
	global_load_dwordx2 v[2:3], v[11:12], off
	v_readlane_b32 s6, v47, 16
	v_readlane_b32 s7, v47, 17
	s_load_dword s6, s[6:7], 0xe8
	s_mov_b64 s[8:9], 0
	v_mov_b32_e32 v10, v0
	s_waitcnt vmcnt(1)
	v_add_u32_e32 v7, v0, v4
	s_waitcnt lgkmcnt(0)
	v_mul_lo_u32 v14, s6, v7
	v_mul_lo_u32 v9, s6, v4
	s_branch .LBB52_21
.LBB52_20:                              ;   in Loop: Header=BB52_21 Depth=2
	s_or_b64 exec, exec, s[6:7]
	v_mov_b32_e32 v2, v7
	v_add_u32_e32 v14, v14, v9
	v_mov_b32_e32 v3, v8
	s_andn2_b64 exec, exec, s[8:9]
	s_cbranch_execz .LBB52_90
.LBB52_21:                              ;   Parent Loop BB52_15 Depth=1
                                        ; =>  This Inner Loop Header: Depth=2
	v_add_u32_e32 v10, v10, v4
	v_mov_b32_e32 v7, 0
	v_cmp_gt_u32_e64 s[6:7], s28, v10
	v_mov_b32_e32 v8, 0
	v_cmp_le_u32_e32 vcc, s28, v10
	s_and_saveexec_b64 s[18:19], s[6:7]
	s_cbranch_execz .LBB52_23
; %bb.22:                               ;   in Loop: Header=BB52_21 Depth=2
	v_lshlrev_b64 v[7:8], 3, v[14:15]
	s_waitcnt lgkmcnt(0)
	v_mov_b32_e32 v22, s40
	v_add_co_u32_e64 v7, s[6:7], s34, v7
	v_addc_co_u32_e64 v8, s[6:7], v22, v8, s[6:7]
	global_load_dwordx2 v[7:8], v[7:8], off
.LBB52_23:                              ;   in Loop: Header=BB52_21 Depth=2
	s_or_b64 exec, exec, s[18:19]
	s_waitcnt vmcnt(0) lgkmcnt(0)
	v_xor_b32_e32 v22, 0x80000000, v3
	v_and_b32_e32 v23, v22, v21
	v_and_b32_e32 v22, v2, v20
	v_cmp_eq_u64_e64 s[18:19], v[22:23], v[18:19]
	v_mov_b32_e32 v22, 0
	s_cmp_lg_u64 s[18:19], 0
	s_cselect_b64 s[6:7], -1, 0
	s_and_b64 s[6:7], s[0:1], s[6:7]
	s_and_saveexec_b64 s[20:21], s[6:7]
	s_cbranch_execz .LBB52_27
; %bb.24:                               ;   in Loop: Header=BB52_21 Depth=2
	s_mov_b64 s[24:25], exec
	v_mbcnt_lo_u32_b32 v22, s24, 0
	v_mbcnt_hi_u32_b32 v22, s25, v22
	s_bcnt1_i32_b64 s30, s[18:19]
	v_cmp_eq_u32_e64 s[6:7], 0, v22
                                        ; implicit-def: $vgpr23
	s_and_saveexec_b64 s[22:23], s[6:7]
; %bb.25:                               ;   in Loop: Header=BB52_21 Depth=2
	s_bcnt1_i32_b64 s6, s[24:25]
	s_mul_i32 s6, s30, s6
	v_mov_b32_e32 v23, s6
	ds_add_rtn_u32 v23, v15, v23 offset:4104
; %bb.26:                               ;   in Loop: Header=BB52_21 Depth=2
	s_or_b64 exec, exec, s[22:23]
	s_waitcnt lgkmcnt(0)
	v_readfirstlane_b32 s6, v23
	v_mov_b32_e32 v23, s6
	v_mad_u32_u24 v22, s30, v22, v23
.LBB52_27:                              ;   in Loop: Header=BB52_21 Depth=2
	s_or_b64 exec, exec, s[20:21]
	ds_bpermute_b32 v22, v26, v22
	s_and_b64 s[6:7], exec, vcc
	s_or_b64 s[8:9], s[6:7], s[8:9]
	s_and_saveexec_b64 s[6:7], s[18:19]
	s_cbranch_execz .LBB52_20
; %bb.28:                               ;   in Loop: Header=BB52_21 Depth=2
	v_and_b32_e32 v24, s18, v28
	v_and_b32_e32 v23, s19, v27
	v_bcnt_u32_b32 v24, v24, 0
	v_bcnt_u32_b32 v23, v23, v24
	v_lshlrev_b32_e32 v23, 3, v23
	s_waitcnt lgkmcnt(0)
	v_lshl_add_u32 v22, v22, 3, v23
	ds_write_b64 v22, v[2:3]
	s_branch .LBB52_20
.LBB52_29:                              ;   in Loop: Header=BB52_15 Depth=1
	s_mov_b64 s[2:3], -1
	s_mov_b64 s[6:7], 0
.LBB52_30:                              ;   in Loop: Header=BB52_15 Depth=1
	s_and_b64 vcc, exec, s[2:3]
	s_cbranch_vccz .LBB52_40
.LBB52_31:                              ;   in Loop: Header=BB52_15 Depth=1
	s_mov_b64 s[2:3], exec
	v_readlane_b32 s6, v47, 18
	v_readlane_b32 s7, v47, 19
	s_and_b64 s[6:7], s[2:3], s[6:7]
	s_mov_b64 exec, s[6:7]
	s_cbranch_execz .LBB52_37
; %bb.32:                               ;   in Loop: Header=BB52_15 Depth=1
	v_readlane_b32 s6, v47, 25
	v_readlane_b32 s7, v47, 26
	s_nop 4
	global_load_ushort v4, v15, s[6:7]
	global_load_dwordx2 v[2:3], v[11:12], off
	v_mov_b32_e32 v9, v0
	s_waitcnt vmcnt(1)
	v_add_u32_e32 v7, v0, v4
	v_cmp_gt_u32_e32 vcc, s28, v7
	s_and_saveexec_b64 s[6:7], vcc
	s_cbranch_execz .LBB52_36
; %bb.33:                               ;   in Loop: Header=BB52_15 Depth=1
	v_readlane_b32 s8, v47, 16
	v_readlane_b32 s9, v47, 17
	s_load_dword s8, s[8:9], 0xe8
	v_lshlrev_b32_e32 v10, 3, v4
	v_mov_b32_e32 v23, v31
	v_mov_b32_e32 v9, v0
	s_waitcnt lgkmcnt(0)
	v_mul_lo_u32 v14, s8, v7
	v_mul_lo_u32 v22, s8, v4
	s_mov_b64 s[8:9], 0
.LBB52_34:                              ;   Parent Loop BB52_15 Depth=1
                                        ; =>  This Inner Loop Header: Depth=2
	v_lshlrev_b64 v[7:8], 3, v[14:15]
	v_mov_b32_e32 v24, s40
	v_add_co_u32_e32 v7, vcc, s34, v7
	v_addc_co_u32_e32 v8, vcc, v24, v8, vcc
	global_load_dwordx2 v[7:8], v[7:8], off
	v_add_u32_e32 v9, v9, v4
	s_waitcnt vmcnt(1)
	ds_write_b64 v23, v[2:3]
	v_add_u32_e32 v2, v4, v9
	v_cmp_le_u32_e32 vcc, s28, v2
	v_add_u32_e32 v23, v23, v10
	v_add_u32_e32 v14, v14, v22
	s_or_b64 s[8:9], vcc, s[8:9]
	s_waitcnt vmcnt(0)
	v_mov_b32_e32 v2, v7
	v_mov_b32_e32 v3, v8
	s_andn2_b64 exec, exec, s[8:9]
	s_cbranch_execnz .LBB52_34
; %bb.35:                               ;   in Loop: Header=BB52_15 Depth=1
	s_or_b64 exec, exec, s[8:9]
	v_mov_b32_e32 v2, v7
	v_mov_b32_e32 v3, v8
.LBB52_36:                              ;   in Loop: Header=BB52_15 Depth=1
	s_or_b64 exec, exec, s[6:7]
	v_lshlrev_b32_e32 v4, 3, v9
	s_waitcnt vmcnt(0)
	ds_write_b64 v4, v[2:3]
.LBB52_37:                              ;   in Loop: Header=BB52_15 Depth=1
	s_or_b64 exec, exec, s[2:3]
	s_waitcnt lgkmcnt(0)
	s_barrier
	s_mov_b64 s[2:3], exec
	v_readlane_b32 s6, v47, 6
	v_readlane_b32 s7, v47, 7
	s_and_b64 s[6:7], s[2:3], s[6:7]
	s_mov_b64 exec, s[6:7]
; %bb.38:                               ;   in Loop: Header=BB52_15 Depth=1
	v_mov_b32_e32 v2, s28
	ds_write_b32 v15, v2 offset:4096
; %bb.39:                               ;   in Loop: Header=BB52_15 Depth=1
	s_or_b64 exec, exec, s[2:3]
	s_mov_b64 s[6:7], -1
	s_waitcnt lgkmcnt(0)
	s_barrier
.LBB52_40:                              ;   in Loop: Header=BB52_15 Depth=1
	s_mov_b32 s24, 0
	s_and_b64 vcc, exec, s[6:7]
	s_cbranch_vccz .LBB52_42
; %bb.41:                               ;   in Loop: Header=BB52_15 Depth=1
	ds_read_b32 v2, v15 offset:4096
	s_waitcnt lgkmcnt(0)
	v_readfirstlane_b32 s24, v2
.LBB52_42:                              ;   in Loop: Header=BB52_15 Depth=1
	s_cmp_lt_i32 s24, 1
	s_mov_b64 s[2:3], -1
                                        ; implicit-def: $vgpr7
	s_cbranch_scc1 .LBB52_52
; %bb.43:                               ;   in Loop: Header=BB52_15 Depth=1
	s_and_b64 vcc, exec, s[2:3]
	s_cbranch_vccnz .LBB52_63
.LBB52_44:                              ;   in Loop: Header=BB52_15 Depth=1
	s_lshl_b32 s6, s41, 6
	s_and_saveexec_b64 s[2:3], s[0:1]
.LBB52_45:                              ;   in Loop: Header=BB52_15 Depth=1
	v_lshl_add_u32 v2, s6, 2, v33
	ds_write_b128 v2, v[7:10]
.LBB52_46:                              ;   in Loop: Header=BB52_15 Depth=1
	s_or_b64 exec, exec, s[2:3]
	s_waitcnt lgkmcnt(0)
	s_barrier
	s_mov_b64 s[2:3], exec
	v_readlane_b32 s8, v47, 12
	v_readlane_b32 s9, v47, 13
	s_and_b64 s[8:9], s[2:3], s[8:9]
	s_mov_b64 exec, s[8:9]
	s_cbranch_execz .LBB52_77
; %bb.47:                               ;   in Loop: Header=BB52_15 Depth=1
	v_readlane_b32 s8, v47, 20
	v_readlane_b32 s9, v47, 21
	s_andn2_b64 vcc, exec, s[8:9]
	v_mov_b32_e32 v2, 0
	s_cbranch_vccnz .LBB52_76
; %bb.48:                               ;   in Loop: Header=BB52_15 Depth=1
	v_readlane_b32 s8, v47, 27
	v_readlane_b32 s9, v47, 28
	s_andn2_b64 vcc, exec, s[8:9]
	s_cbranch_vccnz .LBB52_72
; %bb.49:                               ;   in Loop: Header=BB52_15 Depth=1
	v_lshl_add_u32 v3, s41, 8, v41
	s_mov_b32 s7, 0
	v_mov_b32_e32 v2, 0
.LBB52_50:                              ;   Parent Loop BB52_15 Depth=1
                                        ; =>  This Inner Loop Header: Depth=2
	ds_read2_b32 v[7:8], v3 offset1:4
	ds_read2_b32 v[9:10], v3 offset0:8 offset1:12
	ds_read2_b32 v[22:23], v3 offset0:16 offset1:20
	;; [unrolled: 1-line block ×3, first 2 shown]
	s_add_i32 s7, s7, 8
	s_waitcnt lgkmcnt(3)
	v_add3_u32 v2, v7, v2, v8
	s_waitcnt lgkmcnt(2)
	v_add3_u32 v2, v9, v2, v10
	;; [unrolled: 2-line block ×3, first 2 shown]
	v_add_u32_e32 v3, 0x80, v3
	s_cmp_eq_u32 s14, s7
	s_waitcnt lgkmcnt(0)
	v_add3_u32 v2, v24, v2, v25
	s_cbranch_scc0 .LBB52_50
; %bb.51:                               ;   in Loop: Header=BB52_15 Depth=1
	s_mov_b32 s7, s14
	s_branch .LBB52_73
.LBB52_52:                              ;   in Loop: Header=BB52_15 Depth=1
	v_mov_b32_e32 v7, 0
	v_mov_b32_e32 v8, 0
	;; [unrolled: 1-line block ×4, first 2 shown]
	s_mov_b64 s[76:77], exec
	v_readlane_b32 s2, v47, 33
	v_readlane_b32 s3, v47, 34
	s_and_b64 s[2:3], s[76:77], s[2:3]
	s_mov_b64 exec, s[2:3]
	s_cbranch_execz .LBB52_56
; %bb.53:                               ;   in Loop: Header=BB52_15 Depth=1
	s_mov_b32 s2, 0
	s_mov_b64 s[78:79], 0
	s_mov_b32 s3, 0
	s_mov_b32 s8, 0
	;; [unrolled: 1-line block ×4, first 2 shown]
	v_mov_b32_e32 v4, v29
.LBB52_54:                              ;   Parent Loop BB52_15 Depth=1
                                        ; =>  This Inner Loop Header: Depth=2
	v_add_u32_e32 v14, s2, v38
	v_lshlrev_b64 v[2:3], 3, v[14:15]
	v_add_u32_e32 v14, s2, v35
	v_add_co_u32_e32 v2, vcc, s34, v2
	v_mov_b32_e32 v24, s40
	v_lshlrev_b64 v[7:8], 3, v[14:15]
	v_addc_co_u32_e32 v3, vcc, v24, v3, vcc
	v_add_co_u32_e32 v7, vcc, s34, v7
	v_addc_co_u32_e32 v8, vcc, v24, v8, vcc
	v_add_u32_e32 v14, s2, v36
	global_load_dwordx2 v[2:3], v[2:3], off
	v_add_u32_e32 v4, s15, v4
	global_load_dwordx2 v[22:23], v[7:8], off
	v_lshlrev_b64 v[7:8], 3, v[14:15]
	v_add_u32_e32 v14, s2, v37
	v_add_co_u32_e32 v7, vcc, s34, v7
	v_addc_co_u32_e32 v8, vcc, v24, v8, vcc
	global_load_dwordx2 v[9:10], v[7:8], off
	v_lshlrev_b64 v[7:8], 3, v[14:15]
	s_add_i32 s2, s2, s10
	v_add_co_u32_e32 v7, vcc, s34, v7
	v_addc_co_u32_e32 v8, vcc, v24, v8, vcc
	global_load_dwordx2 v[7:8], v[7:8], off
	s_waitcnt vmcnt(3)
	v_xor_b32_e32 v3, 0x80000000, v3
	v_and_b32_e32 v25, v3, v21
	v_and_b32_e32 v24, v2, v20
	v_lshrrev_b64 v[2:3], s5, v[2:3]
	s_waitcnt vmcnt(2)
	v_xor_b32_e32 v23, 0x80000000, v23
	v_and_b32_e32 v14, 3, v2
	v_lshrrev_b64 v[2:3], s5, v[22:23]
	v_cmp_eq_u64_e32 vcc, v[24:25], v[18:19]
	v_and_b32_e32 v25, v23, v21
	s_waitcnt vmcnt(1)
	v_xor_b32_e32 v10, 0x80000000, v10
	v_and_b32_e32 v24, v22, v20
	v_cmp_eq_u64_e64 s[6:7], 0, v[14:15]
	v_cmp_eq_u64_e64 s[18:19], v[24:25], v[18:19]
	v_and_b32_e32 v25, v10, v21
	v_and_b32_e32 v24, v9, v20
	;; [unrolled: 1-line block ×3, first 2 shown]
	v_mov_b32_e32 v3, v15
	v_lshrrev_b64 v[9:10], s5, v[9:10]
	s_waitcnt vmcnt(0)
	v_xor_b32_e32 v8, 0x80000000, v8
	s_and_b64 s[30:31], vcc, s[6:7]
	v_cmp_eq_u64_e64 s[6:7], 0, v[2:3]
	v_cmp_eq_u64_e64 s[20:21], v[24:25], v[18:19]
	v_and_b32_e32 v25, v8, v21
	v_and_b32_e32 v24, v7, v20
	;; [unrolled: 1-line block ×3, first 2 shown]
	v_mov_b32_e32 v10, v15
	v_lshrrev_b64 v[7:8], s5, v[7:8]
	s_and_b64 s[36:37], s[18:19], s[6:7]
	v_cmp_eq_u64_e64 s[6:7], 0, v[9:10]
	v_and_b32_e32 v7, 3, v7
	v_mov_b32_e32 v8, v15
	v_cmp_eq_u64_e64 s[22:23], v[24:25], v[18:19]
	s_and_b64 s[38:39], s[20:21], s[6:7]
	v_cmp_eq_u64_e64 s[6:7], 0, v[7:8]
	v_cndmask_b32_e64 v22, 0, 1, s[30:31]
	s_and_b64 s[42:43], s[22:23], s[6:7]
	v_cmp_ne_u32_e64 s[6:7], 0, v22
	v_cndmask_b32_e64 v22, 0, 1, s[36:37]
	s_bcnt1_i32_b64 s17, s[6:7]
	v_cmp_ne_u32_e64 s[6:7], 0, v22
	v_cndmask_b32_e64 v22, 0, 1, s[38:39]
	s_bcnt1_i32_b64 s25, s[6:7]
	;; [unrolled: 3-line block ×3, first 2 shown]
	v_cmp_ne_u32_e64 s[6:7], 0, v22
	s_bcnt1_i32_b64 s6, s[6:7]
	s_add_i32 s7, s16, s17
	s_add_i32 s7, s7, s25
	;; [unrolled: 1-line block ×4, first 2 shown]
	v_cmp_eq_u64_e64 s[6:7], 1, v[14:15]
	s_and_b64 s[30:31], vcc, s[6:7]
	v_cmp_eq_u64_e64 s[6:7], 1, v[2:3]
	v_cndmask_b32_e64 v22, 0, 1, s[30:31]
	s_and_b64 s[36:37], s[18:19], s[6:7]
	v_cmp_eq_u64_e64 s[6:7], 1, v[9:10]
	s_and_b64 s[38:39], s[20:21], s[6:7]
	v_cmp_eq_u64_e64 s[6:7], 1, v[7:8]
	s_and_b64 s[42:43], s[22:23], s[6:7]
	v_cmp_ne_u32_e64 s[6:7], 0, v22
	v_cndmask_b32_e64 v22, 0, 1, s[36:37]
	s_bcnt1_i32_b64 s17, s[6:7]
	v_cmp_ne_u32_e64 s[6:7], 0, v22
	v_cndmask_b32_e64 v22, 0, 1, s[38:39]
	s_bcnt1_i32_b64 s25, s[6:7]
	v_cmp_ne_u32_e64 s[6:7], 0, v22
	v_cndmask_b32_e64 v22, 0, 1, s[42:43]
	s_bcnt1_i32_b64 s30, s[6:7]
	v_cmp_ne_u32_e64 s[6:7], 0, v22
	s_bcnt1_i32_b64 s6, s[6:7]
	s_add_i32 s7, s9, s17
	s_add_i32 s7, s7, s25
	;; [unrolled: 1-line block ×4, first 2 shown]
	v_cmp_eq_u64_e64 s[6:7], 2, v[14:15]
	s_and_b64 s[30:31], vcc, s[6:7]
	v_cmp_eq_u64_e64 s[6:7], 2, v[2:3]
	v_cndmask_b32_e64 v22, 0, 1, s[30:31]
	s_and_b64 s[36:37], s[18:19], s[6:7]
	v_cmp_eq_u64_e64 s[6:7], 2, v[9:10]
	s_and_b64 s[38:39], s[20:21], s[6:7]
	v_cmp_eq_u64_e64 s[6:7], 2, v[7:8]
	s_and_b64 s[42:43], s[22:23], s[6:7]
	v_cmp_ne_u32_e64 s[6:7], 0, v22
	v_cndmask_b32_e64 v22, 0, 1, s[36:37]
	s_bcnt1_i32_b64 s17, s[6:7]
	v_cmp_ne_u32_e64 s[6:7], 0, v22
	v_cndmask_b32_e64 v22, 0, 1, s[38:39]
	s_bcnt1_i32_b64 s25, s[6:7]
	;; [unrolled: 3-line block ×3, first 2 shown]
	v_cmp_ne_u32_e64 s[6:7], 0, v22
	s_bcnt1_i32_b64 s6, s[6:7]
	s_add_i32 s7, s8, s17
	s_add_i32 s7, s7, s25
	s_add_i32 s7, s7, s30
	s_add_i32 s8, s7, s6
	v_cmp_eq_u64_e64 s[6:7], 3, v[14:15]
	s_and_b64 s[6:7], vcc, s[6:7]
	v_cmp_eq_u64_e32 vcc, 3, v[2:3]
	v_cndmask_b32_e64 v2, 0, 1, s[6:7]
	s_and_b64 s[18:19], s[18:19], vcc
	v_cmp_eq_u64_e32 vcc, 3, v[9:10]
	v_mov_b32_e32 v9, s8
	s_and_b64 s[20:21], s[20:21], vcc
	v_cmp_eq_u64_e32 vcc, 3, v[7:8]
	v_mov_b32_e32 v7, s16
	s_and_b64 s[22:23], s[22:23], vcc
	v_cmp_ne_u32_e32 vcc, 0, v2
	v_cndmask_b32_e64 v2, 0, 1, s[18:19]
	s_bcnt1_i32_b64 s6, vcc
	v_cmp_ne_u32_e32 vcc, 0, v2
	v_cndmask_b32_e64 v2, 0, 1, s[20:21]
	s_bcnt1_i32_b64 s7, vcc
	v_cmp_ne_u32_e32 vcc, 0, v2
	v_cndmask_b32_e64 v2, 0, 1, s[22:23]
	s_add_i32 s3, s3, s6
	s_bcnt1_i32_b64 s17, vcc
	v_cmp_ne_u32_e32 vcc, 0, v2
	s_add_i32 s3, s3, s7
	s_bcnt1_i32_b64 s18, vcc
	s_add_i32 s3, s3, s17
	s_add_i32 s3, s3, s18
	v_cmp_le_u32_e32 vcc, s13, v4
	s_or_b64 s[78:79], vcc, s[78:79]
	v_mov_b32_e32 v8, s9
	v_mov_b32_e32 v10, s3
	s_andn2_b64 exec, exec, s[78:79]
	s_cbranch_execnz .LBB52_54
; %bb.55:                               ;   in Loop: Header=BB52_15 Depth=1
	s_or_b64 exec, exec, s[78:79]
.LBB52_56:                              ;   in Loop: Header=BB52_15 Depth=1
	s_or_b64 exec, exec, s[76:77]
	s_mov_b64 s[2:3], exec
	v_readlane_b32 s6, v47, 35
	v_readlane_b32 s7, v47, 36
	s_and_b64 s[6:7], s[2:3], s[6:7]
	s_mov_b64 exec, s[6:7]
	s_cbranch_execz .LBB52_62
; %bb.57:                               ;   in Loop: Header=BB52_15 Depth=1
	global_load_dwordx2 v[22:23], v[16:17], off
	s_mov_b64 s[8:9], 0
	v_mov_b32_e32 v2, v39
	v_mov_b32_e32 v24, v34
	s_branch .LBB52_59
.LBB52_58:                              ;   in Loop: Header=BB52_59 Depth=2
	s_or_b64 exec, exec, s[16:17]
	s_waitcnt vmcnt(0)
	v_xor_b32_e32 v23, 0x80000000, v23
	v_and_b32_e32 v44, v23, v21
	v_and_b32_e32 v43, v22, v20
	v_lshrrev_b64 v[22:23], s5, v[22:23]
	s_and_b64 s[16:17], exec, vcc
	v_and_b32_e32 v14, 3, v22
	v_cmp_eq_u64_e32 vcc, v[43:44], v[18:19]
	v_cmp_eq_u64_e64 s[6:7], 0, v[14:15]
	s_or_b64 s[8:9], s[16:17], s[8:9]
	s_and_b64 s[6:7], vcc, s[6:7]
	v_cndmask_b32_e64 v22, 0, 1, s[6:7]
	v_cmp_ne_u32_e64 s[6:7], 0, v22
	s_bcnt1_i32_b64 s16, s[6:7]
	v_cmp_eq_u64_e64 s[6:7], 1, v[14:15]
	v_add_u32_e32 v7, s16, v7
	s_and_b64 s[6:7], vcc, s[6:7]
	v_cndmask_b32_e64 v22, 0, 1, s[6:7]
	v_cmp_ne_u32_e64 s[6:7], 0, v22
	s_bcnt1_i32_b64 s16, s[6:7]
	v_cmp_eq_u64_e64 s[6:7], 2, v[14:15]
	v_add_u32_e32 v8, s16, v8
	s_and_b64 s[6:7], vcc, s[6:7]
	v_cndmask_b32_e64 v22, 0, 1, s[6:7]
	v_cmp_ne_u32_e64 s[6:7], 0, v22
	s_bcnt1_i32_b64 s16, s[6:7]
	v_cmp_eq_u64_e64 s[6:7], 3, v[14:15]
	v_mov_b32_e32 v23, v4
	s_and_b64 s[6:7], vcc, s[6:7]
	v_cndmask_b32_e64 v14, 0, 1, s[6:7]
	v_cmp_ne_u32_e32 vcc, 0, v14
	s_bcnt1_i32_b64 s6, vcc
	v_add_u32_e32 v9, s16, v9
	v_add_u32_e32 v10, s6, v10
	;; [unrolled: 1-line block ×3, first 2 shown]
	v_mov_b32_e32 v22, v3
	s_andn2_b64 exec, exec, s[8:9]
	s_cbranch_execz .LBB52_61
.LBB52_59:                              ;   Parent Loop BB52_15 Depth=1
                                        ; =>  This Inner Loop Header: Depth=2
	v_add_u32_e32 v24, s33, v24
	v_mov_b32_e32 v3, 0
	v_cmp_gt_u32_e64 s[6:7], s28, v24
	v_mov_b32_e32 v4, 0
	v_cmp_le_u32_e32 vcc, s28, v24
	s_and_saveexec_b64 s[16:17], s[6:7]
	s_cbranch_execz .LBB52_58
; %bb.60:                               ;   in Loop: Header=BB52_59 Depth=2
	v_mov_b32_e32 v3, v15
	v_lshlrev_b64 v[3:4], 3, v[2:3]
	v_mov_b32_e32 v14, s40
	v_add_co_u32_e64 v3, s[6:7], s34, v3
	v_addc_co_u32_e64 v4, s[6:7], v14, v4, s[6:7]
	global_load_dwordx2 v[3:4], v[3:4], off
	s_branch .LBB52_58
.LBB52_61:                              ;   in Loop: Header=BB52_15 Depth=1
	s_or_b64 exec, exec, s[8:9]
.LBB52_62:                              ;   in Loop: Header=BB52_15 Depth=1
	s_or_b64 exec, exec, s[2:3]
	s_branch .LBB52_44
.LBB52_63:                              ;   in Loop: Header=BB52_15 Depth=1
	v_readlane_b32 s2, v47, 32
	s_mul_hi_u32 s2, s24, s2
	s_mul_i32 s2, s2, s15
	s_sub_i32 s2, s24, s2
	s_sub_i32 s3, s2, s15
	s_cmp_ge_u32 s2, s15
	s_cselect_b32 s2, s3, s2
	s_sub_i32 s3, s2, s15
	s_cmp_ge_u32 s2, s15
	s_cselect_b32 s2, s3, s2
	s_sub_i32 s2, s24, s2
	v_cmp_gt_u32_e32 vcc, s2, v29
	v_mov_b32_e32 v7, 0
	v_mov_b32_e32 v8, 0
	;; [unrolled: 1-line block ×4, first 2 shown]
	s_and_saveexec_b64 s[76:77], vcc
	s_cbranch_execz .LBB52_67
; %bb.64:                               ;   in Loop: Header=BB52_15 Depth=1
	s_mov_b32 s3, 0
	s_mov_b64 s[78:79], 0
	v_mov_b32_e32 v4, v40
	s_mov_b32 s8, 0
	s_mov_b32 s9, 0
	;; [unrolled: 1-line block ×3, first 2 shown]
	v_mov_b32_e32 v22, v29
.LBB52_65:                              ;   Parent Loop BB52_15 Depth=1
                                        ; =>  This Inner Loop Header: Depth=2
	ds_read_b128 v[43:46], v4
	ds_read_b128 v[7:10], v4 offset:16
	v_add_u32_e32 v22, s15, v22
	v_add_u32_e32 v4, s11, v4
	s_waitcnt lgkmcnt(1)
	v_xor_b32_e32 v44, 0x80000000, v44
	v_xor_b32_e32 v46, 0x80000000, v46
	v_and_b32_e32 v3, v44, v21
	v_and_b32_e32 v2, v43, v20
	s_waitcnt lgkmcnt(0)
	v_xor_b32_e32 v8, 0x80000000, v8
	v_cmp_eq_u64_e32 vcc, v[2:3], v[18:19]
	v_and_b32_e32 v3, v46, v21
	v_and_b32_e32 v2, v45, v20
	v_xor_b32_e32 v10, 0x80000000, v10
	v_cmp_eq_u64_e64 s[18:19], v[2:3], v[18:19]
	v_and_b32_e32 v3, v8, v21
	v_and_b32_e32 v2, v7, v20
	v_cmp_eq_u64_e64 s[20:21], v[2:3], v[18:19]
	v_and_b32_e32 v3, v10, v21
	v_and_b32_e32 v2, v9, v20
	v_cmp_eq_u64_e64 s[22:23], v[2:3], v[18:19]
	v_lshrrev_b64 v[2:3], s5, v[43:44]
	v_lshrrev_b64 v[7:8], s5, v[7:8]
	v_and_b32_e32 v14, 3, v2
	v_lshrrev_b64 v[2:3], s5, v[45:46]
	v_cmp_eq_u64_e64 s[6:7], 0, v[14:15]
	v_and_b32_e32 v2, 3, v2
	v_mov_b32_e32 v3, v15
	s_and_b64 s[30:31], vcc, s[6:7]
	v_cmp_eq_u64_e64 s[6:7], 0, v[2:3]
	v_and_b32_e32 v7, 3, v7
	v_mov_b32_e32 v8, v15
	v_lshrrev_b64 v[9:10], s5, v[9:10]
	s_and_b64 s[36:37], s[18:19], s[6:7]
	v_cmp_eq_u64_e64 s[6:7], 0, v[7:8]
	v_and_b32_e32 v9, 3, v9
	v_mov_b32_e32 v10, v15
	s_and_b64 s[38:39], s[20:21], s[6:7]
	v_cmp_eq_u64_e64 s[6:7], 0, v[9:10]
	v_cndmask_b32_e64 v23, 0, 1, s[30:31]
	s_and_b64 s[42:43], s[22:23], s[6:7]
	v_cmp_ne_u32_e64 s[6:7], 0, v23
	v_cndmask_b32_e64 v23, 0, 1, s[36:37]
	s_bcnt1_i32_b64 s17, s[6:7]
	v_cmp_ne_u32_e64 s[6:7], 0, v23
	v_cndmask_b32_e64 v23, 0, 1, s[38:39]
	s_bcnt1_i32_b64 s25, s[6:7]
	;; [unrolled: 3-line block ×3, first 2 shown]
	v_cmp_ne_u32_e64 s[6:7], 0, v23
	s_bcnt1_i32_b64 s6, s[6:7]
	s_add_i32 s7, s16, s17
	s_add_i32 s7, s7, s25
	;; [unrolled: 1-line block ×4, first 2 shown]
	v_cmp_eq_u64_e64 s[6:7], 1, v[14:15]
	s_and_b64 s[30:31], vcc, s[6:7]
	v_cmp_eq_u64_e64 s[6:7], 1, v[2:3]
	v_cndmask_b32_e64 v23, 0, 1, s[30:31]
	s_and_b64 s[36:37], s[18:19], s[6:7]
	v_cmp_eq_u64_e64 s[6:7], 1, v[7:8]
	s_and_b64 s[38:39], s[20:21], s[6:7]
	v_cmp_eq_u64_e64 s[6:7], 1, v[9:10]
	s_and_b64 s[42:43], s[22:23], s[6:7]
	v_cmp_ne_u32_e64 s[6:7], 0, v23
	v_cndmask_b32_e64 v23, 0, 1, s[36:37]
	s_bcnt1_i32_b64 s17, s[6:7]
	v_cmp_ne_u32_e64 s[6:7], 0, v23
	v_cndmask_b32_e64 v23, 0, 1, s[38:39]
	s_bcnt1_i32_b64 s25, s[6:7]
	;; [unrolled: 3-line block ×3, first 2 shown]
	v_cmp_ne_u32_e64 s[6:7], 0, v23
	s_bcnt1_i32_b64 s6, s[6:7]
	s_add_i32 s7, s9, s17
	s_add_i32 s7, s7, s25
	;; [unrolled: 1-line block ×4, first 2 shown]
	v_cmp_eq_u64_e64 s[6:7], 2, v[14:15]
	s_and_b64 s[30:31], vcc, s[6:7]
	v_cmp_eq_u64_e64 s[6:7], 2, v[2:3]
	v_cndmask_b32_e64 v23, 0, 1, s[30:31]
	s_and_b64 s[36:37], s[18:19], s[6:7]
	v_cmp_eq_u64_e64 s[6:7], 2, v[7:8]
	s_and_b64 s[38:39], s[20:21], s[6:7]
	v_cmp_eq_u64_e64 s[6:7], 2, v[9:10]
	s_and_b64 s[42:43], s[22:23], s[6:7]
	v_cmp_ne_u32_e64 s[6:7], 0, v23
	v_cndmask_b32_e64 v23, 0, 1, s[36:37]
	s_bcnt1_i32_b64 s17, s[6:7]
	v_cmp_ne_u32_e64 s[6:7], 0, v23
	v_cndmask_b32_e64 v23, 0, 1, s[38:39]
	s_bcnt1_i32_b64 s25, s[6:7]
	;; [unrolled: 3-line block ×3, first 2 shown]
	v_cmp_ne_u32_e64 s[6:7], 0, v23
	s_bcnt1_i32_b64 s6, s[6:7]
	s_add_i32 s7, s8, s17
	s_add_i32 s7, s7, s25
	;; [unrolled: 1-line block ×4, first 2 shown]
	v_cmp_eq_u64_e64 s[6:7], 3, v[14:15]
	s_and_b64 s[6:7], vcc, s[6:7]
	v_cmp_eq_u64_e32 vcc, 3, v[2:3]
	v_cndmask_b32_e64 v2, 0, 1, s[6:7]
	s_and_b64 s[18:19], s[18:19], vcc
	v_cmp_eq_u64_e32 vcc, 3, v[7:8]
	v_mov_b32_e32 v7, s16
	s_and_b64 s[20:21], s[20:21], vcc
	v_cmp_eq_u64_e32 vcc, 3, v[9:10]
	v_mov_b32_e32 v8, s9
	s_and_b64 s[22:23], s[22:23], vcc
	v_cmp_ne_u32_e32 vcc, 0, v2
	v_cndmask_b32_e64 v2, 0, 1, s[18:19]
	s_bcnt1_i32_b64 s6, vcc
	v_cmp_ne_u32_e32 vcc, 0, v2
	v_cndmask_b32_e64 v2, 0, 1, s[20:21]
	s_bcnt1_i32_b64 s7, vcc
	v_cmp_ne_u32_e32 vcc, 0, v2
	v_cndmask_b32_e64 v2, 0, 1, s[22:23]
	s_add_i32 s3, s3, s6
	s_bcnt1_i32_b64 s17, vcc
	v_cmp_ne_u32_e32 vcc, 0, v2
	s_add_i32 s3, s3, s7
	s_bcnt1_i32_b64 s18, vcc
	s_add_i32 s3, s3, s17
	s_add_i32 s3, s3, s18
	v_cmp_le_u32_e32 vcc, s2, v22
	s_or_b64 s[78:79], vcc, s[78:79]
	v_mov_b32_e32 v9, s8
	v_mov_b32_e32 v10, s3
	s_andn2_b64 exec, exec, s[78:79]
	s_cbranch_execnz .LBB52_65
; %bb.66:                               ;   in Loop: Header=BB52_15 Depth=1
	s_or_b64 exec, exec, s[78:79]
.LBB52_67:                              ;   in Loop: Header=BB52_15 Depth=1
	s_or_b64 exec, exec, s[76:77]
	v_add_u32_e32 v2, s2, v0
	v_cmp_gt_u32_e32 vcc, s24, v2
	s_and_saveexec_b64 s[18:19], vcc
	s_cbranch_execz .LBB52_71
; %bb.68:                               ;   in Loop: Header=BB52_15 Depth=1
	v_lshlrev_b32_e32 v3, 3, v2
	s_mov_b64 s[2:3], 0
.LBB52_69:                              ;   Parent Loop BB52_15 Depth=1
                                        ; =>  This Inner Loop Header: Depth=2
	ds_read_b64 v[22:23], v3
	v_add_u32_e32 v2, s33, v2
	v_add_u32_e32 v3, s4, v3
	s_waitcnt lgkmcnt(0)
	v_xor_b32_e32 v23, 0x80000000, v23
	v_and_b32_e32 v25, v23, v21
	v_and_b32_e32 v24, v22, v20
	v_lshrrev_b64 v[22:23], s5, v[22:23]
	v_cmp_eq_u64_e32 vcc, v[24:25], v[18:19]
	v_and_b32_e32 v14, 3, v22
	v_cmp_eq_u64_e64 s[6:7], 0, v[14:15]
	s_and_b64 s[6:7], vcc, s[6:7]
	v_cndmask_b32_e64 v4, 0, 1, s[6:7]
	v_cmp_ne_u32_e64 s[6:7], 0, v4
	s_bcnt1_i32_b64 s6, s[6:7]
	v_add_u32_e32 v7, s6, v7
	v_cmp_eq_u64_e64 s[6:7], 1, v[14:15]
	s_and_b64 s[6:7], vcc, s[6:7]
	v_cndmask_b32_e64 v4, 0, 1, s[6:7]
	v_cmp_ne_u32_e64 s[6:7], 0, v4
	s_bcnt1_i32_b64 s6, s[6:7]
	v_add_u32_e32 v8, s6, v8
	;; [unrolled: 6-line block ×3, first 2 shown]
	v_cmp_eq_u64_e64 s[6:7], 3, v[14:15]
	s_and_b64 s[6:7], vcc, s[6:7]
	v_cndmask_b32_e64 v4, 0, 1, s[6:7]
	v_cmp_ne_u32_e32 vcc, 0, v4
	s_bcnt1_i32_b64 s6, vcc
	v_cmp_le_u32_e32 vcc, s24, v2
	v_add_u32_e32 v10, s6, v10
	s_or_b64 s[2:3], vcc, s[2:3]
	s_andn2_b64 exec, exec, s[2:3]
	s_cbranch_execnz .LBB52_69
; %bb.70:                               ;   in Loop: Header=BB52_15 Depth=1
	s_or_b64 exec, exec, s[2:3]
.LBB52_71:                              ;   in Loop: Header=BB52_15 Depth=1
	s_or_b64 exec, exec, s[18:19]
	s_lshl_b32 s6, s41, 6
	s_and_saveexec_b64 s[2:3], s[0:1]
	s_cbranch_execnz .LBB52_45
	s_branch .LBB52_46
.LBB52_72:                              ;   in Loop: Header=BB52_15 Depth=1
	v_mov_b32_e32 v2, 0
	s_mov_b32 s7, 0
.LBB52_73:                              ;   in Loop: Header=BB52_15 Depth=1
	v_readlane_b32 s8, v47, 30
	v_readlane_b32 s9, v47, 31
	s_andn2_b64 vcc, exec, s[8:9]
	s_cbranch_vccnz .LBB52_76
; %bb.74:                               ;   in Loop: Header=BB52_15 Depth=1
	s_lshl_b32 s8, s41, 8
	s_lshl_b32 s7, s7, 4
	s_add_i32 s8, s8, s7
	v_add_u32_e32 v3, s8, v41
	v_readlane_b32 s7, v47, 29
.LBB52_75:                              ;   Parent Loop BB52_15 Depth=1
                                        ; =>  This Inner Loop Header: Depth=2
	ds_read_b32 v4, v3
	s_add_i32 s7, s7, -1
	v_add_u32_e32 v3, 16, v3
	s_cmp_lg_u32 s7, 0
	s_waitcnt lgkmcnt(0)
	v_add_u32_e32 v2, v4, v2
	s_cbranch_scc1 .LBB52_75
.LBB52_76:                              ;   in Loop: Header=BB52_15 Depth=1
	v_add_lshl_u32 v3, s6, v30, 2
	ds_write_b32 v3, v2 offset:3072
.LBB52_77:                              ;   in Loop: Header=BB52_15 Depth=1
	s_or_b64 exec, exec, s[2:3]
	s_lshl_b32 s2, s6, 2
	v_mov_b32_e32 v2, s2
	s_waitcnt lgkmcnt(0)
	s_barrier
	ds_read_b128 v[7:10], v2 offset:3072
	v_readlane_b32 s2, v47, 10
	s_lshl_b64 s[22:23], 3, s5
	v_readlane_b32 s3, v47, 11
	s_not_b64 s[76:77], s[22:23]
	s_waitcnt lgkmcnt(0)
	v_readfirstlane_b32 s30, v7
	v_readfirstlane_b32 s31, v8
	;; [unrolled: 1-line block ×4, first 2 shown]
	v_cmp_eq_u32_e64 s[18:19], 1, v42
	s_mov_b64 s[86:87], -1
	s_mov_b64 s[20:21], 0
	s_andn2_b64 vcc, exec, s[2:3]
	s_mov_b64 s[80:81], 0
	s_mov_b64 s[78:79], 0
                                        ; implicit-def: $sgpr82_sgpr83
                                        ; implicit-def: $sgpr84_sgpr85
                                        ; implicit-def: $vgpr44
                                        ; implicit-def: $vgpr43
                                        ; implicit-def: $vgpr22_vgpr23
                                        ; implicit-def: $vgpr24_vgpr25
                                        ; implicit-def: $vgpr9_vgpr10
	s_cbranch_vccnz .LBB52_239
; %bb.78:                               ;   in Loop: Header=BB52_15 Depth=1
	s_cmp_eq_u32 s30, 1
	s_cselect_b64 s[2:3], -1, 0
	v_mov_b32_e32 v23, v19
	v_mov_b32_e32 v25, v21
	;; [unrolled: 1-line block ×3, first 2 shown]
	s_and_b64 s[6:7], s[2:3], s[18:19]
	s_mov_b64 s[2:3], -1
	v_mov_b32_e32 v22, v18
	v_mov_b32_e32 v24, v20
	;; [unrolled: 1-line block ×3, first 2 shown]
                                        ; implicit-def: $sgpr84_sgpr85
                                        ; implicit-def: $sgpr82_sgpr83
	s_and_saveexec_b64 s[24:25], s[6:7]
	s_cbranch_execz .LBB52_107
; %bb.79:                               ;   in Loop: Header=BB52_15 Depth=1
	ds_read_b32 v2, v15 offset:4096
	s_waitcnt lgkmcnt(0)
	s_barrier
	v_readfirstlane_b32 s48, v2
	s_mov_b64 s[2:3], exec
	v_readlane_b32 s8, v47, 22
	v_readlane_b32 s9, v47, 23
	s_and_b64 s[8:9], s[2:3], s[8:9]
	s_mov_b64 exec, s[8:9]
; %bb.80:                               ;   in Loop: Header=BB52_15 Depth=1
	v_mov_b32_e32 v14, v15
	ds_write_b64 v32, v[14:15]
; %bb.81:                               ;   in Loop: Header=BB52_15 Depth=1
	s_or_b64 exec, exec, s[2:3]
	v_and_b32_e32 v23, s77, v19
	v_and_b32_e32 v22, s76, v18
	v_or_b32_e32 v25, s23, v21
	v_or_b32_e32 v24, s22, v20
	s_mov_b64 s[82:83], -1
	s_mov_b64 s[84:85], 0
	s_cmp_eq_u32 s48, 0
	s_mov_b64 s[2:3], 0
	s_mov_b64 s[16:17], -1
	s_waitcnt lgkmcnt(0)
	s_barrier
                                        ; implicit-def: $vgpr9_vgpr10
	s_cbranch_scc1 .LBB52_95
; %bb.82:                               ;   in Loop: Header=BB52_15 Depth=1
	v_readlane_b32 s2, v47, 24
	s_add_i32 s2, s48, s2
	v_readlane_b32 s3, v47, 37
	s_mul_hi_u32 s3, s2, s3
	s_mul_i32 s3, s3, s33
	s_sub_i32 s3, s2, s3
	s_sub_i32 s8, s3, s33
	s_cmp_ge_u32 s3, s33
	s_cselect_b32 s3, s8, s3
	s_sub_i32 s8, s3, s33
	s_cmp_ge_u32 s3, s33
	s_cselect_b32 s3, s8, s3
	s_sub_i32 s49, s2, s3
	v_cmp_gt_u32_e32 vcc, s49, v0
	s_mov_b64 s[16:17], 0
	s_mov_b64 s[2:3], 0
                                        ; implicit-def: $vgpr9_vgpr10
	s_and_saveexec_b64 s[8:9], vcc
	s_cbranch_execz .LBB52_94
; %bb.83:                               ;   in Loop: Header=BB52_15 Depth=1
	v_mov_b32_e32 v14, v31
	v_mov_b32_e32 v43, v0
                                        ; implicit-def: $sgpr36_sgpr37
	s_branch .LBB52_86
.LBB52_84:                              ;   in Loop: Header=BB52_86 Depth=2
	s_or_b64 exec, exec, s[38:39]
	s_waitcnt lgkmcnt(0)
	s_barrier
	ds_read_b128 v[7:10], v15 offset:3072
	s_mov_b64 s[38:39], -1
	s_mov_b64 s[44:45], -1
	s_waitcnt lgkmcnt(0)
	s_barrier
	v_cmp_ne_u64_e32 vcc, 0, v[7:8]
	s_cbranch_vccz .LBB52_89
.LBB52_85:                              ;   in Loop: Header=BB52_86 Depth=2
	s_and_b64 s[38:39], exec, s[38:39]
	s_or_b64 s[2:3], s[38:39], s[2:3]
	s_andn2_b64 s[36:37], s[36:37], exec
	s_and_b64 s[38:39], s[44:45], exec
	s_or_b64 s[36:37], s[36:37], s[38:39]
	s_andn2_b64 exec, exec, s[2:3]
	s_cbranch_execz .LBB52_93
.LBB52_86:                              ;   Parent Loop BB52_15 Depth=1
                                        ; =>  This Inner Loop Header: Depth=2
	v_cmp_gt_u32_e32 vcc, s48, v43
	s_and_saveexec_b64 s[38:39], vcc
	s_cbranch_execz .LBB52_84
; %bb.87:                               ;   in Loop: Header=BB52_86 Depth=2
	ds_read_b64 v[3:4], v14
	s_waitcnt lgkmcnt(0)
	v_xor_b32_e32 v2, 0x80000000, v4
	v_and_b32_e32 v8, v2, v25
	v_and_b32_e32 v7, v3, v24
	v_cmp_eq_u64_e32 vcc, v[7:8], v[22:23]
	s_and_b64 exec, exec, vcc
	s_cbranch_execz .LBB52_84
; %bb.88:                               ;   in Loop: Header=BB52_86 Depth=2
	v_mov_b32_e32 v2, v15
	ds_write_b128 v15, v[1:4] offset:3072
	s_branch .LBB52_84
.LBB52_89:                              ;   in Loop: Header=BB52_86 Depth=2
	v_add_u32_e32 v43, s33, v43
	v_cmp_le_u32_e32 vcc, s49, v43
	v_add_u32_e32 v14, s4, v14
	s_mov_b64 s[44:45], 0
	s_orn2_b64 s[38:39], vcc, exec
	s_branch .LBB52_85
.LBB52_90:                              ;   in Loop: Header=BB52_15 Depth=1
	s_or_b64 exec, exec, s[16:17]
	s_waitcnt lgkmcnt(0)
	s_barrier
	s_mov_b64 s[6:7], exec
	v_readlane_b32 s8, v47, 6
	v_readlane_b32 s9, v47, 7
	s_and_b64 s[8:9], s[6:7], s[8:9]
	s_mov_b64 exec, s[8:9]
	s_cbranch_execz .LBB52_92
; %bb.91:                               ;   in Loop: Header=BB52_15 Depth=1
	ds_read_b32 v2, v15 offset:4104
	s_waitcnt lgkmcnt(0)
	ds_write_b32 v15, v2 offset:4096
.LBB52_92:                              ;   in Loop: Header=BB52_15 Depth=1
	s_or_b64 exec, exec, s[6:7]
	s_waitcnt lgkmcnt(0)
	s_barrier
	s_mov_b64 s[6:7], -1
	s_and_b64 vcc, exec, s[2:3]
	s_cbranch_vccnz .LBB52_31
	s_branch .LBB52_40
.LBB52_93:                              ;   in Loop: Header=BB52_15 Depth=1
	s_or_b64 exec, exec, s[2:3]
	s_and_b64 s[2:3], s[36:37], exec
.LBB52_94:                              ;   in Loop: Header=BB52_15 Depth=1
	s_or_b64 exec, exec, s[8:9]
.LBB52_95:                              ;   in Loop: Header=BB52_15 Depth=1
	s_and_b64 vcc, exec, s[16:17]
	s_cbranch_vccz .LBB52_106
; %bb.96:                               ;   in Loop: Header=BB52_15 Depth=1
                                        ; implicit-def: $vgpr9_vgpr10
	s_mov_b64 s[8:9], exec
	v_readlane_b32 s16, v47, 38
	v_readlane_b32 s17, v47, 39
	s_and_b64 s[16:17], s[8:9], s[16:17]
	s_mov_b64 exec, s[16:17]
	s_cbranch_execz .LBB52_105
; %bb.97:                               ;   in Loop: Header=BB52_15 Depth=1
	s_mov_b64 s[36:37], 0
	v_mov_b32_e32 v14, v13
	v_mov_b32_e32 v43, v0
                                        ; implicit-def: $sgpr16_sgpr17
	s_branch .LBB52_100
.LBB52_98:                              ;   in Loop: Header=BB52_100 Depth=2
	s_or_b64 exec, exec, s[38:39]
	s_waitcnt lgkmcnt(0)
	s_barrier
	ds_read_b128 v[7:10], v15 offset:3072
	s_mov_b64 s[38:39], -1
	s_mov_b64 s[44:45], -1
	s_waitcnt lgkmcnt(0)
	s_barrier
	v_cmp_ne_u64_e32 vcc, 0, v[7:8]
	s_cbranch_vccz .LBB52_103
.LBB52_99:                              ;   in Loop: Header=BB52_100 Depth=2
	s_and_b64 s[38:39], exec, s[38:39]
	s_or_b64 s[36:37], s[38:39], s[36:37]
	s_andn2_b64 s[16:17], s[16:17], exec
	s_and_b64 s[38:39], s[44:45], exec
	s_or_b64 s[16:17], s[16:17], s[38:39]
	s_andn2_b64 exec, exec, s[36:37]
	s_cbranch_execz .LBB52_104
.LBB52_100:                             ;   Parent Loop BB52_15 Depth=1
                                        ; =>  This Inner Loop Header: Depth=2
	v_cmp_gt_u32_e32 vcc, s28, v43
	s_and_saveexec_b64 s[38:39], vcc
	s_cbranch_execz .LBB52_98
; %bb.101:                              ;   in Loop: Header=BB52_100 Depth=2
	v_lshlrev_b64 v[2:3], 3, v[14:15]
	v_mov_b32_e32 v4, s40
	v_add_co_u32_e32 v2, vcc, s34, v2
	v_addc_co_u32_e32 v3, vcc, v4, v3, vcc
	global_load_dwordx2 v[3:4], v[2:3], off
	s_waitcnt vmcnt(0)
	v_xor_b32_e32 v2, 0x80000000, v4
	v_and_b32_e32 v8, v2, v25
	v_and_b32_e32 v7, v3, v24
	v_cmp_eq_u64_e32 vcc, v[7:8], v[22:23]
	s_and_b64 exec, exec, vcc
	s_cbranch_execz .LBB52_98
; %bb.102:                              ;   in Loop: Header=BB52_100 Depth=2
	v_mov_b32_e32 v2, v15
	ds_write_b128 v15, v[1:4] offset:3072
	s_branch .LBB52_98
.LBB52_103:                             ;   in Loop: Header=BB52_100 Depth=2
	v_add_u32_e32 v43, s33, v43
	v_cmp_le_u32_e32 vcc, s12, v43
	v_add_u32_e32 v14, s46, v14
	s_mov_b64 s[44:45], 0
	s_orn2_b64 s[38:39], vcc, exec
	s_branch .LBB52_99
.LBB52_104:                             ;   in Loop: Header=BB52_15 Depth=1
	s_or_b64 exec, exec, s[36:37]
	s_andn2_b64 s[2:3], s[2:3], exec
	s_and_b64 s[16:17], s[16:17], exec
	s_or_b64 s[2:3], s[2:3], s[16:17]
.LBB52_105:                             ;   in Loop: Header=BB52_15 Depth=1
	s_or_b64 exec, exec, s[8:9]
	s_mov_b64 s[82:83], 0
	s_mov_b64 s[84:85], -1
.LBB52_106:                             ;   in Loop: Header=BB52_15 Depth=1
	s_orn2_b64 s[2:3], s[2:3], exec
.LBB52_107:                             ;   in Loop: Header=BB52_15 Depth=1
	s_or_b64 exec, exec, s[24:25]
	s_mov_b64 s[86:87], 0
	s_mov_b64 s[80:81], 0
	;; [unrolled: 1-line block ×3, first 2 shown]
                                        ; implicit-def: $vgpr44
                                        ; implicit-def: $vgpr43
	s_and_saveexec_b64 s[88:89], s[2:3]
	s_cbranch_execz .LBB52_238
; %bb.108:                              ;   in Loop: Header=BB52_15 Depth=1
	s_xor_b64 s[8:9], s[6:7], -1
	s_mov_b64 s[6:7], 0
	v_mov_b32_e32 v44, 1
	v_mov_b32_e32 v43, 1
	s_and_saveexec_b64 s[2:3], s[8:9]
	s_cbranch_execz .LBB52_117
; %bb.109:                              ;   in Loop: Header=BB52_15 Depth=1
	v_cmp_ge_u32_e32 vcc, s30, v42
	s_and_saveexec_b64 s[6:7], vcc
	s_xor_b64 s[6:7], exec, s[6:7]
	s_cbranch_execz .LBB52_114
; %bb.110:                              ;   in Loop: Header=BB52_15 Depth=1
	ds_read_b32 v2, v15 offset:4096
	v_and_b32_e32 v23, s77, v23
	v_and_b32_e32 v22, s76, v22
	v_or_b32_e32 v25, s23, v25
	v_or_b32_e32 v24, s22, v24
	s_waitcnt lgkmcnt(0)
	v_cmp_ne_u32_e32 vcc, 0, v2
	s_cbranch_vccnz .LBB52_114
; %bb.111:                              ;   in Loop: Header=BB52_15 Depth=1
	s_mov_b64 s[8:9], exec
	v_readlane_b32 s16, v47, 6
	v_readlane_b32 s17, v47, 7
	s_and_b64 s[16:17], s[8:9], s[16:17]
	s_mov_b64 exec, s[16:17]
; %bb.112:                              ;   in Loop: Header=BB52_15 Depth=1
	v_mov_b32_e32 v2, s30
	ds_write_b32 v15, v2 offset:4100
; %bb.113:                              ;   in Loop: Header=BB52_15 Depth=1
	s_or_b64 exec, exec, s[8:9]
	s_waitcnt lgkmcnt(0)
	s_barrier
.LBB52_114:                             ;   in Loop: Header=BB52_15 Depth=1
	s_or_saveexec_b64 s[6:7], s[6:7]
	s_mov_b64 s[8:9], 0
	v_mov_b32_e32 v43, 8
	v_mov_b32_e32 v44, v42
	s_xor_b64 exec, exec, s[6:7]
; %bb.115:                              ;   in Loop: Header=BB52_15 Depth=1
	s_mov_b64 s[8:9], exec
	v_subrev_u32_e32 v44, s30, v42
	v_mov_b32_e32 v43, 0
; %bb.116:                              ;   in Loop: Header=BB52_15 Depth=1
	s_or_b64 exec, exec, s[6:7]
	s_and_b64 s[6:7], s[8:9], exec
.LBB52_117:                             ;   in Loop: Header=BB52_15 Depth=1
	s_or_b64 exec, exec, s[2:3]
	s_mov_b64 s[2:3], -1
                                        ; implicit-def: $sgpr78_sgpr79
                                        ; implicit-def: $sgpr80_sgpr81
	s_and_saveexec_b64 s[8:9], s[6:7]
	s_xor_b64 s[6:7], exec, s[8:9]
	s_cbranch_execz .LBB52_235
; %bb.118:                              ;   in Loop: Header=BB52_15 Depth=1
	s_cmp_eq_u32 s31, 1
	s_cselect_b64 s[2:3], -1, 0
	v_cmp_eq_u32_e32 vcc, 1, v44
	s_and_b64 s[24:25], s[2:3], vcc
	s_mov_b64 s[2:3], -1
                                        ; implicit-def: $sgpr80_sgpr81
                                        ; implicit-def: $sgpr78_sgpr79
	s_and_saveexec_b64 s[36:37], s[24:25]
	s_cbranch_execz .LBB52_144
; %bb.119:                              ;   in Loop: Header=BB52_15 Depth=1
	ds_read_b32 v2, v15 offset:4096
	s_waitcnt lgkmcnt(0)
	s_barrier
	v_readfirstlane_b32 s50, v2
	s_mov_b64 s[2:3], exec
	v_readlane_b32 s8, v47, 22
	v_readlane_b32 s9, v47, 23
	s_and_b64 s[8:9], s[2:3], s[8:9]
	s_mov_b64 exec, s[8:9]
; %bb.120:                              ;   in Loop: Header=BB52_15 Depth=1
	v_mov_b32_e32 v14, v15
	ds_write_b64 v32, v[14:15]
; %bb.121:                              ;   in Loop: Header=BB52_15 Depth=1
	s_or_b64 exec, exec, s[2:3]
	s_lshl_b64 s[2:3], 1, s5
	v_and_b32_e32 v2, s77, v23
	v_and_b32_e32 v3, s76, v22
	v_or_b32_e32 v23, s3, v2
	v_or_b32_e32 v22, s2, v3
	;; [unrolled: 1-line block ×4, first 2 shown]
	s_mov_b64 s[78:79], -1
	s_mov_b64 s[80:81], 0
	s_cmp_eq_u32 s50, 0
	s_mov_b64 s[2:3], 0
	s_mov_b64 s[16:17], -1
	s_waitcnt lgkmcnt(0)
	s_barrier
                                        ; implicit-def: $vgpr9_vgpr10
	s_cbranch_scc1 .LBB52_132
; %bb.122:                              ;   in Loop: Header=BB52_15 Depth=1
	v_readlane_b32 s2, v47, 24
	s_add_i32 s2, s50, s2
	v_readlane_b32 s3, v47, 37
	s_mul_hi_u32 s3, s2, s3
	s_mul_i32 s3, s3, s33
	s_sub_i32 s3, s2, s3
	s_sub_i32 s8, s3, s33
	s_cmp_ge_u32 s3, s33
	s_cselect_b32 s3, s8, s3
	s_sub_i32 s8, s3, s33
	s_cmp_ge_u32 s3, s33
	s_cselect_b32 s3, s8, s3
	s_sub_i32 s51, s2, s3
	v_cmp_gt_u32_e32 vcc, s51, v0
	s_mov_b64 s[16:17], 0
	s_mov_b64 s[2:3], 0
                                        ; implicit-def: $vgpr9_vgpr10
	s_and_saveexec_b64 s[8:9], vcc
	s_cbranch_execz .LBB52_131
; %bb.123:                              ;   in Loop: Header=BB52_15 Depth=1
	v_mov_b32_e32 v14, v31
	v_mov_b32_e32 v45, v0
                                        ; implicit-def: $sgpr38_sgpr39
	s_branch .LBB52_126
.LBB52_124:                             ;   in Loop: Header=BB52_126 Depth=2
	s_or_b64 exec, exec, s[44:45]
	s_waitcnt lgkmcnt(0)
	s_barrier
	ds_read_b128 v[7:10], v15 offset:3072
	s_mov_b64 s[44:45], -1
	s_mov_b64 s[48:49], -1
	s_waitcnt lgkmcnt(0)
	s_barrier
	v_cmp_ne_u64_e32 vcc, 0, v[7:8]
	s_cbranch_vccz .LBB52_129
.LBB52_125:                             ;   in Loop: Header=BB52_126 Depth=2
	s_and_b64 s[44:45], exec, s[44:45]
	s_or_b64 s[2:3], s[44:45], s[2:3]
	s_andn2_b64 s[38:39], s[38:39], exec
	s_and_b64 s[44:45], s[48:49], exec
	s_or_b64 s[38:39], s[38:39], s[44:45]
	s_andn2_b64 exec, exec, s[2:3]
	s_cbranch_execz .LBB52_130
.LBB52_126:                             ;   Parent Loop BB52_15 Depth=1
                                        ; =>  This Inner Loop Header: Depth=2
	v_cmp_gt_u32_e32 vcc, s50, v45
	s_and_saveexec_b64 s[44:45], vcc
	s_cbranch_execz .LBB52_124
; %bb.127:                              ;   in Loop: Header=BB52_126 Depth=2
	ds_read_b64 v[3:4], v14
	s_waitcnt lgkmcnt(0)
	v_xor_b32_e32 v2, 0x80000000, v4
	v_and_b32_e32 v8, v2, v25
	v_and_b32_e32 v7, v3, v24
	v_cmp_eq_u64_e32 vcc, v[7:8], v[22:23]
	s_and_b64 exec, exec, vcc
	s_cbranch_execz .LBB52_124
; %bb.128:                              ;   in Loop: Header=BB52_126 Depth=2
	v_mov_b32_e32 v2, v15
	ds_write_b128 v15, v[1:4] offset:3072
	s_branch .LBB52_124
.LBB52_129:                             ;   in Loop: Header=BB52_126 Depth=2
	v_add_u32_e32 v45, s33, v45
	v_cmp_le_u32_e32 vcc, s51, v45
	v_add_u32_e32 v14, s4, v14
	s_mov_b64 s[48:49], 0
	s_orn2_b64 s[44:45], vcc, exec
	s_branch .LBB52_125
.LBB52_130:                             ;   in Loop: Header=BB52_15 Depth=1
	s_or_b64 exec, exec, s[2:3]
	s_and_b64 s[2:3], s[38:39], exec
.LBB52_131:                             ;   in Loop: Header=BB52_15 Depth=1
	s_or_b64 exec, exec, s[8:9]
.LBB52_132:                             ;   in Loop: Header=BB52_15 Depth=1
	s_and_b64 vcc, exec, s[16:17]
	s_cbranch_vccz .LBB52_143
; %bb.133:                              ;   in Loop: Header=BB52_15 Depth=1
                                        ; implicit-def: $vgpr9_vgpr10
	s_mov_b64 s[8:9], exec
	v_readlane_b32 s16, v47, 38
	v_readlane_b32 s17, v47, 39
	s_and_b64 s[16:17], s[8:9], s[16:17]
	s_mov_b64 exec, s[16:17]
	s_cbranch_execz .LBB52_142
; %bb.134:                              ;   in Loop: Header=BB52_15 Depth=1
	s_mov_b64 s[16:17], 0
	v_mov_b32_e32 v14, v13
	v_mov_b32_e32 v45, v0
                                        ; implicit-def: $sgpr38_sgpr39
	s_branch .LBB52_137
.LBB52_135:                             ;   in Loop: Header=BB52_137 Depth=2
	s_or_b64 exec, exec, s[44:45]
	s_waitcnt lgkmcnt(0)
	s_barrier
	ds_read_b128 v[7:10], v15 offset:3072
	s_mov_b64 s[44:45], -1
	s_mov_b64 s[48:49], -1
	s_waitcnt lgkmcnt(0)
	s_barrier
	v_cmp_eq_u64_e32 vcc, 0, v[7:8]
	s_cbranch_vccnz .LBB52_140
.LBB52_136:                             ;   in Loop: Header=BB52_137 Depth=2
	s_and_b64 s[44:45], exec, s[44:45]
	s_or_b64 s[16:17], s[44:45], s[16:17]
	s_andn2_b64 s[38:39], s[38:39], exec
	s_and_b64 s[44:45], s[48:49], exec
	s_or_b64 s[38:39], s[38:39], s[44:45]
	s_andn2_b64 exec, exec, s[16:17]
	s_cbranch_execz .LBB52_141
.LBB52_137:                             ;   Parent Loop BB52_15 Depth=1
                                        ; =>  This Inner Loop Header: Depth=2
	v_cmp_gt_u32_e32 vcc, s28, v45
	s_and_saveexec_b64 s[44:45], vcc
	s_cbranch_execz .LBB52_135
; %bb.138:                              ;   in Loop: Header=BB52_137 Depth=2
	v_lshlrev_b64 v[2:3], 3, v[14:15]
	v_mov_b32_e32 v4, s40
	v_add_co_u32_e32 v2, vcc, s34, v2
	v_addc_co_u32_e32 v3, vcc, v4, v3, vcc
	global_load_dwordx2 v[3:4], v[2:3], off
	s_waitcnt vmcnt(0)
	v_xor_b32_e32 v2, 0x80000000, v4
	v_and_b32_e32 v8, v2, v25
	v_and_b32_e32 v7, v3, v24
	v_cmp_eq_u64_e32 vcc, v[7:8], v[22:23]
	s_and_b64 exec, exec, vcc
	s_cbranch_execz .LBB52_135
; %bb.139:                              ;   in Loop: Header=BB52_137 Depth=2
	v_mov_b32_e32 v2, v15
	ds_write_b128 v15, v[1:4] offset:3072
	s_branch .LBB52_135
.LBB52_140:                             ;   in Loop: Header=BB52_137 Depth=2
	v_add_u32_e32 v45, s33, v45
	v_cmp_le_u32_e32 vcc, s12, v45
	v_add_u32_e32 v14, s46, v14
	s_mov_b64 s[48:49], 0
	s_orn2_b64 s[44:45], vcc, exec
	s_branch .LBB52_136
.LBB52_141:                             ;   in Loop: Header=BB52_15 Depth=1
	s_or_b64 exec, exec, s[16:17]
	s_andn2_b64 s[2:3], s[2:3], exec
	s_and_b64 s[16:17], s[38:39], exec
	s_or_b64 s[2:3], s[2:3], s[16:17]
.LBB52_142:                             ;   in Loop: Header=BB52_15 Depth=1
	s_or_b64 exec, exec, s[8:9]
	s_mov_b64 s[78:79], 0
	s_mov_b64 s[80:81], -1
.LBB52_143:                             ;   in Loop: Header=BB52_15 Depth=1
	s_orn2_b64 s[2:3], s[2:3], exec
.LBB52_144:                             ;   in Loop: Header=BB52_15 Depth=1
	s_or_b64 exec, exec, s[36:37]
	s_mov_b64 s[8:9], 0
	s_and_saveexec_b64 s[90:91], s[2:3]
	s_cbranch_execz .LBB52_234
; %bb.145:                              ;   in Loop: Header=BB52_15 Depth=1
	s_xor_b64 s[16:17], s[24:25], -1
	v_mov_b32_e32 v45, 1
	v_mov_b32_e32 v43, 1
	s_and_saveexec_b64 s[2:3], s[16:17]
	s_cbranch_execz .LBB52_154
; %bb.146:                              ;   in Loop: Header=BB52_15 Depth=1
	v_cmp_ge_u32_e32 vcc, s31, v44
	s_and_saveexec_b64 s[8:9], vcc
	s_xor_b64 s[8:9], exec, s[8:9]
	s_cbranch_execz .LBB52_151
; %bb.147:                              ;   in Loop: Header=BB52_15 Depth=1
	s_lshl_b64 s[16:17], 1, s5
	v_and_b32_e32 v2, s77, v23
	v_or_b32_e32 v23, s17, v2
	ds_read_b32 v2, v15 offset:4096
	v_and_b32_e32 v3, s76, v22
	v_or_b32_e32 v22, s16, v3
	v_or_b32_e32 v25, s23, v25
	;; [unrolled: 1-line block ×3, first 2 shown]
	s_waitcnt lgkmcnt(0)
	v_cmp_ne_u32_e32 vcc, 0, v2
	s_cbranch_vccnz .LBB52_151
; %bb.148:                              ;   in Loop: Header=BB52_15 Depth=1
	s_mov_b64 s[16:17], exec
	v_readlane_b32 s24, v47, 6
	v_readlane_b32 s25, v47, 7
	s_and_b64 s[24:25], s[16:17], s[24:25]
	s_mov_b64 exec, s[24:25]
; %bb.149:                              ;   in Loop: Header=BB52_15 Depth=1
	v_mov_b32_e32 v2, s31
	ds_write_b32 v15, v2 offset:4100
; %bb.150:                              ;   in Loop: Header=BB52_15 Depth=1
	s_or_b64 exec, exec, s[16:17]
	s_waitcnt lgkmcnt(0)
	s_barrier
.LBB52_151:                             ;   in Loop: Header=BB52_15 Depth=1
	s_or_saveexec_b64 s[8:9], s[8:9]
	s_mov_b64 s[16:17], 0
	v_mov_b32_e32 v43, 8
	s_xor_b64 exec, exec, s[8:9]
; %bb.152:                              ;   in Loop: Header=BB52_15 Depth=1
	s_mov_b64 s[16:17], exec
	v_subrev_u32_e32 v44, s31, v44
	v_mov_b32_e32 v43, 0
; %bb.153:                              ;   in Loop: Header=BB52_15 Depth=1
	s_or_b64 exec, exec, s[8:9]
	s_and_b64 s[8:9], s[16:17], exec
	v_mov_b32_e32 v45, v44
.LBB52_154:                             ;   in Loop: Header=BB52_15 Depth=1
	s_or_b64 exec, exec, s[2:3]
	s_mov_b64 s[2:3], -1
                                        ; implicit-def: $sgpr94_sgpr95
                                        ; implicit-def: $sgpr36_sgpr37
	s_and_saveexec_b64 s[92:93], s[8:9]
	s_cbranch_execz .LBB52_233
; %bb.155:                              ;   in Loop: Header=BB52_15 Depth=1
	s_cmp_eq_u32 s42, 1
	s_cselect_b64 s[2:3], -1, 0
	v_cmp_eq_u32_e32 vcc, 1, v45
	s_and_b64 s[24:25], s[2:3], vcc
	s_mov_b64 s[2:3], -1
                                        ; implicit-def: $sgpr36_sgpr37
                                        ; implicit-def: $sgpr94_sgpr95
	s_and_saveexec_b64 s[38:39], s[24:25]
	s_cbranch_execz .LBB52_181
; %bb.156:                              ;   in Loop: Header=BB52_15 Depth=1
	ds_read_b32 v2, v15 offset:4096
	s_waitcnt lgkmcnt(0)
	s_barrier
	v_readfirstlane_b32 s52, v2
	s_mov_b64 s[2:3], exec
	v_readlane_b32 s8, v47, 22
	v_readlane_b32 s9, v47, 23
	s_and_b64 s[8:9], s[2:3], s[8:9]
	s_mov_b64 exec, s[8:9]
; %bb.157:                              ;   in Loop: Header=BB52_15 Depth=1
	v_mov_b32_e32 v14, v15
	ds_write_b64 v32, v[14:15]
; %bb.158:                              ;   in Loop: Header=BB52_15 Depth=1
	s_or_b64 exec, exec, s[2:3]
	s_lshl_b64 s[2:3], 2, s5
	v_and_b32_e32 v2, s77, v23
	v_and_b32_e32 v3, s76, v22
	v_or_b32_e32 v23, s3, v2
	v_or_b32_e32 v22, s2, v3
	;; [unrolled: 1-line block ×4, first 2 shown]
	s_mov_b64 s[94:95], -1
	s_mov_b64 s[36:37], 0
	s_cmp_eq_u32 s52, 0
	s_mov_b64 s[2:3], 0
	s_mov_b64 s[16:17], -1
	s_waitcnt lgkmcnt(0)
	s_barrier
                                        ; implicit-def: $vgpr9_vgpr10
	s_cbranch_scc1 .LBB52_169
; %bb.159:                              ;   in Loop: Header=BB52_15 Depth=1
	v_readlane_b32 s2, v47, 24
	s_add_i32 s2, s52, s2
	v_readlane_b32 s3, v47, 37
	s_mul_hi_u32 s3, s2, s3
	s_mul_i32 s3, s3, s33
	s_sub_i32 s3, s2, s3
	s_sub_i32 s8, s3, s33
	s_cmp_ge_u32 s3, s33
	s_cselect_b32 s3, s8, s3
	s_sub_i32 s8, s3, s33
	s_cmp_ge_u32 s3, s33
	s_cselect_b32 s3, s8, s3
	s_sub_i32 s53, s2, s3
	v_cmp_gt_u32_e32 vcc, s53, v0
	s_mov_b64 s[16:17], 0
	s_mov_b64 s[2:3], 0
                                        ; implicit-def: $vgpr9_vgpr10
	s_and_saveexec_b64 s[8:9], vcc
	s_cbranch_execz .LBB52_168
; %bb.160:                              ;   in Loop: Header=BB52_15 Depth=1
	v_mov_b32_e32 v14, v31
	v_mov_b32_e32 v44, v0
                                        ; implicit-def: $sgpr44_sgpr45
	s_branch .LBB52_163
.LBB52_161:                             ;   in Loop: Header=BB52_163 Depth=2
	s_or_b64 exec, exec, s[48:49]
	s_waitcnt lgkmcnt(0)
	s_barrier
	ds_read_b128 v[7:10], v15 offset:3072
	s_mov_b64 s[48:49], -1
	s_mov_b64 s[50:51], -1
	s_waitcnt lgkmcnt(0)
	s_barrier
	v_cmp_ne_u64_e32 vcc, 0, v[7:8]
	s_cbranch_vccz .LBB52_166
.LBB52_162:                             ;   in Loop: Header=BB52_163 Depth=2
	s_and_b64 s[48:49], exec, s[48:49]
	s_or_b64 s[2:3], s[48:49], s[2:3]
	s_andn2_b64 s[44:45], s[44:45], exec
	s_and_b64 s[48:49], s[50:51], exec
	s_or_b64 s[44:45], s[44:45], s[48:49]
	s_andn2_b64 exec, exec, s[2:3]
	s_cbranch_execz .LBB52_167
.LBB52_163:                             ;   Parent Loop BB52_15 Depth=1
                                        ; =>  This Inner Loop Header: Depth=2
	v_cmp_gt_u32_e32 vcc, s52, v44
	s_and_saveexec_b64 s[48:49], vcc
	s_cbranch_execz .LBB52_161
; %bb.164:                              ;   in Loop: Header=BB52_163 Depth=2
	ds_read_b64 v[3:4], v14
	s_waitcnt lgkmcnt(0)
	v_xor_b32_e32 v2, 0x80000000, v4
	v_and_b32_e32 v8, v2, v25
	v_and_b32_e32 v7, v3, v24
	v_cmp_eq_u64_e32 vcc, v[7:8], v[22:23]
	s_and_b64 exec, exec, vcc
	s_cbranch_execz .LBB52_161
; %bb.165:                              ;   in Loop: Header=BB52_163 Depth=2
	v_mov_b32_e32 v2, v15
	ds_write_b128 v15, v[1:4] offset:3072
	s_branch .LBB52_161
.LBB52_166:                             ;   in Loop: Header=BB52_163 Depth=2
	v_add_u32_e32 v44, s33, v44
	v_cmp_le_u32_e32 vcc, s53, v44
	v_add_u32_e32 v14, s4, v14
	s_mov_b64 s[50:51], 0
	s_orn2_b64 s[48:49], vcc, exec
	s_branch .LBB52_162
.LBB52_167:                             ;   in Loop: Header=BB52_15 Depth=1
	s_or_b64 exec, exec, s[2:3]
	s_and_b64 s[2:3], s[44:45], exec
.LBB52_168:                             ;   in Loop: Header=BB52_15 Depth=1
	s_or_b64 exec, exec, s[8:9]
.LBB52_169:                             ;   in Loop: Header=BB52_15 Depth=1
	s_and_b64 vcc, exec, s[16:17]
	s_cbranch_vccz .LBB52_180
; %bb.170:                              ;   in Loop: Header=BB52_15 Depth=1
                                        ; implicit-def: $vgpr9_vgpr10
	s_mov_b64 s[8:9], exec
	v_readlane_b32 s16, v47, 38
	v_readlane_b32 s17, v47, 39
	s_and_b64 s[16:17], s[8:9], s[16:17]
	s_mov_b64 exec, s[16:17]
	s_cbranch_execz .LBB52_179
; %bb.171:                              ;   in Loop: Header=BB52_15 Depth=1
	s_mov_b64 s[16:17], 0
	v_mov_b32_e32 v14, v13
	v_mov_b32_e32 v44, v0
                                        ; implicit-def: $sgpr36_sgpr37
	s_branch .LBB52_174
.LBB52_172:                             ;   in Loop: Header=BB52_174 Depth=2
	s_or_b64 exec, exec, s[44:45]
	s_waitcnt lgkmcnt(0)
	s_barrier
	ds_read_b128 v[7:10], v15 offset:3072
	s_mov_b64 s[44:45], -1
	s_mov_b64 s[48:49], -1
	s_waitcnt lgkmcnt(0)
	s_barrier
	v_cmp_eq_u64_e32 vcc, 0, v[7:8]
	s_cbranch_vccnz .LBB52_177
.LBB52_173:                             ;   in Loop: Header=BB52_174 Depth=2
	s_and_b64 s[44:45], exec, s[44:45]
	s_or_b64 s[16:17], s[44:45], s[16:17]
	s_andn2_b64 s[36:37], s[36:37], exec
	s_and_b64 s[44:45], s[48:49], exec
	s_or_b64 s[36:37], s[36:37], s[44:45]
	s_andn2_b64 exec, exec, s[16:17]
	s_cbranch_execz .LBB52_178
.LBB52_174:                             ;   Parent Loop BB52_15 Depth=1
                                        ; =>  This Inner Loop Header: Depth=2
	v_cmp_gt_u32_e32 vcc, s28, v44
	s_and_saveexec_b64 s[44:45], vcc
	s_cbranch_execz .LBB52_172
; %bb.175:                              ;   in Loop: Header=BB52_174 Depth=2
	v_lshlrev_b64 v[2:3], 3, v[14:15]
	v_mov_b32_e32 v4, s40
	v_add_co_u32_e32 v2, vcc, s34, v2
	v_addc_co_u32_e32 v3, vcc, v4, v3, vcc
	global_load_dwordx2 v[3:4], v[2:3], off
	s_waitcnt vmcnt(0)
	v_xor_b32_e32 v2, 0x80000000, v4
	v_and_b32_e32 v8, v2, v25
	v_and_b32_e32 v7, v3, v24
	v_cmp_eq_u64_e32 vcc, v[7:8], v[22:23]
	s_and_b64 exec, exec, vcc
	s_cbranch_execz .LBB52_172
; %bb.176:                              ;   in Loop: Header=BB52_174 Depth=2
	v_mov_b32_e32 v2, v15
	ds_write_b128 v15, v[1:4] offset:3072
	s_branch .LBB52_172
.LBB52_177:                             ;   in Loop: Header=BB52_174 Depth=2
	v_add_u32_e32 v44, s33, v44
	v_cmp_le_u32_e32 vcc, s12, v44
	v_add_u32_e32 v14, s46, v14
	s_mov_b64 s[48:49], 0
	s_orn2_b64 s[44:45], vcc, exec
	s_branch .LBB52_173
.LBB52_178:                             ;   in Loop: Header=BB52_15 Depth=1
	s_or_b64 exec, exec, s[16:17]
	s_andn2_b64 s[2:3], s[2:3], exec
	s_and_b64 s[16:17], s[36:37], exec
	s_or_b64 s[2:3], s[2:3], s[16:17]
.LBB52_179:                             ;   in Loop: Header=BB52_15 Depth=1
	s_or_b64 exec, exec, s[8:9]
	s_mov_b64 s[94:95], 0
	s_mov_b64 s[36:37], -1
.LBB52_180:                             ;   in Loop: Header=BB52_15 Depth=1
	s_orn2_b64 s[2:3], s[2:3], exec
.LBB52_181:                             ;   in Loop: Header=BB52_15 Depth=1
	s_or_b64 exec, exec, s[38:39]
	s_mov_b64 s[8:9], 0
	s_and_saveexec_b64 s[38:39], s[2:3]
	s_cbranch_execz .LBB52_232
; %bb.182:                              ;   in Loop: Header=BB52_15 Depth=1
	s_xor_b64 s[16:17], s[24:25], -1
	v_mov_b32_e32 v44, 1
	v_mov_b32_e32 v43, 1
	s_and_saveexec_b64 s[2:3], s[16:17]
	s_cbranch_execz .LBB52_191
; %bb.183:                              ;   in Loop: Header=BB52_15 Depth=1
	v_cmp_ge_u32_e32 vcc, s42, v45
	s_and_saveexec_b64 s[8:9], vcc
	s_xor_b64 s[8:9], exec, s[8:9]
	s_cbranch_execz .LBB52_188
; %bb.184:                              ;   in Loop: Header=BB52_15 Depth=1
	s_lshl_b64 s[16:17], 2, s5
	v_and_b32_e32 v2, s77, v23
	v_or_b32_e32 v23, s17, v2
	ds_read_b32 v2, v15 offset:4096
	v_and_b32_e32 v3, s76, v22
	v_or_b32_e32 v22, s16, v3
	v_or_b32_e32 v25, s23, v25
	;; [unrolled: 1-line block ×3, first 2 shown]
	s_waitcnt lgkmcnt(0)
	v_cmp_ne_u32_e32 vcc, 0, v2
	s_cbranch_vccnz .LBB52_188
; %bb.185:                              ;   in Loop: Header=BB52_15 Depth=1
	s_mov_b64 s[16:17], exec
	v_readlane_b32 s24, v47, 6
	v_readlane_b32 s25, v47, 7
	s_and_b64 s[24:25], s[16:17], s[24:25]
	s_mov_b64 exec, s[24:25]
; %bb.186:                              ;   in Loop: Header=BB52_15 Depth=1
	v_mov_b32_e32 v2, s42
	ds_write_b32 v15, v2 offset:4100
; %bb.187:                              ;   in Loop: Header=BB52_15 Depth=1
	s_or_b64 exec, exec, s[16:17]
	s_waitcnt lgkmcnt(0)
	s_barrier
.LBB52_188:                             ;   in Loop: Header=BB52_15 Depth=1
	s_or_saveexec_b64 s[8:9], s[8:9]
	s_mov_b64 s[16:17], 0
	v_mov_b32_e32 v43, 8
	s_xor_b64 exec, exec, s[8:9]
; %bb.189:                              ;   in Loop: Header=BB52_15 Depth=1
	s_mov_b64 s[16:17], exec
	v_subrev_u32_e32 v45, s42, v45
	v_mov_b32_e32 v43, 0
; %bb.190:                              ;   in Loop: Header=BB52_15 Depth=1
	s_or_b64 exec, exec, s[8:9]
	s_and_b64 s[8:9], s[16:17], exec
	v_mov_b32_e32 v44, v45
.LBB52_191:                             ;   in Loop: Header=BB52_15 Depth=1
	s_or_b64 exec, exec, s[2:3]
	s_mov_b64 s[2:3], -1
                                        ; implicit-def: $sgpr52_sgpr53
                                        ; implicit-def: $sgpr50_sgpr51
	s_and_saveexec_b64 s[24:25], s[8:9]
	s_cbranch_execz .LBB52_231
; %bb.192:                              ;   in Loop: Header=BB52_15 Depth=1
	s_cmp_eq_u32 s43, 1
	s_cselect_b64 s[2:3], -1, 0
	v_cmp_eq_u32_e32 vcc, 1, v44
	s_mov_b64 s[8:9], -1
	s_and_b64 s[16:17], s[2:3], vcc
                                        ; implicit-def: $sgpr52_sgpr53
                                        ; implicit-def: $sgpr50_sgpr51
	s_mov_b64 s[2:3], exec
	v_writelane_b32 v47, s16, 40
	v_writelane_b32 v47, s17, 41
	s_and_b64 s[16:17], s[2:3], s[16:17]
	s_mov_b64 exec, s[16:17]
	s_cbranch_execz .LBB52_219
; %bb.193:                              ;   in Loop: Header=BB52_15 Depth=1
	ds_read_b32 v2, v15 offset:4096
	s_waitcnt lgkmcnt(0)
	s_barrier
	v_readfirstlane_b32 s52, v2
	s_mov_b64 s[8:9], exec
	v_readlane_b32 s16, v47, 22
	v_readlane_b32 s17, v47, 23
	s_and_b64 s[16:17], s[8:9], s[16:17]
	s_mov_b64 exec, s[16:17]
; %bb.194:                              ;   in Loop: Header=BB52_15 Depth=1
	v_mov_b32_e32 v14, v15
	ds_write_b64 v32, v[14:15]
; %bb.195:                              ;   in Loop: Header=BB52_15 Depth=1
	s_or_b64 exec, exec, s[8:9]
	v_or_b32_e32 v23, s23, v23
	v_or_b32_e32 v22, s22, v22
	v_or_b32_e32 v25, s23, v25
	v_or_b32_e32 v24, s22, v24
	s_mov_b64 s[50:51], -1
	s_cmp_eq_u32 s52, 0
	s_mov_b64 s[16:17], 0
	s_mov_b64 s[8:9], -1
	s_waitcnt lgkmcnt(0)
	s_barrier
                                        ; implicit-def: $vgpr9_vgpr10
	s_cbranch_scc1 .LBB52_206
; %bb.196:                              ;   in Loop: Header=BB52_15 Depth=1
	v_readlane_b32 s8, v47, 24
	s_add_i32 s8, s52, s8
	v_readlane_b32 s9, v47, 37
	s_mul_hi_u32 s9, s8, s9
	s_mul_i32 s9, s9, s33
	s_sub_i32 s9, s8, s9
	s_sub_i32 s16, s9, s33
	s_cmp_ge_u32 s9, s33
	s_cselect_b32 s9, s16, s9
	s_sub_i32 s16, s9, s33
	s_cmp_ge_u32 s9, s33
	s_cselect_b32 s9, s16, s9
	s_sub_i32 s53, s8, s9
	s_mov_b64 s[8:9], 0
	s_mov_b64 s[16:17], 0
	v_cmp_gt_u32_e32 vcc, s53, v0
                                        ; implicit-def: $vgpr9_vgpr10
	s_mov_b64 s[44:45], exec
	v_writelane_b32 v47, s44, 42
	v_writelane_b32 v47, s45, 43
	s_and_b64 s[44:45], s[44:45], vcc
	s_mov_b64 exec, s[44:45]
	s_cbranch_execz .LBB52_205
; %bb.197:                              ;   in Loop: Header=BB52_15 Depth=1
	v_mov_b32_e32 v14, v31
	v_mov_b32_e32 v45, v0
                                        ; implicit-def: $sgpr48_sgpr49
	s_branch .LBB52_200
.LBB52_198:                             ;   in Loop: Header=BB52_200 Depth=2
	s_or_b64 exec, exec, s[44:45]
	s_waitcnt lgkmcnt(0)
	s_barrier
	ds_read_b128 v[7:10], v15 offset:3072
	s_mov_b64 s[44:45], -1
	s_mov_b64 s[50:51], -1
	s_waitcnt lgkmcnt(0)
	s_barrier
	v_cmp_ne_u64_e32 vcc, 0, v[7:8]
	s_cbranch_vccz .LBB52_203
.LBB52_199:                             ;   in Loop: Header=BB52_200 Depth=2
	s_and_b64 s[44:45], exec, s[44:45]
	s_or_b64 s[16:17], s[44:45], s[16:17]
	s_andn2_b64 s[44:45], s[48:49], exec
	s_and_b64 s[48:49], s[50:51], exec
	s_or_b64 s[48:49], s[44:45], s[48:49]
	s_andn2_b64 exec, exec, s[16:17]
	s_cbranch_execz .LBB52_204
.LBB52_200:                             ;   Parent Loop BB52_15 Depth=1
                                        ; =>  This Inner Loop Header: Depth=2
	v_cmp_gt_u32_e32 vcc, s52, v45
	s_and_saveexec_b64 s[44:45], vcc
	s_cbranch_execz .LBB52_198
; %bb.201:                              ;   in Loop: Header=BB52_200 Depth=2
	ds_read_b64 v[3:4], v14
	s_waitcnt lgkmcnt(0)
	v_xor_b32_e32 v2, 0x80000000, v4
	v_and_b32_e32 v8, v2, v25
	v_and_b32_e32 v7, v3, v24
	v_cmp_eq_u64_e32 vcc, v[7:8], v[22:23]
	s_and_b64 exec, exec, vcc
	s_cbranch_execz .LBB52_198
; %bb.202:                              ;   in Loop: Header=BB52_200 Depth=2
	v_mov_b32_e32 v2, v15
	ds_write_b128 v15, v[1:4] offset:3072
	s_branch .LBB52_198
.LBB52_203:                             ;   in Loop: Header=BB52_200 Depth=2
	v_add_u32_e32 v45, s33, v45
	v_cmp_le_u32_e32 vcc, s53, v45
	v_add_u32_e32 v14, s4, v14
	s_mov_b64 s[50:51], 0
	s_orn2_b64 s[44:45], vcc, exec
	s_branch .LBB52_199
.LBB52_204:                             ;   in Loop: Header=BB52_15 Depth=1
	s_or_b64 exec, exec, s[16:17]
	s_and_b64 s[16:17], s[48:49], exec
	s_mov_b64 s[50:51], -1
.LBB52_205:                             ;   in Loop: Header=BB52_15 Depth=1
	v_readlane_b32 s44, v47, 42
	v_readlane_b32 s45, v47, 43
	s_or_b64 exec, exec, s[44:45]
.LBB52_206:                             ;   in Loop: Header=BB52_15 Depth=1
	s_and_b64 vcc, exec, s[8:9]
	s_cbranch_vccz .LBB52_215
; %bb.207:                              ;   in Loop: Header=BB52_15 Depth=1
                                        ; implicit-def: $vgpr9_vgpr10
	s_mov_b64 s[8:9], exec
	v_readlane_b32 s44, v47, 38
	v_readlane_b32 s45, v47, 39
	s_and_b64 s[44:45], s[8:9], s[44:45]
	s_mov_b64 exec, s[44:45]
	s_cbranch_execz .LBB52_217
; %bb.208:                              ;   in Loop: Header=BB52_15 Depth=1
	s_mov_b64 s[44:45], 0
	v_mov_b32_e32 v14, v13
	v_mov_b32_e32 v45, v0
                                        ; implicit-def: $sgpr50_sgpr51
	s_branch .LBB52_211
.LBB52_209:                             ;   in Loop: Header=BB52_211 Depth=2
	s_or_b64 exec, exec, s[48:49]
	s_waitcnt lgkmcnt(0)
	s_barrier
	ds_read_b128 v[7:10], v15 offset:3072
	s_mov_b64 s[48:49], -1
	s_mov_b64 s[52:53], -1
	s_waitcnt lgkmcnt(0)
	s_barrier
	v_cmp_eq_u64_e32 vcc, 0, v[7:8]
	s_cbranch_vccnz .LBB52_214
.LBB52_210:                             ;   in Loop: Header=BB52_211 Depth=2
	s_and_b64 s[48:49], exec, s[48:49]
	s_or_b64 s[44:45], s[48:49], s[44:45]
	s_andn2_b64 s[48:49], s[50:51], exec
	s_and_b64 s[50:51], s[52:53], exec
	s_or_b64 s[50:51], s[48:49], s[50:51]
	s_andn2_b64 exec, exec, s[44:45]
	s_cbranch_execz .LBB52_216
.LBB52_211:                             ;   Parent Loop BB52_15 Depth=1
                                        ; =>  This Inner Loop Header: Depth=2
	v_cmp_gt_u32_e32 vcc, s28, v45
	s_and_saveexec_b64 s[48:49], vcc
	s_cbranch_execz .LBB52_209
; %bb.212:                              ;   in Loop: Header=BB52_211 Depth=2
	v_lshlrev_b64 v[2:3], 3, v[14:15]
	v_mov_b32_e32 v4, s40
	v_add_co_u32_e32 v2, vcc, s34, v2
	v_addc_co_u32_e32 v3, vcc, v4, v3, vcc
	global_load_dwordx2 v[3:4], v[2:3], off
	s_waitcnt vmcnt(0)
	v_xor_b32_e32 v2, 0x80000000, v4
	v_and_b32_e32 v8, v2, v25
	v_and_b32_e32 v7, v3, v24
	v_cmp_eq_u64_e32 vcc, v[7:8], v[22:23]
	s_and_b64 exec, exec, vcc
	s_cbranch_execz .LBB52_209
; %bb.213:                              ;   in Loop: Header=BB52_211 Depth=2
	v_mov_b32_e32 v2, v15
	ds_write_b128 v15, v[1:4] offset:3072
	s_branch .LBB52_209
.LBB52_214:                             ;   in Loop: Header=BB52_211 Depth=2
	v_add_u32_e32 v45, s33, v45
	v_cmp_le_u32_e32 vcc, s12, v45
	v_add_u32_e32 v14, s46, v14
	s_mov_b64 s[52:53], 0
	s_orn2_b64 s[48:49], vcc, exec
	s_branch .LBB52_210
.LBB52_215:                             ;   in Loop: Header=BB52_15 Depth=1
	s_mov_b64 s[52:53], 0
	s_branch .LBB52_218
.LBB52_216:                             ;   in Loop: Header=BB52_15 Depth=1
	s_or_b64 exec, exec, s[44:45]
	s_andn2_b64 s[16:17], s[16:17], exec
	s_and_b64 s[44:45], s[50:51], exec
	s_or_b64 s[16:17], s[16:17], s[44:45]
.LBB52_217:                             ;   in Loop: Header=BB52_15 Depth=1
	s_or_b64 exec, exec, s[8:9]
	s_mov_b64 s[50:51], 0
	s_mov_b64 s[52:53], -1
.LBB52_218:                             ;   in Loop: Header=BB52_15 Depth=1
	s_orn2_b64 s[8:9], s[16:17], exec
.LBB52_219:                             ;   in Loop: Header=BB52_15 Depth=1
	s_or_b64 exec, exec, s[2:3]
	s_mov_b64 s[16:17], 0
	s_and_saveexec_b64 s[2:3], s[8:9]
	s_cbranch_execz .LBB52_230
; %bb.220:                              ;   in Loop: Header=BB52_15 Depth=1
	v_readlane_b32 s8, v47, 40
	v_readlane_b32 s9, v47, 41
	s_xor_b64 s[16:17], s[8:9], -1
	v_mov_b32_e32 v43, 1
	v_mov_b32_e32 v2, 1
	s_and_saveexec_b64 s[8:9], s[16:17]
	s_cbranch_execz .LBB52_229
; %bb.221:                              ;   in Loop: Header=BB52_15 Depth=1
	v_cmp_ge_u32_e32 vcc, s43, v44
	s_and_saveexec_b64 s[16:17], vcc
	s_xor_b64 s[16:17], exec, s[16:17]
	s_cbranch_execz .LBB52_226
; %bb.222:                              ;   in Loop: Header=BB52_15 Depth=1
	ds_read_b32 v2, v15 offset:4096
	v_or_b32_e32 v23, s23, v23
	v_or_b32_e32 v22, s22, v22
	;; [unrolled: 1-line block ×4, first 2 shown]
	s_waitcnt lgkmcnt(0)
	v_cmp_ne_u32_e32 vcc, 0, v2
	s_cbranch_vccnz .LBB52_226
; %bb.223:                              ;   in Loop: Header=BB52_15 Depth=1
	s_mov_b64 s[44:45], exec
	v_readlane_b32 s48, v47, 6
	v_readlane_b32 s49, v47, 7
	s_and_b64 s[48:49], s[44:45], s[48:49]
	s_mov_b64 exec, s[48:49]
; %bb.224:                              ;   in Loop: Header=BB52_15 Depth=1
	v_mov_b32_e32 v2, s43
	ds_write_b32 v15, v2 offset:4100
; %bb.225:                              ;   in Loop: Header=BB52_15 Depth=1
	s_or_b64 exec, exec, s[44:45]
	s_waitcnt lgkmcnt(0)
	s_barrier
.LBB52_226:                             ;   in Loop: Header=BB52_15 Depth=1
	s_andn2_saveexec_b64 s[16:17], s[16:17]
; %bb.227:                              ;   in Loop: Header=BB52_15 Depth=1
	v_subrev_u32_e32 v44, s43, v44
; %bb.228:                              ;   in Loop: Header=BB52_15 Depth=1
	s_or_b64 exec, exec, s[16:17]
	v_mov_b32_e32 v43, 8
	v_mov_b32_e32 v2, v44
.LBB52_229:                             ;   in Loop: Header=BB52_15 Depth=1
	s_or_b64 exec, exec, s[8:9]
	s_mov_b64 s[16:17], exec
	v_mov_b32_e32 v44, v2
.LBB52_230:                             ;   in Loop: Header=BB52_15 Depth=1
	s_or_b64 exec, exec, s[2:3]
	s_orn2_b64 s[2:3], s[16:17], exec
.LBB52_231:                             ;   in Loop: Header=BB52_15 Depth=1
	s_or_b64 exec, exec, s[24:25]
	s_andn2_b64 s[8:9], s[36:37], exec
	s_and_b64 s[16:17], s[52:53], exec
	s_or_b64 s[36:37], s[8:9], s[16:17]
	s_andn2_b64 s[8:9], s[94:95], exec
	s_and_b64 s[16:17], s[50:51], exec
	s_or_b64 s[94:95], s[8:9], s[16:17]
	s_and_b64 s[8:9], s[2:3], exec
	v_mov_b32_e32 v45, v44
.LBB52_232:                             ;   in Loop: Header=BB52_15 Depth=1
	s_or_b64 exec, exec, s[38:39]
	s_orn2_b64 s[2:3], s[8:9], exec
.LBB52_233:                             ;   in Loop: Header=BB52_15 Depth=1
	s_or_b64 exec, exec, s[92:93]
	s_andn2_b64 s[8:9], s[80:81], exec
	s_and_b64 s[16:17], s[36:37], exec
	s_or_b64 s[80:81], s[8:9], s[16:17]
	s_andn2_b64 s[8:9], s[78:79], exec
	s_and_b64 s[16:17], s[94:95], exec
	s_or_b64 s[78:79], s[8:9], s[16:17]
	s_and_b64 s[8:9], s[2:3], exec
	v_mov_b32_e32 v44, v45
.LBB52_234:                             ;   in Loop: Header=BB52_15 Depth=1
	s_or_b64 exec, exec, s[90:91]
	s_orn2_b64 s[2:3], s[8:9], exec
.LBB52_235:                             ;   in Loop: Header=BB52_15 Depth=1
	s_or_b64 exec, exec, s[6:7]
	s_mov_b64 s[6:7], 0
	s_mov_b64 s[8:9], 0
	s_and_saveexec_b64 s[16:17], s[2:3]
	s_xor_b64 s[2:3], exec, s[16:17]
; %bb.236:                              ;   in Loop: Header=BB52_15 Depth=1
	v_cmp_eq_u32_e32 vcc, 8, v43
	v_cmp_ne_u32_e64 s[6:7], 8, v43
	s_and_b64 s[8:9], s[6:7], exec
	s_and_b64 s[6:7], vcc, exec
; %bb.237:                              ;   in Loop: Header=BB52_15 Depth=1
	s_or_b64 exec, exec, s[2:3]
	s_andn2_b64 s[2:3], s[84:85], exec
	s_and_b64 s[16:17], s[80:81], exec
	s_or_b64 s[84:85], s[2:3], s[16:17]
	s_andn2_b64 s[2:3], s[82:83], exec
	s_and_b64 s[16:17], s[78:79], exec
	s_or_b64 s[82:83], s[2:3], s[16:17]
	s_and_b64 s[78:79], s[8:9], exec
	s_and_b64 s[80:81], s[6:7], exec
.LBB52_238:                             ;   in Loop: Header=BB52_15 Depth=1
	s_or_b64 exec, exec, s[88:89]
.LBB52_239:                             ;   in Loop: Header=BB52_15 Depth=1
	s_and_b64 vcc, exec, s[86:87]
	s_cbranch_vccz .LBB52_252
; %bb.240:                              ;   in Loop: Header=BB52_15 Depth=1
	s_cmp_eq_u32 s43, 1
	s_cselect_b64 s[2:3], -1, 0
	s_and_b64 s[6:7], s[2:3], s[18:19]
	s_mov_b64 s[2:3], -1
                                        ; implicit-def: $sgpr18_sgpr19
                                        ; implicit-def: $sgpr20_sgpr21
	s_and_saveexec_b64 s[24:25], s[6:7]
	s_cbranch_execz .LBB52_267
; %bb.241:                              ;   in Loop: Header=BB52_15 Depth=1
	ds_read_b32 v2, v15 offset:4096
	s_waitcnt lgkmcnt(0)
	s_barrier
	v_readfirstlane_b32 s48, v2
	s_mov_b64 s[2:3], exec
	v_readlane_b32 s8, v47, 22
	v_readlane_b32 s9, v47, 23
	s_and_b64 s[8:9], s[2:3], s[8:9]
	s_mov_b64 exec, s[8:9]
; %bb.242:                              ;   in Loop: Header=BB52_15 Depth=1
	v_mov_b32_e32 v14, v15
	ds_write_b64 v32, v[14:15]
; %bb.243:                              ;   in Loop: Header=BB52_15 Depth=1
	s_or_b64 exec, exec, s[2:3]
	v_or_b32_e32 v19, s23, v19
	v_or_b32_e32 v18, s22, v18
	;; [unrolled: 1-line block ×4, first 2 shown]
	s_mov_b64 s[20:21], -1
	s_mov_b64 s[18:19], 0
	s_cmp_eq_u32 s48, 0
	s_mov_b64 s[2:3], 0
	s_mov_b64 s[8:9], -1
	s_waitcnt lgkmcnt(0)
	s_barrier
                                        ; implicit-def: $vgpr5_vgpr6
	s_cbranch_scc1 .LBB52_255
; %bb.244:                              ;   in Loop: Header=BB52_15 Depth=1
	v_readlane_b32 s2, v47, 24
	s_add_i32 s2, s48, s2
	v_readlane_b32 s3, v47, 37
	s_mul_hi_u32 s3, s2, s3
	s_mul_i32 s3, s3, s33
	s_sub_i32 s3, s2, s3
	s_sub_i32 s8, s3, s33
	s_cmp_ge_u32 s3, s33
	s_cselect_b32 s3, s8, s3
	s_sub_i32 s8, s3, s33
	s_cmp_ge_u32 s3, s33
	s_cselect_b32 s3, s8, s3
	s_sub_i32 s49, s2, s3
	v_cmp_gt_u32_e32 vcc, s49, v0
	s_mov_b64 s[8:9], 0
	s_mov_b64 s[2:3], 0
                                        ; implicit-def: $vgpr5_vgpr6
	s_and_saveexec_b64 s[16:17], vcc
	s_cbranch_execz .LBB52_254
; %bb.245:                              ;   in Loop: Header=BB52_15 Depth=1
	v_mov_b32_e32 v7, v31
	v_mov_b32_e32 v8, v0
                                        ; implicit-def: $sgpr36_sgpr37
	s_branch .LBB52_248
.LBB52_246:                             ;   in Loop: Header=BB52_248 Depth=2
	s_or_b64 exec, exec, s[38:39]
	s_waitcnt lgkmcnt(0)
	s_barrier
	ds_read_b128 v[3:6], v15 offset:3072
	s_mov_b64 s[38:39], -1
	s_mov_b64 s[44:45], -1
	s_waitcnt lgkmcnt(0)
	s_barrier
	v_cmp_ne_u64_e32 vcc, 0, v[3:4]
	s_cbranch_vccz .LBB52_251
.LBB52_247:                             ;   in Loop: Header=BB52_248 Depth=2
	s_and_b64 s[38:39], exec, s[38:39]
	s_or_b64 s[2:3], s[38:39], s[2:3]
	s_andn2_b64 s[36:37], s[36:37], exec
	s_and_b64 s[38:39], s[44:45], exec
	s_or_b64 s[36:37], s[36:37], s[38:39]
	s_andn2_b64 exec, exec, s[2:3]
	s_cbranch_execz .LBB52_253
.LBB52_248:                             ;   Parent Loop BB52_15 Depth=1
                                        ; =>  This Inner Loop Header: Depth=2
	v_cmp_gt_u32_e32 vcc, s48, v8
	s_and_saveexec_b64 s[38:39], vcc
	s_cbranch_execz .LBB52_246
; %bb.249:                              ;   in Loop: Header=BB52_248 Depth=2
	ds_read_b64 v[3:4], v7
	s_waitcnt lgkmcnt(0)
	v_xor_b32_e32 v2, 0x80000000, v4
	v_and_b32_e32 v6, v2, v21
	v_and_b32_e32 v5, v3, v20
	v_cmp_eq_u64_e32 vcc, v[5:6], v[18:19]
	s_and_b64 exec, exec, vcc
	s_cbranch_execz .LBB52_246
; %bb.250:                              ;   in Loop: Header=BB52_248 Depth=2
	v_mov_b32_e32 v2, v15
	ds_write_b128 v15, v[1:4] offset:3072
	s_branch .LBB52_246
.LBB52_251:                             ;   in Loop: Header=BB52_248 Depth=2
	v_add_u32_e32 v8, s33, v8
	v_cmp_le_u32_e32 vcc, s49, v8
	v_add_u32_e32 v7, s4, v7
	s_mov_b64 s[44:45], 0
	s_orn2_b64 s[38:39], vcc, exec
	s_branch .LBB52_247
.LBB52_252:                             ;   in Loop: Header=BB52_15 Depth=1
	v_mov_b32_e32 v18, v22
	v_mov_b32_e32 v20, v24
	v_mov_b32_e32 v5, v9
	s_mov_b64 s[18:19], 0
	v_mov_b32_e32 v19, v23
	v_mov_b32_e32 v21, v25
	;; [unrolled: 1-line block ×3, first 2 shown]
	s_and_saveexec_b64 s[2:3], s[80:81]
	s_cbranch_execnz .LBB52_398
	s_branch .LBB52_399
.LBB52_253:                             ;   in Loop: Header=BB52_15 Depth=1
	s_or_b64 exec, exec, s[2:3]
	s_and_b64 s[2:3], s[36:37], exec
.LBB52_254:                             ;   in Loop: Header=BB52_15 Depth=1
	s_or_b64 exec, exec, s[16:17]
.LBB52_255:                             ;   in Loop: Header=BB52_15 Depth=1
	s_and_b64 vcc, exec, s[8:9]
	s_cbranch_vccz .LBB52_266
; %bb.256:                              ;   in Loop: Header=BB52_15 Depth=1
                                        ; implicit-def: $vgpr5_vgpr6
	s_mov_b64 s[8:9], exec
	v_readlane_b32 s16, v47, 38
	v_readlane_b32 s17, v47, 39
	s_and_b64 s[16:17], s[8:9], s[16:17]
	s_mov_b64 exec, s[16:17]
	s_cbranch_execz .LBB52_265
; %bb.257:                              ;   in Loop: Header=BB52_15 Depth=1
	s_mov_b64 s[18:19], 0
	v_mov_b32_e32 v14, v13
	v_mov_b32_e32 v7, v0
                                        ; implicit-def: $sgpr16_sgpr17
	s_branch .LBB52_260
.LBB52_258:                             ;   in Loop: Header=BB52_260 Depth=2
	s_or_b64 exec, exec, s[20:21]
	s_waitcnt lgkmcnt(0)
	s_barrier
	ds_read_b128 v[3:6], v15 offset:3072
	s_mov_b64 s[20:21], -1
	s_mov_b64 s[36:37], -1
	s_waitcnt lgkmcnt(0)
	s_barrier
	v_cmp_ne_u64_e32 vcc, 0, v[3:4]
	s_cbranch_vccz .LBB52_263
.LBB52_259:                             ;   in Loop: Header=BB52_260 Depth=2
	s_and_b64 s[20:21], exec, s[20:21]
	s_or_b64 s[18:19], s[20:21], s[18:19]
	s_andn2_b64 s[16:17], s[16:17], exec
	s_and_b64 s[20:21], s[36:37], exec
	s_or_b64 s[16:17], s[16:17], s[20:21]
	s_andn2_b64 exec, exec, s[18:19]
	s_cbranch_execz .LBB52_264
.LBB52_260:                             ;   Parent Loop BB52_15 Depth=1
                                        ; =>  This Inner Loop Header: Depth=2
	v_cmp_gt_u32_e32 vcc, s28, v7
	s_and_saveexec_b64 s[20:21], vcc
	s_cbranch_execz .LBB52_258
; %bb.261:                              ;   in Loop: Header=BB52_260 Depth=2
	v_lshlrev_b64 v[2:3], 3, v[14:15]
	v_mov_b32_e32 v4, s40
	v_add_co_u32_e32 v2, vcc, s34, v2
	v_addc_co_u32_e32 v3, vcc, v4, v3, vcc
	global_load_dwordx2 v[3:4], v[2:3], off
	s_waitcnt vmcnt(0)
	v_xor_b32_e32 v2, 0x80000000, v4
	v_and_b32_e32 v6, v2, v21
	v_and_b32_e32 v5, v3, v20
	v_cmp_eq_u64_e32 vcc, v[5:6], v[18:19]
	s_and_b64 exec, exec, vcc
	s_cbranch_execz .LBB52_258
; %bb.262:                              ;   in Loop: Header=BB52_260 Depth=2
	v_mov_b32_e32 v2, v15
	ds_write_b128 v15, v[1:4] offset:3072
	s_branch .LBB52_258
.LBB52_263:                             ;   in Loop: Header=BB52_260 Depth=2
	v_add_u32_e32 v7, s33, v7
	v_cmp_le_u32_e32 vcc, s12, v7
	v_add_u32_e32 v14, s46, v14
	s_mov_b64 s[36:37], 0
	s_orn2_b64 s[20:21], vcc, exec
	s_branch .LBB52_259
.LBB52_264:                             ;   in Loop: Header=BB52_15 Depth=1
	s_or_b64 exec, exec, s[18:19]
	s_andn2_b64 s[2:3], s[2:3], exec
	s_and_b64 s[16:17], s[16:17], exec
	s_or_b64 s[2:3], s[2:3], s[16:17]
.LBB52_265:                             ;   in Loop: Header=BB52_15 Depth=1
	s_or_b64 exec, exec, s[8:9]
	s_mov_b64 s[20:21], 0
	s_mov_b64 s[18:19], -1
.LBB52_266:                             ;   in Loop: Header=BB52_15 Depth=1
	s_orn2_b64 s[2:3], s[2:3], exec
.LBB52_267:                             ;   in Loop: Header=BB52_15 Depth=1
	s_or_b64 exec, exec, s[24:25]
                                        ; implicit-def: $vgpr44
                                        ; implicit-def: $vgpr43
	s_and_saveexec_b64 s[82:83], s[2:3]
	s_cbranch_execz .LBB52_397
; %bb.268:                              ;   in Loop: Header=BB52_15 Depth=1
	s_xor_b64 s[8:9], s[6:7], -1
	s_mov_b64 s[6:7], 0
	v_mov_b32_e32 v44, 1
	v_mov_b32_e32 v43, 1
	s_and_saveexec_b64 s[2:3], s[8:9]
	s_cbranch_execz .LBB52_277
; %bb.269:                              ;   in Loop: Header=BB52_15 Depth=1
	v_cmp_ge_u32_e32 vcc, s43, v42
	s_and_saveexec_b64 s[6:7], vcc
	s_xor_b64 s[6:7], exec, s[6:7]
	s_cbranch_execz .LBB52_274
; %bb.270:                              ;   in Loop: Header=BB52_15 Depth=1
	ds_read_b32 v2, v15 offset:4096
	v_or_b32_e32 v19, s23, v19
	v_or_b32_e32 v18, s22, v18
	;; [unrolled: 1-line block ×4, first 2 shown]
	s_waitcnt lgkmcnt(0)
	v_cmp_ne_u32_e32 vcc, 0, v2
	s_cbranch_vccnz .LBB52_274
; %bb.271:                              ;   in Loop: Header=BB52_15 Depth=1
	s_mov_b64 s[8:9], exec
	v_readlane_b32 s16, v47, 6
	v_readlane_b32 s17, v47, 7
	s_and_b64 s[16:17], s[8:9], s[16:17]
	s_mov_b64 exec, s[16:17]
; %bb.272:                              ;   in Loop: Header=BB52_15 Depth=1
	v_mov_b32_e32 v2, s43
	ds_write_b32 v15, v2 offset:4100
; %bb.273:                              ;   in Loop: Header=BB52_15 Depth=1
	s_or_b64 exec, exec, s[8:9]
	s_waitcnt lgkmcnt(0)
	s_barrier
.LBB52_274:                             ;   in Loop: Header=BB52_15 Depth=1
	s_or_saveexec_b64 s[6:7], s[6:7]
	s_mov_b64 s[8:9], 0
	v_mov_b32_e32 v43, 5
	s_xor_b64 exec, exec, s[6:7]
; %bb.275:                              ;   in Loop: Header=BB52_15 Depth=1
	v_subrev_u32_e32 v42, s43, v42
	v_mov_b32_e32 v43, 0
	s_mov_b64 s[8:9], exec
; %bb.276:                              ;   in Loop: Header=BB52_15 Depth=1
	s_or_b64 exec, exec, s[6:7]
	s_and_b64 s[6:7], s[8:9], exec
	v_mov_b32_e32 v44, v42
.LBB52_277:                             ;   in Loop: Header=BB52_15 Depth=1
	s_or_b64 exec, exec, s[2:3]
	s_mov_b64 s[2:3], -1
                                        ; implicit-def: $sgpr84_sgpr85
                                        ; implicit-def: $sgpr86_sgpr87
	s_and_saveexec_b64 s[8:9], s[6:7]
	s_xor_b64 s[6:7], exec, s[8:9]
	s_cbranch_execz .LBB52_394
; %bb.278:                              ;   in Loop: Header=BB52_15 Depth=1
	s_cmp_eq_u32 s42, 1
	s_cselect_b64 s[2:3], -1, 0
	v_cmp_eq_u32_e32 vcc, 1, v44
	s_and_b64 s[24:25], s[2:3], vcc
	s_mov_b64 s[2:3], -1
                                        ; implicit-def: $sgpr86_sgpr87
                                        ; implicit-def: $sgpr84_sgpr85
	s_and_saveexec_b64 s[36:37], s[24:25]
	s_cbranch_execz .LBB52_304
; %bb.279:                              ;   in Loop: Header=BB52_15 Depth=1
	ds_read_b32 v2, v15 offset:4096
	s_waitcnt lgkmcnt(0)
	s_barrier
	v_readfirstlane_b32 s43, v2
	s_mov_b64 s[2:3], exec
	v_readlane_b32 s8, v47, 22
	v_readlane_b32 s9, v47, 23
	s_and_b64 s[8:9], s[2:3], s[8:9]
	s_mov_b64 exec, s[8:9]
; %bb.280:                              ;   in Loop: Header=BB52_15 Depth=1
	v_mov_b32_e32 v14, v15
	ds_write_b64 v32, v[14:15]
; %bb.281:                              ;   in Loop: Header=BB52_15 Depth=1
	s_or_b64 exec, exec, s[2:3]
	s_lshl_b64 s[2:3], 2, s5
	v_and_b32_e32 v2, s77, v19
	v_and_b32_e32 v3, s76, v18
	v_or_b32_e32 v19, s3, v2
	v_or_b32_e32 v18, s2, v3
	;; [unrolled: 1-line block ×4, first 2 shown]
	s_mov_b64 s[84:85], -1
	s_mov_b64 s[86:87], 0
	s_cmp_eq_u32 s43, 0
	s_mov_b64 s[2:3], 0
	s_mov_b64 s[8:9], -1
	s_waitcnt lgkmcnt(0)
	s_barrier
                                        ; implicit-def: $vgpr5_vgpr6
	s_cbranch_scc1 .LBB52_292
; %bb.282:                              ;   in Loop: Header=BB52_15 Depth=1
	v_readlane_b32 s2, v47, 24
	s_add_i32 s2, s43, s2
	v_readlane_b32 s3, v47, 37
	s_mul_hi_u32 s3, s2, s3
	s_mul_i32 s3, s3, s33
	s_sub_i32 s3, s2, s3
	s_sub_i32 s8, s3, s33
	s_cmp_ge_u32 s3, s33
	s_cselect_b32 s3, s8, s3
	s_sub_i32 s8, s3, s33
	s_cmp_ge_u32 s3, s33
	s_cselect_b32 s3, s8, s3
	s_sub_i32 s50, s2, s3
	v_cmp_gt_u32_e32 vcc, s50, v0
	s_mov_b64 s[8:9], 0
	s_mov_b64 s[2:3], 0
                                        ; implicit-def: $vgpr5_vgpr6
	s_and_saveexec_b64 s[16:17], vcc
	s_cbranch_execz .LBB52_291
; %bb.283:                              ;   in Loop: Header=BB52_15 Depth=1
	v_mov_b32_e32 v7, v31
	v_mov_b32_e32 v8, v0
                                        ; implicit-def: $sgpr38_sgpr39
	s_branch .LBB52_286
.LBB52_284:                             ;   in Loop: Header=BB52_286 Depth=2
	s_or_b64 exec, exec, s[44:45]
	s_waitcnt lgkmcnt(0)
	s_barrier
	ds_read_b128 v[3:6], v15 offset:3072
	s_mov_b64 s[44:45], -1
	s_mov_b64 s[48:49], -1
	s_waitcnt lgkmcnt(0)
	s_barrier
	v_cmp_ne_u64_e32 vcc, 0, v[3:4]
	s_cbranch_vccz .LBB52_289
.LBB52_285:                             ;   in Loop: Header=BB52_286 Depth=2
	s_and_b64 s[44:45], exec, s[44:45]
	s_or_b64 s[2:3], s[44:45], s[2:3]
	s_andn2_b64 s[38:39], s[38:39], exec
	s_and_b64 s[44:45], s[48:49], exec
	s_or_b64 s[38:39], s[38:39], s[44:45]
	s_andn2_b64 exec, exec, s[2:3]
	s_cbranch_execz .LBB52_290
.LBB52_286:                             ;   Parent Loop BB52_15 Depth=1
                                        ; =>  This Inner Loop Header: Depth=2
	v_cmp_gt_u32_e32 vcc, s43, v8
	s_and_saveexec_b64 s[44:45], vcc
	s_cbranch_execz .LBB52_284
; %bb.287:                              ;   in Loop: Header=BB52_286 Depth=2
	ds_read_b64 v[3:4], v7
	s_waitcnt lgkmcnt(0)
	v_xor_b32_e32 v2, 0x80000000, v4
	v_and_b32_e32 v6, v2, v21
	v_and_b32_e32 v5, v3, v20
	v_cmp_eq_u64_e32 vcc, v[5:6], v[18:19]
	s_and_b64 exec, exec, vcc
	s_cbranch_execz .LBB52_284
; %bb.288:                              ;   in Loop: Header=BB52_286 Depth=2
	v_mov_b32_e32 v2, v15
	ds_write_b128 v15, v[1:4] offset:3072
	s_branch .LBB52_284
.LBB52_289:                             ;   in Loop: Header=BB52_286 Depth=2
	v_add_u32_e32 v8, s33, v8
	v_cmp_le_u32_e32 vcc, s50, v8
	v_add_u32_e32 v7, s4, v7
	s_mov_b64 s[48:49], 0
	s_orn2_b64 s[44:45], vcc, exec
	s_branch .LBB52_285
.LBB52_290:                             ;   in Loop: Header=BB52_15 Depth=1
	s_or_b64 exec, exec, s[2:3]
	s_and_b64 s[2:3], s[38:39], exec
.LBB52_291:                             ;   in Loop: Header=BB52_15 Depth=1
	s_or_b64 exec, exec, s[16:17]
.LBB52_292:                             ;   in Loop: Header=BB52_15 Depth=1
	s_and_b64 vcc, exec, s[8:9]
	s_cbranch_vccz .LBB52_303
; %bb.293:                              ;   in Loop: Header=BB52_15 Depth=1
                                        ; implicit-def: $vgpr5_vgpr6
	s_mov_b64 s[8:9], exec
	v_readlane_b32 s16, v47, 38
	v_readlane_b32 s17, v47, 39
	s_and_b64 s[16:17], s[8:9], s[16:17]
	s_mov_b64 exec, s[16:17]
	s_cbranch_execz .LBB52_302
; %bb.294:                              ;   in Loop: Header=BB52_15 Depth=1
	s_mov_b64 s[16:17], 0
	v_mov_b32_e32 v14, v13
	v_mov_b32_e32 v7, v0
                                        ; implicit-def: $sgpr38_sgpr39
	s_branch .LBB52_297
.LBB52_295:                             ;   in Loop: Header=BB52_297 Depth=2
	s_or_b64 exec, exec, s[44:45]
	s_waitcnt lgkmcnt(0)
	s_barrier
	ds_read_b128 v[3:6], v15 offset:3072
	s_mov_b64 s[44:45], -1
	s_mov_b64 s[48:49], -1
	s_waitcnt lgkmcnt(0)
	s_barrier
	v_cmp_eq_u64_e32 vcc, 0, v[3:4]
	s_cbranch_vccnz .LBB52_300
.LBB52_296:                             ;   in Loop: Header=BB52_297 Depth=2
	s_and_b64 s[44:45], exec, s[44:45]
	s_or_b64 s[16:17], s[44:45], s[16:17]
	s_andn2_b64 s[38:39], s[38:39], exec
	s_and_b64 s[44:45], s[48:49], exec
	s_or_b64 s[38:39], s[38:39], s[44:45]
	s_andn2_b64 exec, exec, s[16:17]
	s_cbranch_execz .LBB52_301
.LBB52_297:                             ;   Parent Loop BB52_15 Depth=1
                                        ; =>  This Inner Loop Header: Depth=2
	v_cmp_gt_u32_e32 vcc, s28, v7
	s_and_saveexec_b64 s[44:45], vcc
	s_cbranch_execz .LBB52_295
; %bb.298:                              ;   in Loop: Header=BB52_297 Depth=2
	v_lshlrev_b64 v[2:3], 3, v[14:15]
	v_mov_b32_e32 v4, s40
	v_add_co_u32_e32 v2, vcc, s34, v2
	v_addc_co_u32_e32 v3, vcc, v4, v3, vcc
	global_load_dwordx2 v[3:4], v[2:3], off
	s_waitcnt vmcnt(0)
	v_xor_b32_e32 v2, 0x80000000, v4
	v_and_b32_e32 v6, v2, v21
	v_and_b32_e32 v5, v3, v20
	v_cmp_eq_u64_e32 vcc, v[5:6], v[18:19]
	s_and_b64 exec, exec, vcc
	s_cbranch_execz .LBB52_295
; %bb.299:                              ;   in Loop: Header=BB52_297 Depth=2
	v_mov_b32_e32 v2, v15
	ds_write_b128 v15, v[1:4] offset:3072
	s_branch .LBB52_295
.LBB52_300:                             ;   in Loop: Header=BB52_297 Depth=2
	v_add_u32_e32 v7, s33, v7
	v_cmp_le_u32_e32 vcc, s12, v7
	v_add_u32_e32 v14, s46, v14
	s_mov_b64 s[48:49], 0
	s_orn2_b64 s[44:45], vcc, exec
	s_branch .LBB52_296
.LBB52_301:                             ;   in Loop: Header=BB52_15 Depth=1
	s_or_b64 exec, exec, s[16:17]
	s_andn2_b64 s[2:3], s[2:3], exec
	s_and_b64 s[16:17], s[38:39], exec
	s_or_b64 s[2:3], s[2:3], s[16:17]
.LBB52_302:                             ;   in Loop: Header=BB52_15 Depth=1
	s_or_b64 exec, exec, s[8:9]
	s_mov_b64 s[84:85], 0
	s_mov_b64 s[86:87], -1
.LBB52_303:                             ;   in Loop: Header=BB52_15 Depth=1
	s_orn2_b64 s[2:3], s[2:3], exec
.LBB52_304:                             ;   in Loop: Header=BB52_15 Depth=1
	s_or_b64 exec, exec, s[36:37]
	s_mov_b64 s[8:9], 0
	s_and_saveexec_b64 s[88:89], s[2:3]
	s_cbranch_execz .LBB52_393
; %bb.305:                              ;   in Loop: Header=BB52_15 Depth=1
	s_xor_b64 s[16:17], s[24:25], -1
	v_mov_b32_e32 v7, 1
	v_mov_b32_e32 v43, 1
	s_and_saveexec_b64 s[2:3], s[16:17]
	s_cbranch_execz .LBB52_314
; %bb.306:                              ;   in Loop: Header=BB52_15 Depth=1
	v_cmp_ge_u32_e32 vcc, s42, v44
	s_and_saveexec_b64 s[8:9], vcc
	s_xor_b64 s[8:9], exec, s[8:9]
	s_cbranch_execz .LBB52_311
; %bb.307:                              ;   in Loop: Header=BB52_15 Depth=1
	s_lshl_b64 s[16:17], 2, s5
	v_and_b32_e32 v2, s77, v19
	v_or_b32_e32 v19, s17, v2
	ds_read_b32 v2, v15 offset:4096
	v_and_b32_e32 v3, s76, v18
	v_or_b32_e32 v18, s16, v3
	v_or_b32_e32 v21, s23, v21
	;; [unrolled: 1-line block ×3, first 2 shown]
	s_waitcnt lgkmcnt(0)
	v_cmp_ne_u32_e32 vcc, 0, v2
	s_cbranch_vccnz .LBB52_311
; %bb.308:                              ;   in Loop: Header=BB52_15 Depth=1
	s_mov_b64 s[16:17], exec
	v_readlane_b32 s24, v47, 6
	v_readlane_b32 s25, v47, 7
	s_and_b64 s[24:25], s[16:17], s[24:25]
	s_mov_b64 exec, s[24:25]
; %bb.309:                              ;   in Loop: Header=BB52_15 Depth=1
	v_mov_b32_e32 v2, s42
	ds_write_b32 v15, v2 offset:4100
; %bb.310:                              ;   in Loop: Header=BB52_15 Depth=1
	s_or_b64 exec, exec, s[16:17]
	s_waitcnt lgkmcnt(0)
	s_barrier
.LBB52_311:                             ;   in Loop: Header=BB52_15 Depth=1
	s_or_saveexec_b64 s[8:9], s[8:9]
	s_mov_b64 s[16:17], 0
	v_mov_b32_e32 v43, 5
	s_xor_b64 exec, exec, s[8:9]
; %bb.312:                              ;   in Loop: Header=BB52_15 Depth=1
	v_subrev_u32_e32 v44, s42, v44
	v_mov_b32_e32 v43, 0
	s_mov_b64 s[16:17], exec
; %bb.313:                              ;   in Loop: Header=BB52_15 Depth=1
	s_or_b64 exec, exec, s[8:9]
	s_and_b64 s[8:9], s[16:17], exec
	v_mov_b32_e32 v7, v44
.LBB52_314:                             ;   in Loop: Header=BB52_15 Depth=1
	s_or_b64 exec, exec, s[2:3]
	s_mov_b64 s[2:3], -1
                                        ; implicit-def: $sgpr92_sgpr93
                                        ; implicit-def: $sgpr94_sgpr95
	s_and_saveexec_b64 s[90:91], s[8:9]
	s_cbranch_execz .LBB52_392
; %bb.315:                              ;   in Loop: Header=BB52_15 Depth=1
	s_cmp_eq_u32 s31, 1
	s_cselect_b64 s[2:3], -1, 0
	v_cmp_eq_u32_e32 vcc, 1, v7
	s_and_b64 s[24:25], s[2:3], vcc
	s_mov_b64 s[2:3], -1
                                        ; implicit-def: $sgpr94_sgpr95
                                        ; implicit-def: $sgpr92_sgpr93
	s_and_saveexec_b64 s[36:37], s[24:25]
	s_cbranch_execz .LBB52_341
; %bb.316:                              ;   in Loop: Header=BB52_15 Depth=1
	ds_read_b32 v2, v15 offset:4096
	s_waitcnt lgkmcnt(0)
	s_barrier
	v_readfirstlane_b32 s42, v2
	s_mov_b64 s[2:3], exec
	v_readlane_b32 s8, v47, 22
	v_readlane_b32 s9, v47, 23
	s_and_b64 s[8:9], s[2:3], s[8:9]
	s_mov_b64 exec, s[8:9]
; %bb.317:                              ;   in Loop: Header=BB52_15 Depth=1
	v_mov_b32_e32 v14, v15
	ds_write_b64 v32, v[14:15]
; %bb.318:                              ;   in Loop: Header=BB52_15 Depth=1
	s_or_b64 exec, exec, s[2:3]
	s_lshl_b64 s[2:3], 1, s5
	v_and_b32_e32 v2, s77, v19
	v_and_b32_e32 v3, s76, v18
	v_or_b32_e32 v19, s3, v2
	v_or_b32_e32 v18, s2, v3
	;; [unrolled: 1-line block ×4, first 2 shown]
	s_mov_b64 s[92:93], -1
	s_mov_b64 s[94:95], 0
	s_cmp_eq_u32 s42, 0
	s_mov_b64 s[2:3], 0
	s_mov_b64 s[8:9], -1
	s_waitcnt lgkmcnt(0)
	s_barrier
                                        ; implicit-def: $vgpr5_vgpr6
	s_cbranch_scc1 .LBB52_329
; %bb.319:                              ;   in Loop: Header=BB52_15 Depth=1
	v_readlane_b32 s2, v47, 24
	s_add_i32 s2, s42, s2
	v_readlane_b32 s3, v47, 37
	s_mul_hi_u32 s3, s2, s3
	s_mul_i32 s3, s3, s33
	s_sub_i32 s3, s2, s3
	s_sub_i32 s8, s3, s33
	s_cmp_ge_u32 s3, s33
	s_cselect_b32 s3, s8, s3
	s_sub_i32 s8, s3, s33
	s_cmp_ge_u32 s3, s33
	s_cselect_b32 s3, s8, s3
	s_sub_i32 s43, s2, s3
	v_cmp_gt_u32_e32 vcc, s43, v0
	s_mov_b64 s[8:9], 0
	s_mov_b64 s[2:3], 0
                                        ; implicit-def: $vgpr5_vgpr6
	s_and_saveexec_b64 s[16:17], vcc
	s_cbranch_execz .LBB52_328
; %bb.320:                              ;   in Loop: Header=BB52_15 Depth=1
	v_mov_b32_e32 v8, v31
	v_mov_b32_e32 v9, v0
                                        ; implicit-def: $sgpr38_sgpr39
	s_branch .LBB52_323
.LBB52_321:                             ;   in Loop: Header=BB52_323 Depth=2
	s_or_b64 exec, exec, s[44:45]
	s_waitcnt lgkmcnt(0)
	s_barrier
	ds_read_b128 v[3:6], v15 offset:3072
	s_mov_b64 s[44:45], -1
	s_mov_b64 s[48:49], -1
	s_waitcnt lgkmcnt(0)
	s_barrier
	v_cmp_ne_u64_e32 vcc, 0, v[3:4]
	s_cbranch_vccz .LBB52_326
.LBB52_322:                             ;   in Loop: Header=BB52_323 Depth=2
	s_and_b64 s[44:45], exec, s[44:45]
	s_or_b64 s[2:3], s[44:45], s[2:3]
	s_andn2_b64 s[38:39], s[38:39], exec
	s_and_b64 s[44:45], s[48:49], exec
	s_or_b64 s[38:39], s[38:39], s[44:45]
	s_andn2_b64 exec, exec, s[2:3]
	s_cbranch_execz .LBB52_327
.LBB52_323:                             ;   Parent Loop BB52_15 Depth=1
                                        ; =>  This Inner Loop Header: Depth=2
	v_cmp_gt_u32_e32 vcc, s42, v9
	s_and_saveexec_b64 s[44:45], vcc
	s_cbranch_execz .LBB52_321
; %bb.324:                              ;   in Loop: Header=BB52_323 Depth=2
	ds_read_b64 v[3:4], v8
	s_waitcnt lgkmcnt(0)
	v_xor_b32_e32 v2, 0x80000000, v4
	v_and_b32_e32 v6, v2, v21
	v_and_b32_e32 v5, v3, v20
	v_cmp_eq_u64_e32 vcc, v[5:6], v[18:19]
	s_and_b64 exec, exec, vcc
	s_cbranch_execz .LBB52_321
; %bb.325:                              ;   in Loop: Header=BB52_323 Depth=2
	v_mov_b32_e32 v2, v15
	ds_write_b128 v15, v[1:4] offset:3072
	s_branch .LBB52_321
.LBB52_326:                             ;   in Loop: Header=BB52_323 Depth=2
	v_add_u32_e32 v9, s33, v9
	v_cmp_le_u32_e32 vcc, s43, v9
	v_add_u32_e32 v8, s4, v8
	s_mov_b64 s[48:49], 0
	s_orn2_b64 s[44:45], vcc, exec
	s_branch .LBB52_322
.LBB52_327:                             ;   in Loop: Header=BB52_15 Depth=1
	s_or_b64 exec, exec, s[2:3]
	s_and_b64 s[2:3], s[38:39], exec
.LBB52_328:                             ;   in Loop: Header=BB52_15 Depth=1
	s_or_b64 exec, exec, s[16:17]
.LBB52_329:                             ;   in Loop: Header=BB52_15 Depth=1
	s_and_b64 vcc, exec, s[8:9]
	s_cbranch_vccz .LBB52_340
; %bb.330:                              ;   in Loop: Header=BB52_15 Depth=1
                                        ; implicit-def: $vgpr5_vgpr6
	s_mov_b64 s[8:9], exec
	v_readlane_b32 s16, v47, 38
	v_readlane_b32 s17, v47, 39
	s_and_b64 s[16:17], s[8:9], s[16:17]
	s_mov_b64 exec, s[16:17]
	s_cbranch_execz .LBB52_339
; %bb.331:                              ;   in Loop: Header=BB52_15 Depth=1
	s_mov_b64 s[16:17], 0
	v_mov_b32_e32 v14, v13
	v_mov_b32_e32 v8, v0
                                        ; implicit-def: $sgpr38_sgpr39
	s_branch .LBB52_334
.LBB52_332:                             ;   in Loop: Header=BB52_334 Depth=2
	s_or_b64 exec, exec, s[44:45]
	s_waitcnt lgkmcnt(0)
	s_barrier
	ds_read_b128 v[3:6], v15 offset:3072
	s_mov_b64 s[44:45], -1
	s_mov_b64 s[48:49], -1
	s_waitcnt lgkmcnt(0)
	s_barrier
	v_cmp_eq_u64_e32 vcc, 0, v[3:4]
	s_cbranch_vccnz .LBB52_337
.LBB52_333:                             ;   in Loop: Header=BB52_334 Depth=2
	s_and_b64 s[42:43], exec, s[44:45]
	s_or_b64 s[16:17], s[42:43], s[16:17]
	s_andn2_b64 s[38:39], s[38:39], exec
	s_and_b64 s[42:43], s[48:49], exec
	s_or_b64 s[38:39], s[38:39], s[42:43]
	s_andn2_b64 exec, exec, s[16:17]
	s_cbranch_execz .LBB52_338
.LBB52_334:                             ;   Parent Loop BB52_15 Depth=1
                                        ; =>  This Inner Loop Header: Depth=2
	v_cmp_gt_u32_e32 vcc, s28, v8
	s_and_saveexec_b64 s[44:45], vcc
	s_cbranch_execz .LBB52_332
; %bb.335:                              ;   in Loop: Header=BB52_334 Depth=2
	v_lshlrev_b64 v[2:3], 3, v[14:15]
	v_mov_b32_e32 v4, s40
	v_add_co_u32_e32 v2, vcc, s34, v2
	v_addc_co_u32_e32 v3, vcc, v4, v3, vcc
	global_load_dwordx2 v[3:4], v[2:3], off
	s_waitcnt vmcnt(0)
	v_xor_b32_e32 v2, 0x80000000, v4
	v_and_b32_e32 v6, v2, v21
	v_and_b32_e32 v5, v3, v20
	v_cmp_eq_u64_e32 vcc, v[5:6], v[18:19]
	s_and_b64 exec, exec, vcc
	s_cbranch_execz .LBB52_332
; %bb.336:                              ;   in Loop: Header=BB52_334 Depth=2
	v_mov_b32_e32 v2, v15
	ds_write_b128 v15, v[1:4] offset:3072
	s_branch .LBB52_332
.LBB52_337:                             ;   in Loop: Header=BB52_334 Depth=2
	v_add_u32_e32 v8, s33, v8
	v_cmp_le_u32_e32 vcc, s12, v8
	v_add_u32_e32 v14, s46, v14
	s_mov_b64 s[48:49], 0
	s_orn2_b64 s[44:45], vcc, exec
	s_branch .LBB52_333
.LBB52_338:                             ;   in Loop: Header=BB52_15 Depth=1
	s_or_b64 exec, exec, s[16:17]
	s_andn2_b64 s[2:3], s[2:3], exec
	s_and_b64 s[16:17], s[38:39], exec
	s_or_b64 s[2:3], s[2:3], s[16:17]
.LBB52_339:                             ;   in Loop: Header=BB52_15 Depth=1
	s_or_b64 exec, exec, s[8:9]
	s_mov_b64 s[92:93], 0
	s_mov_b64 s[94:95], -1
.LBB52_340:                             ;   in Loop: Header=BB52_15 Depth=1
	s_orn2_b64 s[2:3], s[2:3], exec
.LBB52_341:                             ;   in Loop: Header=BB52_15 Depth=1
	s_or_b64 exec, exec, s[36:37]
	s_mov_b64 s[8:9], 0
	s_and_saveexec_b64 s[36:37], s[2:3]
	s_cbranch_execz .LBB52_391
; %bb.342:                              ;   in Loop: Header=BB52_15 Depth=1
	s_xor_b64 s[16:17], s[24:25], -1
	v_mov_b32_e32 v8, 1
	v_mov_b32_e32 v43, 1
	s_and_saveexec_b64 s[2:3], s[16:17]
	s_cbranch_execz .LBB52_351
; %bb.343:                              ;   in Loop: Header=BB52_15 Depth=1
	v_cmp_ge_u32_e32 vcc, s31, v7
	s_and_saveexec_b64 s[8:9], vcc
	s_xor_b64 s[8:9], exec, s[8:9]
	s_cbranch_execz .LBB52_348
; %bb.344:                              ;   in Loop: Header=BB52_15 Depth=1
	s_lshl_b64 s[16:17], 1, s5
	v_and_b32_e32 v2, s77, v19
	v_or_b32_e32 v19, s17, v2
	ds_read_b32 v2, v15 offset:4096
	v_and_b32_e32 v3, s76, v18
	v_or_b32_e32 v18, s16, v3
	v_or_b32_e32 v21, s23, v21
	v_or_b32_e32 v20, s22, v20
	s_waitcnt lgkmcnt(0)
	v_cmp_ne_u32_e32 vcc, 0, v2
	s_cbranch_vccnz .LBB52_348
; %bb.345:                              ;   in Loop: Header=BB52_15 Depth=1
	s_mov_b64 s[16:17], exec
	v_readlane_b32 s24, v47, 6
	v_readlane_b32 s25, v47, 7
	s_and_b64 s[24:25], s[16:17], s[24:25]
	s_mov_b64 exec, s[24:25]
; %bb.346:                              ;   in Loop: Header=BB52_15 Depth=1
	v_mov_b32_e32 v2, s31
	ds_write_b32 v15, v2 offset:4100
; %bb.347:                              ;   in Loop: Header=BB52_15 Depth=1
	s_or_b64 exec, exec, s[16:17]
	s_waitcnt lgkmcnt(0)
	s_barrier
.LBB52_348:                             ;   in Loop: Header=BB52_15 Depth=1
	s_or_saveexec_b64 s[8:9], s[8:9]
	s_mov_b64 s[16:17], 0
	v_mov_b32_e32 v43, 5
	s_xor_b64 exec, exec, s[8:9]
; %bb.349:                              ;   in Loop: Header=BB52_15 Depth=1
	v_subrev_u32_e32 v7, s31, v7
	v_mov_b32_e32 v43, 0
	s_mov_b64 s[16:17], exec
; %bb.350:                              ;   in Loop: Header=BB52_15 Depth=1
	s_or_b64 exec, exec, s[8:9]
	s_and_b64 s[8:9], s[16:17], exec
	v_mov_b32_e32 v8, v7
.LBB52_351:                             ;   in Loop: Header=BB52_15 Depth=1
	s_or_b64 exec, exec, s[2:3]
	s_mov_b64 s[2:3], -1
                                        ; implicit-def: $sgpr50_sgpr51
                                        ; implicit-def: $sgpr48_sgpr49
	s_and_saveexec_b64 s[38:39], s[8:9]
	s_cbranch_execz .LBB52_390
; %bb.352:                              ;   in Loop: Header=BB52_15 Depth=1
	s_cmp_eq_u32 s30, 1
	s_cselect_b64 s[2:3], -1, 0
	v_cmp_eq_u32_e32 vcc, 1, v8
	s_and_b64 s[24:25], s[2:3], vcc
	s_mov_b64 s[8:9], -1
                                        ; implicit-def: $sgpr50_sgpr51
                                        ; implicit-def: $sgpr48_sgpr49
	s_and_saveexec_b64 s[52:53], s[24:25]
	s_cbranch_execz .LBB52_378
; %bb.353:                              ;   in Loop: Header=BB52_15 Depth=1
	ds_read_b32 v2, v15 offset:4096
	s_waitcnt lgkmcnt(0)
	s_barrier
	v_readfirstlane_b32 s31, v2
	s_mov_b64 s[2:3], exec
	v_readlane_b32 s8, v47, 22
	v_readlane_b32 s9, v47, 23
	s_and_b64 s[8:9], s[2:3], s[8:9]
	s_mov_b64 exec, s[8:9]
; %bb.354:                              ;   in Loop: Header=BB52_15 Depth=1
	v_mov_b32_e32 v14, v15
	ds_write_b64 v32, v[14:15]
; %bb.355:                              ;   in Loop: Header=BB52_15 Depth=1
	s_or_b64 exec, exec, s[2:3]
	v_and_b32_e32 v19, s77, v19
	v_and_b32_e32 v18, s76, v18
	v_or_b32_e32 v21, s23, v21
	v_or_b32_e32 v20, s22, v20
	s_mov_b64 s[48:49], -1
	s_mov_b64 s[50:51], 0
	s_cmp_eq_u32 s31, 0
	s_mov_b64 s[2:3], 0
	s_mov_b64 s[8:9], -1
	s_waitcnt lgkmcnt(0)
	s_barrier
                                        ; implicit-def: $vgpr5_vgpr6
	s_cbranch_scc1 .LBB52_366
; %bb.356:                              ;   in Loop: Header=BB52_15 Depth=1
	v_readlane_b32 s2, v47, 24
	s_add_i32 s2, s31, s2
	v_readlane_b32 s3, v47, 37
	s_mul_hi_u32 s3, s2, s3
	s_mul_i32 s3, s3, s33
	s_sub_i32 s3, s2, s3
	s_sub_i32 s8, s3, s33
	s_cmp_ge_u32 s3, s33
	s_cselect_b32 s3, s8, s3
	s_sub_i32 s8, s3, s33
	s_cmp_ge_u32 s3, s33
	s_cselect_b32 s3, s8, s3
	s_sub_i32 s42, s2, s3
	s_mov_b64 s[8:9], 0
	s_mov_b64 s[2:3], 0
	v_cmp_gt_u32_e32 vcc, s42, v0
                                        ; implicit-def: $vgpr5_vgpr6
	s_mov_b64 s[16:17], exec
	v_writelane_b32 v47, s16, 40
	v_writelane_b32 v47, s17, 41
	s_and_b64 s[16:17], s[16:17], vcc
	s_mov_b64 exec, s[16:17]
	s_cbranch_execz .LBB52_365
; %bb.357:                              ;   in Loop: Header=BB52_15 Depth=1
	v_writelane_b32 v47, s24, 42
	v_mov_b32_e32 v7, v31
	v_mov_b32_e32 v9, v0
	v_writelane_b32 v47, s25, 43
                                        ; implicit-def: $sgpr44_sgpr45
	s_branch .LBB52_360
.LBB52_358:                             ;   in Loop: Header=BB52_360 Depth=2
	s_or_b64 exec, exec, s[24:25]
	s_waitcnt lgkmcnt(0)
	s_barrier
	ds_read_b128 v[3:6], v15 offset:3072
	s_mov_b64 s[24:25], -1
	s_mov_b64 s[16:17], -1
	s_waitcnt lgkmcnt(0)
	s_barrier
	v_cmp_ne_u64_e32 vcc, 0, v[3:4]
	s_cbranch_vccz .LBB52_363
.LBB52_359:                             ;   in Loop: Header=BB52_360 Depth=2
	s_and_b64 s[24:25], exec, s[24:25]
	s_or_b64 s[2:3], s[24:25], s[2:3]
	s_andn2_b64 s[24:25], s[44:45], exec
	s_and_b64 s[16:17], s[16:17], exec
	s_or_b64 s[44:45], s[24:25], s[16:17]
	s_andn2_b64 exec, exec, s[2:3]
	s_cbranch_execz .LBB52_364
.LBB52_360:                             ;   Parent Loop BB52_15 Depth=1
                                        ; =>  This Inner Loop Header: Depth=2
	v_cmp_gt_u32_e32 vcc, s31, v9
	s_and_saveexec_b64 s[24:25], vcc
	s_cbranch_execz .LBB52_358
; %bb.361:                              ;   in Loop: Header=BB52_360 Depth=2
	ds_read_b64 v[3:4], v7
	s_waitcnt lgkmcnt(0)
	v_xor_b32_e32 v2, 0x80000000, v4
	v_and_b32_e32 v6, v2, v21
	v_and_b32_e32 v5, v3, v20
	v_cmp_eq_u64_e32 vcc, v[5:6], v[18:19]
	s_and_b64 exec, exec, vcc
	s_cbranch_execz .LBB52_358
; %bb.362:                              ;   in Loop: Header=BB52_360 Depth=2
	v_mov_b32_e32 v2, v15
	ds_write_b128 v15, v[1:4] offset:3072
	s_branch .LBB52_358
.LBB52_363:                             ;   in Loop: Header=BB52_360 Depth=2
	v_add_u32_e32 v9, s33, v9
	v_cmp_le_u32_e32 vcc, s42, v9
	v_add_u32_e32 v7, s4, v7
	s_mov_b64 s[16:17], 0
	s_orn2_b64 s[24:25], vcc, exec
	s_branch .LBB52_359
.LBB52_364:                             ;   in Loop: Header=BB52_15 Depth=1
	s_or_b64 exec, exec, s[2:3]
	v_readlane_b32 s24, v47, 42
	s_and_b64 s[2:3], s[44:45], exec
	v_readlane_b32 s25, v47, 43
.LBB52_365:                             ;   in Loop: Header=BB52_15 Depth=1
	v_readlane_b32 s16, v47, 40
	v_readlane_b32 s17, v47, 41
	s_or_b64 exec, exec, s[16:17]
.LBB52_366:                             ;   in Loop: Header=BB52_15 Depth=1
	s_and_b64 vcc, exec, s[8:9]
	s_cbranch_vccz .LBB52_377
; %bb.367:                              ;   in Loop: Header=BB52_15 Depth=1
                                        ; implicit-def: $vgpr5_vgpr6
	s_mov_b64 s[8:9], exec
	v_readlane_b32 s16, v47, 38
	v_readlane_b32 s17, v47, 39
	s_and_b64 s[16:17], s[8:9], s[16:17]
	s_mov_b64 exec, s[16:17]
	s_cbranch_execz .LBB52_376
; %bb.368:                              ;   in Loop: Header=BB52_15 Depth=1
	s_mov_b64 s[50:51], s[24:25]
	s_mov_b64 s[16:17], 0
	v_mov_b32_e32 v14, v13
	v_mov_b32_e32 v7, v0
                                        ; implicit-def: $sgpr44_sgpr45
	s_branch .LBB52_371
.LBB52_369:                             ;   in Loop: Header=BB52_371 Depth=2
	s_or_b64 exec, exec, s[48:49]
	s_waitcnt lgkmcnt(0)
	s_barrier
	ds_read_b128 v[3:6], v15 offset:3072
	s_mov_b64 s[24:25], -1
	s_mov_b64 s[48:49], -1
	s_waitcnt lgkmcnt(0)
	s_barrier
	v_cmp_eq_u64_e32 vcc, 0, v[3:4]
	s_cbranch_vccnz .LBB52_374
.LBB52_370:                             ;   in Loop: Header=BB52_371 Depth=2
	s_and_b64 s[24:25], exec, s[24:25]
	s_or_b64 s[16:17], s[24:25], s[16:17]
	s_andn2_b64 s[24:25], s[44:45], exec
	s_and_b64 s[42:43], s[48:49], exec
	s_or_b64 s[44:45], s[24:25], s[42:43]
	s_andn2_b64 exec, exec, s[16:17]
	s_cbranch_execz .LBB52_375
.LBB52_371:                             ;   Parent Loop BB52_15 Depth=1
                                        ; =>  This Inner Loop Header: Depth=2
	v_cmp_gt_u32_e32 vcc, s28, v7
	s_and_saveexec_b64 s[48:49], vcc
	s_cbranch_execz .LBB52_369
; %bb.372:                              ;   in Loop: Header=BB52_371 Depth=2
	v_lshlrev_b64 v[2:3], 3, v[14:15]
	v_mov_b32_e32 v4, s40
	v_add_co_u32_e32 v2, vcc, s34, v2
	v_addc_co_u32_e32 v3, vcc, v4, v3, vcc
	global_load_dwordx2 v[3:4], v[2:3], off
	s_waitcnt vmcnt(0)
	v_xor_b32_e32 v2, 0x80000000, v4
	v_and_b32_e32 v6, v2, v21
	v_and_b32_e32 v5, v3, v20
	v_cmp_eq_u64_e32 vcc, v[5:6], v[18:19]
	s_and_b64 exec, exec, vcc
	s_cbranch_execz .LBB52_369
; %bb.373:                              ;   in Loop: Header=BB52_371 Depth=2
	v_mov_b32_e32 v2, v15
	ds_write_b128 v15, v[1:4] offset:3072
	s_branch .LBB52_369
.LBB52_374:                             ;   in Loop: Header=BB52_371 Depth=2
	v_add_u32_e32 v7, s33, v7
	v_cmp_le_u32_e32 vcc, s12, v7
	v_add_u32_e32 v14, s46, v14
	s_mov_b64 s[48:49], 0
	s_orn2_b64 s[24:25], vcc, exec
	s_branch .LBB52_370
.LBB52_375:                             ;   in Loop: Header=BB52_15 Depth=1
	s_or_b64 exec, exec, s[16:17]
	s_andn2_b64 s[2:3], s[2:3], exec
	s_and_b64 s[16:17], s[44:45], exec
	s_or_b64 s[2:3], s[2:3], s[16:17]
	s_mov_b64 s[24:25], s[50:51]
.LBB52_376:                             ;   in Loop: Header=BB52_15 Depth=1
	s_or_b64 exec, exec, s[8:9]
	s_mov_b64 s[48:49], 0
	s_mov_b64 s[50:51], -1
.LBB52_377:                             ;   in Loop: Header=BB52_15 Depth=1
	s_orn2_b64 s[8:9], s[2:3], exec
.LBB52_378:                             ;   in Loop: Header=BB52_15 Depth=1
	s_or_b64 exec, exec, s[52:53]
	s_mov_b64 s[16:17], 0
	s_and_saveexec_b64 s[2:3], s[8:9]
	s_cbranch_execz .LBB52_389
; %bb.379:                              ;   in Loop: Header=BB52_15 Depth=1
	s_xor_b64 s[16:17], s[24:25], -1
	v_mov_b32_e32 v43, 1
	v_mov_b32_e32 v2, 1
	s_and_saveexec_b64 s[8:9], s[16:17]
	s_cbranch_execz .LBB52_388
; %bb.380:                              ;   in Loop: Header=BB52_15 Depth=1
	v_cmp_ge_u32_e32 vcc, s30, v8
	s_and_saveexec_b64 s[16:17], vcc
	s_xor_b64 s[16:17], exec, s[16:17]
	s_cbranch_execz .LBB52_385
; %bb.381:                              ;   in Loop: Header=BB52_15 Depth=1
	ds_read_b32 v2, v15 offset:4096
	v_and_b32_e32 v19, s77, v19
	v_and_b32_e32 v18, s76, v18
	v_or_b32_e32 v21, s23, v21
	v_or_b32_e32 v20, s22, v20
	s_waitcnt lgkmcnt(0)
	v_cmp_ne_u32_e32 vcc, 0, v2
	s_cbranch_vccnz .LBB52_385
; %bb.382:                              ;   in Loop: Header=BB52_15 Depth=1
	s_mov_b64 s[22:23], exec
	v_readlane_b32 s24, v47, 6
	v_readlane_b32 s25, v47, 7
	s_and_b64 s[24:25], s[22:23], s[24:25]
	s_mov_b64 exec, s[24:25]
; %bb.383:                              ;   in Loop: Header=BB52_15 Depth=1
	v_mov_b32_e32 v2, s30
	ds_write_b32 v15, v2 offset:4100
; %bb.384:                              ;   in Loop: Header=BB52_15 Depth=1
	s_or_b64 exec, exec, s[22:23]
	s_waitcnt lgkmcnt(0)
	s_barrier
.LBB52_385:                             ;   in Loop: Header=BB52_15 Depth=1
	s_andn2_saveexec_b64 s[16:17], s[16:17]
; %bb.386:                              ;   in Loop: Header=BB52_15 Depth=1
	v_subrev_u32_e32 v8, s30, v8
; %bb.387:                              ;   in Loop: Header=BB52_15 Depth=1
	s_or_b64 exec, exec, s[16:17]
	v_mov_b32_e32 v43, 5
	v_mov_b32_e32 v2, v8
.LBB52_388:                             ;   in Loop: Header=BB52_15 Depth=1
	s_or_b64 exec, exec, s[8:9]
	s_mov_b64 s[16:17], exec
	v_mov_b32_e32 v8, v2
.LBB52_389:                             ;   in Loop: Header=BB52_15 Depth=1
	s_or_b64 exec, exec, s[2:3]
	s_orn2_b64 s[2:3], s[16:17], exec
.LBB52_390:                             ;   in Loop: Header=BB52_15 Depth=1
	s_or_b64 exec, exec, s[38:39]
	s_andn2_b64 s[8:9], s[94:95], exec
	s_and_b64 s[16:17], s[50:51], exec
	s_or_b64 s[94:95], s[8:9], s[16:17]
	s_andn2_b64 s[8:9], s[92:93], exec
	s_and_b64 s[16:17], s[48:49], exec
	s_or_b64 s[92:93], s[8:9], s[16:17]
	s_and_b64 s[8:9], s[2:3], exec
	v_mov_b32_e32 v7, v8
.LBB52_391:                             ;   in Loop: Header=BB52_15 Depth=1
	s_or_b64 exec, exec, s[36:37]
	s_orn2_b64 s[2:3], s[8:9], exec
.LBB52_392:                             ;   in Loop: Header=BB52_15 Depth=1
	s_or_b64 exec, exec, s[90:91]
	s_andn2_b64 s[8:9], s[86:87], exec
	s_and_b64 s[16:17], s[94:95], exec
	s_or_b64 s[86:87], s[8:9], s[16:17]
	s_andn2_b64 s[8:9], s[84:85], exec
	s_and_b64 s[16:17], s[92:93], exec
	s_or_b64 s[84:85], s[8:9], s[16:17]
	s_and_b64 s[8:9], s[2:3], exec
	v_mov_b32_e32 v44, v7
.LBB52_393:                             ;   in Loop: Header=BB52_15 Depth=1
	s_or_b64 exec, exec, s[88:89]
	s_orn2_b64 s[2:3], s[8:9], exec
.LBB52_394:                             ;   in Loop: Header=BB52_15 Depth=1
	s_or_b64 exec, exec, s[6:7]
	s_mov_b64 s[6:7], s[80:81]
	s_mov_b64 s[8:9], s[78:79]
	s_and_saveexec_b64 s[16:17], s[2:3]
; %bb.395:                              ;   in Loop: Header=BB52_15 Depth=1
	v_cmp_ne_u32_e64 s[6:7], 5, v43
	v_cmp_eq_u32_e32 vcc, 5, v43
	s_andn2_b64 s[2:3], s[78:79], exec
	s_and_b64 s[6:7], s[6:7], exec
	s_or_b64 s[8:9], s[2:3], s[6:7]
	s_andn2_b64 s[2:3], s[80:81], exec
	s_and_b64 s[6:7], vcc, exec
	s_or_b64 s[6:7], s[2:3], s[6:7]
; %bb.396:                              ;   in Loop: Header=BB52_15 Depth=1
	s_or_b64 exec, exec, s[16:17]
	s_andn2_b64 s[2:3], s[18:19], exec
	s_and_b64 s[16:17], s[86:87], exec
	s_or_b64 s[18:19], s[2:3], s[16:17]
	s_andn2_b64 s[2:3], s[20:21], exec
	s_and_b64 s[16:17], s[84:85], exec
	s_or_b64 s[20:21], s[2:3], s[16:17]
	;; [unrolled: 3-line block ×4, first 2 shown]
.LBB52_397:                             ;   in Loop: Header=BB52_15 Depth=1
	s_or_b64 exec, exec, s[82:83]
	s_mov_b64 s[82:83], 0
	s_mov_b64 s[84:85], 0
	s_and_saveexec_b64 s[2:3], s[80:81]
.LBB52_398:                             ;   in Loop: Header=BB52_15 Depth=1
	v_mov_b32_e32 v43, 0
	s_or_b64 s[78:79], s[78:79], exec
.LBB52_399:                             ;   in Loop: Header=BB52_15 Depth=1
	s_or_b64 exec, exec, s[2:3]
	s_andn2_b64 s[2:3], s[72:73], exec
	s_and_b64 s[8:9], s[18:19], exec
	s_or_b64 s[72:73], s[2:3], s[8:9]
	s_andn2_b64 s[2:3], s[70:71], exec
	s_and_b64 s[8:9], s[20:21], exec
	s_or_b64 s[70:71], s[2:3], s[8:9]
	;; [unrolled: 3-line block ×3, first 2 shown]
	s_andn2_b64 s[2:3], s[66:67], exec
	s_and_b64 s[8:9], s[82:83], exec
	s_mov_b64 s[6:7], -1
	s_andn2_b64 s[74:75], s[74:75], exec
	s_or_b64 s[66:67], s[2:3], s[8:9]
	v_mov_b32_e32 v42, v44
	s_and_saveexec_b64 s[2:3], s[78:79]
	s_xor_b64 s[2:3], exec, s[2:3]
	s_cbranch_execz .LBB52_14
; %bb.400:                              ;   in Loop: Header=BB52_15 Depth=1
	v_cmp_eq_u32_e32 vcc, 0, v43
	s_mov_b64 s[8:9], -1
	s_and_saveexec_b64 s[16:17], vcc
	s_cbranch_execz .LBB52_13
; %bb.401:                              ;   in Loop: Header=BB52_15 Depth=1
	s_xor_b32 s41, s41, 1
	s_add_i32 s18, s5, -2
	s_cmp_eq_u32 s5, 0
	s_cselect_b64 s[6:7], -1, 0
	s_xor_b64 s[8:9], exec, -1
	s_orn2_b64 s[6:7], s[6:7], exec
	s_mov_b32 s5, s18
	s_branch .LBB52_13
.LBB52_402:
	s_or_b64 exec, exec, s[54:55]
	s_xor_b64 s[6:7], s[64:65], -1
	s_xor_b64 s[14:15], s[62:63], -1
	s_xor_b64 s[12:13], s[58:59], -1
	s_xor_b64 s[4:5], s[56:57], -1
	s_xor_b64 s[2:3], s[60:61], -1
	s_mov_b64 s[8:9], 0
	s_and_saveexec_b64 s[10:11], s[4:5]
	s_xor_b64 s[10:11], exec, s[10:11]
	s_cbranch_execnz .LBB52_407
; %bb.403:
	s_andn2_saveexec_b64 s[0:1], s[10:11]
	s_cbranch_execnz .LBB52_426
.LBB52_404:
	s_or_b64 exec, exec, s[0:1]
	s_and_saveexec_b64 s[0:1], s[8:9]
.LBB52_405:
	; divergent unreachable
.LBB52_406:
	s_endpgm
.LBB52_407:
	s_and_saveexec_b64 s[4:5], s[12:13]
	s_xor_b64 s[12:13], exec, s[4:5]
	s_cbranch_execz .LBB52_424
; %bb.408:
	s_and_saveexec_b64 s[4:5], s[14:15]
	s_xor_b64 s[14:15], exec, s[4:5]
	s_cbranch_execz .LBB52_422
; %bb.409:
	;; [unrolled: 4-line block ×3, first 2 shown]
	s_and_saveexec_b64 s[4:5], s[2:3]
	s_xor_b64 s[2:3], exec, s[4:5]
; %bb.411:
	v_xor_b32_e32 v19, 0x80000000, v19
	v_mov_b32_e32 v5, v18
	v_mov_b32_e32 v6, v19
; %bb.412:
	s_or_b64 exec, exec, s[2:3]
	s_mov_b64 s[2:3], exec
	v_readlane_b32 s4, v47, 6
	v_readlane_b32 s5, v47, 7
	v_readlane_b32 s6, v47, 16
	v_readlane_b32 s44, v47, 8
	s_and_b64 s[4:5], s[2:3], s[4:5]
	v_readlane_b32 s7, v47, 17
	v_readlane_b32 s45, v47, 9
	s_mov_b64 exec, s[4:5]
; %bb.413:
	v_mov_b32_e32 v1, 0
	ds_write_b32 v1, v1 offset:4108
; %bb.414:
	s_or_b64 exec, exec, s[2:3]
	v_mov_b32_e32 v1, 0
	v_mov_b32_e32 v2, 0
	s_waitcnt lgkmcnt(0)
	s_barrier
	s_mov_b64 s[2:3], exec
	v_readlane_b32 s4, v47, 18
	v_readlane_b32 s5, v47, 19
	s_and_b64 s[4:5], s[2:3], s[4:5]
	s_mov_b64 exec, s[4:5]
	s_cbranch_execz .LBB52_416
; %bb.415:
	global_load_dwordx2 v[1:2], v[11:12], off
.LBB52_416:
	s_or_b64 exec, exec, s[2:3]
	s_load_dword s3, s[6:7], 0x23c
	v_readlane_b32 s2, v47, 1
	s_mul_i32 s2, s2, s26
	s_add_i32 s36, s28, 63
	s_add_i32 s2, s2, s27
	s_waitcnt lgkmcnt(0)
	s_mul_i32 s3, s3, s47
	s_add_i32 s4, s3, s35
	s_mov_b32 s3, 0
	s_andn2_b32 s36, s36, 63
	s_load_dword s37, s[6:7], 0x2a8
	s_load_dword s38, s[6:7], 0x1c8
	s_lshl_b64 s[6:7], s[2:3], 3
	v_readlane_b32 s8, v47, 2
	v_readlane_b32 s9, v47, 3
	s_add_u32 s35, s8, s6
	s_mov_b32 s5, s3
	s_addc_u32 s39, s9, s7
	s_lshl_b64 s[2:3], s[4:5], 3
	v_readlane_b32 s4, v47, 4
	v_readlane_b32 s5, v47, 5
	s_add_u32 s41, s4, s2
	s_addc_u32 s42, s5, s3
	v_cmp_gt_u32_e32 vcc, s36, v0
	s_mov_b64 s[18:19], -1
	s_mov_b64 s[2:3], 0
	s_mov_b64 s[4:5], 0
	s_and_saveexec_b64 s[8:9], vcc
	s_cbranch_execnz .LBB52_427
; %bb.417:
	s_or_b64 exec, exec, s[8:9]
	s_and_saveexec_b64 s[6:7], s[18:19]
	s_cbranch_execnz .LBB52_442
.LBB52_418:
	s_or_b64 exec, exec, s[6:7]
	s_and_saveexec_b64 s[0:1], s[4:5]
	s_xor_b64 s[0:1], exec, s[0:1]
	s_cbranch_execnz .LBB52_465
.LBB52_419:
	s_or_b64 exec, exec, s[0:1]
	s_and_b64 s[8:9], s[2:3], exec
.LBB52_420:
	s_andn2_saveexec_b64 s[0:1], s[16:17]
	s_cbranch_execnz .LBB52_467
.LBB52_421:
	s_or_b64 exec, exec, s[0:1]
	s_and_b64 s[8:9], s[8:9], exec
.LBB52_422:
	s_andn2_saveexec_b64 s[0:1], s[14:15]
	s_cbranch_execnz .LBB52_466
.LBB52_423:
	s_or_b64 exec, exec, s[0:1]
	s_and_b64 s[8:9], s[8:9], exec
.LBB52_424:
	s_andn2_saveexec_b64 s[0:1], s[12:13]
	s_cbranch_execnz .LBB52_461
.LBB52_425:
	s_or_b64 exec, exec, s[0:1]
	s_and_b64 s[8:9], s[8:9], exec
	s_andn2_saveexec_b64 s[0:1], s[10:11]
	s_cbranch_execz .LBB52_404
.LBB52_426:
	s_or_b64 s[8:9], s[8:9], exec
	s_trap 2
	s_or_b64 exec, exec, s[0:1]
	s_and_saveexec_b64 s[0:1], s[8:9]
	s_cbranch_execnz .LBB52_405
	s_branch .LBB52_406
.LBB52_427:
	v_add_u32_e32 v7, s33, v0
	v_readlane_b32 s4, v47, 0
	v_mul_lo_u32 v7, s4, v7
	v_xor_b32_e32 v4, 0x80000000, v6
	v_mov_b32_e32 v3, v5
	s_mov_b64 s[18:19], 0
	v_mov_b32_e32 v8, 0
	v_mov_b32_e32 v13, v0
                                        ; implicit-def: $sgpr20_sgpr21
                                        ; implicit-def: $vgpr16
	s_branch .LBB52_429
.LBB52_428:                             ;   in Loop: Header=BB52_429 Depth=1
	s_or_b64 exec, exec, s[24:25]
	s_xor_b64 s[4:5], s[22:23], -1
	s_and_b64 s[6:7], exec, s[6:7]
	s_or_b64 s[18:19], s[6:7], s[18:19]
	s_andn2_b64 s[6:7], s[20:21], exec
	s_and_b64 s[4:5], s[4:5], exec
	v_mov_b32_e32 v1, v9
	s_or_b64 s[20:21], s[6:7], s[4:5]
	v_mov_b32_e32 v2, v10
	v_mov_b32_e32 v13, v15
	s_andn2_b64 exec, exec, s[18:19]
	s_cbranch_execz .LBB52_441
.LBB52_429:                             ; =>This Inner Loop Header: Depth=1
	v_add_u32_e32 v15, s33, v13
	v_mov_b32_e32 v9, 0
	v_mov_b32_e32 v10, 0
	v_cmp_gt_u32_e64 s[4:5], s28, v15
	s_and_saveexec_b64 s[6:7], s[4:5]
	s_cbranch_execz .LBB52_431
; %bb.430:                              ;   in Loop: Header=BB52_429 Depth=1
	v_lshlrev_b64 v[9:10], 3, v[7:8]
	v_mov_b32_e32 v14, s40
	v_add_co_u32_e64 v9, s[4:5], s34, v9
	v_addc_co_u32_e64 v10, s[4:5], v14, v10, s[4:5]
	global_load_dwordx2 v[9:10], v[9:10], off
.LBB52_431:                             ;   in Loop: Header=BB52_429 Depth=1
	s_or_b64 exec, exec, s[6:7]
	s_waitcnt vmcnt(0)
	v_xor_b32_e32 v18, 0x80000000, v2
	v_mov_b32_e32 v17, v1
	v_cmp_gt_u64_e64 s[6:7], v[17:18], v[3:4]
	v_cmp_gt_u32_e64 s[4:5], s28, v13
	v_cndmask_b32_e64 v14, 0, 1, s[6:7]
	v_cmp_lt_u64_e64 s[6:7], v[17:18], v[3:4]
	v_cndmask_b32_e64 v17, 0, 1, s[6:7]
	v_cndmask_b32_e64 v14, v17, v14, s[44:45]
	v_and_b32_e32 v14, 1, v14
	v_cmp_eq_u32_e64 s[6:7], 1, v14
	s_and_b64 s[24:25], s[4:5], s[6:7]
	v_cndmask_b32_e64 v14, 0, 1, s[24:25]
	v_cmp_ne_u32_e64 s[4:5], 0, v14
	s_cmp_lg_u64 s[4:5], 0
	s_cselect_b64 s[6:7], -1, 0
	s_and_b64 s[6:7], s[0:1], s[6:7]
	s_and_saveexec_b64 s[22:23], s[6:7]
	s_cbranch_execz .LBB52_435
; %bb.432:                              ;   in Loop: Header=BB52_429 Depth=1
	s_mov_b64 s[30:31], exec
	v_mbcnt_lo_u32_b32 v14, s30, 0
	v_mbcnt_hi_u32_b32 v14, s31, v14
	s_bcnt1_i32_b64 s43, s[4:5]
	v_cmp_eq_u32_e64 s[6:7], 0, v14
                                        ; implicit-def: $vgpr16
	s_and_saveexec_b64 s[26:27], s[6:7]
	s_cbranch_execz .LBB52_434
; %bb.433:                              ;   in Loop: Header=BB52_429 Depth=1
	s_bcnt1_i32_b64 s6, s[30:31]
	s_mul_i32 s6, s43, s6
	s_waitcnt lgkmcnt(0)
	v_mov_b32_e32 v16, s6
	ds_add_rtn_u32 v16, v8, v16 offset:4108
.LBB52_434:                             ;   in Loop: Header=BB52_429 Depth=1
	s_or_b64 exec, exec, s[26:27]
	s_waitcnt lgkmcnt(0)
	v_readfirstlane_b32 s6, v16
	v_mov_b32_e32 v16, s6
	v_mad_u32_u24 v16, s43, v14, v16
.LBB52_435:                             ;   in Loop: Header=BB52_429 Depth=1
	s_or_b64 exec, exec, s[22:23]
	s_waitcnt lgkmcnt(0)
	ds_bpermute_b32 v16, v26, v16
	s_mov_b64 s[6:7], -1
	s_mov_b64 s[26:27], -1
	s_and_saveexec_b64 s[22:23], s[24:25]
	s_cbranch_execz .LBB52_439
; %bb.436:                              ;   in Loop: Header=BB52_429 Depth=1
	v_and_b32_e32 v17, s4, v28
	v_and_b32_e32 v14, s5, v27
	v_bcnt_u32_b32 v17, v17, 0
	v_bcnt_u32_b32 v14, v14, v17
	s_waitcnt lgkmcnt(0)
	v_add_u32_e32 v14, v16, v14
	v_cmp_gt_u32_e64 s[4:5], s29, v14
	s_mov_b64 s[24:25], 0
	s_and_saveexec_b64 s[26:27], s[4:5]
; %bb.437:                              ;   in Loop: Header=BB52_429 Depth=1
	v_mul_lo_u32 v17, v14, s38
	v_mov_b32_e32 v18, v8
	v_mul_lo_u32 v19, v14, s37
	v_mov_b32_e32 v14, s39
	v_lshlrev_b64 v[17:18], 3, v[17:18]
	v_mov_b32_e32 v20, v8
	v_add_co_u32_e64 v17, s[4:5], s35, v17
	v_addc_co_u32_e64 v18, s[4:5], v14, v18, s[4:5]
	global_store_dwordx2 v[17:18], v[1:2], off
	v_lshlrev_b64 v[1:2], 3, v[19:20]
	v_mov_b32_e32 v17, s42
	v_add_co_u32_e64 v1, s[4:5], s41, v1
	s_mov_b64 s[24:25], exec
	v_mov_b32_e32 v14, v8
	v_addc_co_u32_e64 v2, s[4:5], v17, v2, s[4:5]
	global_store_dwordx2 v[1:2], v[13:14], off
; %bb.438:                              ;   in Loop: Header=BB52_429 Depth=1
	s_or_b64 exec, exec, s[26:27]
	s_orn2_b64 s[26:27], s[24:25], exec
.LBB52_439:                             ;   in Loop: Header=BB52_429 Depth=1
	s_or_b64 exec, exec, s[22:23]
	s_mov_b64 s[22:23], -1
	s_and_saveexec_b64 s[24:25], s[26:27]
	s_cbranch_execz .LBB52_428
; %bb.440:                              ;   in Loop: Header=BB52_429 Depth=1
	v_cmp_le_u32_e64 s[4:5], s36, v15
	v_add_u32_e32 v7, s46, v7
	s_xor_b64 s[22:23], exec, -1
	s_orn2_b64 s[6:7], s[4:5], exec
	s_branch .LBB52_428
.LBB52_441:
	s_or_b64 exec, exec, s[18:19]
	s_mov_b64 s[4:5], exec
	s_orn2_b64 s[18:19], s[20:21], exec
	s_or_b64 exec, exec, s[8:9]
	s_and_saveexec_b64 s[6:7], s[18:19]
	s_cbranch_execz .LBB52_418
.LBB52_442:
	v_mov_b32_e32 v9, 0
	v_mov_b32_e32 v10, 0
	s_waitcnt vmcnt(0) lgkmcnt(0)
	s_barrier
	s_mov_b64 s[2:3], exec
	v_readlane_b32 s8, v47, 18
	v_readlane_b32 s9, v47, 19
	s_and_b64 s[8:9], s[2:3], s[8:9]
	s_mov_b64 exec, s[8:9]
	s_cbranch_execz .LBB52_444
; %bb.443:
	global_load_dwordx2 v[9:10], v[11:12], off
.LBB52_444:
	s_or_b64 exec, exec, s[2:3]
	s_mov_b64 s[2:3], 0
	s_and_saveexec_b64 s[8:9], vcc
	s_cbranch_execz .LBB52_464
; %bb.445:
	v_add_u32_e32 v1, s33, v0
	v_readlane_b32 s2, v47, 0
	v_mul_lo_u32 v2, s2, v1
	s_mov_b64 s[18:19], 0
	v_mov_b32_e32 v3, 0
                                        ; implicit-def: $sgpr20_sgpr21
                                        ; implicit-def: $vgpr11
	s_branch .LBB52_448
.LBB52_446:                             ;   in Loop: Header=BB52_448 Depth=1
	s_or_b64 exec, exec, s[24:25]
	s_orn2_b64 s[26:27], s[30:31], exec
	s_orn2_b64 s[24:25], s[22:23], exec
.LBB52_447:                             ;   in Loop: Header=BB52_448 Depth=1
	s_or_b64 exec, exec, s[2:3]
	s_xor_b64 s[2:3], s[26:27], -1
	s_and_b64 s[22:23], exec, s[24:25]
	s_or_b64 s[18:19], s[22:23], s[18:19]
	s_andn2_b64 s[20:21], s[20:21], exec
	s_and_b64 s[2:3], s[2:3], exec
	v_mov_b32_e32 v10, v8
	s_or_b64 s[20:21], s[20:21], s[2:3]
	v_mov_b32_e32 v0, v4
	v_mov_b32_e32 v9, v7
	s_andn2_b64 exec, exec, s[18:19]
	s_cbranch_execz .LBB52_462
.LBB52_448:                             ; =>This Inner Loop Header: Depth=1
	v_add_u32_e32 v4, s33, v0
	v_mov_b32_e32 v7, 0
	v_mov_b32_e32 v8, 0
	v_cmp_gt_u32_e32 vcc, s28, v4
	s_and_saveexec_b64 s[2:3], vcc
	s_cbranch_execz .LBB52_450
; %bb.449:                              ;   in Loop: Header=BB52_448 Depth=1
	v_lshlrev_b64 v[7:8], 3, v[2:3]
	v_mov_b32_e32 v1, s40
	v_add_co_u32_e32 v7, vcc, s34, v7
	v_addc_co_u32_e32 v8, vcc, v1, v8, vcc
	global_load_dwordx2 v[7:8], v[7:8], off
.LBB52_450:                             ;   in Loop: Header=BB52_448 Depth=1
	s_or_b64 exec, exec, s[2:3]
	s_waitcnt vmcnt(0)
	v_cmp_eq_u64_e32 vcc, v[9:10], v[5:6]
	v_cmp_gt_u32_e64 s[2:3], s28, v0
	s_and_b64 s[22:23], s[2:3], vcc
	v_cndmask_b32_e64 v1, 0, 1, s[22:23]
	v_cmp_ne_u32_e32 vcc, 0, v1
	s_cmp_lg_u64 vcc, 0
	s_cselect_b64 s[2:3], -1, 0
	s_and_b64 s[2:3], s[0:1], s[2:3]
	s_and_saveexec_b64 s[24:25], s[2:3]
	s_cbranch_execz .LBB52_454
; %bb.451:                              ;   in Loop: Header=BB52_448 Depth=1
	s_mov_b64 s[30:31], exec
	v_mbcnt_lo_u32_b32 v1, s30, 0
	v_mbcnt_hi_u32_b32 v1, s31, v1
	s_bcnt1_i32_b64 s43, vcc
	v_cmp_eq_u32_e64 s[2:3], 0, v1
                                        ; implicit-def: $vgpr9
	s_and_saveexec_b64 s[26:27], s[2:3]
; %bb.452:                              ;   in Loop: Header=BB52_448 Depth=1
	s_bcnt1_i32_b64 s2, s[30:31]
	s_mul_i32 s2, s43, s2
	v_mov_b32_e32 v9, s2
	ds_add_rtn_u32 v9, v3, v9 offset:4108
; %bb.453:                              ;   in Loop: Header=BB52_448 Depth=1
	s_or_b64 exec, exec, s[26:27]
	s_waitcnt lgkmcnt(0)
	v_readfirstlane_b32 s2, v9
	v_mov_b32_e32 v9, s2
	v_mad_u32_u24 v11, s43, v1, v9
.LBB52_454:                             ;   in Loop: Header=BB52_448 Depth=1
	s_or_b64 exec, exec, s[24:25]
	ds_bpermute_b32 v11, v26, v11
	s_cmp_eq_u64 vcc, 0
	s_cselect_b64 s[26:27], -1, 0
	s_mov_b64 s[24:25], -1
	s_waitcnt lgkmcnt(0)
	v_cmp_gt_u32_e64 s[2:3], s29, v11
	s_or_b64 s[30:31], s[26:27], s[2:3]
	s_mov_b64 s[26:27], -1
	s_and_saveexec_b64 s[2:3], s[30:31]
	s_cbranch_execz .LBB52_447
; %bb.455:                              ;   in Loop: Header=BB52_448 Depth=1
	v_and_b32_e32 v9, vcc_lo, v28
	v_and_b32_e32 v1, vcc_hi, v27
	v_bcnt_u32_b32 v9, v9, 0
	v_bcnt_u32_b32 v1, v1, v9
	v_sub_u32_e32 v9, s29, v11
	v_cmp_gt_u32_e32 vcc, v9, v1
	s_and_b64 s[44:45], s[22:23], vcc
	s_mov_b64 s[22:23], -1
	s_mov_b64 s[30:31], -1
	s_and_saveexec_b64 s[24:25], s[44:45]
	s_cbranch_execz .LBB52_459
; %bb.456:                              ;   in Loop: Header=BB52_448 Depth=1
	v_add_u32_e32 v1, v11, v1
	v_cmp_gt_u32_e32 vcc, s29, v1
	s_mov_b64 s[26:27], 0
	s_and_saveexec_b64 s[30:31], vcc
; %bb.457:                              ;   in Loop: Header=BB52_448 Depth=1
	v_mul_lo_u32 v9, v1, s38
	v_mov_b32_e32 v10, v3
	v_mul_lo_u32 v12, v1, s37
	v_mov_b32_e32 v1, s39
	v_lshlrev_b64 v[9:10], 3, v[9:10]
	v_mov_b32_e32 v13, v3
	v_add_co_u32_e32 v9, vcc, s35, v9
	v_addc_co_u32_e32 v10, vcc, v1, v10, vcc
	global_store_dwordx2 v[9:10], v[5:6], off
	v_lshlrev_b64 v[9:10], 3, v[12:13]
	v_mov_b32_e32 v12, s42
	v_add_co_u32_e32 v9, vcc, s41, v9
	s_mov_b64 s[26:27], exec
	v_mov_b32_e32 v1, v3
	v_addc_co_u32_e32 v10, vcc, v12, v10, vcc
	global_store_dwordx2 v[9:10], v[0:1], off
; %bb.458:                              ;   in Loop: Header=BB52_448 Depth=1
	s_or_b64 exec, exec, s[30:31]
	s_xor_b64 s[30:31], exec, -1
	s_orn2_b64 s[26:27], s[26:27], exec
.LBB52_459:                             ;   in Loop: Header=BB52_448 Depth=1
	s_or_b64 exec, exec, s[24:25]
	s_and_saveexec_b64 s[24:25], s[26:27]
	s_cbranch_execz .LBB52_446
; %bb.460:                              ;   in Loop: Header=BB52_448 Depth=1
	v_cmp_le_u32_e32 vcc, s36, v4
	v_add_u32_e32 v2, s46, v2
	s_or_b64 s[30:31], s[30:31], exec
	s_orn2_b64 s[22:23], vcc, exec
	s_branch .LBB52_446
.LBB52_461:
	s_or_b64 s[8:9], s[8:9], exec
	s_trap 2
	s_branch .LBB52_425
.LBB52_462:
	s_or_b64 exec, exec, s[18:19]
	s_mov_b64 s[0:1], 0
	s_and_saveexec_b64 s[2:3], s[20:21]
	s_xor_b64 s[2:3], exec, s[2:3]
	s_cbranch_execnz .LBB52_468
.LBB52_463:
	s_or_b64 exec, exec, s[2:3]
	s_and_b64 s[2:3], s[0:1], exec
.LBB52_464:
	s_or_b64 exec, exec, s[8:9]
	s_and_b64 s[2:3], s[2:3], exec
	s_andn2_b64 s[4:5], s[4:5], exec
	s_or_b64 exec, exec, s[6:7]
	s_and_saveexec_b64 s[0:1], s[4:5]
	s_xor_b64 s[0:1], exec, s[0:1]
	s_cbranch_execz .LBB52_419
.LBB52_465:
	s_trap 2
	s_or_b64 s[2:3], s[2:3], exec
	s_branch .LBB52_419
.LBB52_466:
	s_or_b64 s[8:9], s[8:9], exec
	s_trap 2
	s_branch .LBB52_423
.LBB52_467:
	s_trap 2
	s_or_b64 s[8:9], s[8:9], exec
	s_branch .LBB52_421
.LBB52_468:
	s_mov_b64 s[0:1], exec
	s_trap 2
	s_branch .LBB52_463
	.section	.rodata,"a",@progbits
	.p2align	6, 0x0
	.amdhsa_kernel _ZN2at6native6sbtopk10gatherTopKIljLin1ELb0EEEvNS_4cuda6detail10TensorInfoIKT_T0_EES8_S8_bS8_S8_NS5_IS6_S8_EES8_NS5_IlS8_EES8_PS6_
		.amdhsa_group_segment_fixed_size 4112
		.amdhsa_private_segment_fixed_size 0
		.amdhsa_kernarg_size 952
		.amdhsa_user_sgpr_count 6
		.amdhsa_user_sgpr_private_segment_buffer 1
		.amdhsa_user_sgpr_dispatch_ptr 0
		.amdhsa_user_sgpr_queue_ptr 0
		.amdhsa_user_sgpr_kernarg_segment_ptr 1
		.amdhsa_user_sgpr_dispatch_id 0
		.amdhsa_user_sgpr_flat_scratch_init 0
		.amdhsa_user_sgpr_private_segment_size 0
		.amdhsa_uses_dynamic_stack 0
		.amdhsa_system_sgpr_private_segment_wavefront_offset 0
		.amdhsa_system_sgpr_workgroup_id_x 1
		.amdhsa_system_sgpr_workgroup_id_y 1
		.amdhsa_system_sgpr_workgroup_id_z 1
		.amdhsa_system_sgpr_workgroup_info 0
		.amdhsa_system_vgpr_workitem_id 0
		.amdhsa_next_free_vgpr 48
		.amdhsa_next_free_sgpr 96
		.amdhsa_reserve_vcc 1
		.amdhsa_reserve_flat_scratch 0
		.amdhsa_float_round_mode_32 0
		.amdhsa_float_round_mode_16_64 0
		.amdhsa_float_denorm_mode_32 3
		.amdhsa_float_denorm_mode_16_64 3
		.amdhsa_dx10_clamp 1
		.amdhsa_ieee_mode 1
		.amdhsa_fp16_overflow 0
		.amdhsa_exception_fp_ieee_invalid_op 0
		.amdhsa_exception_fp_denorm_src 0
		.amdhsa_exception_fp_ieee_div_zero 0
		.amdhsa_exception_fp_ieee_overflow 0
		.amdhsa_exception_fp_ieee_underflow 0
		.amdhsa_exception_fp_ieee_inexact 0
		.amdhsa_exception_int_div_zero 0
	.end_amdhsa_kernel
	.section	.text._ZN2at6native6sbtopk10gatherTopKIljLin1ELb0EEEvNS_4cuda6detail10TensorInfoIKT_T0_EES8_S8_bS8_S8_NS5_IS6_S8_EES8_NS5_IlS8_EES8_PS6_,"axG",@progbits,_ZN2at6native6sbtopk10gatherTopKIljLin1ELb0EEEvNS_4cuda6detail10TensorInfoIKT_T0_EES8_S8_bS8_S8_NS5_IS6_S8_EES8_NS5_IlS8_EES8_PS6_,comdat
.Lfunc_end52:
	.size	_ZN2at6native6sbtopk10gatherTopKIljLin1ELb0EEEvNS_4cuda6detail10TensorInfoIKT_T0_EES8_S8_bS8_S8_NS5_IS6_S8_EES8_NS5_IlS8_EES8_PS6_, .Lfunc_end52-_ZN2at6native6sbtopk10gatherTopKIljLin1ELb0EEEvNS_4cuda6detail10TensorInfoIKT_T0_EES8_S8_bS8_S8_NS5_IS6_S8_EES8_NS5_IlS8_EES8_PS6_
                                        ; -- End function
	.set _ZN2at6native6sbtopk10gatherTopKIljLin1ELb0EEEvNS_4cuda6detail10TensorInfoIKT_T0_EES8_S8_bS8_S8_NS5_IS6_S8_EES8_NS5_IlS8_EES8_PS6_.num_vgpr, 48
	.set _ZN2at6native6sbtopk10gatherTopKIljLin1ELb0EEEvNS_4cuda6detail10TensorInfoIKT_T0_EES8_S8_bS8_S8_NS5_IS6_S8_EES8_NS5_IlS8_EES8_PS6_.num_agpr, 0
	.set _ZN2at6native6sbtopk10gatherTopKIljLin1ELb0EEEvNS_4cuda6detail10TensorInfoIKT_T0_EES8_S8_bS8_S8_NS5_IS6_S8_EES8_NS5_IlS8_EES8_PS6_.numbered_sgpr, 96
	.set _ZN2at6native6sbtopk10gatherTopKIljLin1ELb0EEEvNS_4cuda6detail10TensorInfoIKT_T0_EES8_S8_bS8_S8_NS5_IS6_S8_EES8_NS5_IlS8_EES8_PS6_.num_named_barrier, 0
	.set _ZN2at6native6sbtopk10gatherTopKIljLin1ELb0EEEvNS_4cuda6detail10TensorInfoIKT_T0_EES8_S8_bS8_S8_NS5_IS6_S8_EES8_NS5_IlS8_EES8_PS6_.private_seg_size, 0
	.set _ZN2at6native6sbtopk10gatherTopKIljLin1ELb0EEEvNS_4cuda6detail10TensorInfoIKT_T0_EES8_S8_bS8_S8_NS5_IS6_S8_EES8_NS5_IlS8_EES8_PS6_.uses_vcc, 1
	.set _ZN2at6native6sbtopk10gatherTopKIljLin1ELb0EEEvNS_4cuda6detail10TensorInfoIKT_T0_EES8_S8_bS8_S8_NS5_IS6_S8_EES8_NS5_IlS8_EES8_PS6_.uses_flat_scratch, 0
	.set _ZN2at6native6sbtopk10gatherTopKIljLin1ELb0EEEvNS_4cuda6detail10TensorInfoIKT_T0_EES8_S8_bS8_S8_NS5_IS6_S8_EES8_NS5_IlS8_EES8_PS6_.has_dyn_sized_stack, 0
	.set _ZN2at6native6sbtopk10gatherTopKIljLin1ELb0EEEvNS_4cuda6detail10TensorInfoIKT_T0_EES8_S8_bS8_S8_NS5_IS6_S8_EES8_NS5_IlS8_EES8_PS6_.has_recursion, 0
	.set _ZN2at6native6sbtopk10gatherTopKIljLin1ELb0EEEvNS_4cuda6detail10TensorInfoIKT_T0_EES8_S8_bS8_S8_NS5_IS6_S8_EES8_NS5_IlS8_EES8_PS6_.has_indirect_call, 0
	.section	.AMDGPU.csdata,"",@progbits
; Kernel info:
; codeLenInByte = 15504
; TotalNumSgprs: 100
; NumVgprs: 48
; ScratchSize: 0
; MemoryBound: 0
; FloatMode: 240
; IeeeMode: 1
; LDSByteSize: 4112 bytes/workgroup (compile time only)
; SGPRBlocks: 12
; VGPRBlocks: 11
; NumSGPRsForWavesPerEU: 100
; NumVGPRsForWavesPerEU: 48
; Occupancy: 5
; WaveLimiterHint : 1
; COMPUTE_PGM_RSRC2:SCRATCH_EN: 0
; COMPUTE_PGM_RSRC2:USER_SGPR: 6
; COMPUTE_PGM_RSRC2:TRAP_HANDLER: 0
; COMPUTE_PGM_RSRC2:TGID_X_EN: 1
; COMPUTE_PGM_RSRC2:TGID_Y_EN: 1
; COMPUTE_PGM_RSRC2:TGID_Z_EN: 1
; COMPUTE_PGM_RSRC2:TIDIG_COMP_CNT: 0
	.section	.text._ZN2at6native6mbtopk23computeBlockDigitCountsIsjjLi1EEEvNS_4cuda6detail10TensorInfoIKT_T0_EEjPjjS8_iijT1_PSB_Ps,"axG",@progbits,_ZN2at6native6mbtopk23computeBlockDigitCountsIsjjLi1EEEvNS_4cuda6detail10TensorInfoIKT_T0_EEjPjjS8_iijT1_PSB_Ps,comdat
	.protected	_ZN2at6native6mbtopk23computeBlockDigitCountsIsjjLi1EEEvNS_4cuda6detail10TensorInfoIKT_T0_EEjPjjS8_iijT1_PSB_Ps ; -- Begin function _ZN2at6native6mbtopk23computeBlockDigitCountsIsjjLi1EEEvNS_4cuda6detail10TensorInfoIKT_T0_EEjPjjS8_iijT1_PSB_Ps
	.globl	_ZN2at6native6mbtopk23computeBlockDigitCountsIsjjLi1EEEvNS_4cuda6detail10TensorInfoIKT_T0_EEjPjjS8_iijT1_PSB_Ps
	.p2align	8
	.type	_ZN2at6native6mbtopk23computeBlockDigitCountsIsjjLi1EEEvNS_4cuda6detail10TensorInfoIKT_T0_EEjPjjS8_iijT1_PSB_Ps,@function
_ZN2at6native6mbtopk23computeBlockDigitCountsIsjjLi1EEEvNS_4cuda6detail10TensorInfoIKT_T0_EEjPjjS8_iijT1_PSB_Ps: ; @_ZN2at6native6mbtopk23computeBlockDigitCountsIsjjLi1EEEvNS_4cuda6detail10TensorInfoIKT_T0_EEjPjjS8_iijT1_PSB_Ps
; %bb.0:
	s_load_dwordx2 s[10:11], s[4:5], 0xf8
	s_load_dwordx4 s[12:15], s[4:5], 0xe8
	s_load_dwordx2 s[0:1], s[4:5], 0x110
	s_waitcnt lgkmcnt(0)
	v_cvt_f32_u32_e32 v1, s10
	s_sub_i32 s2, 0, s10
	s_mul_i32 s1, s1, s8
	s_add_i32 s1, s1, s7
	v_rcp_iflag_f32_e32 v1, v1
	s_mul_i32 s16, s1, s0
	s_add_i32 s16, s16, s6
	s_mov_b32 s7, 0
	v_mul_f32_e32 v1, 0x4f7ffffe, v1
	v_cvt_u32_f32_e32 v1, v1
	v_readfirstlane_b32 s0, v1
	s_mul_i32 s2, s2, s0
	s_mul_hi_u32 s1, s0, s2
	s_add_i32 s0, s0, s1
	s_mul_hi_u32 s0, s16, s0
	s_mul_i32 s1, s0, s10
	s_sub_i32 s1, s16, s1
	s_add_i32 s2, s0, 1
	s_sub_i32 s3, s1, s10
	s_cmp_ge_u32 s1, s10
	s_cselect_b32 s0, s2, s0
	s_cselect_b32 s1, s3, s1
	s_add_i32 s2, s0, 1
	s_cmp_ge_u32 s1, s10
	s_cselect_b32 s6, s2, s0
	s_cmp_ge_u32 s6, s12
	s_cbranch_scc1 .LBB53_27
; %bb.1:
	s_load_dwordx4 s[0:3], s[4:5], 0x100
	s_lshl_b64 s[8:9], s[6:7], 2
	s_movk_i32 s7, 0x100
	v_cmp_gt_u32_e32 vcc, s7, v0
	v_lshlrev_b32_e32 v3, 2, v0
	s_waitcnt lgkmcnt(0)
	s_add_u32 s0, s0, s8
	s_addc_u32 s1, s1, s9
	s_and_saveexec_b64 s[8:9], vcc
; %bb.2:
	v_mov_b32_e32 v1, 0
	ds_write_b32 v3, v1
; %bb.3:
	s_or_b64 exec, exec, s[8:9]
	s_load_dword s8, s[4:5], 0xd8
	s_mul_i32 s7, s6, s10
	s_sub_i32 s7, s16, s7
	s_add_i32 s9, s7, 1
	s_mul_i32 s7, s15, s7
	s_lshl_b32 s17, s7, 8
	s_waitcnt lgkmcnt(0)
	s_sub_i32 s7, s8, s17
	s_add_u32 s18, s7, 0xff
	s_addc_u32 s19, 0, 0
	s_lshr_b64 s[18:19], s[18:19], 8
	s_cmp_lt_u32 s9, s10
	s_cselect_b32 s15, s15, s18
	s_cmp_lt_i32 s15, 1
	s_mov_b32 s7, 0
	s_barrier
	s_cbranch_scc1 .LBB53_25
; %bb.4:
	s_load_dword s10, s[4:5], 0x6c
	s_load_dwordx2 s[18:19], s[4:5], 0x0
	s_load_dword s9, s[0:1], 0x0
	s_waitcnt lgkmcnt(0)
	s_mul_i32 s6, s10, s6
	s_lshl_b64 s[0:1], s[6:7], 1
	s_add_u32 s6, s18, s0
	s_addc_u32 s10, s19, s1
	s_and_b32 s12, s14, 0xff
	s_cmp_lt_u32 s15, 4
	s_cbranch_scc1 .LBB53_19
; %bb.5:
	v_add_u32_e32 v1, s17, v0
	v_add_u32_e32 v2, 0x200, v1
	;; [unrolled: 1-line block ×3, first 2 shown]
	v_mul_lo_u32 v6, s13, v2
	v_add_u32_e32 v2, 0x100, v1
	v_mul_lo_u32 v5, s13, v4
	v_mul_lo_u32 v7, s13, v2
	;; [unrolled: 1-line block ×3, first 2 shown]
	s_and_b32 s7, s15, 0x7ffffffc
	s_lshl_b32 s14, s13, 10
	s_mov_b32 s18, 0
	v_mov_b32_e32 v2, 0
	v_mov_b32_e32 v9, 1
	s_mov_b32 s19, 0
	s_branch .LBB53_7
.LBB53_6:                               ;   in Loop: Header=BB53_7 Depth=1
	s_or_b64 exec, exec, s[4:5]
	s_add_i32 s19, s19, 4
	s_add_i32 s18, s18, s14
	s_cmp_eq_u32 s7, s19
	v_add_u32_e32 v4, 0x400, v4
	s_cbranch_scc1 .LBB53_19
.LBB53_7:                               ; =>This Inner Loop Header: Depth=1
	v_add_u32_e32 v1, 0xfffffd00, v4
	v_cmp_gt_u32_e64 s[0:1], s8, v1
	s_and_saveexec_b64 s[4:5], s[0:1]
	s_cbranch_execz .LBB53_10
; %bb.8:                                ;   in Loop: Header=BB53_7 Depth=1
	v_add_u32_e32 v1, s18, v8
	v_lshlrev_b64 v[10:11], 1, v[1:2]
	v_mov_b32_e32 v1, s10
	v_add_co_u32_e64 v10, s[0:1], s6, v10
	v_addc_co_u32_e64 v11, s[0:1], v1, v11, s[0:1]
	global_load_sshort v1, v[10:11], off
	s_waitcnt vmcnt(0)
	v_add_u32_e32 v1, 0x8000, v1
	v_xor_b32_e32 v10, s9, v1
	v_and_b32_e32 v10, s11, v10
	v_cmp_eq_u32_e64 s[0:1], 0, v10
	s_and_b64 exec, exec, s[0:1]
; %bb.9:                                ;   in Loop: Header=BB53_7 Depth=1
	v_bfe_u32 v1, v1, s12, 8
	v_lshlrev_b32_e32 v1, 2, v1
	ds_add_u32 v1, v9
.LBB53_10:                              ;   in Loop: Header=BB53_7 Depth=1
	s_or_b64 exec, exec, s[4:5]
	v_add_u32_e32 v1, 0xfffffe00, v4
	v_cmp_gt_u32_e64 s[0:1], s8, v1
	s_and_saveexec_b64 s[4:5], s[0:1]
	s_cbranch_execz .LBB53_13
; %bb.11:                               ;   in Loop: Header=BB53_7 Depth=1
	v_add_u32_e32 v1, s18, v7
	v_lshlrev_b64 v[10:11], 1, v[1:2]
	v_mov_b32_e32 v1, s10
	v_add_co_u32_e64 v10, s[0:1], s6, v10
	v_addc_co_u32_e64 v11, s[0:1], v1, v11, s[0:1]
	global_load_sshort v1, v[10:11], off
	s_waitcnt vmcnt(0)
	v_add_u32_e32 v1, 0x8000, v1
	v_xor_b32_e32 v10, s9, v1
	v_and_b32_e32 v10, s11, v10
	v_cmp_eq_u32_e64 s[0:1], 0, v10
	s_and_b64 exec, exec, s[0:1]
; %bb.12:                               ;   in Loop: Header=BB53_7 Depth=1
	v_bfe_u32 v1, v1, s12, 8
	v_lshlrev_b32_e32 v1, 2, v1
	ds_add_u32 v1, v9
.LBB53_13:                              ;   in Loop: Header=BB53_7 Depth=1
	s_or_b64 exec, exec, s[4:5]
	v_add_u32_e32 v1, 0xffffff00, v4
	v_cmp_gt_u32_e64 s[0:1], s8, v1
	s_and_saveexec_b64 s[4:5], s[0:1]
	s_cbranch_execz .LBB53_16
; %bb.14:                               ;   in Loop: Header=BB53_7 Depth=1
	v_add_u32_e32 v1, s18, v6
	v_lshlrev_b64 v[10:11], 1, v[1:2]
	v_mov_b32_e32 v1, s10
	v_add_co_u32_e64 v10, s[0:1], s6, v10
	v_addc_co_u32_e64 v11, s[0:1], v1, v11, s[0:1]
	global_load_sshort v1, v[10:11], off
	s_waitcnt vmcnt(0)
	v_add_u32_e32 v1, 0x8000, v1
	v_xor_b32_e32 v10, s9, v1
	v_and_b32_e32 v10, s11, v10
	v_cmp_eq_u32_e64 s[0:1], 0, v10
	s_and_b64 exec, exec, s[0:1]
; %bb.15:                               ;   in Loop: Header=BB53_7 Depth=1
	v_bfe_u32 v1, v1, s12, 8
	v_lshlrev_b32_e32 v1, 2, v1
	ds_add_u32 v1, v9
.LBB53_16:                              ;   in Loop: Header=BB53_7 Depth=1
	s_or_b64 exec, exec, s[4:5]
	v_cmp_gt_u32_e64 s[0:1], s8, v4
	s_and_saveexec_b64 s[4:5], s[0:1]
	s_cbranch_execz .LBB53_6
; %bb.17:                               ;   in Loop: Header=BB53_7 Depth=1
	v_add_u32_e32 v1, s18, v5
	v_lshlrev_b64 v[10:11], 1, v[1:2]
	v_mov_b32_e32 v1, s10
	v_add_co_u32_e64 v10, s[0:1], s6, v10
	v_addc_co_u32_e64 v11, s[0:1], v1, v11, s[0:1]
	global_load_sshort v1, v[10:11], off
	s_waitcnt vmcnt(0)
	v_add_u32_e32 v1, 0x8000, v1
	v_xor_b32_e32 v10, s9, v1
	v_and_b32_e32 v10, s11, v10
	v_cmp_eq_u32_e64 s[0:1], 0, v10
	s_and_b64 exec, exec, s[0:1]
	s_cbranch_execz .LBB53_6
; %bb.18:                               ;   in Loop: Header=BB53_7 Depth=1
	v_bfe_u32 v1, v1, s12, 8
	v_lshlrev_b32_e32 v1, 2, v1
	ds_add_u32 v1, v9
	s_branch .LBB53_6
.LBB53_19:
	s_and_b32 s14, s15, 3
	s_cmp_eq_u32 s14, 0
	s_cbranch_scc1 .LBB53_25
; %bb.20:
	s_lshl_b32 s0, s7, 8
	s_add_i32 s0, s0, s17
	v_add_u32_e32 v4, s0, v0
	v_mul_lo_u32 v1, s13, v4
	s_lshl_b32 s7, s13, 8
	v_mov_b32_e32 v2, 0
	v_mov_b32_e32 v5, 1
	s_branch .LBB53_22
.LBB53_21:                              ;   in Loop: Header=BB53_22 Depth=1
	s_or_b64 exec, exec, s[4:5]
	s_add_i32 s14, s14, -1
	v_add_u32_e32 v1, s7, v1
	s_cmp_lg_u32 s14, 0
	v_add_u32_e32 v4, 0x100, v4
	s_cbranch_scc0 .LBB53_25
.LBB53_22:                              ; =>This Inner Loop Header: Depth=1
	v_cmp_gt_u32_e64 s[0:1], s8, v4
	s_and_saveexec_b64 s[4:5], s[0:1]
	s_cbranch_execz .LBB53_21
; %bb.23:                               ;   in Loop: Header=BB53_22 Depth=1
	v_lshlrev_b64 v[6:7], 1, v[1:2]
	v_mov_b32_e32 v8, s10
	v_add_co_u32_e64 v6, s[0:1], s6, v6
	v_addc_co_u32_e64 v7, s[0:1], v8, v7, s[0:1]
	global_load_sshort v6, v[6:7], off
	s_waitcnt vmcnt(0)
	v_add_u32_e32 v6, 0x8000, v6
	v_xor_b32_e32 v7, s9, v6
	v_and_b32_e32 v7, s11, v7
	v_cmp_eq_u32_e64 s[0:1], 0, v7
	s_and_b64 exec, exec, s[0:1]
	s_cbranch_execz .LBB53_21
; %bb.24:                               ;   in Loop: Header=BB53_22 Depth=1
	v_bfe_u32 v6, v6, s12, 8
	v_lshlrev_b32_e32 v6, 2, v6
	ds_add_u32 v6, v5
	s_branch .LBB53_21
.LBB53_25:
	s_waitcnt lgkmcnt(0)
	s_barrier
	s_and_saveexec_b64 s[0:1], vcc
	s_cbranch_execz .LBB53_27
; %bb.26:
	v_lshl_or_b32 v0, s16, 8, v0
	v_mov_b32_e32 v1, 0
	ds_read_b32 v3, v3
	v_lshlrev_b64 v[0:1], 1, v[0:1]
	v_mov_b32_e32 v2, s3
	v_add_co_u32_e32 v0, vcc, s2, v0
	v_addc_co_u32_e32 v1, vcc, v2, v1, vcc
	s_waitcnt lgkmcnt(0)
	global_store_short v[0:1], v3, off
.LBB53_27:
	s_endpgm
	.section	.rodata,"a",@progbits
	.p2align	6, 0x0
	.amdhsa_kernel _ZN2at6native6mbtopk23computeBlockDigitCountsIsjjLi1EEEvNS_4cuda6detail10TensorInfoIKT_T0_EEjPjjS8_iijT1_PSB_Ps
		.amdhsa_group_segment_fixed_size 1024
		.amdhsa_private_segment_fixed_size 0
		.amdhsa_kernarg_size 528
		.amdhsa_user_sgpr_count 6
		.amdhsa_user_sgpr_private_segment_buffer 1
		.amdhsa_user_sgpr_dispatch_ptr 0
		.amdhsa_user_sgpr_queue_ptr 0
		.amdhsa_user_sgpr_kernarg_segment_ptr 1
		.amdhsa_user_sgpr_dispatch_id 0
		.amdhsa_user_sgpr_flat_scratch_init 0
		.amdhsa_user_sgpr_private_segment_size 0
		.amdhsa_uses_dynamic_stack 0
		.amdhsa_system_sgpr_private_segment_wavefront_offset 0
		.amdhsa_system_sgpr_workgroup_id_x 1
		.amdhsa_system_sgpr_workgroup_id_y 1
		.amdhsa_system_sgpr_workgroup_id_z 1
		.amdhsa_system_sgpr_workgroup_info 0
		.amdhsa_system_vgpr_workitem_id 0
		.amdhsa_next_free_vgpr 12
		.amdhsa_next_free_sgpr 20
		.amdhsa_reserve_vcc 1
		.amdhsa_reserve_flat_scratch 0
		.amdhsa_float_round_mode_32 0
		.amdhsa_float_round_mode_16_64 0
		.amdhsa_float_denorm_mode_32 3
		.amdhsa_float_denorm_mode_16_64 3
		.amdhsa_dx10_clamp 1
		.amdhsa_ieee_mode 1
		.amdhsa_fp16_overflow 0
		.amdhsa_exception_fp_ieee_invalid_op 0
		.amdhsa_exception_fp_denorm_src 0
		.amdhsa_exception_fp_ieee_div_zero 0
		.amdhsa_exception_fp_ieee_overflow 0
		.amdhsa_exception_fp_ieee_underflow 0
		.amdhsa_exception_fp_ieee_inexact 0
		.amdhsa_exception_int_div_zero 0
	.end_amdhsa_kernel
	.section	.text._ZN2at6native6mbtopk23computeBlockDigitCountsIsjjLi1EEEvNS_4cuda6detail10TensorInfoIKT_T0_EEjPjjS8_iijT1_PSB_Ps,"axG",@progbits,_ZN2at6native6mbtopk23computeBlockDigitCountsIsjjLi1EEEvNS_4cuda6detail10TensorInfoIKT_T0_EEjPjjS8_iijT1_PSB_Ps,comdat
.Lfunc_end53:
	.size	_ZN2at6native6mbtopk23computeBlockDigitCountsIsjjLi1EEEvNS_4cuda6detail10TensorInfoIKT_T0_EEjPjjS8_iijT1_PSB_Ps, .Lfunc_end53-_ZN2at6native6mbtopk23computeBlockDigitCountsIsjjLi1EEEvNS_4cuda6detail10TensorInfoIKT_T0_EEjPjjS8_iijT1_PSB_Ps
                                        ; -- End function
	.set _ZN2at6native6mbtopk23computeBlockDigitCountsIsjjLi1EEEvNS_4cuda6detail10TensorInfoIKT_T0_EEjPjjS8_iijT1_PSB_Ps.num_vgpr, 12
	.set _ZN2at6native6mbtopk23computeBlockDigitCountsIsjjLi1EEEvNS_4cuda6detail10TensorInfoIKT_T0_EEjPjjS8_iijT1_PSB_Ps.num_agpr, 0
	.set _ZN2at6native6mbtopk23computeBlockDigitCountsIsjjLi1EEEvNS_4cuda6detail10TensorInfoIKT_T0_EEjPjjS8_iijT1_PSB_Ps.numbered_sgpr, 20
	.set _ZN2at6native6mbtopk23computeBlockDigitCountsIsjjLi1EEEvNS_4cuda6detail10TensorInfoIKT_T0_EEjPjjS8_iijT1_PSB_Ps.num_named_barrier, 0
	.set _ZN2at6native6mbtopk23computeBlockDigitCountsIsjjLi1EEEvNS_4cuda6detail10TensorInfoIKT_T0_EEjPjjS8_iijT1_PSB_Ps.private_seg_size, 0
	.set _ZN2at6native6mbtopk23computeBlockDigitCountsIsjjLi1EEEvNS_4cuda6detail10TensorInfoIKT_T0_EEjPjjS8_iijT1_PSB_Ps.uses_vcc, 1
	.set _ZN2at6native6mbtopk23computeBlockDigitCountsIsjjLi1EEEvNS_4cuda6detail10TensorInfoIKT_T0_EEjPjjS8_iijT1_PSB_Ps.uses_flat_scratch, 0
	.set _ZN2at6native6mbtopk23computeBlockDigitCountsIsjjLi1EEEvNS_4cuda6detail10TensorInfoIKT_T0_EEjPjjS8_iijT1_PSB_Ps.has_dyn_sized_stack, 0
	.set _ZN2at6native6mbtopk23computeBlockDigitCountsIsjjLi1EEEvNS_4cuda6detail10TensorInfoIKT_T0_EEjPjjS8_iijT1_PSB_Ps.has_recursion, 0
	.set _ZN2at6native6mbtopk23computeBlockDigitCountsIsjjLi1EEEvNS_4cuda6detail10TensorInfoIKT_T0_EEjPjjS8_iijT1_PSB_Ps.has_indirect_call, 0
	.section	.AMDGPU.csdata,"",@progbits
; Kernel info:
; codeLenInByte = 1188
; TotalNumSgprs: 24
; NumVgprs: 12
; ScratchSize: 0
; MemoryBound: 0
; FloatMode: 240
; IeeeMode: 1
; LDSByteSize: 1024 bytes/workgroup (compile time only)
; SGPRBlocks: 2
; VGPRBlocks: 2
; NumSGPRsForWavesPerEU: 24
; NumVGPRsForWavesPerEU: 12
; Occupancy: 10
; WaveLimiterHint : 1
; COMPUTE_PGM_RSRC2:SCRATCH_EN: 0
; COMPUTE_PGM_RSRC2:USER_SGPR: 6
; COMPUTE_PGM_RSRC2:TRAP_HANDLER: 0
; COMPUTE_PGM_RSRC2:TGID_X_EN: 1
; COMPUTE_PGM_RSRC2:TGID_Y_EN: 1
; COMPUTE_PGM_RSRC2:TGID_Z_EN: 1
; COMPUTE_PGM_RSRC2:TIDIG_COMP_CNT: 0
	.section	.text._ZN2at6native6mbtopk29computeBlockwiseWithinKCountsIjsEEvPT_PsPjjibS6_PT0_S6_S4_S6_j,"axG",@progbits,_ZN2at6native6mbtopk29computeBlockwiseWithinKCountsIjsEEvPT_PsPjjibS6_PT0_S6_S4_S6_j,comdat
	.protected	_ZN2at6native6mbtopk29computeBlockwiseWithinKCountsIjsEEvPT_PsPjjibS6_PT0_S6_S4_S6_j ; -- Begin function _ZN2at6native6mbtopk29computeBlockwiseWithinKCountsIjsEEvPT_PsPjjibS6_PT0_S6_S4_S6_j
	.globl	_ZN2at6native6mbtopk29computeBlockwiseWithinKCountsIjsEEvPT_PsPjjibS6_PT0_S6_S4_S6_j
	.p2align	8
	.type	_ZN2at6native6mbtopk29computeBlockwiseWithinKCountsIjsEEvPT_PsPjjibS6_PT0_S6_S4_S6_j,@function
_ZN2at6native6mbtopk29computeBlockwiseWithinKCountsIjsEEvPT_PsPjjibS6_PT0_S6_S4_S6_j: ; @_ZN2at6native6mbtopk29computeBlockwiseWithinKCountsIjsEEvPT_PsPjjibS6_PT0_S6_S4_S6_j
; %bb.0:
	s_load_dwordx4 s[16:19], s[4:5], 0x18
	s_load_dword s2, s[4:5], 0x50
	s_load_dwordx2 s[0:1], s[4:5], 0x58
	s_waitcnt lgkmcnt(0)
	v_cvt_f32_u32_e32 v1, s16
	s_mul_i32 s1, s1, s8
	s_add_i32 s1, s1, s7
	v_rcp_iflag_f32_e32 v1, v1
	s_mul_i32 s0, s1, s0
	s_add_i32 s6, s0, s6
	s_cmp_ge_u32 s6, s2
	v_mul_f32_e32 v1, 0x4f7ffffe, v1
	v_cvt_u32_f32_e32 v1, v1
	v_readfirstlane_b32 s0, v1
	s_cbranch_scc1 .LBB54_40
; %bb.1:
	s_sub_i32 s1, 0, s16
	s_mul_i32 s1, s1, s0
	s_mul_hi_u32 s1, s0, s1
	s_add_i32 s0, s0, s1
	s_mul_hi_u32 s2, s6, s0
	s_mul_i32 s3, s2, s16
	s_sub_i32 s3, s6, s3
	s_add_i32 s8, s2, 1
	s_sub_i32 s9, s3, s16
	s_cmp_ge_u32 s3, s16
	s_load_dwordx4 s[20:23], s[4:5], 0x0
	s_load_dwordx2 s[0:1], s[4:5], 0x10
	s_cselect_b32 s2, s8, s2
	s_cselect_b32 s3, s9, s3
	s_add_i32 s8, s2, 1
	s_mov_b32 s7, 0
	s_cmp_ge_u32 s3, s16
	s_cselect_b32 s28, s8, s2
	s_mov_b32 s29, s7
	s_lshl_b64 s[24:25], s[28:29], 2
	s_waitcnt lgkmcnt(0)
	s_add_u32 s0, s0, s24
	s_movk_i32 s2, 0x100
	s_addc_u32 s1, s1, s25
	v_cmp_gt_u32_e64 s[2:3], s2, v0
	s_and_saveexec_b64 s[8:9], s[2:3]
	s_cbranch_execz .LBB54_8
; %bb.2:
	s_mul_i32 s10, s28, s16
	s_lshl_b32 s10, s10, 8
	s_mov_b32 s11, s7
	s_lshl_b64 s[10:11], s[10:11], 1
	s_add_u32 s10, s22, s10
	s_addc_u32 s11, s23, s11
	v_lshlrev_b32_e32 v1, 1, v0
	v_mov_b32_e32 v2, s11
	v_add_co_u32_e32 v1, vcc, s10, v1
	v_mov_b32_e32 v3, 0
	s_cmp_lt_u32 s16, 4
	v_addc_co_u32_e32 v2, vcc, 0, v2, vcc
	s_cbranch_scc1 .LBB54_41
; %bb.3:
	v_mov_b32_e32 v3, 0
	s_mov_b32 s10, 0
.LBB54_4:                               ; =>This Inner Loop Header: Depth=1
	global_load_sshort v4, v[1:2], off
	global_load_sshort v5, v[1:2], off offset:512
	global_load_sshort v6, v[1:2], off offset:1024
	;; [unrolled: 1-line block ×3, first 2 shown]
	s_mov_b32 s11, s10
	v_add_co_u32_e32 v1, vcc, 0x800, v1
	s_add_i32 s10, s10, 4
	s_add_i32 s11, s11, 7
	v_addc_co_u32_e32 v2, vcc, 0, v2, vcc
	s_cmp_ge_u32 s11, s16
	s_waitcnt vmcnt(2)
	v_add3_u32 v3, v3, v4, v5
	s_waitcnt vmcnt(0)
	v_add3_u32 v3, v3, v6, v7
	s_cbranch_scc0 .LBB54_4
; %bb.5:
	s_cmp_ge_u32 s10, s16
	s_cbranch_scc1 .LBB54_7
.LBB54_6:                               ; =>This Inner Loop Header: Depth=1
	global_load_sshort v4, v[1:2], off
	v_add_co_u32_e32 v1, vcc, 0x200, v1
	s_add_i32 s10, s10, 1
	v_addc_co_u32_e32 v2, vcc, 0, v2, vcc
	s_cmp_lt_u32 s10, s16
	s_waitcnt vmcnt(0)
	v_add_u32_e32 v3, v3, v4
	s_cbranch_scc1 .LBB54_6
.LBB54_7:
	v_lshlrev_b32_e32 v1, 2, v0
	ds_write_b32 v1, v3 offset:1056
.LBB54_8:
	s_or_b64 exec, exec, s[8:9]
	s_load_dword s19, s[0:1], 0x0
	v_mov_b32_e32 v3, 0
	s_waitcnt lgkmcnt(0)
	s_barrier
	s_and_saveexec_b64 s[0:1], s[2:3]
; %bb.9:
	v_lshlrev_b32_e32 v1, 2, v0
	ds_read_b32 v3, v1 offset:1056
; %bb.10:
	s_or_b64 exec, exec, s[0:1]
	v_lshrrev_b32_e32 v1, 3, v0
	v_and_b32_e32 v1, 28, v1
	v_lshl_add_u32 v2, v0, 2, v1
	v_cmp_gt_u32_e64 s[0:1], 64, v0
	v_mbcnt_lo_u32_b32 v1, -1, 0
	s_waitcnt lgkmcnt(0)
	ds_write_b32 v2, v3
	s_waitcnt lgkmcnt(0)
	s_barrier
	s_and_saveexec_b64 s[8:9], s[0:1]
	s_cbranch_execz .LBB54_12
; %bb.11:
	v_lshrrev_b32_e32 v4, 1, v0
	v_and_b32_e32 v4, 0x7c, v4
	v_lshl_add_u32 v8, v0, 4, v4
	ds_read2_b32 v[4:5], v8 offset1:1
	ds_read2_b32 v[6:7], v8 offset0:2 offset1:3
	v_mbcnt_hi_u32_b32 v9, -1, v1
	v_and_b32_e32 v10, 15, v9
	v_cmp_ne_u32_e32 vcc, 0, v10
	s_waitcnt lgkmcnt(1)
	v_add_u32_e32 v5, v5, v4
	s_waitcnt lgkmcnt(0)
	v_add3_u32 v5, v5, v6, v7
	v_bfe_i32 v7, v9, 4, 1
	s_nop 0
	v_mov_b32_dpp v6, v5 row_shr:1 row_mask:0xf bank_mask:0xf
	v_cndmask_b32_e32 v6, 0, v6, vcc
	v_add_u32_e32 v5, v6, v5
	v_cmp_lt_u32_e32 vcc, 1, v10
	; wave barrier
	s_nop 0
	v_mov_b32_dpp v6, v5 row_shr:2 row_mask:0xf bank_mask:0xf
	v_cndmask_b32_e32 v6, 0, v6, vcc
	v_add_u32_e32 v5, v5, v6
	v_cmp_lt_u32_e32 vcc, 3, v10
	s_nop 0
	v_mov_b32_dpp v6, v5 row_shr:4 row_mask:0xf bank_mask:0xf
	v_cndmask_b32_e32 v6, 0, v6, vcc
	v_add_u32_e32 v5, v5, v6
	v_cmp_lt_u32_e32 vcc, 7, v10
	;; [unrolled: 5-line block ×3, first 2 shown]
	s_nop 0
	v_mov_b32_dpp v6, v5 row_bcast:15 row_mask:0xf bank_mask:0xf
	v_and_b32_e32 v6, v7, v6
	v_add_u32_e32 v5, v5, v6
	v_and_b32_e32 v7, 64, v9
	s_nop 0
	v_mov_b32_dpp v6, v5 row_bcast:31 row_mask:0xf bank_mask:0xf
	v_cndmask_b32_e32 v6, 0, v6, vcc
	v_add_u32_e32 v5, v5, v6
	v_add_u32_e32 v6, -1, v9
	v_cmp_lt_i32_e32 vcc, v6, v7
	v_cndmask_b32_e32 v6, v6, v9, vcc
	v_lshlrev_b32_e32 v6, 2, v6
	ds_bpermute_b32 v5, v6, v5
	v_cmp_eq_u32_e32 vcc, 0, v0
	s_waitcnt lgkmcnt(0)
	v_add_u32_e32 v4, v5, v4
	v_cndmask_b32_e32 v5, v4, v3, vcc
	ds_write_b32 v8, v5
	; wave barrier
	ds_read2_b32 v[3:4], v8 offset0:1 offset1:2
	ds_read_b32 v6, v8 offset:12
	s_waitcnt lgkmcnt(1)
	v_add_u32_e32 v3, v3, v5
	v_add_u32_e32 v4, v4, v3
	ds_write2_b32 v8, v3, v4 offset0:1 offset1:2
	s_waitcnt lgkmcnt(1)
	v_add_u32_e32 v3, v6, v4
	ds_write_b32 v8, v3 offset:12
.LBB54_12:
	s_or_b64 exec, exec, s[8:9]
	s_waitcnt lgkmcnt(0)
	s_barrier
	ds_read_b32 v3, v2
	s_waitcnt lgkmcnt(0)
	s_barrier
	s_and_saveexec_b64 s[8:9], s[2:3]
; %bb.13:
	v_lshlrev_b32_e32 v2, 2, v0
	ds_write_b32 v2, v3 offset:1056
; %bb.14:
	s_or_b64 exec, exec, s[8:9]
	s_load_dwordx8 s[8:15], s[4:5], 0x28
	s_load_dwordx2 s[26:27], s[4:5], 0x48
	s_waitcnt lgkmcnt(0)
	s_barrier
	s_and_saveexec_b64 s[4:5], s[2:3]
	s_cbranch_execz .LBB54_23
; %bb.15:
	v_mov_b32_e32 v2, 0
	v_cmp_ne_u32_e32 vcc, 0, v0
	s_and_saveexec_b64 s[2:3], vcc
; %bb.16:
	v_lshlrev_b32_e32 v2, 2, v0
	ds_read_b32 v2, v2 offset:1052
; %bb.17:
	s_or_b64 exec, exec, s[2:3]
	s_waitcnt lgkmcnt(0)
	v_cmp_gt_u32_e32 vcc, s19, v2
	v_cmp_le_u32_e64 s[2:3], s19, v3
	s_and_b64 s[2:3], vcc, s[2:3]
	s_and_b64 exec, exec, s[2:3]
	s_cbranch_execz .LBB54_23
; %bb.18:
	s_add_u32 s2, s20, s24
	s_addc_u32 s3, s21, s25
	v_mov_b32_e32 v3, 0
	global_load_dword v4, v3, s[2:3]
	s_lshl_b32 s3, 0xff, s17
	v_not_b32_e32 v6, s3
	v_lshlrev_b32_e32 v5, s17, v0
	s_mul_i32 s2, s28, s16
	s_cmp_lg_u32 s6, s2
	s_waitcnt vmcnt(0)
	v_and_b32_e32 v4, v4, v6
	v_or_b32_e32 v4, v4, v5
	ds_write_b32 v3, v4 offset:2096
	s_cbranch_scc1 .LBB54_23
; %bb.19:
	s_add_u32 s2, s14, s24
	s_addc_u32 s3, s15, s25
	global_store_dword v3, v4, s[2:3]
	s_cmp_lt_i32 s17, 1
	s_mov_b64 s[2:3], -1
	s_cbranch_scc0 .LBB54_21
; %bb.20:
	s_lshl_b64 s[2:3], s[28:29], 1
	s_add_u32 s2, s10, s2
	v_xor_b32_e32 v3, 0xffff8000, v4
	s_addc_u32 s3, s11, s3
	v_mov_b32_e32 v4, 0
	global_store_short v4, v3, s[2:3]
	s_mov_b64 s[2:3], 0
.LBB54_21:
	s_andn2_b64 vcc, exec, s[2:3]
	s_cbranch_vccnz .LBB54_23
; %bb.22:
	s_add_u32 s2, s12, s24
	v_sub_u32_e32 v2, s19, v2
	s_addc_u32 s3, s13, s25
	v_mov_b32_e32 v3, 0
	global_store_dword v3, v2, s[2:3]
.LBB54_23:
	s_or_b64 exec, exec, s[4:5]
	v_mov_b32_e32 v2, 0
	s_waitcnt vmcnt(0) lgkmcnt(0)
	s_barrier
	ds_read_b32 v2, v2 offset:2096
	s_bitcmp0_b32 s18, 0
	s_waitcnt lgkmcnt(0)
	v_lshrrev_b32_e32 v2, s17, v2
	s_cbranch_scc0 .LBB54_25
; %bb.24:
	v_and_b32_e32 v3, 0xc0, v0
	v_cmp_lt_u32_sdwa s[10:11], v3, v2 src0_sel:DWORD src1_sel:BYTE_0
	v_cmp_lt_u32_sdwa s[4:5], v0, v2 src0_sel:DWORD src1_sel:BYTE_0
	s_cbranch_execz .LBB54_26
	s_branch .LBB54_27
.LBB54_25:
                                        ; implicit-def: $sgpr4_sgpr5
                                        ; implicit-def: $sgpr10_sgpr11
.LBB54_26:
	v_or_b32_e32 v3, 63, v0
	v_cmp_gt_u32_sdwa s[2:3], v3, v2 src0_sel:DWORD src1_sel:BYTE_0
	v_cmp_gt_u32_sdwa s[12:13], v0, v2 src0_sel:DWORD src1_sel:BYTE_0
	s_andn2_b64 s[4:5], s[4:5], exec
	s_and_b64 s[12:13], s[12:13], exec
	s_andn2_b64 s[10:11], s[10:11], exec
	s_and_b64 s[2:3], s[2:3], exec
	s_or_b64 s[4:5], s[4:5], s[12:13]
	s_or_b64 s[10:11], s[10:11], s[2:3]
.LBB54_27:
	v_mov_b32_e32 v2, 0
	s_and_saveexec_b64 s[2:3], s[10:11]
	s_cbranch_execz .LBB54_31
; %bb.28:
	v_mov_b32_e32 v2, 0
	s_and_saveexec_b64 s[10:11], s[4:5]
	s_cbranch_execz .LBB54_30
; %bb.29:
	s_lshl_b32 s4, s6, 8
	s_mov_b32 s5, 0
	s_lshl_b64 s[4:5], s[4:5], 1
	s_add_u32 s4, s22, s4
	s_addc_u32 s5, s23, s5
	v_lshlrev_b32_e32 v2, 1, v0
	global_load_sshort v2, v2, s[4:5]
.LBB54_30:
	s_or_b64 exec, exec, s[10:11]
	v_mbcnt_hi_u32_b32 v3, -1, v1
	v_mov_b32_e32 v4, 0x80
	v_lshl_or_b32 v4, v3, 2, v4
	s_waitcnt vmcnt(0)
	ds_bpermute_b32 v4, v4, v2
	v_and_b32_e32 v5, 63, v3
	v_cmp_gt_u32_e32 vcc, 48, v5
	v_cndmask_b32_e64 v6, 0, 16, vcc
	v_cmp_gt_u32_e32 vcc, 56, v5
	s_waitcnt lgkmcnt(0)
	v_add_u32_e32 v2, v4, v2
	v_add_lshl_u32 v4, v6, v3, 2
	ds_bpermute_b32 v4, v4, v2
	v_cndmask_b32_e64 v6, 0, 8, vcc
	v_add_lshl_u32 v6, v6, v3, 2
	v_cmp_gt_u32_e32 vcc, 60, v5
	s_waitcnt lgkmcnt(0)
	v_add_u32_e32 v2, v4, v2
	ds_bpermute_b32 v4, v6, v2
	v_cndmask_b32_e64 v6, 0, 4, vcc
	v_add_lshl_u32 v6, v6, v3, 2
	v_cmp_gt_u32_e32 vcc, 62, v5
	s_waitcnt lgkmcnt(0)
	v_add_u32_e32 v2, v4, v2
	ds_bpermute_b32 v4, v6, v2
	v_cndmask_b32_e64 v6, 0, 2, vcc
	v_add_lshl_u32 v6, v6, v3, 2
	v_cmp_ne_u32_e32 vcc, 63, v5
	v_addc_co_u32_e32 v3, vcc, 0, v3, vcc
	s_waitcnt lgkmcnt(0)
	v_add_u32_e32 v2, v4, v2
	ds_bpermute_b32 v4, v6, v2
	v_lshlrev_b32_e32 v3, 2, v3
	s_waitcnt lgkmcnt(0)
	v_add_u32_e32 v2, v4, v2
	ds_bpermute_b32 v3, v3, v2
	s_waitcnt lgkmcnt(0)
	v_add_u32_e32 v2, v3, v2
.LBB54_31:
	s_or_b64 exec, exec, s[2:3]
	v_and_b32_e32 v3, 63, v0
	v_cmp_eq_u32_e32 vcc, 0, v3
	s_and_saveexec_b64 s[2:3], vcc
; %bb.32:
	v_lshrrev_b32_e32 v3, 4, v0
	v_and_b32_e32 v3, 12, v3
	ds_write_b32 v3, v2 offset:2080
; %bb.33:
	s_or_b64 exec, exec, s[2:3]
	s_waitcnt lgkmcnt(0)
	s_barrier
	s_and_saveexec_b64 s[2:3], s[0:1]
	s_cbranch_execz .LBB54_40
; %bb.34:
	v_cmp_gt_u32_e32 vcc, 4, v0
	v_mov_b32_e32 v2, 0
	s_and_saveexec_b64 s[0:1], vcc
; %bb.35:
	v_lshlrev_b32_e32 v2, 2, v0
	ds_read_b32 v2, v2 offset:2080
; %bb.36:
	s_or_b64 exec, exec, s[0:1]
	v_mbcnt_hi_u32_b32 v1, -1, v1
	v_and_b32_e32 v3, 63, v1
	v_cmp_gt_u32_e32 vcc, 62, v3
	v_cndmask_b32_e64 v4, 0, 2, vcc
	v_add_lshl_u32 v4, v4, v1, 2
	s_waitcnt lgkmcnt(0)
	ds_bpermute_b32 v4, v4, v2
	v_cmp_ne_u32_e32 vcc, 63, v3
	v_addc_co_u32_e32 v3, vcc, 0, v1, vcc
	v_cmp_eq_u32_e32 vcc, 0, v0
	s_waitcnt lgkmcnt(0)
	v_add_u32_e32 v1, v4, v2
	v_lshlrev_b32_e32 v2, 2, v3
	ds_bpermute_b32 v2, v2, v1
	s_and_saveexec_b64 s[0:1], vcc
	s_cbranch_execz .LBB54_38
; %bb.37:
	s_lshl_b64 s[2:3], s[6:7], 2
	s_add_u32 s2, s8, s2
	s_addc_u32 s3, s9, s3
	v_mov_b32_e32 v3, 0
	global_load_dword v4, v3, s[2:3]
	s_waitcnt vmcnt(0) lgkmcnt(0)
	v_add3_u32 v1, v2, v1, v4
	global_store_dword v3, v1, s[2:3]
.LBB54_38:
	s_or_b64 exec, exec, s[0:1]
	v_or_b32_e32 v0, s17, v0
	v_cmp_eq_u32_e32 vcc, 0, v0
	s_and_b64 exec, exec, vcc
	s_cbranch_execz .LBB54_40
; %bb.39:
	v_mov_b32_e32 v0, 0
	ds_read_b32 v1, v0 offset:2096
	s_lshl_b32 s0, s6, 8
	s_mov_b32 s1, 0
	s_lshl_b64 s[0:1], s[0:1], 1
	s_add_u32 s0, s22, s0
	s_waitcnt lgkmcnt(1)
	v_mov_b32_e32 v2, 1
	s_addc_u32 s1, s23, s1
	s_waitcnt lgkmcnt(0)
	v_lshlrev_b32_sdwa v1, v2, v1 dst_sel:DWORD dst_unused:UNUSED_PAD src0_sel:DWORD src1_sel:BYTE_0
	global_load_sshort v1, v1, s[0:1]
	s_lshl_b64 s[0:1], s[6:7], 2
	s_add_u32 s0, s26, s0
	s_addc_u32 s1, s27, s1
	s_waitcnt vmcnt(0)
	global_store_dword v0, v1, s[0:1]
.LBB54_40:
	s_endpgm
.LBB54_41:
	s_mov_b32 s10, s7
	s_cmp_ge_u32 s10, s16
	s_cbranch_scc0 .LBB54_6
	s_branch .LBB54_7
	.section	.rodata,"a",@progbits
	.p2align	6, 0x0
	.amdhsa_kernel _ZN2at6native6mbtopk29computeBlockwiseWithinKCountsIjsEEvPT_PsPjjibS6_PT0_S6_S4_S6_j
		.amdhsa_group_segment_fixed_size 2100
		.amdhsa_private_segment_fixed_size 0
		.amdhsa_kernarg_size 344
		.amdhsa_user_sgpr_count 6
		.amdhsa_user_sgpr_private_segment_buffer 1
		.amdhsa_user_sgpr_dispatch_ptr 0
		.amdhsa_user_sgpr_queue_ptr 0
		.amdhsa_user_sgpr_kernarg_segment_ptr 1
		.amdhsa_user_sgpr_dispatch_id 0
		.amdhsa_user_sgpr_flat_scratch_init 0
		.amdhsa_user_sgpr_private_segment_size 0
		.amdhsa_uses_dynamic_stack 0
		.amdhsa_system_sgpr_private_segment_wavefront_offset 0
		.amdhsa_system_sgpr_workgroup_id_x 1
		.amdhsa_system_sgpr_workgroup_id_y 1
		.amdhsa_system_sgpr_workgroup_id_z 1
		.amdhsa_system_sgpr_workgroup_info 0
		.amdhsa_system_vgpr_workitem_id 0
		.amdhsa_next_free_vgpr 11
		.amdhsa_next_free_sgpr 30
		.amdhsa_reserve_vcc 1
		.amdhsa_reserve_flat_scratch 0
		.amdhsa_float_round_mode_32 0
		.amdhsa_float_round_mode_16_64 0
		.amdhsa_float_denorm_mode_32 3
		.amdhsa_float_denorm_mode_16_64 3
		.amdhsa_dx10_clamp 1
		.amdhsa_ieee_mode 1
		.amdhsa_fp16_overflow 0
		.amdhsa_exception_fp_ieee_invalid_op 0
		.amdhsa_exception_fp_denorm_src 0
		.amdhsa_exception_fp_ieee_div_zero 0
		.amdhsa_exception_fp_ieee_overflow 0
		.amdhsa_exception_fp_ieee_underflow 0
		.amdhsa_exception_fp_ieee_inexact 0
		.amdhsa_exception_int_div_zero 0
	.end_amdhsa_kernel
	.section	.text._ZN2at6native6mbtopk29computeBlockwiseWithinKCountsIjsEEvPT_PsPjjibS6_PT0_S6_S4_S6_j,"axG",@progbits,_ZN2at6native6mbtopk29computeBlockwiseWithinKCountsIjsEEvPT_PsPjjibS6_PT0_S6_S4_S6_j,comdat
.Lfunc_end54:
	.size	_ZN2at6native6mbtopk29computeBlockwiseWithinKCountsIjsEEvPT_PsPjjibS6_PT0_S6_S4_S6_j, .Lfunc_end54-_ZN2at6native6mbtopk29computeBlockwiseWithinKCountsIjsEEvPT_PsPjjibS6_PT0_S6_S4_S6_j
                                        ; -- End function
	.set _ZN2at6native6mbtopk29computeBlockwiseWithinKCountsIjsEEvPT_PsPjjibS6_PT0_S6_S4_S6_j.num_vgpr, 11
	.set _ZN2at6native6mbtopk29computeBlockwiseWithinKCountsIjsEEvPT_PsPjjibS6_PT0_S6_S4_S6_j.num_agpr, 0
	.set _ZN2at6native6mbtopk29computeBlockwiseWithinKCountsIjsEEvPT_PsPjjibS6_PT0_S6_S4_S6_j.numbered_sgpr, 30
	.set _ZN2at6native6mbtopk29computeBlockwiseWithinKCountsIjsEEvPT_PsPjjibS6_PT0_S6_S4_S6_j.num_named_barrier, 0
	.set _ZN2at6native6mbtopk29computeBlockwiseWithinKCountsIjsEEvPT_PsPjjibS6_PT0_S6_S4_S6_j.private_seg_size, 0
	.set _ZN2at6native6mbtopk29computeBlockwiseWithinKCountsIjsEEvPT_PsPjjibS6_PT0_S6_S4_S6_j.uses_vcc, 1
	.set _ZN2at6native6mbtopk29computeBlockwiseWithinKCountsIjsEEvPT_PsPjjibS6_PT0_S6_S4_S6_j.uses_flat_scratch, 0
	.set _ZN2at6native6mbtopk29computeBlockwiseWithinKCountsIjsEEvPT_PsPjjibS6_PT0_S6_S4_S6_j.has_dyn_sized_stack, 0
	.set _ZN2at6native6mbtopk29computeBlockwiseWithinKCountsIjsEEvPT_PsPjjibS6_PT0_S6_S4_S6_j.has_recursion, 0
	.set _ZN2at6native6mbtopk29computeBlockwiseWithinKCountsIjsEEvPT_PsPjjibS6_PT0_S6_S4_S6_j.has_indirect_call, 0
	.section	.AMDGPU.csdata,"",@progbits
; Kernel info:
; codeLenInByte = 1856
; TotalNumSgprs: 34
; NumVgprs: 11
; ScratchSize: 0
; MemoryBound: 0
; FloatMode: 240
; IeeeMode: 1
; LDSByteSize: 2100 bytes/workgroup (compile time only)
; SGPRBlocks: 4
; VGPRBlocks: 2
; NumSGPRsForWavesPerEU: 34
; NumVGPRsForWavesPerEU: 11
; Occupancy: 10
; WaveLimiterHint : 1
; COMPUTE_PGM_RSRC2:SCRATCH_EN: 0
; COMPUTE_PGM_RSRC2:USER_SGPR: 6
; COMPUTE_PGM_RSRC2:TRAP_HANDLER: 0
; COMPUTE_PGM_RSRC2:TGID_X_EN: 1
; COMPUTE_PGM_RSRC2:TGID_Y_EN: 1
; COMPUTE_PGM_RSRC2:TGID_Z_EN: 1
; COMPUTE_PGM_RSRC2:TIDIG_COMP_CNT: 0
	.section	.text._ZN2at6native6mbtopk10gatherTopKIsjLi1EEEvNS_4cuda6detail10TensorInfoIKT_T0_EES8_S8_bjS8_NS5_IS6_S8_EES8_NS5_IlS8_EES8_jjPS6_PjSD_j,"axG",@progbits,_ZN2at6native6mbtopk10gatherTopKIsjLi1EEEvNS_4cuda6detail10TensorInfoIKT_T0_EES8_S8_bjS8_NS5_IS6_S8_EES8_NS5_IlS8_EES8_jjPS6_PjSD_j,comdat
	.protected	_ZN2at6native6mbtopk10gatherTopKIsjLi1EEEvNS_4cuda6detail10TensorInfoIKT_T0_EES8_S8_bjS8_NS5_IS6_S8_EES8_NS5_IlS8_EES8_jjPS6_PjSD_j ; -- Begin function _ZN2at6native6mbtopk10gatherTopKIsjLi1EEEvNS_4cuda6detail10TensorInfoIKT_T0_EES8_S8_bjS8_NS5_IS6_S8_EES8_NS5_IlS8_EES8_jjPS6_PjSD_j
	.globl	_ZN2at6native6mbtopk10gatherTopKIsjLi1EEEvNS_4cuda6detail10TensorInfoIKT_T0_EES8_S8_bjS8_NS5_IS6_S8_EES8_NS5_IlS8_EES8_jjPS6_PjSD_j
	.p2align	8
	.type	_ZN2at6native6mbtopk10gatherTopKIsjLi1EEEvNS_4cuda6detail10TensorInfoIKT_T0_EES8_S8_bjS8_NS5_IS6_S8_EES8_NS5_IlS8_EES8_jjPS6_PjSD_j,@function
_ZN2at6native6mbtopk10gatherTopKIsjLi1EEEvNS_4cuda6detail10TensorInfoIKT_T0_EES8_S8_bjS8_NS5_IS6_S8_EES8_NS5_IlS8_EES8_jjPS6_PjSD_j: ; @_ZN2at6native6mbtopk10gatherTopKIsjLi1EEEvNS_4cuda6detail10TensorInfoIKT_T0_EES8_S8_bjS8_NS5_IS6_S8_EES8_NS5_IlS8_EES8_jjPS6_PjSD_j
; %bb.0:
	s_load_dwordx2 s[0:1], s[4:5], 0x2d8
	s_load_dword s2, s[4:5], 0x2d0
	s_waitcnt lgkmcnt(0)
	s_mul_i32 s1, s1, s8
	s_add_i32 s1, s1, s7
	s_mul_i32 s0, s1, s0
	s_add_i32 s0, s0, s6
	s_cmp_ge_u32 s0, s2
	s_cbranch_scc1 .LBB55_40
; %bb.1:
	s_load_dwordx8 s[8:15], s[4:5], 0x2a8
	s_mov_b32 s7, 0
	s_waitcnt lgkmcnt(0)
	v_cvt_f32_u32_e32 v1, s10
	s_sub_i32 s1, 0, s10
	v_rcp_iflag_f32_e32 v1, v1
	v_mul_f32_e32 v1, 0x4f7ffffe, v1
	v_cvt_u32_f32_e32 v1, v1
	v_readfirstlane_b32 s2, v1
	s_mul_i32 s1, s1, s2
	s_mul_hi_u32 s1, s2, s1
	s_add_i32 s2, s2, s1
	s_mul_hi_u32 s1, s0, s2
	s_mul_i32 s2, s1, s10
	s_sub_i32 s2, s0, s2
	s_add_i32 s3, s1, 1
	s_sub_i32 s6, s2, s10
	s_cmp_ge_u32 s2, s10
	s_cselect_b32 s1, s3, s1
	s_cselect_b32 s2, s6, s2
	s_add_i32 s3, s1, 1
	s_cmp_ge_u32 s2, s10
	s_cselect_b32 s6, s3, s1
	s_mul_i32 s16, s6, s10
	s_lshl_b64 s[2:3], s[6:7], 1
	s_sub_i32 s11, s0, s16
	s_add_u32 s0, s12, s2
	s_addc_u32 s1, s13, s3
	v_mov_b32_e32 v1, 0
	global_load_ushort v6, v1, s[0:1]
	s_load_dwordx2 s[20:21], s[4:5], 0x1d0
	s_load_dwordx2 s[22:23], s[4:5], 0xf0
	;; [unrolled: 1-line block ×3, first 2 shown]
	v_cmp_ne_u32_e64 s[0:1], 0, v0
	v_cmp_eq_u32_e64 s[2:3], 0, v0
	s_and_saveexec_b64 s[12:13], s[2:3]
	s_cbranch_execz .LBB55_17
; %bb.2:
	s_load_dwordx2 s[26:27], s[4:5], 0x2c8
	s_mov_b32 s17, s7
	s_lshl_b64 s[28:29], s[16:17], 2
	s_add_u32 s16, s14, s28
	s_addc_u32 s17, s15, s29
	s_waitcnt lgkmcnt(0)
	s_add_u32 s18, s26, s28
	s_addc_u32 s19, s27, s29
	s_cmp_lt_u32 s10, 4
	s_cbranch_scc1 .LBB55_14
; %bb.3:
	s_mov_b32 s33, s7
	s_mov_b32 s34, s7
	;; [unrolled: 1-line block ×3, first 2 shown]
.LBB55_4:                               ; =>This Inner Loop Header: Depth=1
	s_add_u32 s30, s14, s28
	s_addc_u32 s31, s15, s29
	s_load_dwordx4 s[16:19], s[30:31], 0x0
	s_add_u32 s30, s26, s28
	s_addc_u32 s31, s27, s29
	s_cmp_ge_u32 s35, s11
	s_cbranch_scc0 .LBB55_11
; %bb.5:                                ;   in Loop: Header=BB55_4 Depth=1
	s_add_i32 s36, s35, 1
	s_cmp_ge_u32 s36, s11
	s_cbranch_scc0 .LBB55_12
.LBB55_6:                               ;   in Loop: Header=BB55_4 Depth=1
	s_add_i32 s36, s36, 1
	s_cmp_ge_u32 s36, s11
	s_cbranch_scc0 .LBB55_13
.LBB55_7:                               ;   in Loop: Header=BB55_4 Depth=1
	s_add_i32 s36, s36, 1
	s_cmp_ge_u32 s36, s11
	s_cbranch_scc1 .LBB55_9
.LBB55_8:                               ;   in Loop: Header=BB55_4 Depth=1
	s_load_dword s30, s[30:31], 0xc
	s_waitcnt lgkmcnt(0)
	s_add_i32 s7, s7, s19
	s_add_i32 s33, s30, s33
.LBB55_9:                               ;   in Loop: Header=BB55_4 Depth=1
	s_waitcnt lgkmcnt(0)
	s_add_i32 s16, s16, s34
	s_add_i32 s16, s16, s17
	;; [unrolled: 1-line block ×4, first 2 shown]
	s_add_u32 s14, s14, 16
	s_addc_u32 s15, s15, 0
	s_add_u32 s26, s26, 16
	s_addc_u32 s27, s27, 0
	s_add_i32 s31, s36, 4
	s_add_u32 s18, s26, s28
	s_addc_u32 s19, s27, s29
	s_add_u32 s16, s14, s28
	s_addc_u32 s17, s15, s29
	s_add_i32 s30, s36, 1
	s_cmp_ge_u32 s31, s10
	s_cbranch_scc1 .LBB55_15
; %bb.10:                               ;   in Loop: Header=BB55_4 Depth=1
	s_mov_b32 s35, s30
	s_branch .LBB55_4
.LBB55_11:                              ;   in Loop: Header=BB55_4 Depth=1
	s_load_dword s36, s[30:31], 0x0
	s_waitcnt lgkmcnt(0)
	s_add_i32 s7, s16, s7
	s_add_i32 s33, s36, s33
	;; [unrolled: 1-line block ×3, first 2 shown]
	s_cmp_ge_u32 s36, s11
	s_cbranch_scc1 .LBB55_6
.LBB55_12:                              ;   in Loop: Header=BB55_4 Depth=1
	s_load_dword s37, s[30:31], 0x4
	s_waitcnt lgkmcnt(0)
	s_add_i32 s7, s7, s17
	s_add_i32 s33, s37, s33
	;; [unrolled: 1-line block ×3, first 2 shown]
	s_cmp_ge_u32 s36, s11
	s_cbranch_scc1 .LBB55_7
.LBB55_13:                              ;   in Loop: Header=BB55_4 Depth=1
	s_load_dword s37, s[30:31], 0x8
	s_waitcnt lgkmcnt(0)
	s_add_i32 s7, s7, s18
	s_add_i32 s33, s37, s33
	;; [unrolled: 1-line block ×3, first 2 shown]
	s_cmp_ge_u32 s36, s11
	s_cbranch_scc0 .LBB55_8
	s_branch .LBB55_9
.LBB55_14:
	s_mov_b32 s33, 0
	s_mov_b32 s34, 0
	s_mov_b32 s14, 0
	s_cmp_ge_u32 s14, s10
	s_cbranch_scc0 .LBB55_38
	s_branch .LBB55_16
.LBB55_15:
	s_add_i32 s14, s35, 4
	s_cmp_ge_u32 s14, s10
	s_cbranch_scc0 .LBB55_38
.LBB55_16:
	v_mov_b32_e32 v1, s33
	v_mov_b32_e32 v2, s34
	;; [unrolled: 1-line block ×4, first 2 shown]
	ds_write_b96 v4, v[1:3] offset:1056
.LBB55_17:
	s_or_b64 exec, exec, s[12:13]
	s_load_dword s7, s[4:5], 0x23c
	s_load_dword s16, s[4:5], 0x15c
	;; [unrolled: 1-line block ×3, first 2 shown]
	s_load_dwordx4 s[12:15], s[4:5], 0xd8
	s_mul_i32 s18, s9, s11
	s_lshl_b32 s26, s18, 8
	s_waitcnt lgkmcnt(0)
	s_add_i32 s15, s11, 1
	s_mov_b32 s11, 0
	s_sub_i32 s18, s12, s26
	s_add_u32 s18, s18, 0xff
	s_addc_u32 s19, 0, 0
	s_lshr_b64 s[18:19], s[18:19], 8
	s_cmp_lt_u32 s15, s10
	s_cselect_b32 s9, s9, s18
	s_cmp_eq_u32 s9, 0
	s_waitcnt vmcnt(0)
	s_barrier
	s_cbranch_scc1 .LBB55_40
; %bb.18:
	s_mul_i32 s10, s6, s17
	v_mov_b32_e32 v5, 0
	s_mul_i32 s18, s6, s16
	s_lshl_b64 s[16:17], s[10:11], 1
	ds_read_b96 v[1:3], v5 offset:1056
	s_add_u32 s15, s24, s16
	s_mov_b32 s19, s11
	s_addc_u32 s16, s25, s17
	s_lshl_b64 s[18:19], s[18:19], 1
	s_mul_i32 s6, s6, s7
	s_add_u32 s17, s22, s18
	s_mov_b32 s7, s11
	s_addc_u32 s18, s23, s19
	s_lshl_b64 s[6:7], s[6:7], 3
	s_add_u32 s19, s20, s6
	s_waitcnt lgkmcnt(0)
	v_add_u32_e32 v2, v1, v2
	v_lshrrev_b32_e32 v1, 3, v0
	s_addc_u32 s20, s21, s7
	v_and_b32_e32 v1, 28, v1
	s_bitcmp1_b32 s14, 0
	s_load_dword s10, s[4:5], 0xe8
	s_load_dword s14, s[4:5], 0x1c8
	v_lshl_add_u32 v8, v0, 2, v1
	v_lshrrev_b32_e32 v1, 1, v0
	v_and_b32_e32 v9, 0x7c, v1
	v_add_u32_e32 v1, -1, v0
	v_lshrrev_b32_e32 v4, 3, v1
	v_cmp_gt_u32_e64 s[4:5], 64, v0
	v_lshlrev_b32_e32 v10, 4, v0
	v_and_b32_e32 v4, 0x1ffffffc, v4
	v_add_u32_e32 v0, s26, v0
	v_lshl_add_u32 v11, v1, 2, v4
	s_waitcnt lgkmcnt(0)
	v_mul_lo_u32 v4, s10, v0
	s_mov_b32 s21, 0x8000
	v_mbcnt_lo_u32_b32 v1, -1, 0
	v_add_u32_sdwa v7, sext(v6), s21 dst_sel:DWORD dst_unused:UNUSED_PAD src0_sel:WORD_0 src1_sel:DWORD
	s_cselect_b64 s[6:7], -1, 0
	s_lshl_b32 s22, s10, 8
	v_mbcnt_hi_u32_b32 v12, -1, v1
                                        ; implicit-def: $vgpr13
	s_branch .LBB55_21
.LBB55_19:                              ;   in Loop: Header=BB55_21 Depth=1
	s_or_b64 exec, exec, s[10:11]
	v_add_u32_e32 v2, v16, v2
.LBB55_20:                              ;   in Loop: Header=BB55_21 Depth=1
	s_add_i32 s9, s9, -1
	v_add_u32_e32 v3, v15, v3
	v_add_u32_e32 v4, s22, v4
	s_cmp_lg_u32 s9, 0
	v_add_u32_e32 v0, 0x100, v0
	s_cbranch_scc0 .LBB55_40
.LBB55_21:                              ; =>This Inner Loop Header: Depth=1
	v_cmp_gt_u32_e32 vcc, s12, v0
	v_mov_b32_e32 v1, 0
	v_mov_b32_e32 v14, 0
	s_and_saveexec_b64 s[10:11], vcc
	s_cbranch_execz .LBB55_23
; %bb.22:                               ;   in Loop: Header=BB55_21 Depth=1
	v_lshlrev_b64 v[13:14], 1, v[4:5]
	v_mov_b32_e32 v1, s16
	v_add_co_u32_e32 v13, vcc, s15, v13
	v_addc_co_u32_e32 v14, vcc, v1, v14, vcc
	global_load_ushort v13, v[13:14], off
	s_waitcnt vmcnt(0)
	v_add_u32_sdwa v1, sext(v13), s21 dst_sel:DWORD dst_unused:UNUSED_PAD src0_sel:WORD_0 src1_sel:DWORD
	v_cmp_gt_u32_e32 vcc, v1, v7
	v_cndmask_b32_e64 v14, 0, 1, vcc
	v_cmp_lt_u32_e32 vcc, v1, v7
	v_cndmask_b32_e64 v1, 0, 1, vcc
	v_cndmask_b32_e64 v1, v1, v14, s[6:7]
	v_cmp_eq_u16_e32 vcc, v13, v6
	v_and_b32_e32 v1, 1, v1
	v_cndmask_b32_e64 v14, 0, 1, vcc
.LBB55_23:                              ;   in Loop: Header=BB55_21 Depth=1
	s_or_b64 exec, exec, s[10:11]
	ds_write_b32 v8, v1
	s_waitcnt vmcnt(0) lgkmcnt(0)
	s_barrier
	s_and_saveexec_b64 s[10:11], s[4:5]
	s_cbranch_execz .LBB55_25
; %bb.24:                               ;   in Loop: Header=BB55_21 Depth=1
	v_add_u32_e32 v19, v9, v10
	ds_read2_b32 v[15:16], v19 offset1:1
	ds_read2_b32 v[17:18], v19 offset0:2 offset1:3
	v_and_b32_e32 v20, 15, v12
	v_cmp_ne_u32_e32 vcc, 0, v20
	s_waitcnt lgkmcnt(1)
	v_add_u32_e32 v16, v16, v15
	s_waitcnt lgkmcnt(0)
	v_add3_u32 v16, v16, v17, v18
	v_bfe_i32 v18, v12, 4, 1
	; wave barrier
	s_nop 0
	v_mov_b32_dpp v17, v16 row_shr:1 row_mask:0xf bank_mask:0xf
	v_cndmask_b32_e32 v17, 0, v17, vcc
	v_add_u32_e32 v16, v17, v16
	v_cmp_lt_u32_e32 vcc, 1, v20
	s_nop 0
	v_mov_b32_dpp v17, v16 row_shr:2 row_mask:0xf bank_mask:0xf
	v_cndmask_b32_e32 v17, 0, v17, vcc
	v_add_u32_e32 v16, v16, v17
	v_cmp_lt_u32_e32 vcc, 3, v20
	;; [unrolled: 5-line block ×4, first 2 shown]
	s_nop 0
	v_mov_b32_dpp v17, v16 row_bcast:15 row_mask:0xf bank_mask:0xf
	v_and_b32_e32 v17, v18, v17
	v_add_u32_e32 v16, v16, v17
	v_and_b32_e32 v18, 64, v12
	s_nop 0
	v_mov_b32_dpp v17, v16 row_bcast:31 row_mask:0xf bank_mask:0xf
	v_cndmask_b32_e32 v17, 0, v17, vcc
	v_add_u32_e32 v16, v16, v17
	v_add_u32_e32 v17, -1, v12
	v_cmp_lt_i32_e32 vcc, v17, v18
	v_cndmask_b32_e32 v17, v17, v12, vcc
	v_lshlrev_b32_e32 v17, 2, v17
	ds_bpermute_b32 v16, v17, v16
	s_waitcnt lgkmcnt(0)
	v_add_u32_e32 v15, v16, v15
	v_cndmask_b32_e64 v17, v15, v1, s[2:3]
	ds_write_b32 v19, v17
	; wave barrier
	ds_read2_b32 v[15:16], v19 offset0:1 offset1:2
	ds_read_b32 v18, v19 offset:12
	s_waitcnt lgkmcnt(1)
	v_add_u32_e32 v15, v15, v17
	v_add_u32_e32 v16, v16, v15
	ds_write2_b32 v19, v15, v16 offset0:1 offset1:2
	s_waitcnt lgkmcnt(1)
	v_add_u32_e32 v15, v18, v16
	ds_write_b32 v19, v15 offset:12
.LBB55_25:                              ;   in Loop: Header=BB55_21 Depth=1
	s_or_b64 exec, exec, s[10:11]
	v_mov_b32_e32 v16, 0
	s_waitcnt lgkmcnt(0)
	s_barrier
	s_and_saveexec_b64 s[10:11], s[0:1]
; %bb.26:                               ;   in Loop: Header=BB55_21 Depth=1
	ds_read_b32 v16, v11
; %bb.27:                               ;   in Loop: Header=BB55_21 Depth=1
	s_or_b64 exec, exec, s[10:11]
	ds_read_b32 v15, v5 offset:1048
	v_cmp_ne_u32_e32 vcc, 0, v1
	s_waitcnt lgkmcnt(0)
	s_barrier
	s_and_saveexec_b64 s[10:11], vcc
	s_cbranch_execz .LBB55_29
; %bb.28:                               ;   in Loop: Header=BB55_21 Depth=1
	v_add_u32_e32 v1, v16, v3
	v_mul_lo_u32 v16, v1, s14
	v_mov_b32_e32 v17, v5
	v_mov_b32_e32 v18, s18
	;; [unrolled: 1-line block ×3, first 2 shown]
	v_lshlrev_b64 v[16:17], 1, v[16:17]
	v_add_co_u32_e32 v16, vcc, s17, v16
	v_addc_co_u32_e32 v17, vcc, v18, v17, vcc
	v_mul_lo_u32 v18, v1, s8
	global_store_short v[16:17], v13, off
	v_mov_b32_e32 v1, v5
	v_lshlrev_b64 v[16:17], 3, v[18:19]
	v_mov_b32_e32 v18, s20
	v_add_co_u32_e32 v16, vcc, s19, v16
	v_addc_co_u32_e32 v17, vcc, v18, v17, vcc
	global_store_dwordx2 v[16:17], v[0:1], off
.LBB55_29:                              ;   in Loop: Header=BB55_21 Depth=1
	s_or_b64 exec, exec, s[10:11]
	v_cmp_le_u32_e32 vcc, s13, v2
	s_cbranch_vccnz .LBB55_20
; %bb.30:                               ;   in Loop: Header=BB55_21 Depth=1
	ds_write_b32 v8, v14
	s_waitcnt vmcnt(0) lgkmcnt(0)
	s_barrier
	s_and_saveexec_b64 s[10:11], s[4:5]
	s_cbranch_execz .LBB55_32
; %bb.31:                               ;   in Loop: Header=BB55_21 Depth=1
	v_add_u32_e32 v1, v9, v10
	ds_read2_b32 v[16:17], v1 offset1:1
	ds_read2_b32 v[18:19], v1 offset0:2 offset1:3
	v_and_b32_e32 v20, 15, v12
	v_cmp_ne_u32_e32 vcc, 0, v20
	s_waitcnt lgkmcnt(1)
	v_add_u32_e32 v17, v17, v16
	s_waitcnt lgkmcnt(0)
	v_add3_u32 v17, v17, v18, v19
	v_bfe_i32 v19, v12, 4, 1
	; wave barrier
	s_nop 0
	v_mov_b32_dpp v18, v17 row_shr:1 row_mask:0xf bank_mask:0xf
	v_cndmask_b32_e32 v18, 0, v18, vcc
	v_add_u32_e32 v17, v18, v17
	v_cmp_lt_u32_e32 vcc, 1, v20
	s_nop 0
	v_mov_b32_dpp v18, v17 row_shr:2 row_mask:0xf bank_mask:0xf
	v_cndmask_b32_e32 v18, 0, v18, vcc
	v_add_u32_e32 v17, v17, v18
	v_cmp_lt_u32_e32 vcc, 3, v20
	;; [unrolled: 5-line block ×4, first 2 shown]
	s_nop 0
	v_mov_b32_dpp v18, v17 row_bcast:15 row_mask:0xf bank_mask:0xf
	v_and_b32_e32 v18, v19, v18
	v_add_u32_e32 v17, v17, v18
	v_and_b32_e32 v19, 64, v12
	s_nop 0
	v_mov_b32_dpp v18, v17 row_bcast:31 row_mask:0xf bank_mask:0xf
	v_cndmask_b32_e32 v18, 0, v18, vcc
	v_add_u32_e32 v17, v17, v18
	v_add_u32_e32 v18, -1, v12
	v_cmp_lt_i32_e32 vcc, v18, v19
	v_cndmask_b32_e32 v18, v18, v12, vcc
	v_lshlrev_b32_e32 v18, 2, v18
	ds_bpermute_b32 v17, v18, v17
	s_waitcnt lgkmcnt(0)
	v_add_u32_e32 v16, v17, v16
	v_cndmask_b32_e64 v18, v16, v14, s[2:3]
	ds_write_b32 v1, v18
	; wave barrier
	ds_read2_b32 v[16:17], v1 offset0:1 offset1:2
	ds_read_b32 v19, v1 offset:12
	s_waitcnt lgkmcnt(1)
	v_add_u32_e32 v16, v16, v18
	v_add_u32_e32 v17, v17, v16
	ds_write2_b32 v1, v16, v17 offset0:1 offset1:2
	s_waitcnt lgkmcnt(1)
	v_add_u32_e32 v16, v19, v17
	ds_write_b32 v1, v16 offset:12
.LBB55_32:                              ;   in Loop: Header=BB55_21 Depth=1
	s_or_b64 exec, exec, s[10:11]
	v_mov_b32_e32 v1, 0
	s_waitcnt lgkmcnt(0)
	s_barrier
	s_and_saveexec_b64 s[10:11], s[0:1]
; %bb.33:                               ;   in Loop: Header=BB55_21 Depth=1
	ds_read_b32 v1, v11
; %bb.34:                               ;   in Loop: Header=BB55_21 Depth=1
	s_or_b64 exec, exec, s[10:11]
	ds_read_b32 v16, v5 offset:1048
	v_cmp_ne_u32_e32 vcc, 0, v14
	s_waitcnt lgkmcnt(0)
	s_barrier
	s_and_saveexec_b64 s[10:11], vcc
	s_cbranch_execz .LBB55_19
; %bb.35:                               ;   in Loop: Header=BB55_21 Depth=1
	v_add_u32_e32 v1, v1, v2
	v_cmp_gt_u32_e32 vcc, s13, v1
	s_and_b64 exec, exec, vcc
	s_cbranch_execz .LBB55_19
; %bb.36:                               ;   in Loop: Header=BB55_21 Depth=1
	v_mul_lo_u32 v17, v1, s14
	v_mov_b32_e32 v18, v5
	v_mul_lo_u32 v19, v1, s8
	v_mov_b32_e32 v14, s18
	v_lshlrev_b64 v[17:18], 1, v[17:18]
	v_mov_b32_e32 v20, v5
	v_add_co_u32_e32 v17, vcc, s17, v17
	v_addc_co_u32_e32 v18, vcc, v14, v18, vcc
	global_store_short v[17:18], v13, off
	v_lshlrev_b64 v[17:18], 3, v[19:20]
	v_mov_b32_e32 v14, s20
	v_add_co_u32_e32 v17, vcc, s19, v17
	v_mov_b32_e32 v1, v5
	v_addc_co_u32_e32 v18, vcc, v14, v18, vcc
	global_store_dwordx2 v[17:18], v[0:1], off
	s_branch .LBB55_19
.LBB55_37:                              ;   in Loop: Header=BB55_38 Depth=1
	s_add_u32 s16, s16, 4
	s_addc_u32 s17, s17, 0
	s_waitcnt lgkmcnt(0)
	s_add_i32 s34, s15, s34
	s_add_u32 s18, s18, 4
	s_addc_u32 s19, s19, 0
	s_add_i32 s14, s14, 1
	s_cmp_lt_u32 s14, s10
	s_cbranch_scc0 .LBB55_16
.LBB55_38:                              ; =>This Inner Loop Header: Depth=1
	s_load_dword s15, s[16:17], 0x0
	s_cmp_ge_u32 s14, s11
	s_cbranch_scc1 .LBB55_37
; %bb.39:                               ;   in Loop: Header=BB55_38 Depth=1
	s_load_dword s26, s[18:19], 0x0
	s_waitcnt lgkmcnt(0)
	s_add_i32 s7, s15, s7
	s_add_i32 s33, s26, s33
	s_branch .LBB55_37
.LBB55_40:
	s_endpgm
	.section	.rodata,"a",@progbits
	.p2align	6, 0x0
	.amdhsa_kernel _ZN2at6native6mbtopk10gatherTopKIsjLi1EEEvNS_4cuda6detail10TensorInfoIKT_T0_EES8_S8_bjS8_NS5_IS6_S8_EES8_NS5_IlS8_EES8_jjPS6_PjSD_j
		.amdhsa_group_segment_fixed_size 1068
		.amdhsa_private_segment_fixed_size 0
		.amdhsa_kernarg_size 984
		.amdhsa_user_sgpr_count 6
		.amdhsa_user_sgpr_private_segment_buffer 1
		.amdhsa_user_sgpr_dispatch_ptr 0
		.amdhsa_user_sgpr_queue_ptr 0
		.amdhsa_user_sgpr_kernarg_segment_ptr 1
		.amdhsa_user_sgpr_dispatch_id 0
		.amdhsa_user_sgpr_flat_scratch_init 0
		.amdhsa_user_sgpr_private_segment_size 0
		.amdhsa_uses_dynamic_stack 0
		.amdhsa_system_sgpr_private_segment_wavefront_offset 0
		.amdhsa_system_sgpr_workgroup_id_x 1
		.amdhsa_system_sgpr_workgroup_id_y 1
		.amdhsa_system_sgpr_workgroup_id_z 1
		.amdhsa_system_sgpr_workgroup_info 0
		.amdhsa_system_vgpr_workitem_id 0
		.amdhsa_next_free_vgpr 21
		.amdhsa_next_free_sgpr 38
		.amdhsa_reserve_vcc 1
		.amdhsa_reserve_flat_scratch 0
		.amdhsa_float_round_mode_32 0
		.amdhsa_float_round_mode_16_64 0
		.amdhsa_float_denorm_mode_32 3
		.amdhsa_float_denorm_mode_16_64 3
		.amdhsa_dx10_clamp 1
		.amdhsa_ieee_mode 1
		.amdhsa_fp16_overflow 0
		.amdhsa_exception_fp_ieee_invalid_op 0
		.amdhsa_exception_fp_denorm_src 0
		.amdhsa_exception_fp_ieee_div_zero 0
		.amdhsa_exception_fp_ieee_overflow 0
		.amdhsa_exception_fp_ieee_underflow 0
		.amdhsa_exception_fp_ieee_inexact 0
		.amdhsa_exception_int_div_zero 0
	.end_amdhsa_kernel
	.section	.text._ZN2at6native6mbtopk10gatherTopKIsjLi1EEEvNS_4cuda6detail10TensorInfoIKT_T0_EES8_S8_bjS8_NS5_IS6_S8_EES8_NS5_IlS8_EES8_jjPS6_PjSD_j,"axG",@progbits,_ZN2at6native6mbtopk10gatherTopKIsjLi1EEEvNS_4cuda6detail10TensorInfoIKT_T0_EES8_S8_bjS8_NS5_IS6_S8_EES8_NS5_IlS8_EES8_jjPS6_PjSD_j,comdat
.Lfunc_end55:
	.size	_ZN2at6native6mbtopk10gatherTopKIsjLi1EEEvNS_4cuda6detail10TensorInfoIKT_T0_EES8_S8_bjS8_NS5_IS6_S8_EES8_NS5_IlS8_EES8_jjPS6_PjSD_j, .Lfunc_end55-_ZN2at6native6mbtopk10gatherTopKIsjLi1EEEvNS_4cuda6detail10TensorInfoIKT_T0_EES8_S8_bjS8_NS5_IS6_S8_EES8_NS5_IlS8_EES8_jjPS6_PjSD_j
                                        ; -- End function
	.set _ZN2at6native6mbtopk10gatherTopKIsjLi1EEEvNS_4cuda6detail10TensorInfoIKT_T0_EES8_S8_bjS8_NS5_IS6_S8_EES8_NS5_IlS8_EES8_jjPS6_PjSD_j.num_vgpr, 21
	.set _ZN2at6native6mbtopk10gatherTopKIsjLi1EEEvNS_4cuda6detail10TensorInfoIKT_T0_EES8_S8_bjS8_NS5_IS6_S8_EES8_NS5_IlS8_EES8_jjPS6_PjSD_j.num_agpr, 0
	.set _ZN2at6native6mbtopk10gatherTopKIsjLi1EEEvNS_4cuda6detail10TensorInfoIKT_T0_EES8_S8_bjS8_NS5_IS6_S8_EES8_NS5_IlS8_EES8_jjPS6_PjSD_j.numbered_sgpr, 38
	.set _ZN2at6native6mbtopk10gatherTopKIsjLi1EEEvNS_4cuda6detail10TensorInfoIKT_T0_EES8_S8_bjS8_NS5_IS6_S8_EES8_NS5_IlS8_EES8_jjPS6_PjSD_j.num_named_barrier, 0
	.set _ZN2at6native6mbtopk10gatherTopKIsjLi1EEEvNS_4cuda6detail10TensorInfoIKT_T0_EES8_S8_bjS8_NS5_IS6_S8_EES8_NS5_IlS8_EES8_jjPS6_PjSD_j.private_seg_size, 0
	.set _ZN2at6native6mbtopk10gatherTopKIsjLi1EEEvNS_4cuda6detail10TensorInfoIKT_T0_EES8_S8_bjS8_NS5_IS6_S8_EES8_NS5_IlS8_EES8_jjPS6_PjSD_j.uses_vcc, 1
	.set _ZN2at6native6mbtopk10gatherTopKIsjLi1EEEvNS_4cuda6detail10TensorInfoIKT_T0_EES8_S8_bjS8_NS5_IS6_S8_EES8_NS5_IlS8_EES8_jjPS6_PjSD_j.uses_flat_scratch, 0
	.set _ZN2at6native6mbtopk10gatherTopKIsjLi1EEEvNS_4cuda6detail10TensorInfoIKT_T0_EES8_S8_bjS8_NS5_IS6_S8_EES8_NS5_IlS8_EES8_jjPS6_PjSD_j.has_dyn_sized_stack, 0
	.set _ZN2at6native6mbtopk10gatherTopKIsjLi1EEEvNS_4cuda6detail10TensorInfoIKT_T0_EES8_S8_bjS8_NS5_IS6_S8_EES8_NS5_IlS8_EES8_jjPS6_PjSD_j.has_recursion, 0
	.set _ZN2at6native6mbtopk10gatherTopKIsjLi1EEEvNS_4cuda6detail10TensorInfoIKT_T0_EES8_S8_bjS8_NS5_IS6_S8_EES8_NS5_IlS8_EES8_jjPS6_PjSD_j.has_indirect_call, 0
	.section	.AMDGPU.csdata,"",@progbits
; Kernel info:
; codeLenInByte = 2116
; TotalNumSgprs: 42
; NumVgprs: 21
; ScratchSize: 0
; MemoryBound: 0
; FloatMode: 240
; IeeeMode: 1
; LDSByteSize: 1068 bytes/workgroup (compile time only)
; SGPRBlocks: 5
; VGPRBlocks: 5
; NumSGPRsForWavesPerEU: 42
; NumVGPRsForWavesPerEU: 21
; Occupancy: 10
; WaveLimiterHint : 1
; COMPUTE_PGM_RSRC2:SCRATCH_EN: 0
; COMPUTE_PGM_RSRC2:USER_SGPR: 6
; COMPUTE_PGM_RSRC2:TRAP_HANDLER: 0
; COMPUTE_PGM_RSRC2:TGID_X_EN: 1
; COMPUTE_PGM_RSRC2:TGID_Y_EN: 1
; COMPUTE_PGM_RSRC2:TGID_Z_EN: 1
; COMPUTE_PGM_RSRC2:TIDIG_COMP_CNT: 0
	.section	.text._ZN2at6native6sbtopk10gatherTopKIsjLi1ELb0EEEvNS_4cuda6detail10TensorInfoIKT_T0_EES8_S8_bS8_S8_NS5_IS6_S8_EES8_NS5_IlS8_EES8_PS6_,"axG",@progbits,_ZN2at6native6sbtopk10gatherTopKIsjLi1ELb0EEEvNS_4cuda6detail10TensorInfoIKT_T0_EES8_S8_bS8_S8_NS5_IS6_S8_EES8_NS5_IlS8_EES8_PS6_,comdat
	.protected	_ZN2at6native6sbtopk10gatherTopKIsjLi1ELb0EEEvNS_4cuda6detail10TensorInfoIKT_T0_EES8_S8_bS8_S8_NS5_IS6_S8_EES8_NS5_IlS8_EES8_PS6_ ; -- Begin function _ZN2at6native6sbtopk10gatherTopKIsjLi1ELb0EEEvNS_4cuda6detail10TensorInfoIKT_T0_EES8_S8_bS8_S8_NS5_IS6_S8_EES8_NS5_IlS8_EES8_PS6_
	.globl	_ZN2at6native6sbtopk10gatherTopKIsjLi1ELb0EEEvNS_4cuda6detail10TensorInfoIKT_T0_EES8_S8_bS8_S8_NS5_IS6_S8_EES8_NS5_IlS8_EES8_PS6_
	.p2align	8
	.type	_ZN2at6native6sbtopk10gatherTopKIsjLi1ELb0EEEvNS_4cuda6detail10TensorInfoIKT_T0_EES8_S8_bS8_S8_NS5_IS6_S8_EES8_NS5_IlS8_EES8_PS6_,@function
_ZN2at6native6sbtopk10gatherTopKIsjLi1ELb0EEEvNS_4cuda6detail10TensorInfoIKT_T0_EES8_S8_bS8_S8_NS5_IS6_S8_EES8_NS5_IlS8_EES8_PS6_: ; @_ZN2at6native6sbtopk10gatherTopKIsjLi1ELb0EEEvNS_4cuda6detail10TensorInfoIKT_T0_EES8_S8_bS8_S8_NS5_IS6_S8_EES8_NS5_IlS8_EES8_PS6_
; %bb.0:
	s_load_dwordx2 s[14:15], s[4:5], 0x2b8
	s_load_dwordx4 s[36:39], s[4:5], 0xd8
	s_add_u32 s12, s4, 0x2b8
	s_addc_u32 s13, s5, 0
	s_waitcnt lgkmcnt(0)
	s_mul_i32 s0, s15, s8
	s_add_i32 s0, s0, s7
	s_mul_i32 s0, s0, s14
	s_add_i32 s10, s0, s6
	s_cmp_ge_u32 s10, s39
	s_cbranch_scc1 .LBB56_411
; %bb.1:
	s_load_dwordx2 s[0:1], s[4:5], 0x1d0
	s_load_dword s7, s[4:5], 0x6c
                                        ; implicit-def: $vgpr49 : SGPR spill to VGPR lane
	s_mov_b32 s45, 0
	s_waitcnt lgkmcnt(0)
	v_writelane_b32 v49, s0, 0
	v_writelane_b32 v49, s1, 1
	s_load_dword s50, s[4:5], 0xe8
	s_load_dwordx2 s[0:1], s[4:5], 0xf0
	s_waitcnt lgkmcnt(0)
	v_writelane_b32 v49, s0, 2
	v_writelane_b32 v49, s1, 3
	;; [unrolled: 1-line block ×3, first 2 shown]
	s_load_dwordx2 s[0:1], s[4:5], 0x0
	v_writelane_b32 v49, s5, 5
	v_cmp_eq_u32_e64 s[4:5], 0, v0
	v_writelane_b32 v49, s4, 6
	v_writelane_b32 v49, s5, 7
	s_and_saveexec_b64 s[2:3], s[4:5]
; %bb.2:
	v_mov_b32_e32 v1, 0
	v_mov_b32_e32 v2, s36
	;; [unrolled: 1-line block ×3, first 2 shown]
	ds_write_b96 v1, v[1:3] offset:4096
; %bb.3:
	s_or_b64 exec, exec, s[2:3]
	s_mul_i32 s44, s7, s10
	s_lshl_b64 s[2:3], s[44:45], 1
	s_waitcnt lgkmcnt(0)
	s_add_u32 s33, s0, s2
	s_addc_u32 s44, s1, s3
	s_barrier
	s_load_dword s0, s[12:13], 0xc
	s_bitcmp1_b32 s38, 0
	v_writelane_b32 v49, s10, 8
	s_cselect_b64 s[2:3], -1, 0
	v_writelane_b32 v49, s2, 9
	v_writelane_b32 v49, s3, 10
	s_xor_b64 s[2:3], s[2:3], -1
	v_mbcnt_lo_u32_b32 v1, -1, 0
	v_writelane_b32 v49, s2, 11
	v_mbcnt_hi_u32_b32 v24, -1, v1
	v_writelane_b32 v49, s3, 12
	s_waitcnt lgkmcnt(0)
	s_and_b32 s48, s0, 0xffff
	v_cmp_gt_u32_e32 vcc, 64, v0
	v_cmp_gt_i32_e64 s[2:3], 4, v24
	s_lshl_b32 s51, s48, 2
	s_bfe_u32 s5, s0, 0xa0006
	s_and_b64 s[2:3], vcc, s[2:3]
	v_writelane_b32 v49, s2, 13
	s_cmpk_gt_u32 s36, 0x600
	v_writelane_b32 v49, s3, 14
	s_cselect_b64 s[2:3], -1, 0
	v_writelane_b32 v49, s2, 15
	v_writelane_b32 v49, s3, 16
	v_cmp_gt_u32_e64 s[2:3], s36, v0
	v_writelane_b32 v49, s2, 17
	s_cmp_gt_u32 s48, 63
	v_mul_lo_u32 v7, s50, v0
	v_writelane_b32 v49, s3, 18
	s_cselect_b64 s[2:3], -1, 0
	v_writelane_b32 v49, s2, 19
	v_mov_b32_e32 v9, 0
	v_writelane_b32 v49, s3, 20
	v_cmp_gt_u32_e64 s[2:3], 2, v0
	v_mov_b32_e32 v8, v9
	v_writelane_b32 v49, s2, 21
	v_lshlrev_b64 v[1:2], 1, v[7:8]
	v_writelane_b32 v49, s3, 22
	s_add_i32 s2, s48, -1
	v_writelane_b32 v49, s2, 23
	s_add_i32 s2, s2, s36
	v_add_co_u32_e32 v5, vcc, s33, v1
	v_lshrrev_b32_e32 v1, 2, v0
	s_cmp_lt_u32 s6, s14
	v_and_b32_e32 v1, 0xf0, v1
	s_cselect_b32 s3, 12, 18
	v_or_b32_e32 v27, 0xc00, v1
	s_add_u32 s6, s12, s3
	v_add_u32_e32 v1, 2, v0
	v_mov_b32_e32 v3, s44
	s_addc_u32 s7, s13, 0
	v_max_u32_e32 v1, s36, v1
	v_addc_co_u32_e32 v6, vcc, v3, v2, vcc
	v_lshlrev_b64 v[3:4], v24, -1
	v_writelane_b32 v49, s6, 24
	v_xad_u32 v1, v0, -1, v1
	v_writelane_b32 v49, s7, 25
	v_cmp_lt_u32_e64 s[6:7], 31, v1
	v_not_b32_e32 v22, v3
	v_add_u32_e32 v3, -2, v1
	v_writelane_b32 v49, s6, 26
	v_not_b32_e32 v21, v4
	v_lshrrev_b32_e32 v4, 1, v3
	v_writelane_b32 v49, s7, 27
	v_cmp_lt_u32_e64 s[6:7], 13, v3
	v_cvt_f32_u32_e32 v3, s51
	v_add_u32_e32 v4, 1, v4
	v_and_b32_e32 v12, 7, v4
	v_writelane_b32 v49, s6, 28
	v_writelane_b32 v49, s7, 29
	v_cmp_ne_u32_e64 s[6:7], 0, v12
	v_rcp_iflag_f32_e32 v3, v3
	v_writelane_b32 v49, s6, 30
	s_add_i32 s3, s5, -1
	v_writelane_b32 v49, s7, 31
	s_bfe_u32 s6, s48, 0x30006
	s_and_b32 s3, s3, 0xffff
	s_cmp_gt_u32 s3, 6
	s_cselect_b64 s[8:9], -1, 0
	v_mul_f32_e32 v3, 0x4f7ffffe, v3
	v_writelane_b32 v49, s8, 32
	s_and_b32 s5, s5, 0x3f8
	v_cvt_u32_f32_e32 v3, v3
	v_writelane_b32 v49, s9, 33
	s_cmp_lg_u32 s6, 0
	v_writelane_b32 v49, s6, 34
	s_cselect_b64 s[6:7], -1, 0
	v_writelane_b32 v49, s6, 35
	v_writelane_b32 v49, s7, 36
	s_sub_i32 s3, 0, s51
	v_readfirstlane_b32 s6, v3
	s_mul_i32 s3, s3, s6
	s_mul_hi_u32 s3, s6, s3
	s_add_i32 s3, s6, s3
	v_writelane_b32 v49, s3, 37
	s_mul_hi_u32 s3, s36, s3
	s_mul_i32 s3, s3, s51
	v_cvt_f32_u32_e32 v3, s48
	s_sub_i32 s3, s36, s3
	s_sub_i32 s6, s3, s51
	s_cmp_ge_u32 s3, s51
	s_cselect_b32 s3, s6, s3
	v_rcp_iflag_f32_e32 v10, v3
	s_sub_i32 s6, s3, s51
	s_cmp_ge_u32 s3, s51
	s_cselect_b32 s3, s6, s3
	v_lshlrev_b32_e32 v23, 2, v0
	s_sub_i32 s19, s36, s3
	v_mul_f32_e32 v10, 0x4f7ffffe, v10
	v_cmp_gt_u32_e64 s[6:7], s19, v23
	v_cvt_u32_f32_e32 v13, v10
	v_add_u32_e32 v30, s19, v0
	v_writelane_b32 v49, s6, 38
	v_writelane_b32 v49, s7, 39
	v_cmp_gt_u32_e64 s[6:7], s36, v30
	v_writelane_b32 v49, s6, 40
	v_writelane_b32 v49, s7, 41
	s_sub_i32 s6, 0, s48
	v_readfirstlane_b32 s7, v13
	s_mul_i32 s6, s6, s7
	v_mul_lo_u32 v8, v30, s50
	s_mul_hi_u32 s6, s7, s6
	s_add_i32 s6, s7, s6
	v_writelane_b32 v49, s6, 42
	s_mul_hi_u32 s6, s2, s6
	s_mul_i32 s6, s6, s48
	v_and_b32_e32 v29, -8, v4
	v_lshlrev_b64 v[3:4], 1, v[8:9]
	s_sub_i32 s6, s2, s6
	s_sub_i32 s7, s6, s48
	v_add_co_u32_e32 v10, vcc, s33, v3
	s_cmp_ge_u32 s6, s48
	v_mul_lo_u32 v3, s50, v23
	s_cselect_b32 s6, s7, s6
	s_sub_i32 s7, s6, s48
	s_cmp_ge_u32 s6, s48
	s_cselect_b32 s6, s7, s6
	v_add_u32_e32 v32, s50, v3
	v_or_b32_e32 v3, 2, v23
	s_sub_i32 s20, s2, s6
	v_mul_lo_u32 v33, s50, v3
	v_or_b32_e32 v3, 3, v23
	s_add_i32 s2, s48, s36
	v_mul_lo_u32 v34, s50, v3
	v_add_u32_e32 v3, s2, v0
	v_subrev_u32_e32 v3, s3, v3
	v_cmp_gt_u32_e64 s[6:7], s20, v0
	v_mul_lo_u32 v35, s50, v3
	v_and_b32_e32 v28, -2, v1
	v_writelane_b32 v49, s6, 43
	v_lshlrev_b32_e32 v25, 1, v0
	v_lshlrev_b32_e32 v2, 2, v24
	v_mov_b32_e32 v8, s44
	v_writelane_b32 v49, s7, 44
	s_mul_i32 s49, s50, s48
	v_cmp_ne_u32_e64 s[2:3], v1, v28
	v_cmp_eq_u32_e64 s[0:1], 0, v24
	v_add_u32_e32 v26, 0xc00, v25
	v_and_b32_e32 v20, 0x100, v2
	s_mov_b32 s4, s50
	v_addc_co_u32_e32 v11, vcc, v8, v4, vcc
	v_lshlrev_b32_e32 v31, 2, v12
	s_lshl_b32 s21, s49, 2
	s_lshl_b32 s18, s48, 3
	;; [unrolled: 1-line block ×3, first 2 shown]
	v_or_b32_e32 v36, 0xc00, v2
	s_mov_b32 s38, 14
	s_mov_b64 s[58:59], 0
	s_mov_b32 s11, 0x8000
	v_add_u32_e32 v38, v0, v28
	v_lshlrev_b32_e32 v39, 2, v7
	v_lshlrev_b32_e32 v40, 3, v0
	v_mov_b32_e32 v44, s37
	v_writelane_b32 v49, s2, 45
	v_mov_b32_e32 v41, 0x5040100
	v_mov_b32_e32 v43, 0
	;; [unrolled: 1-line block ×4, first 2 shown]
                                        ; implicit-def: $sgpr60_sgpr61
                                        ; implicit-def: $sgpr62_sgpr63
                                        ; implicit-def: $sgpr64_sgpr65
                                        ; implicit-def: $sgpr68_sgpr69
                                        ; implicit-def: $sgpr66_sgpr67
                                        ; implicit-def: $sgpr70_sgpr71
	v_writelane_b32 v49, s3, 46
                                        ; implicit-def: $sgpr72_sgpr73
                                        ; implicit-def: $sgpr74_sgpr75
                                        ; implicit-def: $sgpr76_sgpr77
                                        ; implicit-def: $sgpr78_sgpr79
	s_branch .LBB56_6
.LBB56_4:                               ;   in Loop: Header=BB56_6 Depth=1
	s_or_b64 exec, exec, s[14:15]
	s_andn2_b64 s[8:9], s[78:79], exec
	s_and_b64 s[12:13], s[12:13], exec
	s_or_b64 s[78:79], s[8:9], s[12:13]
	s_andn2_b64 s[76:77], s[76:77], exec
	s_andn2_b64 s[74:75], s[74:75], exec
	;; [unrolled: 1-line block ×4, first 2 shown]
	s_orn2_b64 s[6:7], s[6:7], exec
	v_mov_b32_e32 v44, v4
.LBB56_5:                               ;   in Loop: Header=BB56_6 Depth=1
	s_or_b64 exec, exec, s[2:3]
	s_and_b64 s[2:3], exec, s[6:7]
	s_or_b64 s[58:59], s[2:3], s[58:59]
	s_andn2_b64 s[2:3], s[66:67], exec
	s_and_b64 s[6:7], s[78:79], exec
	s_or_b64 s[66:67], s[2:3], s[6:7]
	s_andn2_b64 s[2:3], s[68:69], exec
	s_and_b64 s[6:7], s[76:77], exec
	;; [unrolled: 3-line block ×5, first 2 shown]
	s_or_b64 s[60:61], s[2:3], s[6:7]
	s_andn2_b64 exec, exec, s[58:59]
	s_cbranch_execz .LBB56_407
.LBB56_6:                               ; =>This Loop Header: Depth=1
                                        ;     Child Loop BB56_11 Depth 2
                                        ;     Child Loop BB56_32 Depth 2
	;; [unrolled: 1-line block ×26, first 2 shown]
	ds_read_b64 v[1:2], v9 offset:4096
	s_waitcnt lgkmcnt(0)
	v_readfirstlane_b32 s8, v1
	s_cmp_lg_u32 s8, 0
	s_cbranch_scc1 .LBB56_51
; %bb.7:                                ;   in Loop: Header=BB56_6 Depth=1
	v_readlane_b32 s2, v49, 15
	v_readlane_b32 s3, v49, 16
	s_and_b64 vcc, exec, s[2:3]
	s_cbranch_vccz .LBB56_19
; %bb.8:                                ;   in Loop: Header=BB56_6 Depth=1
	s_movk_i32 s6, 0x601
	v_cmp_gt_u32_e32 vcc, s6, v2
	s_mov_b64 s[2:3], 0
	s_mov_b64 s[6:7], 0
	s_cbranch_vccz .LBB56_20
; %bb.9:                                ;   in Loop: Header=BB56_6 Depth=1
	v_readlane_b32 s6, v49, 24
	v_readlane_b32 s7, v49, 25
	s_nop 4
	global_load_ushort v1, v9, s[6:7]
	global_load_ushort v3, v[5:6], off
	s_mov_b64 s[12:13], 0
	v_mov_b32_e32 v4, v0
	s_waitcnt vmcnt(1)
	v_add_u32_e32 v2, v0, v1
	v_mul_lo_u32 v8, s50, v2
	v_mul_lo_u32 v2, s50, v1
	s_branch .LBB56_11
.LBB56_10:                              ;   in Loop: Header=BB56_11 Depth=2
	s_or_b64 exec, exec, s[6:7]
	v_add_u32_e32 v8, v8, v2
	v_mov_b32_e32 v3, v12
	s_andn2_b64 exec, exec, s[12:13]
	s_cbranch_execz .LBB56_26
.LBB56_11:                              ;   Parent Loop BB56_6 Depth=1
                                        ; =>  This Inner Loop Header: Depth=2
	v_add_u32_e32 v4, v4, v1
	v_cmp_gt_u32_e64 s[6:7], s36, v4
	v_cmp_le_u32_e32 vcc, s36, v4
	s_waitcnt lgkmcnt(0)
	v_mov_b32_e32 v13, 0
	v_mov_b32_e32 v12, 0
	s_and_saveexec_b64 s[14:15], s[6:7]
	s_cbranch_execz .LBB56_13
; %bb.12:                               ;   in Loop: Header=BB56_11 Depth=2
	v_lshlrev_b64 v[14:15], 1, v[8:9]
	v_mov_b32_e32 v12, s44
	v_add_co_u32_e64 v14, s[6:7], s33, v14
	v_addc_co_u32_e64 v15, s[6:7], v12, v15, s[6:7]
	global_load_ushort v12, v[14:15], off
.LBB56_13:                              ;   in Loop: Header=BB56_11 Depth=2
	s_or_b64 exec, exec, s[14:15]
	s_waitcnt vmcnt(0)
	v_add_u32_sdwa v14, sext(v3), s11 dst_sel:DWORD dst_unused:UNUSED_PAD src0_sel:WORD_0 src1_sel:DWORD
	v_and_b32_e32 v14, v14, v42
	v_cmp_eq_u32_e64 s[26:27], v14, v37
	s_cmp_lg_u64 s[26:27], 0
	s_cselect_b64 s[6:7], -1, 0
	s_and_b64 s[6:7], s[0:1], s[6:7]
	s_and_saveexec_b64 s[14:15], s[6:7]
	s_cbranch_execz .LBB56_17
; %bb.14:                               ;   in Loop: Header=BB56_11 Depth=2
	s_mov_b64 s[16:17], exec
	v_mbcnt_lo_u32_b32 v13, s16, 0
	v_mbcnt_hi_u32_b32 v13, s17, v13
	s_bcnt1_i32_b64 s22, s[26:27]
	v_cmp_eq_u32_e64 s[6:7], 0, v13
                                        ; implicit-def: $vgpr14
	s_and_saveexec_b64 s[8:9], s[6:7]
; %bb.15:                               ;   in Loop: Header=BB56_11 Depth=2
	s_bcnt1_i32_b64 s6, s[16:17]
	s_mul_i32 s6, s22, s6
	v_mov_b32_e32 v14, s6
	ds_add_rtn_u32 v14, v9, v14 offset:4104
; %bb.16:                               ;   in Loop: Header=BB56_11 Depth=2
	s_or_b64 exec, exec, s[8:9]
	s_waitcnt lgkmcnt(0)
	v_readfirstlane_b32 s6, v14
	v_mov_b32_e32 v14, s6
	v_mad_u32_u24 v13, s22, v13, v14
.LBB56_17:                              ;   in Loop: Header=BB56_11 Depth=2
	s_or_b64 exec, exec, s[14:15]
	ds_bpermute_b32 v13, v20, v13
	s_and_b64 s[6:7], exec, vcc
	s_or_b64 s[12:13], s[6:7], s[12:13]
	s_and_saveexec_b64 s[6:7], s[26:27]
	s_cbranch_execz .LBB56_10
; %bb.18:                               ;   in Loop: Header=BB56_11 Depth=2
	v_and_b32_e32 v15, s26, v22
	v_and_b32_e32 v14, s27, v21
	v_bcnt_u32_b32 v15, v15, 0
	v_bcnt_u32_b32 v14, v14, v15
	v_lshlrev_b32_e32 v14, 1, v14
	s_waitcnt lgkmcnt(0)
	v_lshl_add_u32 v13, v13, 1, v14
	ds_write_b16 v13, v3
	s_branch .LBB56_10
.LBB56_19:                              ;   in Loop: Header=BB56_6 Depth=1
	s_mov_b64 s[2:3], -1
	s_mov_b64 s[6:7], 0
.LBB56_20:                              ;   in Loop: Header=BB56_6 Depth=1
	s_and_b64 vcc, exec, s[2:3]
	s_cbranch_vccz .LBB56_49
.LBB56_21:                              ;   in Loop: Header=BB56_6 Depth=1
	s_mov_b64 s[26:27], exec
	v_readlane_b32 s2, v49, 17
	v_readlane_b32 s3, v49, 18
	s_and_b64 s[2:3], s[26:27], s[2:3]
	s_mov_b64 exec, s[2:3]
	s_cbranch_execz .LBB56_46
; %bb.22:                               ;   in Loop: Header=BB56_6 Depth=1
	v_readlane_b32 s2, v49, 24
	v_readlane_b32 s3, v49, 25
	s_nop 4
	global_load_ushort v1, v9, s[2:3]
	global_load_ushort v16, v[5:6], off
	s_waitcnt vmcnt(1)
	v_add_u32_e32 v12, v0, v1
	v_readfirstlane_b32 s8, v1
	v_cmp_gt_u32_e32 vcc, s36, v12
	v_mov_b32_e32 v1, v0
	s_and_saveexec_b64 s[30:31], vcc
	s_cbranch_execz .LBB56_45
; %bb.23:                               ;   in Loop: Header=BB56_6 Depth=1
	s_mov_b64 s[2:3], 0
	s_mul_i32 s9, s50, s8
                                        ; implicit-def: $vgpr1
                                        ; implicit-def: $vgpr4
                                        ; implicit-def: $vgpr2
                                        ; implicit-def: $vgpr3
	s_mov_b64 s[6:7], exec
	v_readlane_b32 s12, v49, 26
	v_readlane_b32 s13, v49, 27
	s_and_b64 s[12:13], s[6:7], s[12:13]
	s_xor_b64 s[34:35], s[12:13], s[6:7]
	s_mov_b64 exec, s[12:13]
	s_cbranch_execnz .LBB56_29
; %bb.24:                               ;   in Loop: Header=BB56_6 Depth=1
	s_andn2_saveexec_b64 s[6:7], s[34:35]
	s_cbranch_execnz .LBB56_40
.LBB56_25:                              ;   in Loop: Header=BB56_6 Depth=1
	s_or_b64 exec, exec, s[6:7]
	s_and_saveexec_b64 s[6:7], s[2:3]
	s_cbranch_execnz .LBB56_41
	s_branch .LBB56_44
.LBB56_26:                              ;   in Loop: Header=BB56_6 Depth=1
	s_or_b64 exec, exec, s[12:13]
	s_waitcnt lgkmcnt(0)
	s_barrier
	s_mov_b64 s[6:7], exec
	v_readlane_b32 s8, v49, 6
	v_readlane_b32 s9, v49, 7
	s_and_b64 s[8:9], s[6:7], s[8:9]
	s_mov_b64 exec, s[8:9]
	s_cbranch_execz .LBB56_28
; %bb.27:                               ;   in Loop: Header=BB56_6 Depth=1
	ds_read_b32 v1, v9 offset:4104
	s_waitcnt lgkmcnt(0)
	ds_write_b32 v9, v1 offset:4096
.LBB56_28:                              ;   in Loop: Header=BB56_6 Depth=1
	s_or_b64 exec, exec, s[6:7]
	s_waitcnt lgkmcnt(0)
	s_barrier
	s_mov_b64 s[6:7], -1
	s_and_b64 vcc, exec, s[2:3]
	s_cbranch_vccnz .LBB56_21
	s_branch .LBB56_49
.LBB56_29:                              ;   in Loop: Header=BB56_6 Depth=1
	v_cvt_f32_u32_e32 v1, s8
	s_sub_i32 s3, 0, s8
	v_add_u32_e32 v2, s8, v12
	v_max_u32_e32 v2, s36, v2
	v_rcp_iflag_f32_e32 v1, v1
	s_lshl_b32 s2, s8, 1
	v_sub_u32_e32 v2, v2, v0
	v_cmp_ne_u32_e32 vcc, s2, v2
	v_mul_f32_e32 v1, 0x4f7ffffe, v1
	v_cvt_u32_f32_e32 v1, v1
	v_cndmask_b32_e64 v8, 0, 1, vcc
	v_or_b32_e32 v8, s2, v8
	v_sub_u32_e32 v2, v2, v8
	v_mul_lo_u32 v3, s3, v1
	s_not_b32 s6, s9
	s_ashr_i32 s14, s6, 31
	s_abs_i32 s12, s9
	v_mul_hi_u32 v3, v1, v3
	v_mul_lo_u32 v4, s50, v12
	s_cmp_eq_u32 s8, 1
	s_mov_b64 s[2:3], -1
	v_add_u32_e32 v1, v1, v3
	v_mul_hi_u32 v3, v2, v1
	v_xor_b32_e32 v4, s14, v4
                                        ; implicit-def: $vgpr1
	v_mul_lo_u32 v8, v3, s8
	v_add_u32_e32 v13, 1, v3
	v_sub_u32_e32 v2, v2, v8
	v_subrev_u32_e32 v8, s8, v2
	v_cmp_le_u32_e64 s[6:7], s8, v2
	v_cndmask_b32_e64 v3, v3, v13, s[6:7]
	v_cndmask_b32_e64 v2, v2, v8, s[6:7]
	v_add_u32_e32 v8, 1, v3
	v_cmp_le_u32_e64 s[6:7], s8, v2
	v_cndmask_b32_e64 v2, v3, v8, s[6:7]
	v_addc_co_u32_e32 v2, vcc, 0, v2, vcc
	v_mul_hi_u32 v3, s12, v2
	v_mul_lo_u32 v2, s12, v2
	s_cselect_b64 s[12:13], -1, 0
	v_cmp_eq_u32_e32 vcc, 0, v3
	v_cmp_le_u32_e64 s[6:7], v2, v4
	s_and_b64 s[12:13], vcc, s[12:13]
	s_and_b64 s[12:13], s[12:13], s[6:7]
	v_mov_b32_e32 v2, v0
	s_and_saveexec_b64 s[6:7], s[12:13]
	s_cbranch_execz .LBB56_39
; %bb.30:                               ;   in Loop: Header=BB56_6 Depth=1
	v_add_u32_e32 v13, 1, v12
	v_mov_b32_e32 v15, v13
	s_waitcnt vmcnt(0)
	v_lshlrev_b32_e32 v17, 16, v16
	v_mov_b32_e32 v1, 0
	v_mov_b32_e32 v14, v12
                                        ; implicit-def: $vgpr16
	s_mov_b64 s[80:81], exec
	v_readlane_b32 s2, v49, 28
	v_readlane_b32 s3, v49, 29
	s_and_b64 s[2:3], s[80:81], s[2:3]
	s_mov_b64 exec, s[2:3]
	s_cbranch_execz .LBB56_34
; %bb.31:                               ;   in Loop: Header=BB56_6 Depth=1
	v_mov_b32_e32 v15, v13
	s_mov_b32 s2, 0
	s_mov_b64 s[82:83], 0
	v_mov_b32_e32 v45, v29
	v_mov_b32_e32 v46, v25
	;; [unrolled: 1-line block ×3, first 2 shown]
	s_mov_b32 s3, 0x5040100
.LBB56_32:                              ;   Parent Loop BB56_6 Depth=1
                                        ; =>  This Inner Loop Header: Depth=2
	v_mul_lo_u32 v8, v14, s50
	v_mul_lo_u32 v1, v15, s4
	v_mov_b32_e32 v13, s44
	v_add_u32_e32 v45, -8, v45
	v_lshlrev_b64 v[2:3], 1, v[8:9]
	s_add_i32 s2, s2, 16
	v_add_co_u32_e32 v18, vcc, s33, v2
	v_mov_b32_e32 v2, v9
	v_lshlrev_b64 v[1:2], 1, v[1:2]
	v_addc_co_u32_e32 v19, vcc, v13, v3, vcc
	v_add_co_u32_e32 v1, vcc, s33, v1
	v_addc_co_u32_e32 v2, vcc, v13, v2, vcc
	global_load_ushort v3, v[18:19], off
	s_nop 0
	global_load_ushort v18, v[1:2], off
	v_add_u32_e32 v2, 2, v15
	v_mul_lo_u32 v2, v2, s4
	s_waitcnt vmcnt(1)
	v_alignbit_b32 v1, v3, v17, 16
	v_add_u32_e32 v3, 2, v14
	v_mul_lo_u32 v8, v3, s50
	v_lshlrev_b64 v[3:4], 1, v[8:9]
	v_add_co_u32_e32 v16, vcc, s33, v3
	v_mov_b32_e32 v3, v9
	v_lshlrev_b64 v[2:3], 1, v[2:3]
	v_addc_co_u32_e32 v17, vcc, v13, v4, vcc
	v_add_co_u32_e32 v2, vcc, s33, v2
	v_addc_co_u32_e32 v3, vcc, v13, v3, vcc
	global_load_ushort v4, v[16:17], off
	global_load_ushort v19, v[2:3], off
	v_add_u32_e32 v3, 4, v15
	v_mul_lo_u32 v3, v3, s4
	s_waitcnt vmcnt(1)
	v_perm_b32 v2, v4, v18, s3
	v_add_u32_e32 v4, 4, v14
	v_mul_lo_u32 v8, v4, s50
	v_mov_b32_e32 v4, v9
	v_lshlrev_b64 v[3:4], 1, v[3:4]
	v_lshlrev_b64 v[16:17], 1, v[8:9]
	v_add_co_u32_e32 v16, vcc, s33, v16
	v_addc_co_u32_e32 v17, vcc, v13, v17, vcc
	v_add_co_u32_e32 v3, vcc, s33, v3
	v_addc_co_u32_e32 v4, vcc, v13, v4, vcc
	global_load_ushort v8, v[16:17], off
	s_nop 0
	global_load_ushort v4, v[3:4], off
	v_add_u32_e32 v16, 6, v15
	v_mul_lo_u32 v16, v16, s4
	s_waitcnt vmcnt(1)
	v_perm_b32 v3, v8, v19, s3
	v_add_u32_e32 v8, 6, v14
	v_mul_lo_u32 v8, v8, s50
	v_lshlrev_b64 v[17:18], 1, v[8:9]
	v_add_co_u32_e32 v47, vcc, s33, v17
	v_mov_b32_e32 v17, v9
	v_lshlrev_b64 v[16:17], 1, v[16:17]
	v_addc_co_u32_e32 v48, vcc, v13, v18, vcc
	v_add_co_u32_e32 v16, vcc, s33, v16
	v_addc_co_u32_e32 v17, vcc, v13, v17, vcc
	global_load_ushort v8, v[47:48], off
	global_load_ushort v18, v[16:17], off
	s_waitcnt vmcnt(1)
	v_perm_b32 v4, v8, v4, s3
	ds_write_b128 v46, v[1:4]
	v_add_u32_e32 v2, 8, v14
	v_mul_lo_u32 v8, v2, s50
	v_add_u32_e32 v1, 8, v15
	v_mul_lo_u32 v1, v1, s4
	v_lshlrev_b64 v[2:3], 1, v[8:9]
	v_add_co_u32_e32 v16, vcc, s33, v2
	v_mov_b32_e32 v2, v9
	v_lshlrev_b64 v[1:2], 1, v[1:2]
	v_addc_co_u32_e32 v17, vcc, v13, v3, vcc
	v_add_co_u32_e32 v1, vcc, s33, v1
	v_addc_co_u32_e32 v2, vcc, v13, v2, vcc
	global_load_ushort v3, v[16:17], off
	global_load_ushort v19, v[1:2], off
	v_add_u32_e32 v2, 10, v15
	v_mul_lo_u32 v2, v2, s4
	s_waitcnt vmcnt(1)
	v_perm_b32 v1, v3, v18, s3
	v_add_u32_e32 v3, 10, v14
	v_mul_lo_u32 v8, v3, s50
	v_lshlrev_b64 v[3:4], 1, v[8:9]
	v_add_co_u32_e32 v16, vcc, s33, v3
	v_mov_b32_e32 v3, v9
	v_lshlrev_b64 v[2:3], 1, v[2:3]
	v_addc_co_u32_e32 v17, vcc, v13, v4, vcc
	v_add_co_u32_e32 v2, vcc, s33, v2
	v_addc_co_u32_e32 v3, vcc, v13, v3, vcc
	global_load_ushort v4, v[16:17], off
	global_load_ushort v18, v[2:3], off
	v_add_u32_e32 v3, 12, v15
	v_mul_lo_u32 v3, v3, s4
	s_waitcnt vmcnt(1)
	v_perm_b32 v2, v4, v19, s3
	v_add_u32_e32 v4, 12, v14
	v_mul_lo_u32 v8, v4, s50
	v_mov_b32_e32 v4, v9
	v_lshlrev_b64 v[3:4], 1, v[3:4]
	v_mov_b32_e32 v19, v9
	v_lshlrev_b64 v[16:17], 1, v[8:9]
	v_add_co_u32_e32 v16, vcc, s33, v16
	v_addc_co_u32_e32 v17, vcc, v13, v17, vcc
	v_add_co_u32_e32 v3, vcc, s33, v3
	v_addc_co_u32_e32 v4, vcc, v13, v4, vcc
	global_load_ushort v8, v[16:17], off
	s_nop 0
	global_load_ushort v4, v[3:4], off
	v_add_u32_e32 v16, 14, v15
	v_add_u32_e32 v15, 16, v15
	s_waitcnt vmcnt(1)
	v_perm_b32 v3, v8, v18, s3
	v_add_u32_e32 v8, 14, v14
	v_mul_lo_u32 v8, v8, s50
	v_mul_lo_u32 v18, v16, s4
	v_add_u32_e32 v14, 16, v14
	v_lshlrev_b64 v[16:17], 1, v[8:9]
	v_lshlrev_b64 v[18:19], 1, v[18:19]
	v_add_co_u32_e32 v16, vcc, s33, v16
	v_addc_co_u32_e32 v17, vcc, v13, v17, vcc
	v_add_co_u32_e32 v18, vcc, s33, v18
	v_addc_co_u32_e32 v19, vcc, v13, v19, vcc
	global_load_ushort v8, v[16:17], off
	s_nop 0
	global_load_ushort v16, v[18:19], off
	v_cmp_eq_u32_e32 vcc, 0, v45
	s_or_b64 s[82:83], vcc, s[82:83]
	s_waitcnt vmcnt(1)
	v_perm_b32 v4, v8, v4, s3
	s_waitcnt vmcnt(0)
	v_perm_b32 v17, v16, v8, s3
	ds_write_b128 v46, v[1:4] offset:16
	v_add_u32_e32 v46, 32, v46
	v_mov_b32_e32 v1, s2
	s_andn2_b64 exec, exec, s[82:83]
	s_cbranch_execnz .LBB56_32
; %bb.33:                               ;   in Loop: Header=BB56_6 Depth=1
	s_or_b64 exec, exec, s[82:83]
.LBB56_34:                              ;   in Loop: Header=BB56_6 Depth=1
	s_or_b64 exec, exec, s[80:81]
	s_mov_b64 s[2:3], exec
	v_readlane_b32 s12, v49, 30
	v_readlane_b32 s13, v49, 31
	s_and_b64 s[12:13], s[2:3], s[12:13]
	s_mov_b64 exec, s[12:13]
	s_cbranch_execz .LBB56_38
; %bb.35:                               ;   in Loop: Header=BB56_6 Depth=1
	v_lshl_add_u32 v1, v1, 1, v25
	s_mov_b64 s[12:13], 0
	v_mov_b32_e32 v2, v31
	s_mov_b32 s14, 0x5040100
.LBB56_36:                              ;   Parent Loop BB56_6 Depth=1
                                        ; =>  This Inner Loop Header: Depth=2
	v_mul_lo_u32 v8, v14, s50
	v_mul_lo_u32 v3, v15, s4
	v_mov_b32_e32 v4, v9
	v_mov_b32_e32 v13, s44
	v_lshlrev_b64 v[18:19], 1, v[8:9]
	v_lshlrev_b64 v[3:4], 1, v[3:4]
	v_add_co_u32_e32 v18, vcc, s33, v18
	v_addc_co_u32_e32 v19, vcc, v13, v19, vcc
	v_add_co_u32_e32 v3, vcc, s33, v3
	v_addc_co_u32_e32 v4, vcc, v13, v4, vcc
	global_load_ushort v8, v[18:19], off
	global_load_ushort v16, v[3:4], off
	v_add_u32_e32 v2, -4, v2
	v_cmp_eq_u32_e32 vcc, 0, v2
	v_add_u32_e32 v15, 2, v15
	v_add_u32_e32 v14, 2, v14
	s_or_b64 s[12:13], vcc, s[12:13]
	s_waitcnt vmcnt(1)
	v_alignbit_b32 v4, v8, v17, 16
	s_waitcnt vmcnt(0)
	v_perm_b32 v3, v16, v8, s14
	ds_write_b32 v1, v4
	v_add_u32_e32 v1, 4, v1
	v_mov_b32_e32 v17, v3
	s_andn2_b64 exec, exec, s[12:13]
	s_cbranch_execnz .LBB56_36
; %bb.37:                               ;   in Loop: Header=BB56_6 Depth=1
	s_or_b64 exec, exec, s[12:13]
.LBB56_38:                              ;   in Loop: Header=BB56_6 Depth=1
	s_or_b64 exec, exec, s[2:3]
	v_readlane_b32 s2, v49, 45
	v_add_u32_e32 v12, v12, v28
	v_readlane_b32 s3, v49, 46
	v_add_u32_e32 v1, -1, v12
	s_orn2_b64 s[2:3], s[2:3], exec
	v_mov_b32_e32 v2, v38
.LBB56_39:                              ;   in Loop: Header=BB56_6 Depth=1
	s_or_b64 exec, exec, s[6:7]
	v_mov_b32_e32 v3, s9
	s_and_b64 s[2:3], s[2:3], exec
	s_waitcnt vmcnt(0)
	v_mov_b32_e32 v4, v16
	s_andn2_saveexec_b64 s[6:7], s[34:35]
	s_cbranch_execz .LBB56_25
.LBB56_40:                              ;   in Loop: Header=BB56_6 Depth=1
	v_mov_b32_e32 v3, s9
	s_or_b64 s[2:3], s[2:3], exec
	s_waitcnt vmcnt(0)
	v_mov_b32_e32 v4, v16
	v_mov_b32_e32 v2, v0
	s_or_b64 exec, exec, s[6:7]
	s_and_saveexec_b64 s[6:7], s[2:3]
	s_cbranch_execz .LBB56_44
.LBB56_41:                              ;   in Loop: Header=BB56_6 Depth=1
	v_mul_lo_u32 v8, s50, v12
	s_sub_i32 s9, 0, s8
	s_mov_b64 s[2:3], 0
.LBB56_42:                              ;   Parent Loop BB56_6 Depth=1
                                        ; =>  This Inner Loop Header: Depth=2
	v_lshlrev_b64 v[13:14], 1, v[8:9]
	v_mov_b32_e32 v1, s44
	v_add_co_u32_e32 v13, vcc, s33, v13
	v_addc_co_u32_e32 v14, vcc, v1, v14, vcc
	global_load_ushort v16, v[13:14], off
	v_mov_b32_e32 v1, v12
	v_add_u32_e32 v12, s8, v1
	v_lshlrev_b32_e32 v2, 1, v2
	v_cmp_le_u32_e32 vcc, s36, v12
	v_add_u32_e32 v8, v8, v3
	ds_write_b16 v2, v4
	v_mov_b32_e32 v2, v1
	s_or_b64 s[2:3], vcc, s[2:3]
	s_waitcnt vmcnt(0)
	v_mov_b32_e32 v4, v16
	s_andn2_b64 exec, exec, s[2:3]
	s_cbranch_execnz .LBB56_42
; %bb.43:                               ;   in Loop: Header=BB56_6 Depth=1
	s_or_b64 exec, exec, s[2:3]
	v_add_u32_e32 v1, s9, v12
.LBB56_44:                              ;   in Loop: Header=BB56_6 Depth=1
	s_or_b64 exec, exec, s[6:7]
.LBB56_45:                              ;   in Loop: Header=BB56_6 Depth=1
	s_or_b64 exec, exec, s[30:31]
	v_lshlrev_b32_e32 v1, 1, v1
	s_waitcnt vmcnt(0)
	ds_write_b16 v1, v16
.LBB56_46:                              ;   in Loop: Header=BB56_6 Depth=1
	s_or_b64 exec, exec, s[26:27]
	s_waitcnt lgkmcnt(0)
	s_barrier
	s_mov_b64 s[2:3], exec
	v_readlane_b32 s6, v49, 6
	v_readlane_b32 s7, v49, 7
	s_and_b64 s[6:7], s[2:3], s[6:7]
	s_mov_b64 exec, s[6:7]
; %bb.47:                               ;   in Loop: Header=BB56_6 Depth=1
	v_mov_b32_e32 v1, s36
	ds_write_b32 v9, v1 offset:4096
; %bb.48:                               ;   in Loop: Header=BB56_6 Depth=1
	s_or_b64 exec, exec, s[2:3]
	s_mov_b64 s[6:7], -1
	s_waitcnt lgkmcnt(0)
	s_barrier
.LBB56_49:                              ;   in Loop: Header=BB56_6 Depth=1
	s_mov_b32 s8, 0
	s_and_b64 vcc, exec, s[6:7]
	s_cbranch_vccz .LBB56_51
; %bb.50:                               ;   in Loop: Header=BB56_6 Depth=1
	ds_read_b32 v1, v9 offset:4096
	s_waitcnt lgkmcnt(0)
	v_readfirstlane_b32 s8, v1
.LBB56_51:                              ;   in Loop: Header=BB56_6 Depth=1
	s_cmp_lt_i32 s8, 1
	s_mov_b64 s[2:3], -1
                                        ; implicit-def: $vgpr1
	s_cbranch_scc1 .LBB56_61
; %bb.52:                               ;   in Loop: Header=BB56_6 Depth=1
	s_and_b64 vcc, exec, s[2:3]
	s_cbranch_vccnz .LBB56_72
.LBB56_53:                              ;   in Loop: Header=BB56_6 Depth=1
	s_lshl_b32 s6, s45, 6
	s_and_saveexec_b64 s[2:3], s[0:1]
.LBB56_54:                              ;   in Loop: Header=BB56_6 Depth=1
	v_lshl_add_u32 v8, s6, 2, v27
	ds_write_b128 v8, v[1:4]
.LBB56_55:                              ;   in Loop: Header=BB56_6 Depth=1
	s_or_b64 exec, exec, s[2:3]
	s_waitcnt lgkmcnt(0)
	s_barrier
	s_mov_b64 s[2:3], exec
	v_readlane_b32 s8, v49, 13
	v_readlane_b32 s9, v49, 14
	s_and_b64 s[8:9], s[2:3], s[8:9]
	s_mov_b64 exec, s[8:9]
	s_cbranch_execz .LBB56_86
; %bb.56:                               ;   in Loop: Header=BB56_6 Depth=1
	v_readlane_b32 s8, v49, 19
	v_readlane_b32 s9, v49, 20
	s_andn2_b64 vcc, exec, s[8:9]
	v_mov_b32_e32 v1, 0
	s_cbranch_vccnz .LBB56_85
; %bb.57:                               ;   in Loop: Header=BB56_6 Depth=1
	v_readlane_b32 s8, v49, 32
	v_readlane_b32 s9, v49, 33
	s_andn2_b64 vcc, exec, s[8:9]
	s_cbranch_vccnz .LBB56_81
; %bb.58:                               ;   in Loop: Header=BB56_6 Depth=1
	v_lshl_add_u32 v2, s45, 8, v36
	s_mov_b32 s7, 0
	v_mov_b32_e32 v1, 0
.LBB56_59:                              ;   Parent Loop BB56_6 Depth=1
                                        ; =>  This Inner Loop Header: Depth=2
	ds_read2_b32 v[3:4], v2 offset1:4
	ds_read2_b32 v[12:13], v2 offset0:8 offset1:12
	ds_read2_b32 v[14:15], v2 offset0:16 offset1:20
	;; [unrolled: 1-line block ×3, first 2 shown]
	s_add_i32 s7, s7, 8
	s_waitcnt lgkmcnt(3)
	v_add3_u32 v1, v3, v1, v4
	s_waitcnt lgkmcnt(2)
	v_add3_u32 v1, v12, v1, v13
	;; [unrolled: 2-line block ×3, first 2 shown]
	v_add_u32_e32 v2, 0x80, v2
	s_cmp_eq_u32 s5, s7
	s_waitcnt lgkmcnt(0)
	v_add3_u32 v1, v16, v1, v17
	s_cbranch_scc0 .LBB56_59
; %bb.60:                               ;   in Loop: Header=BB56_6 Depth=1
	s_mov_b32 s7, s5
	s_branch .LBB56_82
.LBB56_61:                              ;   in Loop: Header=BB56_6 Depth=1
	v_mov_b32_e32 v1, 0
	v_mov_b32_e32 v2, 0
	v_mov_b32_e32 v3, 0
	v_mov_b32_e32 v4, 0
	s_mov_b64 s[80:81], exec
	v_readlane_b32 s2, v49, 38
	v_readlane_b32 s3, v49, 39
	s_and_b64 s[2:3], s[80:81], s[2:3]
	s_mov_b64 exec, s[2:3]
	s_cbranch_execz .LBB56_65
; %bb.62:                               ;   in Loop: Header=BB56_6 Depth=1
	s_mov_b32 s2, 0
	s_mov_b64 s[82:83], 0
	s_mov_b32 s3, 0
	s_mov_b32 s9, 0
	;; [unrolled: 1-line block ×4, first 2 shown]
	v_mov_b32_e32 v12, v23
.LBB56_63:                              ;   Parent Loop BB56_6 Depth=1
                                        ; =>  This Inner Loop Header: Depth=2
	v_add_u32_e32 v8, s2, v39
	v_lshlrev_b64 v[1:2], 1, v[8:9]
	v_mov_b32_e32 v3, s44
	v_add_co_u32_e32 v1, vcc, s33, v1
	v_addc_co_u32_e32 v2, vcc, v3, v2, vcc
	v_add_u32_e32 v8, s2, v32
	global_load_sshort v4, v[1:2], off
	v_lshlrev_b64 v[1:2], 1, v[8:9]
	v_add_u32_e32 v8, s2, v33
	v_add_co_u32_e32 v1, vcc, s33, v1
	v_addc_co_u32_e32 v2, vcc, v3, v2, vcc
	global_load_sshort v13, v[1:2], off
	v_lshlrev_b64 v[1:2], 1, v[8:9]
	v_add_u32_e32 v8, s2, v34
	v_add_co_u32_e32 v1, vcc, s33, v1
	v_addc_co_u32_e32 v2, vcc, v3, v2, vcc
	;; [unrolled: 5-line block ×3, first 2 shown]
	global_load_sshort v1, v[1:2], off
	s_add_i32 s2, s2, s21
	s_waitcnt vmcnt(3)
	v_add_u32_e32 v2, 0x8000, v4
	v_and_b32_e32 v8, v2, v42
	v_bfe_u32 v2, v2, s38, 2
	v_cmp_eq_u32_e32 vcc, v8, v37
	v_cmp_eq_u32_e64 s[34:35], 0, v2
	s_and_b64 s[14:15], vcc, s[34:35]
	s_waitcnt vmcnt(2)
	v_add_u32_e32 v3, 0x8000, v13
	v_and_b32_e32 v8, v3, v42
	v_bfe_u32 v3, v3, s38, 2
	v_cmp_eq_u32_e64 s[6:7], v8, v37
	v_cmp_eq_u32_e64 s[34:35], 0, v3
	s_and_b64 s[16:17], s[6:7], s[34:35]
	s_waitcnt vmcnt(1)
	v_add_u32_e32 v4, 0x8000, v14
	v_and_b32_e32 v8, v4, v42
	v_bfe_u32 v4, v4, s38, 2
	v_cmp_eq_u32_e64 s[26:27], v8, v37
	v_cmp_eq_u32_e64 s[34:35], 0, v4
	s_and_b64 s[22:23], s[26:27], s[34:35]
	s_waitcnt vmcnt(0)
	v_add_u32_e32 v1, 0x8000, v1
	v_and_b32_e32 v8, v1, v42
	v_bfe_u32 v1, v1, s38, 2
	v_cmp_eq_u32_e64 s[30:31], v8, v37
	v_cmp_eq_u32_e64 s[34:35], 0, v1
	v_cndmask_b32_e64 v8, 0, 1, s[14:15]
	s_and_b64 s[24:25], s[30:31], s[34:35]
	v_cmp_ne_u32_e64 s[34:35], 0, v8
	v_cndmask_b32_e64 v8, 0, 1, s[16:17]
	s_bcnt1_i32_b64 s14, s[34:35]
	v_cmp_ne_u32_e64 s[34:35], 0, v8
	v_cndmask_b32_e64 v8, 0, 1, s[22:23]
	s_bcnt1_i32_b64 s15, s[34:35]
	;; [unrolled: 3-line block ×3, first 2 shown]
	v_cmp_ne_u32_e64 s[34:35], 0, v8
	s_add_i32 s13, s13, s14
	s_bcnt1_i32_b64 s17, s[34:35]
	s_add_i32 s13, s13, s15
	v_cmp_eq_u32_e64 s[34:35], 1, v2
	s_add_i32 s13, s13, s16
	s_and_b64 s[14:15], vcc, s[34:35]
	v_cmp_eq_u32_e64 s[34:35], 1, v3
	s_add_i32 s13, s13, s17
	s_and_b64 s[16:17], s[6:7], s[34:35]
	v_cmp_eq_u32_e64 s[34:35], 1, v4
	s_and_b64 s[22:23], s[26:27], s[34:35]
	v_cmp_eq_u32_e64 s[34:35], 1, v1
	v_cndmask_b32_e64 v8, 0, 1, s[14:15]
	s_and_b64 s[24:25], s[30:31], s[34:35]
	v_cmp_ne_u32_e64 s[34:35], 0, v8
	v_cndmask_b32_e64 v8, 0, 1, s[16:17]
	s_bcnt1_i32_b64 s14, s[34:35]
	v_cmp_ne_u32_e64 s[34:35], 0, v8
	v_cndmask_b32_e64 v8, 0, 1, s[22:23]
	s_bcnt1_i32_b64 s15, s[34:35]
	;; [unrolled: 3-line block ×3, first 2 shown]
	v_cmp_ne_u32_e64 s[34:35], 0, v8
	s_add_i32 s12, s12, s14
	s_bcnt1_i32_b64 s17, s[34:35]
	s_add_i32 s12, s12, s15
	v_cmp_eq_u32_e64 s[34:35], 2, v2
	s_add_i32 s12, s12, s16
	s_and_b64 s[14:15], vcc, s[34:35]
	v_cmp_eq_u32_e64 s[34:35], 2, v3
	s_add_i32 s12, s12, s17
	s_and_b64 s[16:17], s[6:7], s[34:35]
	v_cmp_eq_u32_e64 s[34:35], 2, v4
	s_and_b64 s[22:23], s[26:27], s[34:35]
	v_cmp_eq_u32_e64 s[34:35], 2, v1
	v_cndmask_b32_e64 v8, 0, 1, s[14:15]
	s_and_b64 s[24:25], s[30:31], s[34:35]
	v_cmp_ne_u32_e64 s[34:35], 0, v8
	v_cndmask_b32_e64 v8, 0, 1, s[16:17]
	s_bcnt1_i32_b64 s14, s[34:35]
	v_cmp_ne_u32_e64 s[34:35], 0, v8
	v_cndmask_b32_e64 v8, 0, 1, s[22:23]
	s_bcnt1_i32_b64 s15, s[34:35]
	;; [unrolled: 3-line block ×3, first 2 shown]
	v_cmp_ne_u32_e64 s[34:35], 0, v8
	s_bcnt1_i32_b64 s17, s[34:35]
	s_add_i32 s9, s9, s14
	v_cmp_eq_u32_e64 s[34:35], 3, v2
	s_add_i32 s9, s9, s15
	s_and_b64 s[14:15], vcc, s[34:35]
	v_cmp_eq_u32_e32 vcc, 3, v3
	s_add_i32 s9, s9, s16
	s_and_b64 s[6:7], s[6:7], vcc
	v_cmp_eq_u32_e32 vcc, 3, v4
	s_add_i32 s9, s9, s17
	s_and_b64 s[16:17], s[26:27], vcc
	v_cmp_eq_u32_e32 vcc, 3, v1
	v_cndmask_b32_e64 v1, 0, 1, s[14:15]
	s_and_b64 s[22:23], s[30:31], vcc
	v_cmp_ne_u32_e32 vcc, 0, v1
	v_cndmask_b32_e64 v1, 0, 1, s[6:7]
	s_bcnt1_i32_b64 s14, vcc
	v_cmp_ne_u32_e32 vcc, 0, v1
	v_cndmask_b32_e64 v1, 0, 1, s[16:17]
	s_bcnt1_i32_b64 s6, vcc
	v_cmp_ne_u32_e32 vcc, 0, v1
	v_cndmask_b32_e64 v1, 0, 1, s[22:23]
	s_add_i32 s3, s3, s14
	s_bcnt1_i32_b64 s7, vcc
	v_cmp_ne_u32_e32 vcc, 0, v1
	s_add_i32 s3, s3, s6
	s_bcnt1_i32_b64 s15, vcc
	s_add_i32 s3, s3, s7
	s_add_i32 s3, s3, s15
	v_cmp_le_u32_e32 vcc, s19, v12
	s_or_b64 s[82:83], vcc, s[82:83]
	v_mov_b32_e32 v1, s13
	v_mov_b32_e32 v2, s12
	;; [unrolled: 1-line block ×4, first 2 shown]
	s_andn2_b64 exec, exec, s[82:83]
	s_cbranch_execnz .LBB56_63
; %bb.64:                               ;   in Loop: Header=BB56_6 Depth=1
	s_or_b64 exec, exec, s[82:83]
.LBB56_65:                              ;   in Loop: Header=BB56_6 Depth=1
	s_or_b64 exec, exec, s[80:81]
	s_mov_b64 s[2:3], exec
	v_readlane_b32 s6, v49, 40
	v_readlane_b32 s7, v49, 41
	s_and_b64 s[6:7], s[2:3], s[6:7]
	s_mov_b64 exec, s[6:7]
	s_cbranch_execz .LBB56_71
; %bb.66:                               ;   in Loop: Header=BB56_6 Depth=1
	global_load_ushort v13, v[10:11], off
	s_mov_b64 s[12:13], 0
	v_mov_b32_e32 v8, v35
	v_mov_b32_e32 v12, v30
	s_branch .LBB56_68
.LBB56_67:                              ;   in Loop: Header=BB56_68 Depth=2
	s_or_b64 exec, exec, s[14:15]
	s_waitcnt vmcnt(0)
	v_add_u32_sdwa v13, sext(v13), s11 dst_sel:DWORD dst_unused:UNUSED_PAD src0_sel:WORD_0 src1_sel:DWORD
	s_and_b64 s[6:7], exec, vcc
	v_and_b32_e32 v15, v13, v42
	v_bfe_u32 v13, v13, s38, 2
	s_or_b64 s[12:13], s[6:7], s[12:13]
	v_cmp_eq_u32_e32 vcc, v15, v37
	v_cmp_eq_u32_e64 s[6:7], 0, v13
	s_and_b64 s[6:7], vcc, s[6:7]
	v_cndmask_b32_e64 v15, 0, 1, s[6:7]
	v_cmp_ne_u32_e64 s[6:7], 0, v15
	s_bcnt1_i32_b64 s6, s[6:7]
	v_add_u32_e32 v1, s6, v1
	v_cmp_eq_u32_e64 s[6:7], 1, v13
	s_and_b64 s[6:7], vcc, s[6:7]
	v_cndmask_b32_e64 v15, 0, 1, s[6:7]
	v_cmp_ne_u32_e64 s[6:7], 0, v15
	s_bcnt1_i32_b64 s6, s[6:7]
	v_add_u32_e32 v2, s6, v2
	;; [unrolled: 6-line block ×3, first 2 shown]
	v_cmp_eq_u32_e64 s[6:7], 3, v13
	s_and_b64 s[6:7], vcc, s[6:7]
	v_cndmask_b32_e64 v13, 0, 1, s[6:7]
	v_cmp_ne_u32_e32 vcc, 0, v13
	s_bcnt1_i32_b64 s6, vcc
	v_add_u32_e32 v4, s6, v4
	v_add_u32_e32 v8, s49, v8
	v_mov_b32_e32 v13, v14
	s_andn2_b64 exec, exec, s[12:13]
	s_cbranch_execz .LBB56_70
.LBB56_68:                              ;   Parent Loop BB56_6 Depth=1
                                        ; =>  This Inner Loop Header: Depth=2
	v_add_u32_e32 v12, s48, v12
	v_cmp_gt_u32_e64 s[6:7], s36, v12
	v_cmp_le_u32_e32 vcc, s36, v12
	v_mov_b32_e32 v14, 0
	s_and_saveexec_b64 s[14:15], s[6:7]
	s_cbranch_execz .LBB56_67
; %bb.69:                               ;   in Loop: Header=BB56_68 Depth=2
	v_lshlrev_b64 v[14:15], 1, v[8:9]
	v_mov_b32_e32 v16, s44
	v_add_co_u32_e64 v14, s[6:7], s33, v14
	v_addc_co_u32_e64 v15, s[6:7], v16, v15, s[6:7]
	global_load_ushort v14, v[14:15], off
	s_branch .LBB56_67
.LBB56_70:                              ;   in Loop: Header=BB56_6 Depth=1
	s_or_b64 exec, exec, s[12:13]
.LBB56_71:                              ;   in Loop: Header=BB56_6 Depth=1
	s_or_b64 exec, exec, s[2:3]
	s_branch .LBB56_53
.LBB56_72:                              ;   in Loop: Header=BB56_6 Depth=1
	v_readlane_b32 s2, v49, 37
	s_mul_hi_u32 s2, s8, s2
	s_mul_i32 s2, s2, s51
	s_sub_i32 s2, s8, s2
	s_sub_i32 s3, s2, s51
	s_cmp_ge_u32 s2, s51
	s_cselect_b32 s2, s3, s2
	s_sub_i32 s3, s2, s51
	s_cmp_ge_u32 s2, s51
	s_cselect_b32 s2, s3, s2
	s_sub_i32 s2, s8, s2
	v_cmp_gt_u32_e32 vcc, s2, v23
	v_mov_b32_e32 v1, 0
	v_mov_b32_e32 v2, 0
	;; [unrolled: 1-line block ×4, first 2 shown]
	s_and_saveexec_b64 s[80:81], vcc
	s_cbranch_execz .LBB56_76
; %bb.73:                               ;   in Loop: Header=BB56_6 Depth=1
	s_mov_b32 s3, 0
	s_mov_b64 s[82:83], 0
	v_mov_b32_e32 v8, v40
	s_mov_b32 s9, 0
	s_mov_b32 s12, 0
	;; [unrolled: 1-line block ×3, first 2 shown]
	v_mov_b32_e32 v12, v23
.LBB56_74:                              ;   Parent Loop BB56_6 Depth=1
                                        ; =>  This Inner Loop Header: Depth=2
	ds_read_b64 v[1:2], v8
	v_add_u32_e32 v12, s51, v12
	v_add_u32_e32 v8, s18, v8
	s_waitcnt lgkmcnt(0)
	v_add_u32_sdwa v3, sext(v1), s11 dst_sel:DWORD dst_unused:UNUSED_PAD src0_sel:WORD_0 src1_sel:DWORD
	v_add_u32_sdwa v1, sext(v1), s11 dst_sel:DWORD dst_unused:UNUSED_PAD src0_sel:WORD_1 src1_sel:DWORD
	v_and_b32_e32 v13, v3, v42
	v_bfe_u32 v3, v3, s38, 2
	v_add_u32_sdwa v4, sext(v2), s11 dst_sel:DWORD dst_unused:UNUSED_PAD src0_sel:WORD_0 src1_sel:DWORD
	v_cmp_eq_u32_e32 vcc, v13, v37
	v_and_b32_e32 v13, v1, v42
	v_bfe_u32 v1, v1, s38, 2
	v_cmp_eq_u32_e64 s[34:35], 0, v3
	v_add_u32_sdwa v2, sext(v2), s11 dst_sel:DWORD dst_unused:UNUSED_PAD src0_sel:WORD_1 src1_sel:DWORD
	v_cmp_eq_u32_e64 s[6:7], v13, v37
	v_and_b32_e32 v13, v4, v42
	v_bfe_u32 v4, v4, s38, 2
	s_and_b64 s[14:15], vcc, s[34:35]
	v_cmp_eq_u32_e64 s[34:35], 0, v1
	v_cmp_eq_u32_e64 s[26:27], v13, v37
	v_and_b32_e32 v13, v2, v42
	v_bfe_u32 v2, v2, s38, 2
	s_and_b64 s[16:17], s[6:7], s[34:35]
	v_cmp_eq_u32_e64 s[34:35], 0, v4
	v_cmp_eq_u32_e64 s[30:31], v13, v37
	s_and_b64 s[22:23], s[26:27], s[34:35]
	v_cmp_eq_u32_e64 s[34:35], 0, v2
	v_cndmask_b32_e64 v13, 0, 1, s[14:15]
	s_and_b64 s[24:25], s[30:31], s[34:35]
	v_cmp_ne_u32_e64 s[34:35], 0, v13
	v_cndmask_b32_e64 v13, 0, 1, s[16:17]
	s_bcnt1_i32_b64 s14, s[34:35]
	v_cmp_ne_u32_e64 s[34:35], 0, v13
	v_cndmask_b32_e64 v13, 0, 1, s[22:23]
	s_bcnt1_i32_b64 s15, s[34:35]
	;; [unrolled: 3-line block ×3, first 2 shown]
	v_cmp_ne_u32_e64 s[34:35], 0, v13
	s_add_i32 s13, s13, s14
	s_bcnt1_i32_b64 s17, s[34:35]
	s_add_i32 s13, s13, s15
	v_cmp_eq_u32_e64 s[34:35], 1, v3
	s_add_i32 s13, s13, s16
	s_and_b64 s[14:15], vcc, s[34:35]
	v_cmp_eq_u32_e64 s[34:35], 1, v1
	s_add_i32 s13, s13, s17
	s_and_b64 s[16:17], s[6:7], s[34:35]
	v_cmp_eq_u32_e64 s[34:35], 1, v4
	s_and_b64 s[22:23], s[26:27], s[34:35]
	v_cmp_eq_u32_e64 s[34:35], 1, v2
	v_cndmask_b32_e64 v13, 0, 1, s[14:15]
	s_and_b64 s[24:25], s[30:31], s[34:35]
	v_cmp_ne_u32_e64 s[34:35], 0, v13
	v_cndmask_b32_e64 v13, 0, 1, s[16:17]
	s_bcnt1_i32_b64 s14, s[34:35]
	v_cmp_ne_u32_e64 s[34:35], 0, v13
	v_cndmask_b32_e64 v13, 0, 1, s[22:23]
	s_bcnt1_i32_b64 s15, s[34:35]
	;; [unrolled: 3-line block ×3, first 2 shown]
	v_cmp_ne_u32_e64 s[34:35], 0, v13
	s_add_i32 s12, s12, s14
	s_bcnt1_i32_b64 s17, s[34:35]
	s_add_i32 s12, s12, s15
	v_cmp_eq_u32_e64 s[34:35], 2, v3
	s_add_i32 s12, s12, s16
	s_and_b64 s[14:15], vcc, s[34:35]
	v_cmp_eq_u32_e64 s[34:35], 2, v1
	s_add_i32 s12, s12, s17
	s_and_b64 s[16:17], s[6:7], s[34:35]
	v_cmp_eq_u32_e64 s[34:35], 2, v4
	s_and_b64 s[22:23], s[26:27], s[34:35]
	v_cmp_eq_u32_e64 s[34:35], 2, v2
	v_cndmask_b32_e64 v13, 0, 1, s[14:15]
	s_and_b64 s[24:25], s[30:31], s[34:35]
	v_cmp_ne_u32_e64 s[34:35], 0, v13
	v_cndmask_b32_e64 v13, 0, 1, s[16:17]
	s_bcnt1_i32_b64 s14, s[34:35]
	v_cmp_ne_u32_e64 s[34:35], 0, v13
	v_cndmask_b32_e64 v13, 0, 1, s[22:23]
	s_bcnt1_i32_b64 s15, s[34:35]
	;; [unrolled: 3-line block ×3, first 2 shown]
	v_cmp_ne_u32_e64 s[34:35], 0, v13
	s_bcnt1_i32_b64 s17, s[34:35]
	s_add_i32 s9, s9, s14
	v_cmp_eq_u32_e64 s[34:35], 3, v3
	s_add_i32 s9, s9, s15
	s_and_b64 s[14:15], vcc, s[34:35]
	v_cmp_eq_u32_e32 vcc, 3, v1
	s_add_i32 s9, s9, s16
	s_and_b64 s[6:7], s[6:7], vcc
	v_cmp_eq_u32_e32 vcc, 3, v4
	s_add_i32 s9, s9, s17
	s_and_b64 s[16:17], s[26:27], vcc
	v_cmp_eq_u32_e32 vcc, 3, v2
	v_cndmask_b32_e64 v1, 0, 1, s[14:15]
	s_and_b64 s[22:23], s[30:31], vcc
	v_cmp_ne_u32_e32 vcc, 0, v1
	v_cndmask_b32_e64 v1, 0, 1, s[6:7]
	s_bcnt1_i32_b64 s14, vcc
	v_cmp_ne_u32_e32 vcc, 0, v1
	v_cndmask_b32_e64 v1, 0, 1, s[16:17]
	s_bcnt1_i32_b64 s6, vcc
	v_cmp_ne_u32_e32 vcc, 0, v1
	v_cndmask_b32_e64 v1, 0, 1, s[22:23]
	s_add_i32 s3, s3, s14
	s_bcnt1_i32_b64 s7, vcc
	v_cmp_ne_u32_e32 vcc, 0, v1
	s_add_i32 s3, s3, s6
	s_bcnt1_i32_b64 s15, vcc
	s_add_i32 s3, s3, s7
	s_add_i32 s3, s3, s15
	v_cmp_le_u32_e32 vcc, s2, v12
	s_or_b64 s[82:83], vcc, s[82:83]
	v_mov_b32_e32 v1, s13
	v_mov_b32_e32 v2, s12
	;; [unrolled: 1-line block ×4, first 2 shown]
	s_andn2_b64 exec, exec, s[82:83]
	s_cbranch_execnz .LBB56_74
; %bb.75:                               ;   in Loop: Header=BB56_6 Depth=1
	s_or_b64 exec, exec, s[82:83]
.LBB56_76:                              ;   in Loop: Header=BB56_6 Depth=1
	s_or_b64 exec, exec, s[80:81]
	v_add_u32_e32 v8, s2, v0
	v_cmp_gt_u32_e32 vcc, s8, v8
	s_and_saveexec_b64 s[12:13], vcc
	s_cbranch_execz .LBB56_80
; %bb.77:                               ;   in Loop: Header=BB56_6 Depth=1
	v_lshlrev_b32_e32 v12, 1, v8
	s_mov_b64 s[14:15], 0
.LBB56_78:                              ;   Parent Loop BB56_6 Depth=1
                                        ; =>  This Inner Loop Header: Depth=2
	ds_read_i16 v13, v12
	v_add_u32_e32 v8, s48, v8
	v_add_u32_e32 v12, s10, v12
	s_waitcnt lgkmcnt(0)
	v_add_u32_e32 v13, 0x8000, v13
	v_and_b32_e32 v14, v13, v42
	v_bfe_u32 v13, v13, s38, 2
	v_cmp_eq_u32_e32 vcc, v14, v37
	v_cmp_eq_u32_e64 s[6:7], 0, v13
	s_and_b64 s[2:3], vcc, s[6:7]
	v_cndmask_b32_e64 v14, 0, 1, s[2:3]
	v_cmp_ne_u32_e64 s[6:7], 0, v14
	s_bcnt1_i32_b64 s2, s[6:7]
	v_cmp_eq_u32_e64 s[6:7], 1, v13
	v_add_u32_e32 v1, s2, v1
	s_and_b64 s[2:3], vcc, s[6:7]
	v_cndmask_b32_e64 v14, 0, 1, s[2:3]
	v_cmp_ne_u32_e64 s[6:7], 0, v14
	s_bcnt1_i32_b64 s2, s[6:7]
	v_cmp_eq_u32_e64 s[6:7], 2, v13
	v_add_u32_e32 v2, s2, v2
	;; [unrolled: 6-line block ×3, first 2 shown]
	s_and_b64 s[2:3], vcc, s[6:7]
	v_cndmask_b32_e64 v13, 0, 1, s[2:3]
	v_cmp_ne_u32_e32 vcc, 0, v13
	s_bcnt1_i32_b64 s2, vcc
	v_cmp_le_u32_e32 vcc, s8, v8
	v_add_u32_e32 v4, s2, v4
	s_or_b64 s[14:15], vcc, s[14:15]
	s_andn2_b64 exec, exec, s[14:15]
	s_cbranch_execnz .LBB56_78
; %bb.79:                               ;   in Loop: Header=BB56_6 Depth=1
	s_or_b64 exec, exec, s[14:15]
.LBB56_80:                              ;   in Loop: Header=BB56_6 Depth=1
	s_or_b64 exec, exec, s[12:13]
	s_lshl_b32 s6, s45, 6
	s_and_saveexec_b64 s[2:3], s[0:1]
	s_cbranch_execnz .LBB56_54
	s_branch .LBB56_55
.LBB56_81:                              ;   in Loop: Header=BB56_6 Depth=1
	v_mov_b32_e32 v1, 0
	s_mov_b32 s7, 0
.LBB56_82:                              ;   in Loop: Header=BB56_6 Depth=1
	v_readlane_b32 s8, v49, 35
	v_readlane_b32 s9, v49, 36
	s_andn2_b64 vcc, exec, s[8:9]
	s_cbranch_vccnz .LBB56_85
; %bb.83:                               ;   in Loop: Header=BB56_6 Depth=1
	s_lshl_b32 s8, s45, 8
	s_lshl_b32 s7, s7, 4
	s_add_i32 s8, s8, s7
	v_add_u32_e32 v2, s8, v36
	v_readlane_b32 s7, v49, 34
.LBB56_84:                              ;   Parent Loop BB56_6 Depth=1
                                        ; =>  This Inner Loop Header: Depth=2
	ds_read_b32 v3, v2
	s_add_i32 s7, s7, -1
	v_add_u32_e32 v2, 16, v2
	s_cmp_lg_u32 s7, 0
	s_waitcnt lgkmcnt(0)
	v_add_u32_e32 v1, v3, v1
	s_cbranch_scc1 .LBB56_84
.LBB56_85:                              ;   in Loop: Header=BB56_6 Depth=1
	v_add_lshl_u32 v2, s6, v24, 2
	ds_write_b32 v2, v1 offset:3072
.LBB56_86:                              ;   in Loop: Header=BB56_6 Depth=1
	s_or_b64 exec, exec, s[2:3]
	s_lshl_b32 s2, s6, 2
	v_mov_b32_e32 v1, s2
	s_waitcnt lgkmcnt(0)
	s_barrier
	ds_read_b128 v[1:4], v1 offset:3072
	v_readlane_b32 s2, v49, 11
	s_lshl_b32 s46, 3, s38
	v_readlane_b32 s3, v49, 12
	s_not_b32 s47, s46
	s_waitcnt lgkmcnt(0)
	v_readfirstlane_b32 s39, v1
	v_readfirstlane_b32 s94, v2
	;; [unrolled: 1-line block ×4, first 2 shown]
	v_cmp_eq_u32_e64 s[26:27], 1, v44
	s_mov_b64 s[86:87], -1
	s_mov_b64 s[30:31], 0
	s_andn2_b64 vcc, exec, s[2:3]
	s_mov_b64 s[80:81], 0
	s_mov_b64 s[34:35], 0
                                        ; implicit-def: $sgpr82_sgpr83
                                        ; implicit-def: $sgpr84_sgpr85
                                        ; implicit-def: $vgpr4
                                        ; implicit-def: $vgpr1
                                        ; implicit-def: $vgpr3
                                        ; implicit-def: $vgpr2
                                        ; implicit-def: $vgpr8
	s_cbranch_vccnz .LBB56_244
; %bb.87:                               ;   in Loop: Header=BB56_6 Depth=1
	s_cmp_eq_u32 s39, 1
	s_cselect_b64 s[2:3], -1, 0
	s_and_b64 s[6:7], s[2:3], s[26:27]
	s_mov_b64 s[2:3], -1
	v_mov_b32_e32 v3, v37
	v_mov_b32_e32 v2, v42
	;; [unrolled: 1-line block ×3, first 2 shown]
                                        ; implicit-def: $sgpr84_sgpr85
                                        ; implicit-def: $sgpr82_sgpr83
	s_and_saveexec_b64 s[12:13], s[6:7]
	s_cbranch_execz .LBB56_113
; %bb.88:                               ;   in Loop: Header=BB56_6 Depth=1
	ds_read_b32 v1, v9 offset:4096
	s_waitcnt lgkmcnt(0)
	s_barrier
	v_readfirstlane_b32 s8, v1
	s_mov_b64 s[2:3], exec
	v_readlane_b32 s14, v49, 21
	v_readlane_b32 s15, v49, 22
	s_and_b64 s[14:15], s[2:3], s[14:15]
	s_mov_b64 exec, s[14:15]
; %bb.89:                               ;   in Loop: Header=BB56_6 Depth=1
	ds_write_b16 v26, v9
; %bb.90:                               ;   in Loop: Header=BB56_6 Depth=1
	s_or_b64 exec, exec, s[2:3]
	v_and_b32_e32 v3, s47, v37
	v_or_b32_e32 v2, s46, v42
	s_mov_b64 s[82:83], -1
	s_mov_b64 s[84:85], 0
	s_cmp_eq_u32 s8, 0
	s_mov_b64 s[2:3], 0
	s_mov_b64 s[14:15], -1
	s_waitcnt lgkmcnt(0)
	s_barrier
                                        ; implicit-def: $vgpr8
	s_cbranch_scc1 .LBB56_101
; %bb.91:                               ;   in Loop: Header=BB56_6 Depth=1
	v_readlane_b32 s2, v49, 23
	s_add_i32 s2, s8, s2
	v_readlane_b32 s3, v49, 42
	s_mul_hi_u32 s3, s2, s3
	s_mul_i32 s3, s3, s48
	s_sub_i32 s3, s2, s3
	s_sub_i32 s9, s3, s48
	s_cmp_ge_u32 s3, s48
	s_cselect_b32 s3, s9, s3
	s_sub_i32 s9, s3, s48
	s_cmp_ge_u32 s3, s48
	s_cselect_b32 s3, s9, s3
	s_sub_i32 s9, s2, s3
	v_cmp_gt_u32_e32 vcc, s9, v0
	s_mov_b64 s[14:15], 0
	s_mov_b64 s[2:3], 0
                                        ; implicit-def: $vgpr8
	s_and_saveexec_b64 s[16:17], vcc
	s_cbranch_execz .LBB56_100
; %bb.92:                               ;   in Loop: Header=BB56_6 Depth=1
	v_mov_b32_e32 v1, v25
	v_mov_b32_e32 v4, v0
                                        ; implicit-def: $sgpr24_sgpr25
	s_branch .LBB56_95
.LBB56_93:                              ;   in Loop: Header=BB56_95 Depth=2
	s_or_b64 exec, exec, s[22:23]
	s_waitcnt lgkmcnt(0)
	s_barrier
	ds_read_b32 v8, v9 offset:3072
	s_mov_b64 s[22:23], -1
	s_waitcnt lgkmcnt(0)
	s_barrier
	v_cmp_ne_u32_sdwa s[28:29], v8, v9 src0_sel:WORD_0 src1_sel:DWORD
	s_and_b64 vcc, exec, s[28:29]
	s_mov_b64 s[28:29], -1
	s_cbranch_vccz .LBB56_98
.LBB56_94:                              ;   in Loop: Header=BB56_95 Depth=2
	s_and_b64 s[22:23], exec, s[22:23]
	s_or_b64 s[2:3], s[22:23], s[2:3]
	s_andn2_b64 s[22:23], s[24:25], exec
	s_and_b64 s[24:25], s[28:29], exec
	s_or_b64 s[24:25], s[22:23], s[24:25]
	s_andn2_b64 exec, exec, s[2:3]
	s_cbranch_execz .LBB56_99
.LBB56_95:                              ;   Parent Loop BB56_6 Depth=1
                                        ; =>  This Inner Loop Header: Depth=2
	v_cmp_gt_u32_e32 vcc, s8, v4
	s_and_saveexec_b64 s[22:23], vcc
	s_cbranch_execz .LBB56_93
; %bb.96:                               ;   in Loop: Header=BB56_95 Depth=2
	ds_read_u16 v8, v1
	s_waitcnt lgkmcnt(0)
	v_add_u32_sdwa v12, sext(v8), s11 dst_sel:DWORD dst_unused:UNUSED_PAD src0_sel:WORD_0 src1_sel:DWORD
	v_and_b32_e32 v12, v12, v2
	v_cmp_eq_u32_e32 vcc, v12, v3
	s_and_b64 exec, exec, vcc
	s_cbranch_execz .LBB56_93
; %bb.97:                               ;   in Loop: Header=BB56_95 Depth=2
	v_perm_b32 v8, v8, 1, v41
	ds_write_b32 v9, v8 offset:3072
	s_branch .LBB56_93
.LBB56_98:                              ;   in Loop: Header=BB56_95 Depth=2
	v_add_u32_e32 v4, s48, v4
	v_cmp_le_u32_e32 vcc, s9, v4
	v_add_u32_e32 v1, s10, v1
	s_mov_b64 s[28:29], 0
	s_orn2_b64 s[22:23], vcc, exec
	s_branch .LBB56_94
.LBB56_99:                              ;   in Loop: Header=BB56_6 Depth=1
	s_or_b64 exec, exec, s[2:3]
	v_lshrrev_b32_e32 v8, 16, v8
	s_and_b64 s[2:3], s[24:25], exec
.LBB56_100:                             ;   in Loop: Header=BB56_6 Depth=1
	s_or_b64 exec, exec, s[16:17]
.LBB56_101:                             ;   in Loop: Header=BB56_6 Depth=1
	s_and_b64 vcc, exec, s[14:15]
	s_cbranch_vccz .LBB56_112
; %bb.102:                              ;   in Loop: Header=BB56_6 Depth=1
                                        ; implicit-def: $vgpr8
	s_mov_b64 s[14:15], exec
	v_readlane_b32 s8, v49, 43
	v_readlane_b32 s9, v49, 44
	s_and_b64 s[8:9], s[14:15], s[8:9]
	s_mov_b64 exec, s[8:9]
	s_cbranch_execz .LBB56_111
; %bb.103:                              ;   in Loop: Header=BB56_6 Depth=1
	s_mov_b64 s[16:17], 0
	v_mov_b32_e32 v8, v7
	v_mov_b32_e32 v1, v0
                                        ; implicit-def: $sgpr24_sgpr25
	s_branch .LBB56_106
.LBB56_104:                             ;   in Loop: Header=BB56_106 Depth=2
	s_or_b64 exec, exec, s[28:29]
	s_waitcnt lgkmcnt(0)
	s_barrier
	ds_read_b32 v4, v9 offset:3072
	s_mov_b64 s[22:23], -1
	s_mov_b64 s[28:29], -1
	s_waitcnt lgkmcnt(0)
	s_barrier
	v_cmp_ne_u32_sdwa s[8:9], v4, v9 src0_sel:WORD_0 src1_sel:DWORD
	s_and_b64 vcc, exec, s[8:9]
	s_cbranch_vccz .LBB56_109
.LBB56_105:                             ;   in Loop: Header=BB56_106 Depth=2
	s_and_b64 s[8:9], exec, s[22:23]
	s_or_b64 s[16:17], s[8:9], s[16:17]
	s_andn2_b64 s[8:9], s[24:25], exec
	s_and_b64 s[22:23], s[28:29], exec
	s_or_b64 s[24:25], s[8:9], s[22:23]
	s_andn2_b64 exec, exec, s[16:17]
	s_cbranch_execz .LBB56_110
.LBB56_106:                             ;   Parent Loop BB56_6 Depth=1
                                        ; =>  This Inner Loop Header: Depth=2
	v_cmp_gt_u32_e32 vcc, s36, v1
	s_and_saveexec_b64 s[28:29], vcc
	s_cbranch_execz .LBB56_104
; %bb.107:                              ;   in Loop: Header=BB56_106 Depth=2
	v_lshlrev_b64 v[12:13], 1, v[8:9]
	v_mov_b32_e32 v4, s44
	v_add_co_u32_e32 v12, vcc, s33, v12
	v_addc_co_u32_e32 v13, vcc, v4, v13, vcc
	global_load_ushort v4, v[12:13], off
	s_waitcnt vmcnt(0)
	v_add_u32_sdwa v12, sext(v4), s11 dst_sel:DWORD dst_unused:UNUSED_PAD src0_sel:WORD_0 src1_sel:DWORD
	v_and_b32_e32 v12, v12, v2
	v_cmp_eq_u32_e32 vcc, v12, v3
	s_and_b64 exec, exec, vcc
	s_cbranch_execz .LBB56_104
; %bb.108:                              ;   in Loop: Header=BB56_106 Depth=2
	v_perm_b32 v4, v4, 1, v41
	ds_write_b32 v9, v4 offset:3072
	s_branch .LBB56_104
.LBB56_109:                             ;   in Loop: Header=BB56_106 Depth=2
	v_add_u32_e32 v1, s48, v1
	v_cmp_le_u32_e32 vcc, s20, v1
	v_add_u32_e32 v8, s49, v8
	s_mov_b64 s[28:29], 0
	s_orn2_b64 s[22:23], vcc, exec
	s_branch .LBB56_105
.LBB56_110:                             ;   in Loop: Header=BB56_6 Depth=1
	s_or_b64 exec, exec, s[16:17]
	s_andn2_b64 s[2:3], s[2:3], exec
	s_and_b64 s[8:9], s[24:25], exec
	v_lshrrev_b32_e32 v8, 16, v4
	s_or_b64 s[2:3], s[2:3], s[8:9]
.LBB56_111:                             ;   in Loop: Header=BB56_6 Depth=1
	s_or_b64 exec, exec, s[14:15]
	s_mov_b64 s[82:83], 0
	s_mov_b64 s[84:85], -1
.LBB56_112:                             ;   in Loop: Header=BB56_6 Depth=1
	s_orn2_b64 s[2:3], s[2:3], exec
.LBB56_113:                             ;   in Loop: Header=BB56_6 Depth=1
	s_or_b64 exec, exec, s[12:13]
	s_mov_b64 s[86:87], 0
	s_mov_b64 s[80:81], 0
	;; [unrolled: 1-line block ×3, first 2 shown]
                                        ; implicit-def: $vgpr4
                                        ; implicit-def: $vgpr1
	s_and_saveexec_b64 s[88:89], s[2:3]
	s_cbranch_execz .LBB56_243
; %bb.114:                              ;   in Loop: Header=BB56_6 Depth=1
	s_xor_b64 s[8:9], s[6:7], -1
	s_mov_b64 s[6:7], 0
	v_mov_b32_e32 v4, 1
	v_mov_b32_e32 v1, 1
	s_and_saveexec_b64 s[2:3], s[8:9]
	s_cbranch_execz .LBB56_123
; %bb.115:                              ;   in Loop: Header=BB56_6 Depth=1
	v_cmp_ge_u32_e32 vcc, s39, v44
	s_and_saveexec_b64 s[6:7], vcc
	s_xor_b64 s[6:7], exec, s[6:7]
	s_cbranch_execz .LBB56_120
; %bb.116:                              ;   in Loop: Header=BB56_6 Depth=1
	ds_read_b32 v1, v9 offset:4096
	v_and_b32_e32 v3, s47, v3
	v_or_b32_e32 v2, s46, v2
	s_waitcnt lgkmcnt(0)
	v_cmp_ne_u32_e32 vcc, 0, v1
	s_cbranch_vccnz .LBB56_120
; %bb.117:                              ;   in Loop: Header=BB56_6 Depth=1
	s_mov_b64 s[8:9], exec
	v_readlane_b32 s12, v49, 6
	v_readlane_b32 s13, v49, 7
	s_and_b64 s[12:13], s[8:9], s[12:13]
	s_mov_b64 exec, s[12:13]
; %bb.118:                              ;   in Loop: Header=BB56_6 Depth=1
	v_mov_b32_e32 v1, s39
	ds_write_b32 v9, v1 offset:4100
; %bb.119:                              ;   in Loop: Header=BB56_6 Depth=1
	s_or_b64 exec, exec, s[8:9]
	s_waitcnt lgkmcnt(0)
	s_barrier
.LBB56_120:                             ;   in Loop: Header=BB56_6 Depth=1
	s_or_saveexec_b64 s[6:7], s[6:7]
	s_mov_b64 s[12:13], 0
	v_mov_b32_e32 v1, 8
	v_mov_b32_e32 v4, v44
	s_xor_b64 exec, exec, s[6:7]
; %bb.121:                              ;   in Loop: Header=BB56_6 Depth=1
	s_mov_b64 s[12:13], exec
	v_subrev_u32_e32 v4, s39, v44
	v_mov_b32_e32 v1, 0
; %bb.122:                              ;   in Loop: Header=BB56_6 Depth=1
	s_or_b64 exec, exec, s[6:7]
	s_and_b64 s[6:7], s[12:13], exec
.LBB56_123:                             ;   in Loop: Header=BB56_6 Depth=1
	s_or_b64 exec, exec, s[2:3]
	s_mov_b64 s[2:3], -1
                                        ; implicit-def: $sgpr34_sgpr35
                                        ; implicit-def: $sgpr80_sgpr81
	s_and_saveexec_b64 s[8:9], s[6:7]
	s_xor_b64 s[6:7], exec, s[8:9]
	s_cbranch_execz .LBB56_240
; %bb.124:                              ;   in Loop: Header=BB56_6 Depth=1
	s_cmp_eq_u32 s94, 1
	s_cselect_b64 s[2:3], -1, 0
	v_cmp_eq_u32_e32 vcc, 1, v4
	s_and_b64 s[14:15], s[2:3], vcc
	s_mov_b64 s[2:3], -1
                                        ; implicit-def: $sgpr80_sgpr81
                                        ; implicit-def: $sgpr34_sgpr35
	s_and_saveexec_b64 s[12:13], s[14:15]
	s_cbranch_execz .LBB56_150
; %bb.125:                              ;   in Loop: Header=BB56_6 Depth=1
	ds_read_b32 v8, v9 offset:4096
	s_waitcnt lgkmcnt(0)
	s_barrier
	v_readfirstlane_b32 s8, v8
	s_mov_b64 s[2:3], exec
	v_readlane_b32 s16, v49, 21
	v_readlane_b32 s17, v49, 22
	s_and_b64 s[16:17], s[2:3], s[16:17]
	s_mov_b64 exec, s[16:17]
; %bb.126:                              ;   in Loop: Header=BB56_6 Depth=1
	ds_write_b16 v26, v9
; %bb.127:                              ;   in Loop: Header=BB56_6 Depth=1
	s_or_b64 exec, exec, s[2:3]
	v_and_b32_e32 v3, s47, v3
	v_lshl_or_b32 v3, 1, s38, v3
	v_or_b32_e32 v2, s46, v2
	s_mov_b64 s[34:35], -1
	s_mov_b64 s[80:81], 0
	s_cmp_eq_u32 s8, 0
	s_mov_b64 s[16:17], 0
	s_mov_b64 s[2:3], -1
	s_waitcnt lgkmcnt(0)
	s_barrier
                                        ; implicit-def: $vgpr8
	s_cbranch_scc1 .LBB56_138
; %bb.128:                              ;   in Loop: Header=BB56_6 Depth=1
	v_readlane_b32 s2, v49, 23
	s_add_i32 s2, s8, s2
	v_readlane_b32 s3, v49, 42
	s_mul_hi_u32 s3, s2, s3
	s_mul_i32 s3, s3, s48
	s_sub_i32 s3, s2, s3
	s_sub_i32 s9, s3, s48
	s_cmp_ge_u32 s3, s48
	s_cselect_b32 s3, s9, s3
	s_sub_i32 s9, s3, s48
	s_cmp_ge_u32 s3, s48
	s_cselect_b32 s3, s9, s3
	s_sub_i32 s9, s2, s3
	v_cmp_gt_u32_e32 vcc, s9, v0
	s_mov_b64 s[2:3], 0
                                        ; implicit-def: $vgpr8
	s_and_saveexec_b64 s[24:25], vcc
	s_cbranch_execz .LBB56_137
; %bb.129:                              ;   in Loop: Header=BB56_6 Depth=1
	v_mov_b32_e32 v8, v25
	v_mov_b32_e32 v12, v0
                                        ; implicit-def: $sgpr28_sgpr29
	s_branch .LBB56_132
.LBB56_130:                             ;   in Loop: Header=BB56_132 Depth=2
	s_or_b64 exec, exec, s[40:41]
	s_waitcnt lgkmcnt(0)
	s_barrier
	ds_read_b32 v13, v9 offset:3072
	s_mov_b64 s[22:23], -1
	s_waitcnt lgkmcnt(0)
	s_barrier
	v_cmp_ne_u32_sdwa s[40:41], v13, v9 src0_sel:WORD_0 src1_sel:DWORD
	s_and_b64 vcc, exec, s[40:41]
	s_mov_b64 s[40:41], -1
	s_cbranch_vccz .LBB56_135
.LBB56_131:                             ;   in Loop: Header=BB56_132 Depth=2
	s_and_b64 s[22:23], exec, s[22:23]
	s_or_b64 s[16:17], s[22:23], s[16:17]
	s_andn2_b64 s[22:23], s[28:29], exec
	s_and_b64 s[28:29], s[40:41], exec
	s_or_b64 s[28:29], s[22:23], s[28:29]
	s_andn2_b64 exec, exec, s[16:17]
	s_cbranch_execz .LBB56_136
.LBB56_132:                             ;   Parent Loop BB56_6 Depth=1
                                        ; =>  This Inner Loop Header: Depth=2
	v_cmp_gt_u32_e32 vcc, s8, v12
	s_and_saveexec_b64 s[40:41], vcc
	s_cbranch_execz .LBB56_130
; %bb.133:                              ;   in Loop: Header=BB56_132 Depth=2
	ds_read_u16 v13, v8
	s_waitcnt lgkmcnt(0)
	v_add_u32_sdwa v14, sext(v13), s11 dst_sel:DWORD dst_unused:UNUSED_PAD src0_sel:WORD_0 src1_sel:DWORD
	v_and_b32_e32 v14, v14, v2
	v_cmp_eq_u32_e32 vcc, v14, v3
	s_and_b64 exec, exec, vcc
	s_cbranch_execz .LBB56_130
; %bb.134:                              ;   in Loop: Header=BB56_132 Depth=2
	v_perm_b32 v13, v13, 1, v41
	ds_write_b32 v9, v13 offset:3072
	s_branch .LBB56_130
.LBB56_135:                             ;   in Loop: Header=BB56_132 Depth=2
	v_add_u32_e32 v12, s48, v12
	v_cmp_le_u32_e32 vcc, s9, v12
	v_add_u32_e32 v8, s10, v8
	s_mov_b64 s[40:41], 0
	s_orn2_b64 s[22:23], vcc, exec
	s_branch .LBB56_131
.LBB56_136:                             ;   in Loop: Header=BB56_6 Depth=1
	s_or_b64 exec, exec, s[16:17]
	v_lshrrev_b32_e32 v8, 16, v13
	s_and_b64 s[16:17], s[28:29], exec
.LBB56_137:                             ;   in Loop: Header=BB56_6 Depth=1
	s_or_b64 exec, exec, s[24:25]
.LBB56_138:                             ;   in Loop: Header=BB56_6 Depth=1
	s_and_b64 vcc, exec, s[2:3]
	s_cbranch_vccz .LBB56_149
; %bb.139:                              ;   in Loop: Header=BB56_6 Depth=1
                                        ; implicit-def: $vgpr8
	s_mov_b64 s[2:3], exec
	v_readlane_b32 s8, v49, 43
	v_readlane_b32 s9, v49, 44
	s_and_b64 s[8:9], s[2:3], s[8:9]
	s_mov_b64 exec, s[8:9]
	s_cbranch_execz .LBB56_148
; %bb.140:                              ;   in Loop: Header=BB56_6 Depth=1
	s_mov_b64 s[24:25], 0
	v_mov_b32_e32 v8, v7
	v_mov_b32_e32 v12, v0
                                        ; implicit-def: $sgpr28_sgpr29
	s_branch .LBB56_143
.LBB56_141:                             ;   in Loop: Header=BB56_143 Depth=2
	s_or_b64 exec, exec, s[34:35]
	s_waitcnt lgkmcnt(0)
	s_barrier
	ds_read_b32 v13, v9 offset:3072
	s_mov_b64 s[22:23], -1
	s_mov_b64 s[34:35], -1
	s_waitcnt lgkmcnt(0)
	s_barrier
	v_cmp_eq_u32_sdwa s[8:9], v13, v9 src0_sel:WORD_0 src1_sel:DWORD
	s_and_b64 vcc, exec, s[8:9]
	s_cbranch_vccnz .LBB56_146
.LBB56_142:                             ;   in Loop: Header=BB56_143 Depth=2
	s_and_b64 s[8:9], exec, s[22:23]
	s_or_b64 s[24:25], s[8:9], s[24:25]
	s_andn2_b64 s[8:9], s[28:29], exec
	s_and_b64 s[22:23], s[34:35], exec
	s_or_b64 s[28:29], s[8:9], s[22:23]
	s_andn2_b64 exec, exec, s[24:25]
	s_cbranch_execz .LBB56_147
.LBB56_143:                             ;   Parent Loop BB56_6 Depth=1
                                        ; =>  This Inner Loop Header: Depth=2
	v_cmp_gt_u32_e32 vcc, s36, v12
	s_and_saveexec_b64 s[34:35], vcc
	s_cbranch_execz .LBB56_141
; %bb.144:                              ;   in Loop: Header=BB56_143 Depth=2
	v_lshlrev_b64 v[13:14], 1, v[8:9]
	v_mov_b32_e32 v15, s44
	v_add_co_u32_e32 v13, vcc, s33, v13
	v_addc_co_u32_e32 v14, vcc, v15, v14, vcc
	global_load_ushort v13, v[13:14], off
	s_waitcnt vmcnt(0)
	v_add_u32_sdwa v14, sext(v13), s11 dst_sel:DWORD dst_unused:UNUSED_PAD src0_sel:WORD_0 src1_sel:DWORD
	v_and_b32_e32 v14, v14, v2
	v_cmp_eq_u32_e32 vcc, v14, v3
	s_and_b64 exec, exec, vcc
	s_cbranch_execz .LBB56_141
; %bb.145:                              ;   in Loop: Header=BB56_143 Depth=2
	v_perm_b32 v13, v13, 1, v41
	ds_write_b32 v9, v13 offset:3072
	s_branch .LBB56_141
.LBB56_146:                             ;   in Loop: Header=BB56_143 Depth=2
	v_add_u32_e32 v12, s48, v12
	v_cmp_le_u32_e32 vcc, s20, v12
	v_add_u32_e32 v8, s49, v8
	s_mov_b64 s[34:35], 0
	s_orn2_b64 s[22:23], vcc, exec
	s_branch .LBB56_142
.LBB56_147:                             ;   in Loop: Header=BB56_6 Depth=1
	s_or_b64 exec, exec, s[24:25]
	s_andn2_b64 s[8:9], s[16:17], exec
	s_and_b64 s[16:17], s[28:29], exec
	v_lshrrev_b32_e32 v8, 16, v13
	s_or_b64 s[16:17], s[8:9], s[16:17]
.LBB56_148:                             ;   in Loop: Header=BB56_6 Depth=1
	s_or_b64 exec, exec, s[2:3]
	s_mov_b64 s[34:35], 0
	s_mov_b64 s[80:81], -1
.LBB56_149:                             ;   in Loop: Header=BB56_6 Depth=1
	s_orn2_b64 s[2:3], s[16:17], exec
.LBB56_150:                             ;   in Loop: Header=BB56_6 Depth=1
	s_or_b64 exec, exec, s[12:13]
	s_mov_b64 s[12:13], 0
	s_and_saveexec_b64 s[90:91], s[2:3]
	s_cbranch_execz .LBB56_239
; %bb.151:                              ;   in Loop: Header=BB56_6 Depth=1
	s_xor_b64 s[8:9], s[14:15], -1
	v_mov_b32_e32 v12, 1
	v_mov_b32_e32 v1, 1
	s_and_saveexec_b64 s[2:3], s[8:9]
	s_cbranch_execz .LBB56_160
; %bb.152:                              ;   in Loop: Header=BB56_6 Depth=1
	v_cmp_ge_u32_e32 vcc, s94, v4
	s_and_saveexec_b64 s[8:9], vcc
	s_xor_b64 s[12:13], exec, s[8:9]
	s_cbranch_execz .LBB56_157
; %bb.153:                              ;   in Loop: Header=BB56_6 Depth=1
	v_and_b32_e32 v1, s47, v3
	v_lshl_or_b32 v3, 1, s38, v1
	ds_read_b32 v1, v9 offset:4096
	v_or_b32_e32 v2, s46, v2
	s_waitcnt lgkmcnt(0)
	v_cmp_ne_u32_e32 vcc, 0, v1
	s_cbranch_vccnz .LBB56_157
; %bb.154:                              ;   in Loop: Header=BB56_6 Depth=1
	s_mov_b64 s[8:9], exec
	v_readlane_b32 s14, v49, 6
	v_readlane_b32 s15, v49, 7
	s_and_b64 s[14:15], s[8:9], s[14:15]
	s_mov_b64 exec, s[14:15]
; %bb.155:                              ;   in Loop: Header=BB56_6 Depth=1
	v_mov_b32_e32 v1, s94
	ds_write_b32 v9, v1 offset:4100
; %bb.156:                              ;   in Loop: Header=BB56_6 Depth=1
	s_or_b64 exec, exec, s[8:9]
	s_waitcnt lgkmcnt(0)
	s_barrier
.LBB56_157:                             ;   in Loop: Header=BB56_6 Depth=1
	s_or_saveexec_b64 s[12:13], s[12:13]
	s_mov_b64 s[14:15], 0
	v_mov_b32_e32 v1, 8
	s_xor_b64 exec, exec, s[12:13]
; %bb.158:                              ;   in Loop: Header=BB56_6 Depth=1
	s_mov_b64 s[14:15], exec
	v_subrev_u32_e32 v4, s94, v4
	v_mov_b32_e32 v1, 0
; %bb.159:                              ;   in Loop: Header=BB56_6 Depth=1
	s_or_b64 exec, exec, s[12:13]
	s_and_b64 s[12:13], s[14:15], exec
	v_mov_b32_e32 v12, v4
.LBB56_160:                             ;   in Loop: Header=BB56_6 Depth=1
	s_or_b64 exec, exec, s[2:3]
	s_mov_b64 s[2:3], -1
                                        ; implicit-def: $sgpr8_sgpr9
                                        ; kill: killed $sgpr8_sgpr9
                                        ; implicit-def: $sgpr40_sgpr41
	s_and_saveexec_b64 s[22:23], s[12:13]
	s_cbranch_execz .LBB56_238
; %bb.161:                              ;   in Loop: Header=BB56_6 Depth=1
	s_cmp_eq_u32 s95, 1
	s_cselect_b64 s[2:3], -1, 0
	v_cmp_eq_u32_e32 vcc, 1, v12
	v_writelane_b32 v49, s22, 49
	s_and_b64 s[14:15], s[2:3], vcc
	s_mov_b64 s[2:3], -1
	v_writelane_b32 v49, s23, 50
                                        ; implicit-def: $sgpr40_sgpr41
                                        ; implicit-def: $sgpr8_sgpr9
                                        ; kill: killed $sgpr8_sgpr9
	s_and_saveexec_b64 s[12:13], s[14:15]
	s_cbranch_execz .LBB56_187
; %bb.162:                              ;   in Loop: Header=BB56_6 Depth=1
	ds_read_b32 v4, v9 offset:4096
	s_waitcnt lgkmcnt(0)
	s_barrier
	v_readfirstlane_b32 s8, v4
	s_mov_b64 s[2:3], exec
	v_readlane_b32 s16, v49, 21
	v_readlane_b32 s17, v49, 22
	s_and_b64 s[16:17], s[2:3], s[16:17]
	s_mov_b64 exec, s[16:17]
; %bb.163:                              ;   in Loop: Header=BB56_6 Depth=1
	ds_write_b16 v26, v9
; %bb.164:                              ;   in Loop: Header=BB56_6 Depth=1
	s_or_b64 exec, exec, s[2:3]
	s_mov_b64 s[2:3], -1
	v_and_b32_e32 v3, s47, v3
	v_writelane_b32 v49, s2, 47
	v_lshl_or_b32 v3, 2, s38, v3
	v_or_b32_e32 v2, s46, v2
	v_writelane_b32 v49, s3, 48
	s_mov_b64 s[40:41], 0
	s_cmp_eq_u32 s8, 0
	s_mov_b64 s[16:17], 0
	s_mov_b64 s[2:3], -1
	s_waitcnt lgkmcnt(0)
	s_barrier
                                        ; implicit-def: $vgpr8
	s_cbranch_scc1 .LBB56_175
; %bb.165:                              ;   in Loop: Header=BB56_6 Depth=1
	v_readlane_b32 s2, v49, 23
	s_add_i32 s2, s8, s2
	v_readlane_b32 s3, v49, 42
	s_mul_hi_u32 s3, s2, s3
	s_mul_i32 s3, s3, s48
	s_sub_i32 s3, s2, s3
	s_sub_i32 s9, s3, s48
	s_cmp_ge_u32 s3, s48
	s_cselect_b32 s3, s9, s3
	s_sub_i32 s9, s3, s48
	s_cmp_ge_u32 s3, s48
	s_cselect_b32 s3, s9, s3
	s_sub_i32 s9, s2, s3
	v_cmp_gt_u32_e32 vcc, s9, v0
	s_mov_b64 s[2:3], 0
                                        ; implicit-def: $vgpr8
	s_and_saveexec_b64 s[24:25], vcc
	s_cbranch_execz .LBB56_174
; %bb.166:                              ;   in Loop: Header=BB56_6 Depth=1
	v_mov_b32_e32 v4, v25
	v_mov_b32_e32 v8, v0
                                        ; implicit-def: $sgpr28_sgpr29
	s_branch .LBB56_169
.LBB56_167:                             ;   in Loop: Header=BB56_169 Depth=2
	s_or_b64 exec, exec, s[42:43]
	s_waitcnt lgkmcnt(0)
	s_barrier
	ds_read_b32 v13, v9 offset:3072
	s_mov_b64 s[22:23], -1
	s_waitcnt lgkmcnt(0)
	s_barrier
	v_cmp_ne_u32_sdwa s[42:43], v13, v9 src0_sel:WORD_0 src1_sel:DWORD
	s_and_b64 vcc, exec, s[42:43]
	s_mov_b64 s[42:43], -1
	s_cbranch_vccz .LBB56_172
.LBB56_168:                             ;   in Loop: Header=BB56_169 Depth=2
	s_and_b64 s[22:23], exec, s[22:23]
	s_or_b64 s[16:17], s[22:23], s[16:17]
	s_andn2_b64 s[22:23], s[28:29], exec
	s_and_b64 s[28:29], s[42:43], exec
	s_or_b64 s[28:29], s[22:23], s[28:29]
	s_andn2_b64 exec, exec, s[16:17]
	s_cbranch_execz .LBB56_173
.LBB56_169:                             ;   Parent Loop BB56_6 Depth=1
                                        ; =>  This Inner Loop Header: Depth=2
	v_cmp_gt_u32_e32 vcc, s8, v8
	s_and_saveexec_b64 s[42:43], vcc
	s_cbranch_execz .LBB56_167
; %bb.170:                              ;   in Loop: Header=BB56_169 Depth=2
	ds_read_u16 v13, v4
	s_waitcnt lgkmcnt(0)
	v_add_u32_sdwa v14, sext(v13), s11 dst_sel:DWORD dst_unused:UNUSED_PAD src0_sel:WORD_0 src1_sel:DWORD
	v_and_b32_e32 v14, v14, v2
	v_cmp_eq_u32_e32 vcc, v14, v3
	s_and_b64 exec, exec, vcc
	s_cbranch_execz .LBB56_167
; %bb.171:                              ;   in Loop: Header=BB56_169 Depth=2
	v_perm_b32 v13, v13, 1, v41
	ds_write_b32 v9, v13 offset:3072
	s_branch .LBB56_167
.LBB56_172:                             ;   in Loop: Header=BB56_169 Depth=2
	v_add_u32_e32 v8, s48, v8
	v_cmp_le_u32_e32 vcc, s9, v8
	v_add_u32_e32 v4, s10, v4
	s_mov_b64 s[42:43], 0
	s_orn2_b64 s[22:23], vcc, exec
	s_branch .LBB56_168
.LBB56_173:                             ;   in Loop: Header=BB56_6 Depth=1
	s_or_b64 exec, exec, s[16:17]
	v_lshrrev_b32_e32 v8, 16, v13
	s_and_b64 s[16:17], s[28:29], exec
.LBB56_174:                             ;   in Loop: Header=BB56_6 Depth=1
	s_or_b64 exec, exec, s[24:25]
.LBB56_175:                             ;   in Loop: Header=BB56_6 Depth=1
	s_and_b64 vcc, exec, s[2:3]
	s_cbranch_vccz .LBB56_186
; %bb.176:                              ;   in Loop: Header=BB56_6 Depth=1
                                        ; implicit-def: $vgpr8
	s_mov_b64 s[2:3], exec
	v_readlane_b32 s8, v49, 43
	v_readlane_b32 s9, v49, 44
	s_and_b64 s[8:9], s[2:3], s[8:9]
	s_mov_b64 exec, s[8:9]
	s_cbranch_execz .LBB56_185
; %bb.177:                              ;   in Loop: Header=BB56_6 Depth=1
	s_mov_b64 s[24:25], 0
	v_mov_b32_e32 v8, v7
	v_mov_b32_e32 v4, v0
                                        ; implicit-def: $sgpr28_sgpr29
	s_branch .LBB56_180
.LBB56_178:                             ;   in Loop: Header=BB56_180 Depth=2
	s_or_b64 exec, exec, s[40:41]
	s_waitcnt lgkmcnt(0)
	s_barrier
	ds_read_b32 v13, v9 offset:3072
	s_mov_b64 s[22:23], -1
	s_mov_b64 s[40:41], -1
	s_waitcnt lgkmcnt(0)
	s_barrier
	v_cmp_eq_u32_sdwa s[8:9], v13, v9 src0_sel:WORD_0 src1_sel:DWORD
	s_and_b64 vcc, exec, s[8:9]
	s_cbranch_vccnz .LBB56_183
.LBB56_179:                             ;   in Loop: Header=BB56_180 Depth=2
	s_and_b64 s[8:9], exec, s[22:23]
	s_or_b64 s[24:25], s[8:9], s[24:25]
	s_andn2_b64 s[8:9], s[28:29], exec
	s_and_b64 s[22:23], s[40:41], exec
	s_or_b64 s[28:29], s[8:9], s[22:23]
	s_andn2_b64 exec, exec, s[24:25]
	s_cbranch_execz .LBB56_184
.LBB56_180:                             ;   Parent Loop BB56_6 Depth=1
                                        ; =>  This Inner Loop Header: Depth=2
	v_cmp_gt_u32_e32 vcc, s36, v4
	s_and_saveexec_b64 s[40:41], vcc
	s_cbranch_execz .LBB56_178
; %bb.181:                              ;   in Loop: Header=BB56_180 Depth=2
	v_lshlrev_b64 v[13:14], 1, v[8:9]
	v_mov_b32_e32 v15, s44
	v_add_co_u32_e32 v13, vcc, s33, v13
	v_addc_co_u32_e32 v14, vcc, v15, v14, vcc
	global_load_ushort v13, v[13:14], off
	s_waitcnt vmcnt(0)
	v_add_u32_sdwa v14, sext(v13), s11 dst_sel:DWORD dst_unused:UNUSED_PAD src0_sel:WORD_0 src1_sel:DWORD
	v_and_b32_e32 v14, v14, v2
	v_cmp_eq_u32_e32 vcc, v14, v3
	s_and_b64 exec, exec, vcc
	s_cbranch_execz .LBB56_178
; %bb.182:                              ;   in Loop: Header=BB56_180 Depth=2
	v_perm_b32 v13, v13, 1, v41
	ds_write_b32 v9, v13 offset:3072
	s_branch .LBB56_178
.LBB56_183:                             ;   in Loop: Header=BB56_180 Depth=2
	v_add_u32_e32 v4, s48, v4
	v_cmp_le_u32_e32 vcc, s20, v4
	v_add_u32_e32 v8, s49, v8
	s_mov_b64 s[40:41], 0
	s_orn2_b64 s[22:23], vcc, exec
	s_branch .LBB56_179
.LBB56_184:                             ;   in Loop: Header=BB56_6 Depth=1
	s_or_b64 exec, exec, s[24:25]
	s_andn2_b64 s[8:9], s[16:17], exec
	s_and_b64 s[16:17], s[28:29], exec
	v_lshrrev_b32_e32 v8, 16, v13
	s_or_b64 s[16:17], s[8:9], s[16:17]
.LBB56_185:                             ;   in Loop: Header=BB56_6 Depth=1
	s_or_b64 exec, exec, s[2:3]
	s_mov_b64 s[2:3], 0
	v_writelane_b32 v49, s2, 47
	s_mov_b64 s[40:41], -1
	v_writelane_b32 v49, s3, 48
.LBB56_186:                             ;   in Loop: Header=BB56_6 Depth=1
	s_orn2_b64 s[2:3], s[16:17], exec
.LBB56_187:                             ;   in Loop: Header=BB56_6 Depth=1
	s_or_b64 exec, exec, s[12:13]
	s_mov_b64 s[12:13], 0
	s_and_saveexec_b64 s[42:43], s[2:3]
	v_readlane_b32 s22, v49, 49
	v_readlane_b32 s23, v49, 50
	s_cbranch_execz .LBB56_237
; %bb.188:                              ;   in Loop: Header=BB56_6 Depth=1
	s_xor_b64 s[8:9], s[14:15], -1
	v_mov_b32_e32 v4, 1
	v_mov_b32_e32 v1, 1
	s_and_saveexec_b64 s[2:3], s[8:9]
	s_cbranch_execz .LBB56_197
; %bb.189:                              ;   in Loop: Header=BB56_6 Depth=1
	v_cmp_ge_u32_e32 vcc, s95, v12
	s_and_saveexec_b64 s[8:9], vcc
	s_xor_b64 s[12:13], exec, s[8:9]
	s_cbranch_execz .LBB56_194
; %bb.190:                              ;   in Loop: Header=BB56_6 Depth=1
	v_and_b32_e32 v1, s47, v3
	v_lshl_or_b32 v3, 2, s38, v1
	ds_read_b32 v1, v9 offset:4096
	v_or_b32_e32 v2, s46, v2
	s_waitcnt lgkmcnt(0)
	v_cmp_ne_u32_e32 vcc, 0, v1
	s_cbranch_vccnz .LBB56_194
; %bb.191:                              ;   in Loop: Header=BB56_6 Depth=1
	s_mov_b64 s[8:9], exec
	v_readlane_b32 s14, v49, 6
	v_readlane_b32 s15, v49, 7
	s_and_b64 s[14:15], s[8:9], s[14:15]
	s_mov_b64 exec, s[14:15]
; %bb.192:                              ;   in Loop: Header=BB56_6 Depth=1
	v_mov_b32_e32 v1, s95
	ds_write_b32 v9, v1 offset:4100
; %bb.193:                              ;   in Loop: Header=BB56_6 Depth=1
	s_or_b64 exec, exec, s[8:9]
	s_waitcnt lgkmcnt(0)
	s_barrier
.LBB56_194:                             ;   in Loop: Header=BB56_6 Depth=1
	s_or_saveexec_b64 s[12:13], s[12:13]
	s_mov_b64 s[14:15], 0
	v_mov_b32_e32 v1, 8
	s_xor_b64 exec, exec, s[12:13]
; %bb.195:                              ;   in Loop: Header=BB56_6 Depth=1
	s_mov_b64 s[14:15], exec
	v_subrev_u32_e32 v12, s95, v12
	v_mov_b32_e32 v1, 0
; %bb.196:                              ;   in Loop: Header=BB56_6 Depth=1
	s_or_b64 exec, exec, s[12:13]
	v_readlane_b32 s22, v49, 49
	s_and_b64 s[12:13], s[14:15], exec
	v_mov_b32_e32 v4, v12
	v_readlane_b32 s23, v49, 50
.LBB56_197:                             ;   in Loop: Header=BB56_6 Depth=1
	s_or_b64 exec, exec, s[2:3]
	s_mov_b64 s[2:3], -1
                                        ; implicit-def: $sgpr24_sgpr25
                                        ; implicit-def: $sgpr16_sgpr17
	s_and_saveexec_b64 s[14:15], s[12:13]
	s_cbranch_execz .LBB56_236
; %bb.198:                              ;   in Loop: Header=BB56_6 Depth=1
	s_cmp_eq_u32 s92, 1
	s_cselect_b64 s[2:3], -1, 0
	v_cmp_eq_u32_e32 vcc, 1, v4
	s_mov_b64 s[52:53], -1
	s_and_b64 s[2:3], s[2:3], vcc
                                        ; implicit-def: $sgpr24_sgpr25
                                        ; implicit-def: $sgpr16_sgpr17
	s_mov_b64 s[28:29], exec
	v_writelane_b32 v49, s2, 51
	v_writelane_b32 v49, s3, 52
	s_and_b64 s[2:3], s[28:29], s[2:3]
	s_mov_b64 exec, s[2:3]
	s_cbranch_execz .LBB56_224
; %bb.199:                              ;   in Loop: Header=BB56_6 Depth=1
	ds_read_b32 v8, v9 offset:4096
	s_waitcnt lgkmcnt(0)
	s_barrier
	v_readfirstlane_b32 s93, v8
	s_mov_b64 s[2:3], exec
	v_readlane_b32 s8, v49, 21
	v_readlane_b32 s9, v49, 22
	s_and_b64 s[8:9], s[2:3], s[8:9]
	s_mov_b64 exec, s[8:9]
; %bb.200:                              ;   in Loop: Header=BB56_6 Depth=1
	ds_write_b16 v26, v9
; %bb.201:                              ;   in Loop: Header=BB56_6 Depth=1
	s_or_b64 exec, exec, s[2:3]
	v_or_b32_e32 v3, s46, v3
	v_or_b32_e32 v2, s46, v2
	s_mov_b64 s[16:17], -1
	s_mov_b64 s[24:25], 0
	s_cmp_eq_u32 s93, 0
	s_mov_b64 s[2:3], 0
	s_waitcnt lgkmcnt(0)
	s_barrier
                                        ; implicit-def: $vgpr8
	s_cbranch_scc1 .LBB56_212
; %bb.202:                              ;   in Loop: Header=BB56_6 Depth=1
	v_readlane_b32 s2, v49, 23
	s_add_i32 s2, s93, s2
	v_readlane_b32 s3, v49, 42
	s_mul_hi_u32 s3, s2, s3
	s_mul_i32 s3, s3, s48
	s_sub_i32 s3, s2, s3
	s_sub_i32 s8, s3, s48
	s_cmp_ge_u32 s3, s48
	s_cselect_b32 s3, s8, s3
	s_sub_i32 s8, s3, s48
	s_cmp_ge_u32 s3, s48
	s_cselect_b32 s3, s8, s3
	s_sub_i32 s12, s2, s3
	v_cmp_gt_u32_e32 vcc, s12, v0
	s_mov_b64 s[52:53], 0
	s_mov_b64 s[2:3], 0
                                        ; implicit-def: $vgpr8
	s_and_saveexec_b64 s[54:55], vcc
	s_cbranch_execz .LBB56_211
; %bb.203:                              ;   in Loop: Header=BB56_6 Depth=1
	v_mov_b32_e32 v8, v25
	v_mov_b32_e32 v12, v0
                                        ; implicit-def: $sgpr56_sgpr57
	s_branch .LBB56_206
.LBB56_204:                             ;   in Loop: Header=BB56_206 Depth=2
	s_or_b64 exec, exec, s[22:23]
	s_waitcnt lgkmcnt(0)
	s_barrier
	ds_read_b32 v13, v9 offset:3072
	s_mov_b64 s[22:23], -1
	s_waitcnt lgkmcnt(0)
	s_barrier
	v_cmp_ne_u32_sdwa s[8:9], v13, v9 src0_sel:WORD_0 src1_sel:DWORD
	s_and_b64 vcc, exec, s[8:9]
	s_mov_b64 s[8:9], -1
	s_cbranch_vccz .LBB56_209
.LBB56_205:                             ;   in Loop: Header=BB56_206 Depth=2
	s_and_b64 s[22:23], exec, s[22:23]
	s_or_b64 s[2:3], s[22:23], s[2:3]
	s_andn2_b64 s[22:23], s[56:57], exec
	s_and_b64 s[8:9], s[8:9], exec
	s_or_b64 s[56:57], s[22:23], s[8:9]
	s_andn2_b64 exec, exec, s[2:3]
	s_cbranch_execz .LBB56_210
.LBB56_206:                             ;   Parent Loop BB56_6 Depth=1
                                        ; =>  This Inner Loop Header: Depth=2
	v_cmp_gt_u32_e32 vcc, s93, v12
	s_and_saveexec_b64 s[22:23], vcc
	s_cbranch_execz .LBB56_204
; %bb.207:                              ;   in Loop: Header=BB56_206 Depth=2
	ds_read_u16 v13, v8
	s_waitcnt lgkmcnt(0)
	v_add_u32_sdwa v14, sext(v13), s11 dst_sel:DWORD dst_unused:UNUSED_PAD src0_sel:WORD_0 src1_sel:DWORD
	v_and_b32_e32 v14, v14, v2
	v_cmp_eq_u32_e32 vcc, v14, v3
	s_and_b64 exec, exec, vcc
	s_cbranch_execz .LBB56_204
; %bb.208:                              ;   in Loop: Header=BB56_206 Depth=2
	v_perm_b32 v13, v13, 1, v41
	ds_write_b32 v9, v13 offset:3072
	s_branch .LBB56_204
.LBB56_209:                             ;   in Loop: Header=BB56_206 Depth=2
	v_add_u32_e32 v12, s48, v12
	v_cmp_le_u32_e32 vcc, s12, v12
	v_add_u32_e32 v8, s10, v8
	s_mov_b64 s[8:9], 0
	s_orn2_b64 s[22:23], vcc, exec
	s_branch .LBB56_205
.LBB56_210:                             ;   in Loop: Header=BB56_6 Depth=1
	s_or_b64 exec, exec, s[2:3]
	v_lshrrev_b32_e32 v8, 16, v13
	s_and_b64 s[2:3], s[56:57], exec
.LBB56_211:                             ;   in Loop: Header=BB56_6 Depth=1
	s_or_b64 exec, exec, s[54:55]
.LBB56_212:                             ;   in Loop: Header=BB56_6 Depth=1
	s_and_b64 vcc, exec, s[52:53]
	s_cbranch_vccz .LBB56_223
; %bb.213:                              ;   in Loop: Header=BB56_6 Depth=1
                                        ; implicit-def: $vgpr8
	s_mov_b64 s[16:17], exec
	v_readlane_b32 s8, v49, 43
	v_readlane_b32 s9, v49, 44
	s_and_b64 s[8:9], s[16:17], s[8:9]
	s_mov_b64 exec, s[8:9]
	s_cbranch_execz .LBB56_222
; %bb.214:                              ;   in Loop: Header=BB56_6 Depth=1
	s_mov_b64 s[24:25], 0
	v_mov_b32_e32 v8, v7
	v_mov_b32_e32 v12, v0
                                        ; implicit-def: $sgpr52_sgpr53
	s_branch .LBB56_217
.LBB56_215:                             ;   in Loop: Header=BB56_217 Depth=2
	s_or_b64 exec, exec, s[54:55]
	s_waitcnt lgkmcnt(0)
	s_barrier
	ds_read_b32 v13, v9 offset:3072
	s_mov_b64 s[22:23], -1
	s_waitcnt lgkmcnt(0)
	s_barrier
	v_cmp_eq_u32_sdwa s[8:9], v13, v9 src0_sel:WORD_0 src1_sel:DWORD
	s_and_b64 vcc, exec, s[8:9]
	s_mov_b64 s[8:9], -1
	s_cbranch_vccnz .LBB56_220
.LBB56_216:                             ;   in Loop: Header=BB56_217 Depth=2
	s_and_b64 s[12:13], exec, s[22:23]
	s_or_b64 s[24:25], s[12:13], s[24:25]
	s_andn2_b64 s[12:13], s[52:53], exec
	s_and_b64 s[8:9], s[8:9], exec
	s_or_b64 s[52:53], s[12:13], s[8:9]
	s_andn2_b64 exec, exec, s[24:25]
	s_cbranch_execz .LBB56_221
.LBB56_217:                             ;   Parent Loop BB56_6 Depth=1
                                        ; =>  This Inner Loop Header: Depth=2
	v_cmp_gt_u32_e32 vcc, s36, v12
	s_and_saveexec_b64 s[54:55], vcc
	s_cbranch_execz .LBB56_215
; %bb.218:                              ;   in Loop: Header=BB56_217 Depth=2
	v_lshlrev_b64 v[13:14], 1, v[8:9]
	v_mov_b32_e32 v15, s44
	v_add_co_u32_e32 v13, vcc, s33, v13
	v_addc_co_u32_e32 v14, vcc, v15, v14, vcc
	global_load_ushort v13, v[13:14], off
	s_waitcnt vmcnt(0)
	v_add_u32_sdwa v14, sext(v13), s11 dst_sel:DWORD dst_unused:UNUSED_PAD src0_sel:WORD_0 src1_sel:DWORD
	v_and_b32_e32 v14, v14, v2
	v_cmp_eq_u32_e32 vcc, v14, v3
	s_and_b64 exec, exec, vcc
	s_cbranch_execz .LBB56_215
; %bb.219:                              ;   in Loop: Header=BB56_217 Depth=2
	v_perm_b32 v13, v13, 1, v41
	ds_write_b32 v9, v13 offset:3072
	s_branch .LBB56_215
.LBB56_220:                             ;   in Loop: Header=BB56_217 Depth=2
	v_add_u32_e32 v12, s48, v12
	v_cmp_le_u32_e32 vcc, s20, v12
	v_add_u32_e32 v8, s49, v8
	s_mov_b64 s[8:9], 0
	s_orn2_b64 s[22:23], vcc, exec
	s_branch .LBB56_216
.LBB56_221:                             ;   in Loop: Header=BB56_6 Depth=1
	s_or_b64 exec, exec, s[24:25]
	s_andn2_b64 s[2:3], s[2:3], exec
	s_and_b64 s[8:9], s[52:53], exec
	v_lshrrev_b32_e32 v8, 16, v13
	s_or_b64 s[2:3], s[2:3], s[8:9]
.LBB56_222:                             ;   in Loop: Header=BB56_6 Depth=1
	s_or_b64 exec, exec, s[16:17]
	s_mov_b64 s[16:17], 0
	s_mov_b64 s[24:25], -1
.LBB56_223:                             ;   in Loop: Header=BB56_6 Depth=1
	s_orn2_b64 s[52:53], s[2:3], exec
.LBB56_224:                             ;   in Loop: Header=BB56_6 Depth=1
	s_or_b64 exec, exec, s[28:29]
	s_mov_b64 s[28:29], 0
	s_and_saveexec_b64 s[2:3], s[52:53]
	v_readlane_b32 s22, v49, 49
	v_readlane_b32 s23, v49, 50
	s_cbranch_execz .LBB56_235
; %bb.225:                              ;   in Loop: Header=BB56_6 Depth=1
	v_readlane_b32 s8, v49, 51
	v_readlane_b32 s9, v49, 52
	s_xor_b64 s[8:9], s[8:9], -1
	v_mov_b32_e32 v1, 1
	v_mov_b32_e32 v12, 1
	s_and_saveexec_b64 s[12:13], s[8:9]
	s_cbranch_execz .LBB56_234
; %bb.226:                              ;   in Loop: Header=BB56_6 Depth=1
	v_cmp_ge_u32_e32 vcc, s92, v4
	s_and_saveexec_b64 s[8:9], vcc
	s_xor_b64 s[28:29], exec, s[8:9]
	s_cbranch_execz .LBB56_231
; %bb.227:                              ;   in Loop: Header=BB56_6 Depth=1
	ds_read_b32 v1, v9 offset:4096
	v_or_b32_e32 v3, s46, v3
	v_or_b32_e32 v2, s46, v2
	s_waitcnt lgkmcnt(0)
	v_cmp_ne_u32_e32 vcc, 0, v1
	s_cbranch_vccnz .LBB56_231
; %bb.228:                              ;   in Loop: Header=BB56_6 Depth=1
	s_mov_b64 s[8:9], exec
	v_readlane_b32 s22, v49, 6
	v_readlane_b32 s23, v49, 7
	s_and_b64 s[22:23], s[8:9], s[22:23]
	s_mov_b64 exec, s[22:23]
; %bb.229:                              ;   in Loop: Header=BB56_6 Depth=1
	v_mov_b32_e32 v1, s92
	ds_write_b32 v9, v1 offset:4100
; %bb.230:                              ;   in Loop: Header=BB56_6 Depth=1
	s_or_b64 exec, exec, s[8:9]
	s_waitcnt lgkmcnt(0)
	s_barrier
.LBB56_231:                             ;   in Loop: Header=BB56_6 Depth=1
	s_andn2_saveexec_b64 s[22:23], s[28:29]
; %bb.232:                              ;   in Loop: Header=BB56_6 Depth=1
	v_subrev_u32_e32 v4, s92, v4
; %bb.233:                              ;   in Loop: Header=BB56_6 Depth=1
	s_or_b64 exec, exec, s[22:23]
	v_readlane_b32 s22, v49, 49
	v_mov_b32_e32 v1, 8
	v_mov_b32_e32 v12, v4
	v_readlane_b32 s23, v49, 50
.LBB56_234:                             ;   in Loop: Header=BB56_6 Depth=1
	s_or_b64 exec, exec, s[12:13]
	s_mov_b64 s[28:29], exec
	v_mov_b32_e32 v4, v12
.LBB56_235:                             ;   in Loop: Header=BB56_6 Depth=1
	s_or_b64 exec, exec, s[2:3]
	s_orn2_b64 s[2:3], s[28:29], exec
.LBB56_236:                             ;   in Loop: Header=BB56_6 Depth=1
	s_or_b64 exec, exec, s[14:15]
	s_andn2_b64 s[8:9], s[40:41], exec
	s_and_b64 s[12:13], s[24:25], exec
	s_or_b64 s[40:41], s[8:9], s[12:13]
	v_readlane_b32 s8, v49, 47
	v_readlane_b32 s9, v49, 48
	s_andn2_b64 s[8:9], s[8:9], exec
	s_and_b64 s[12:13], s[16:17], exec
	s_or_b64 s[8:9], s[8:9], s[12:13]
	v_writelane_b32 v49, s8, 47
	s_and_b64 s[12:13], s[2:3], exec
	v_mov_b32_e32 v12, v4
	v_writelane_b32 v49, s9, 48
.LBB56_237:                             ;   in Loop: Header=BB56_6 Depth=1
	s_or_b64 exec, exec, s[42:43]
	s_orn2_b64 s[2:3], s[12:13], exec
.LBB56_238:                             ;   in Loop: Header=BB56_6 Depth=1
	s_or_b64 exec, exec, s[22:23]
	s_andn2_b64 s[8:9], s[80:81], exec
	s_and_b64 s[12:13], s[40:41], exec
	s_or_b64 s[80:81], s[8:9], s[12:13]
	v_readlane_b32 s12, v49, 47
	v_readlane_b32 s13, v49, 48
	s_andn2_b64 s[8:9], s[34:35], exec
	s_and_b64 s[12:13], s[12:13], exec
	s_or_b64 s[34:35], s[8:9], s[12:13]
	s_and_b64 s[12:13], s[2:3], exec
	v_mov_b32_e32 v4, v12
.LBB56_239:                             ;   in Loop: Header=BB56_6 Depth=1
	s_or_b64 exec, exec, s[90:91]
	s_orn2_b64 s[2:3], s[12:13], exec
.LBB56_240:                             ;   in Loop: Header=BB56_6 Depth=1
	s_or_b64 exec, exec, s[6:7]
	s_mov_b64 s[6:7], 0
	s_mov_b64 s[12:13], 0
	s_and_saveexec_b64 s[8:9], s[2:3]
	s_xor_b64 s[2:3], exec, s[8:9]
; %bb.241:                              ;   in Loop: Header=BB56_6 Depth=1
	v_cmp_eq_u32_e32 vcc, 8, v1
	v_cmp_ne_u32_e64 s[6:7], 8, v1
	s_and_b64 s[12:13], s[6:7], exec
	s_and_b64 s[6:7], vcc, exec
; %bb.242:                              ;   in Loop: Header=BB56_6 Depth=1
	s_or_b64 exec, exec, s[2:3]
	s_andn2_b64 s[2:3], s[84:85], exec
	s_and_b64 s[8:9], s[80:81], exec
	s_or_b64 s[84:85], s[2:3], s[8:9]
	s_andn2_b64 s[2:3], s[82:83], exec
	s_and_b64 s[8:9], s[34:35], exec
	s_or_b64 s[82:83], s[2:3], s[8:9]
	s_and_b64 s[34:35], s[12:13], exec
	s_and_b64 s[80:81], s[6:7], exec
.LBB56_243:                             ;   in Loop: Header=BB56_6 Depth=1
	s_or_b64 exec, exec, s[88:89]
.LBB56_244:                             ;   in Loop: Header=BB56_6 Depth=1
	s_and_b64 vcc, exec, s[86:87]
	s_cbranch_vccz .LBB56_257
; %bb.245:                              ;   in Loop: Header=BB56_6 Depth=1
	s_cmp_eq_u32 s92, 1
	s_cselect_b64 s[2:3], -1, 0
	s_and_b64 s[6:7], s[2:3], s[26:27]
	s_mov_b64 s[2:3], -1
                                        ; implicit-def: $sgpr26_sgpr27
                                        ; implicit-def: $sgpr30_sgpr31
	s_and_saveexec_b64 s[12:13], s[6:7]
	s_cbranch_execz .LBB56_272
; %bb.246:                              ;   in Loop: Header=BB56_6 Depth=1
	ds_read_b32 v1, v9 offset:4096
	s_waitcnt lgkmcnt(0)
	s_barrier
	v_readfirstlane_b32 s40, v1
	s_mov_b64 s[2:3], exec
	v_readlane_b32 s8, v49, 21
	v_readlane_b32 s9, v49, 22
	s_and_b64 s[8:9], s[2:3], s[8:9]
	s_mov_b64 exec, s[8:9]
; %bb.247:                              ;   in Loop: Header=BB56_6 Depth=1
	ds_write_b16 v26, v9
; %bb.248:                              ;   in Loop: Header=BB56_6 Depth=1
	s_or_b64 exec, exec, s[2:3]
	v_or_b32_e32 v37, s46, v37
	v_or_b32_e32 v42, s46, v42
	s_mov_b64 s[30:31], -1
	s_mov_b64 s[26:27], 0
	s_cmp_eq_u32 s40, 0
	s_mov_b64 s[14:15], 0
	s_mov_b64 s[2:3], -1
	s_waitcnt lgkmcnt(0)
	s_barrier
                                        ; implicit-def: $vgpr43
	s_cbranch_scc1 .LBB56_260
; %bb.249:                              ;   in Loop: Header=BB56_6 Depth=1
	v_readlane_b32 s2, v49, 23
	s_add_i32 s2, s40, s2
	v_readlane_b32 s3, v49, 42
	s_mul_hi_u32 s3, s2, s3
	s_mul_i32 s3, s3, s48
	s_sub_i32 s3, s2, s3
	s_sub_i32 s8, s3, s48
	s_cmp_ge_u32 s3, s48
	s_cselect_b32 s3, s8, s3
	s_sub_i32 s8, s3, s48
	s_cmp_ge_u32 s3, s48
	s_cselect_b32 s3, s8, s3
	s_sub_i32 s41, s2, s3
	v_cmp_gt_u32_e32 vcc, s41, v0
	s_mov_b64 s[2:3], 0
                                        ; implicit-def: $vgpr43
	s_and_saveexec_b64 s[16:17], vcc
	s_cbranch_execz .LBB56_259
; %bb.250:                              ;   in Loop: Header=BB56_6 Depth=1
	v_mov_b32_e32 v1, v25
	v_mov_b32_e32 v2, v0
                                        ; implicit-def: $sgpr24_sgpr25
	s_branch .LBB56_253
.LBB56_251:                             ;   in Loop: Header=BB56_253 Depth=2
	s_or_b64 exec, exec, s[28:29]
	s_waitcnt lgkmcnt(0)
	s_barrier
	ds_read_b32 v3, v9 offset:3072
	s_mov_b64 s[22:23], -1
	s_waitcnt lgkmcnt(0)
	s_barrier
	v_cmp_ne_u32_sdwa s[8:9], v3, v9 src0_sel:WORD_0 src1_sel:DWORD
	s_and_b64 vcc, exec, s[8:9]
	s_mov_b64 s[8:9], -1
	s_cbranch_vccz .LBB56_256
.LBB56_252:                             ;   in Loop: Header=BB56_253 Depth=2
	s_and_b64 s[22:23], exec, s[22:23]
	s_or_b64 s[14:15], s[22:23], s[14:15]
	s_andn2_b64 s[22:23], s[24:25], exec
	s_and_b64 s[8:9], s[8:9], exec
	s_or_b64 s[24:25], s[22:23], s[8:9]
	s_andn2_b64 exec, exec, s[14:15]
	s_cbranch_execz .LBB56_258
.LBB56_253:                             ;   Parent Loop BB56_6 Depth=1
                                        ; =>  This Inner Loop Header: Depth=2
	v_cmp_gt_u32_e32 vcc, s40, v2
	s_and_saveexec_b64 s[28:29], vcc
	s_cbranch_execz .LBB56_251
; %bb.254:                              ;   in Loop: Header=BB56_253 Depth=2
	ds_read_u16 v3, v1
	s_waitcnt lgkmcnt(0)
	v_add_u32_sdwa v4, sext(v3), s11 dst_sel:DWORD dst_unused:UNUSED_PAD src0_sel:WORD_0 src1_sel:DWORD
	v_and_b32_e32 v4, v4, v42
	v_cmp_eq_u32_e32 vcc, v4, v37
	s_and_b64 exec, exec, vcc
	s_cbranch_execz .LBB56_251
; %bb.255:                              ;   in Loop: Header=BB56_253 Depth=2
	v_perm_b32 v3, v3, 1, v41
	ds_write_b32 v9, v3 offset:3072
	s_branch .LBB56_251
.LBB56_256:                             ;   in Loop: Header=BB56_253 Depth=2
	v_add_u32_e32 v2, s48, v2
	v_cmp_le_u32_e32 vcc, s41, v2
	v_add_u32_e32 v1, s10, v1
	s_mov_b64 s[8:9], 0
	s_orn2_b64 s[22:23], vcc, exec
	s_branch .LBB56_252
.LBB56_257:                             ;   in Loop: Header=BB56_6 Depth=1
	s_mov_b64 s[26:27], 0
	v_mov_b32_e32 v37, v3
	v_mov_b32_e32 v42, v2
	v_mov_b32_e32 v43, v8
	s_and_saveexec_b64 s[2:3], s[80:81]
	s_cbranch_execnz .LBB56_403
	s_branch .LBB56_404
.LBB56_258:                             ;   in Loop: Header=BB56_6 Depth=1
	s_or_b64 exec, exec, s[14:15]
	v_lshrrev_b32_e32 v43, 16, v3
	s_and_b64 s[14:15], s[24:25], exec
.LBB56_259:                             ;   in Loop: Header=BB56_6 Depth=1
	s_or_b64 exec, exec, s[16:17]
.LBB56_260:                             ;   in Loop: Header=BB56_6 Depth=1
	s_and_b64 vcc, exec, s[2:3]
	s_cbranch_vccz .LBB56_271
; %bb.261:                              ;   in Loop: Header=BB56_6 Depth=1
                                        ; implicit-def: $vgpr43
	s_mov_b64 s[2:3], exec
	v_readlane_b32 s8, v49, 43
	v_readlane_b32 s9, v49, 44
	s_and_b64 s[8:9], s[2:3], s[8:9]
	s_mov_b64 exec, s[8:9]
	s_cbranch_execz .LBB56_270
; %bb.262:                              ;   in Loop: Header=BB56_6 Depth=1
	s_mov_b64 s[16:17], 0
	v_mov_b32_e32 v8, v7
	v_mov_b32_e32 v1, v0
                                        ; implicit-def: $sgpr24_sgpr25
	s_branch .LBB56_265
.LBB56_263:                             ;   in Loop: Header=BB56_265 Depth=2
	s_or_b64 exec, exec, s[26:27]
	s_waitcnt lgkmcnt(0)
	s_barrier
	ds_read_b32 v2, v9 offset:3072
	s_mov_b64 s[22:23], -1
	s_waitcnt lgkmcnt(0)
	s_barrier
	v_cmp_ne_u32_sdwa s[8:9], v2, v9 src0_sel:WORD_0 src1_sel:DWORD
	s_and_b64 vcc, exec, s[8:9]
	s_mov_b64 s[8:9], -1
	s_cbranch_vccz .LBB56_268
.LBB56_264:                             ;   in Loop: Header=BB56_265 Depth=2
	s_and_b64 s[22:23], exec, s[22:23]
	s_or_b64 s[16:17], s[22:23], s[16:17]
	s_andn2_b64 s[22:23], s[24:25], exec
	s_and_b64 s[8:9], s[8:9], exec
	s_or_b64 s[24:25], s[22:23], s[8:9]
	s_andn2_b64 exec, exec, s[16:17]
	s_cbranch_execz .LBB56_269
.LBB56_265:                             ;   Parent Loop BB56_6 Depth=1
                                        ; =>  This Inner Loop Header: Depth=2
	v_cmp_gt_u32_e32 vcc, s36, v1
	s_and_saveexec_b64 s[26:27], vcc
	s_cbranch_execz .LBB56_263
; %bb.266:                              ;   in Loop: Header=BB56_265 Depth=2
	v_lshlrev_b64 v[2:3], 1, v[8:9]
	v_mov_b32_e32 v4, s44
	v_add_co_u32_e32 v2, vcc, s33, v2
	v_addc_co_u32_e32 v3, vcc, v4, v3, vcc
	global_load_ushort v2, v[2:3], off
	s_waitcnt vmcnt(0)
	v_add_u32_sdwa v3, sext(v2), s11 dst_sel:DWORD dst_unused:UNUSED_PAD src0_sel:WORD_0 src1_sel:DWORD
	v_and_b32_e32 v3, v3, v42
	v_cmp_eq_u32_e32 vcc, v3, v37
	s_and_b64 exec, exec, vcc
	s_cbranch_execz .LBB56_263
; %bb.267:                              ;   in Loop: Header=BB56_265 Depth=2
	v_perm_b32 v2, v2, 1, v41
	ds_write_b32 v9, v2 offset:3072
	s_branch .LBB56_263
.LBB56_268:                             ;   in Loop: Header=BB56_265 Depth=2
	v_add_u32_e32 v1, s48, v1
	v_cmp_le_u32_e32 vcc, s20, v1
	v_add_u32_e32 v8, s49, v8
	s_mov_b64 s[8:9], 0
	s_orn2_b64 s[22:23], vcc, exec
	s_branch .LBB56_264
.LBB56_269:                             ;   in Loop: Header=BB56_6 Depth=1
	s_or_b64 exec, exec, s[16:17]
	s_andn2_b64 s[8:9], s[14:15], exec
	s_and_b64 s[14:15], s[24:25], exec
	v_lshrrev_b32_e32 v43, 16, v2
	s_or_b64 s[14:15], s[8:9], s[14:15]
.LBB56_270:                             ;   in Loop: Header=BB56_6 Depth=1
	s_or_b64 exec, exec, s[2:3]
	s_mov_b64 s[30:31], 0
	s_mov_b64 s[26:27], -1
.LBB56_271:                             ;   in Loop: Header=BB56_6 Depth=1
	s_orn2_b64 s[2:3], s[14:15], exec
.LBB56_272:                             ;   in Loop: Header=BB56_6 Depth=1
	s_or_b64 exec, exec, s[12:13]
                                        ; implicit-def: $vgpr4
                                        ; implicit-def: $vgpr1
	s_and_saveexec_b64 s[82:83], s[2:3]
	s_cbranch_execz .LBB56_402
; %bb.273:                              ;   in Loop: Header=BB56_6 Depth=1
	s_xor_b64 s[8:9], s[6:7], -1
	s_mov_b64 s[6:7], 0
	v_mov_b32_e32 v4, 1
	v_mov_b32_e32 v1, 1
	s_and_saveexec_b64 s[2:3], s[8:9]
	s_cbranch_execz .LBB56_282
; %bb.274:                              ;   in Loop: Header=BB56_6 Depth=1
	v_cmp_ge_u32_e32 vcc, s92, v44
	s_and_saveexec_b64 s[6:7], vcc
	s_xor_b64 s[6:7], exec, s[6:7]
	s_cbranch_execz .LBB56_279
; %bb.275:                              ;   in Loop: Header=BB56_6 Depth=1
	ds_read_b32 v1, v9 offset:4096
	v_or_b32_e32 v37, s46, v37
	v_or_b32_e32 v42, s46, v42
	s_waitcnt lgkmcnt(0)
	v_cmp_ne_u32_e32 vcc, 0, v1
	s_cbranch_vccnz .LBB56_279
; %bb.276:                              ;   in Loop: Header=BB56_6 Depth=1
	s_mov_b64 s[8:9], exec
	v_readlane_b32 s12, v49, 6
	v_readlane_b32 s13, v49, 7
	s_and_b64 s[12:13], s[8:9], s[12:13]
	s_mov_b64 exec, s[12:13]
; %bb.277:                              ;   in Loop: Header=BB56_6 Depth=1
	v_mov_b32_e32 v1, s92
	ds_write_b32 v9, v1 offset:4100
; %bb.278:                              ;   in Loop: Header=BB56_6 Depth=1
	s_or_b64 exec, exec, s[8:9]
	s_waitcnt lgkmcnt(0)
	s_barrier
.LBB56_279:                             ;   in Loop: Header=BB56_6 Depth=1
	s_or_saveexec_b64 s[6:7], s[6:7]
	s_mov_b64 s[12:13], 0
	v_mov_b32_e32 v1, 5
	s_xor_b64 exec, exec, s[6:7]
; %bb.280:                              ;   in Loop: Header=BB56_6 Depth=1
	v_subrev_u32_e32 v44, s92, v44
	v_mov_b32_e32 v1, 0
	s_mov_b64 s[12:13], exec
; %bb.281:                              ;   in Loop: Header=BB56_6 Depth=1
	s_or_b64 exec, exec, s[6:7]
	s_and_b64 s[6:7], s[12:13], exec
	v_mov_b32_e32 v4, v44
.LBB56_282:                             ;   in Loop: Header=BB56_6 Depth=1
	s_or_b64 exec, exec, s[2:3]
	s_mov_b64 s[2:3], -1
                                        ; implicit-def: $sgpr84_sgpr85
                                        ; implicit-def: $sgpr86_sgpr87
	s_and_saveexec_b64 s[8:9], s[6:7]
	s_xor_b64 s[6:7], exec, s[8:9]
	s_cbranch_execz .LBB56_399
; %bb.283:                              ;   in Loop: Header=BB56_6 Depth=1
	s_cmp_eq_u32 s95, 1
	s_cselect_b64 s[2:3], -1, 0
	v_cmp_eq_u32_e32 vcc, 1, v4
	s_and_b64 s[14:15], s[2:3], vcc
	s_mov_b64 s[2:3], -1
                                        ; implicit-def: $sgpr86_sgpr87
                                        ; implicit-def: $sgpr84_sgpr85
	s_and_saveexec_b64 s[12:13], s[14:15]
	s_cbranch_execz .LBB56_309
; %bb.284:                              ;   in Loop: Header=BB56_6 Depth=1
	ds_read_b32 v2, v9 offset:4096
	s_waitcnt lgkmcnt(0)
	s_barrier
	v_readfirstlane_b32 s42, v2
	s_mov_b64 s[2:3], exec
	v_readlane_b32 s8, v49, 21
	v_readlane_b32 s9, v49, 22
	s_and_b64 s[8:9], s[2:3], s[8:9]
	s_mov_b64 exec, s[8:9]
; %bb.285:                              ;   in Loop: Header=BB56_6 Depth=1
	ds_write_b16 v26, v9
; %bb.286:                              ;   in Loop: Header=BB56_6 Depth=1
	s_or_b64 exec, exec, s[2:3]
	v_and_b32_e32 v2, s47, v37
	v_lshl_or_b32 v37, 2, s38, v2
	v_or_b32_e32 v42, s46, v42
	s_mov_b64 s[84:85], -1
	s_mov_b64 s[86:87], 0
	s_cmp_eq_u32 s42, 0
	s_mov_b64 s[16:17], 0
	s_mov_b64 s[2:3], -1
	s_waitcnt lgkmcnt(0)
	s_barrier
                                        ; implicit-def: $vgpr43
	s_cbranch_scc1 .LBB56_297
; %bb.287:                              ;   in Loop: Header=BB56_6 Depth=1
	v_readlane_b32 s2, v49, 23
	s_add_i32 s2, s42, s2
	v_readlane_b32 s3, v49, 42
	s_mul_hi_u32 s3, s2, s3
	s_mul_i32 s3, s3, s48
	s_sub_i32 s3, s2, s3
	s_sub_i32 s8, s3, s48
	s_cmp_ge_u32 s3, s48
	s_cselect_b32 s3, s8, s3
	s_sub_i32 s8, s3, s48
	s_cmp_ge_u32 s3, s48
	s_cselect_b32 s3, s8, s3
	s_sub_i32 s43, s2, s3
	v_cmp_gt_u32_e32 vcc, s43, v0
	s_mov_b64 s[2:3], 0
                                        ; implicit-def: $vgpr43
	s_and_saveexec_b64 s[24:25], vcc
	s_cbranch_execz .LBB56_296
; %bb.288:                              ;   in Loop: Header=BB56_6 Depth=1
	v_mov_b32_e32 v2, v25
	v_mov_b32_e32 v3, v0
                                        ; implicit-def: $sgpr28_sgpr29
	s_branch .LBB56_291
.LBB56_289:                             ;   in Loop: Header=BB56_291 Depth=2
	s_or_b64 exec, exec, s[40:41]
	s_waitcnt lgkmcnt(0)
	s_barrier
	ds_read_b32 v8, v9 offset:3072
	s_mov_b64 s[22:23], -1
	s_waitcnt lgkmcnt(0)
	s_barrier
	v_cmp_ne_u32_sdwa s[8:9], v8, v9 src0_sel:WORD_0 src1_sel:DWORD
	s_and_b64 vcc, exec, s[8:9]
	s_mov_b64 s[8:9], -1
	s_cbranch_vccz .LBB56_294
.LBB56_290:                             ;   in Loop: Header=BB56_291 Depth=2
	s_and_b64 s[22:23], exec, s[22:23]
	s_or_b64 s[16:17], s[22:23], s[16:17]
	s_andn2_b64 s[22:23], s[28:29], exec
	s_and_b64 s[8:9], s[8:9], exec
	s_or_b64 s[28:29], s[22:23], s[8:9]
	s_andn2_b64 exec, exec, s[16:17]
	s_cbranch_execz .LBB56_295
.LBB56_291:                             ;   Parent Loop BB56_6 Depth=1
                                        ; =>  This Inner Loop Header: Depth=2
	v_cmp_gt_u32_e32 vcc, s42, v3
	s_and_saveexec_b64 s[40:41], vcc
	s_cbranch_execz .LBB56_289
; %bb.292:                              ;   in Loop: Header=BB56_291 Depth=2
	ds_read_u16 v8, v2
	s_waitcnt lgkmcnt(0)
	v_add_u32_sdwa v12, sext(v8), s11 dst_sel:DWORD dst_unused:UNUSED_PAD src0_sel:WORD_0 src1_sel:DWORD
	v_and_b32_e32 v12, v12, v42
	v_cmp_eq_u32_e32 vcc, v12, v37
	s_and_b64 exec, exec, vcc
	s_cbranch_execz .LBB56_289
; %bb.293:                              ;   in Loop: Header=BB56_291 Depth=2
	v_perm_b32 v8, v8, 1, v41
	ds_write_b32 v9, v8 offset:3072
	s_branch .LBB56_289
.LBB56_294:                             ;   in Loop: Header=BB56_291 Depth=2
	v_add_u32_e32 v3, s48, v3
	v_cmp_le_u32_e32 vcc, s43, v3
	v_add_u32_e32 v2, s10, v2
	s_mov_b64 s[8:9], 0
	s_orn2_b64 s[22:23], vcc, exec
	s_branch .LBB56_290
.LBB56_295:                             ;   in Loop: Header=BB56_6 Depth=1
	s_or_b64 exec, exec, s[16:17]
	v_lshrrev_b32_e32 v43, 16, v8
	s_and_b64 s[16:17], s[28:29], exec
.LBB56_296:                             ;   in Loop: Header=BB56_6 Depth=1
	s_or_b64 exec, exec, s[24:25]
.LBB56_297:                             ;   in Loop: Header=BB56_6 Depth=1
	s_and_b64 vcc, exec, s[2:3]
	s_cbranch_vccz .LBB56_308
; %bb.298:                              ;   in Loop: Header=BB56_6 Depth=1
                                        ; implicit-def: $vgpr43
	s_mov_b64 s[2:3], exec
	v_readlane_b32 s8, v49, 43
	v_readlane_b32 s9, v49, 44
	s_and_b64 s[8:9], s[2:3], s[8:9]
	s_mov_b64 exec, s[8:9]
	s_cbranch_execz .LBB56_307
; %bb.299:                              ;   in Loop: Header=BB56_6 Depth=1
	s_mov_b64 s[24:25], 0
	v_mov_b32_e32 v8, v7
	v_mov_b32_e32 v2, v0
                                        ; implicit-def: $sgpr28_sgpr29
	s_branch .LBB56_302
.LBB56_300:                             ;   in Loop: Header=BB56_302 Depth=2
	s_or_b64 exec, exec, s[40:41]
	s_waitcnt lgkmcnt(0)
	s_barrier
	ds_read_b32 v3, v9 offset:3072
	s_mov_b64 s[22:23], -1
	s_waitcnt lgkmcnt(0)
	s_barrier
	v_cmp_eq_u32_sdwa s[8:9], v3, v9 src0_sel:WORD_0 src1_sel:DWORD
	s_and_b64 vcc, exec, s[8:9]
	s_mov_b64 s[8:9], -1
	s_cbranch_vccnz .LBB56_305
.LBB56_301:                             ;   in Loop: Header=BB56_302 Depth=2
	s_and_b64 s[22:23], exec, s[22:23]
	s_or_b64 s[24:25], s[22:23], s[24:25]
	s_andn2_b64 s[22:23], s[28:29], exec
	s_and_b64 s[8:9], s[8:9], exec
	s_or_b64 s[28:29], s[22:23], s[8:9]
	s_andn2_b64 exec, exec, s[24:25]
	s_cbranch_execz .LBB56_306
.LBB56_302:                             ;   Parent Loop BB56_6 Depth=1
                                        ; =>  This Inner Loop Header: Depth=2
	v_cmp_gt_u32_e32 vcc, s36, v2
	s_and_saveexec_b64 s[40:41], vcc
	s_cbranch_execz .LBB56_300
; %bb.303:                              ;   in Loop: Header=BB56_302 Depth=2
	v_lshlrev_b64 v[12:13], 1, v[8:9]
	v_mov_b32_e32 v3, s44
	v_add_co_u32_e32 v12, vcc, s33, v12
	v_addc_co_u32_e32 v13, vcc, v3, v13, vcc
	global_load_ushort v3, v[12:13], off
	s_waitcnt vmcnt(0)
	v_add_u32_sdwa v12, sext(v3), s11 dst_sel:DWORD dst_unused:UNUSED_PAD src0_sel:WORD_0 src1_sel:DWORD
	v_and_b32_e32 v12, v12, v42
	v_cmp_eq_u32_e32 vcc, v12, v37
	s_and_b64 exec, exec, vcc
	s_cbranch_execz .LBB56_300
; %bb.304:                              ;   in Loop: Header=BB56_302 Depth=2
	v_perm_b32 v3, v3, 1, v41
	ds_write_b32 v9, v3 offset:3072
	s_branch .LBB56_300
.LBB56_305:                             ;   in Loop: Header=BB56_302 Depth=2
	v_add_u32_e32 v2, s48, v2
	v_cmp_le_u32_e32 vcc, s20, v2
	v_add_u32_e32 v8, s49, v8
	s_mov_b64 s[8:9], 0
	s_orn2_b64 s[22:23], vcc, exec
	s_branch .LBB56_301
.LBB56_306:                             ;   in Loop: Header=BB56_6 Depth=1
	s_or_b64 exec, exec, s[24:25]
	s_andn2_b64 s[8:9], s[16:17], exec
	s_and_b64 s[16:17], s[28:29], exec
	v_lshrrev_b32_e32 v43, 16, v3
	s_or_b64 s[16:17], s[8:9], s[16:17]
.LBB56_307:                             ;   in Loop: Header=BB56_6 Depth=1
	s_or_b64 exec, exec, s[2:3]
	s_mov_b64 s[84:85], 0
	s_mov_b64 s[86:87], -1
.LBB56_308:                             ;   in Loop: Header=BB56_6 Depth=1
	s_orn2_b64 s[2:3], s[16:17], exec
.LBB56_309:                             ;   in Loop: Header=BB56_6 Depth=1
	s_or_b64 exec, exec, s[12:13]
	s_mov_b64 s[12:13], 0
	s_and_saveexec_b64 s[88:89], s[2:3]
	s_cbranch_execz .LBB56_398
; %bb.310:                              ;   in Loop: Header=BB56_6 Depth=1
	s_xor_b64 s[8:9], s[14:15], -1
	v_mov_b32_e32 v2, 1
	v_mov_b32_e32 v1, 1
	s_and_saveexec_b64 s[2:3], s[8:9]
	s_cbranch_execz .LBB56_319
; %bb.311:                              ;   in Loop: Header=BB56_6 Depth=1
	v_cmp_ge_u32_e32 vcc, s95, v4
	s_and_saveexec_b64 s[8:9], vcc
	s_xor_b64 s[12:13], exec, s[8:9]
	s_cbranch_execz .LBB56_316
; %bb.312:                              ;   in Loop: Header=BB56_6 Depth=1
	v_and_b32_e32 v1, s47, v37
	v_lshl_or_b32 v37, 2, s38, v1
	ds_read_b32 v1, v9 offset:4096
	v_or_b32_e32 v42, s46, v42
	s_waitcnt lgkmcnt(0)
	v_cmp_ne_u32_e32 vcc, 0, v1
	s_cbranch_vccnz .LBB56_316
; %bb.313:                              ;   in Loop: Header=BB56_6 Depth=1
	s_mov_b64 s[8:9], exec
	v_readlane_b32 s14, v49, 6
	v_readlane_b32 s15, v49, 7
	s_and_b64 s[14:15], s[8:9], s[14:15]
	s_mov_b64 exec, s[14:15]
; %bb.314:                              ;   in Loop: Header=BB56_6 Depth=1
	v_mov_b32_e32 v1, s95
	ds_write_b32 v9, v1 offset:4100
; %bb.315:                              ;   in Loop: Header=BB56_6 Depth=1
	s_or_b64 exec, exec, s[8:9]
	s_waitcnt lgkmcnt(0)
	s_barrier
.LBB56_316:                             ;   in Loop: Header=BB56_6 Depth=1
	s_or_saveexec_b64 s[12:13], s[12:13]
	s_mov_b64 s[14:15], 0
	v_mov_b32_e32 v1, 5
	s_xor_b64 exec, exec, s[12:13]
; %bb.317:                              ;   in Loop: Header=BB56_6 Depth=1
	v_subrev_u32_e32 v4, s95, v4
	v_mov_b32_e32 v1, 0
	s_mov_b64 s[14:15], exec
; %bb.318:                              ;   in Loop: Header=BB56_6 Depth=1
	s_or_b64 exec, exec, s[12:13]
	s_and_b64 s[12:13], s[14:15], exec
	v_mov_b32_e32 v2, v4
.LBB56_319:                             ;   in Loop: Header=BB56_6 Depth=1
	s_or_b64 exec, exec, s[2:3]
	s_mov_b64 s[2:3], -1
                                        ; implicit-def: $sgpr92_sgpr93
                                        ; implicit-def: $sgpr42_sgpr43
	s_and_saveexec_b64 s[90:91], s[12:13]
	s_cbranch_execz .LBB56_397
; %bb.320:                              ;   in Loop: Header=BB56_6 Depth=1
	s_cmp_eq_u32 s94, 1
	s_cselect_b64 s[2:3], -1, 0
	v_cmp_eq_u32_e32 vcc, 1, v2
	s_and_b64 s[14:15], s[2:3], vcc
	s_mov_b64 s[2:3], -1
                                        ; implicit-def: $sgpr42_sgpr43
                                        ; implicit-def: $sgpr92_sgpr93
	s_and_saveexec_b64 s[12:13], s[14:15]
	s_cbranch_execz .LBB56_346
; %bb.321:                              ;   in Loop: Header=BB56_6 Depth=1
	ds_read_b32 v3, v9 offset:4096
	s_waitcnt lgkmcnt(0)
	s_barrier
	v_readfirstlane_b32 s52, v3
	s_mov_b64 s[2:3], exec
	v_readlane_b32 s8, v49, 21
	v_readlane_b32 s9, v49, 22
	s_and_b64 s[8:9], s[2:3], s[8:9]
	s_mov_b64 exec, s[8:9]
; %bb.322:                              ;   in Loop: Header=BB56_6 Depth=1
	ds_write_b16 v26, v9
; %bb.323:                              ;   in Loop: Header=BB56_6 Depth=1
	s_or_b64 exec, exec, s[2:3]
	v_and_b32_e32 v3, s47, v37
	v_lshl_or_b32 v37, 1, s38, v3
	v_or_b32_e32 v42, s46, v42
	s_mov_b64 s[92:93], -1
	s_mov_b64 s[42:43], 0
	s_cmp_eq_u32 s52, 0
	s_mov_b64 s[16:17], 0
	s_mov_b64 s[2:3], -1
	s_waitcnt lgkmcnt(0)
	s_barrier
                                        ; implicit-def: $vgpr43
	s_cbranch_scc1 .LBB56_334
; %bb.324:                              ;   in Loop: Header=BB56_6 Depth=1
	v_readlane_b32 s2, v49, 23
	s_add_i32 s2, s52, s2
	v_readlane_b32 s3, v49, 42
	s_mul_hi_u32 s3, s2, s3
	s_mul_i32 s3, s3, s48
	s_sub_i32 s3, s2, s3
	s_sub_i32 s8, s3, s48
	s_cmp_ge_u32 s3, s48
	s_cselect_b32 s3, s8, s3
	s_sub_i32 s8, s3, s48
	s_cmp_ge_u32 s3, s48
	s_cselect_b32 s3, s8, s3
	s_sub_i32 s53, s2, s3
	v_cmp_gt_u32_e32 vcc, s53, v0
	s_mov_b64 s[2:3], 0
                                        ; implicit-def: $vgpr43
	s_and_saveexec_b64 s[24:25], vcc
	s_cbranch_execz .LBB56_333
; %bb.325:                              ;   in Loop: Header=BB56_6 Depth=1
	v_mov_b32_e32 v3, v25
	v_mov_b32_e32 v4, v0
                                        ; implicit-def: $sgpr28_sgpr29
	s_branch .LBB56_328
.LBB56_326:                             ;   in Loop: Header=BB56_328 Depth=2
	s_or_b64 exec, exec, s[40:41]
	s_waitcnt lgkmcnt(0)
	s_barrier
	ds_read_b32 v8, v9 offset:3072
	s_mov_b64 s[22:23], -1
	s_waitcnt lgkmcnt(0)
	s_barrier
	v_cmp_ne_u32_sdwa s[8:9], v8, v9 src0_sel:WORD_0 src1_sel:DWORD
	s_and_b64 vcc, exec, s[8:9]
	s_mov_b64 s[8:9], -1
	s_cbranch_vccz .LBB56_331
.LBB56_327:                             ;   in Loop: Header=BB56_328 Depth=2
	s_and_b64 s[22:23], exec, s[22:23]
	s_or_b64 s[16:17], s[22:23], s[16:17]
	s_andn2_b64 s[22:23], s[28:29], exec
	s_and_b64 s[8:9], s[8:9], exec
	s_or_b64 s[28:29], s[22:23], s[8:9]
	s_andn2_b64 exec, exec, s[16:17]
	s_cbranch_execz .LBB56_332
.LBB56_328:                             ;   Parent Loop BB56_6 Depth=1
                                        ; =>  This Inner Loop Header: Depth=2
	v_cmp_gt_u32_e32 vcc, s52, v4
	s_and_saveexec_b64 s[40:41], vcc
	s_cbranch_execz .LBB56_326
; %bb.329:                              ;   in Loop: Header=BB56_328 Depth=2
	ds_read_u16 v8, v3
	s_waitcnt lgkmcnt(0)
	v_add_u32_sdwa v12, sext(v8), s11 dst_sel:DWORD dst_unused:UNUSED_PAD src0_sel:WORD_0 src1_sel:DWORD
	v_and_b32_e32 v12, v12, v42
	v_cmp_eq_u32_e32 vcc, v12, v37
	s_and_b64 exec, exec, vcc
	s_cbranch_execz .LBB56_326
; %bb.330:                              ;   in Loop: Header=BB56_328 Depth=2
	v_perm_b32 v8, v8, 1, v41
	ds_write_b32 v9, v8 offset:3072
	s_branch .LBB56_326
.LBB56_331:                             ;   in Loop: Header=BB56_328 Depth=2
	v_add_u32_e32 v4, s48, v4
	v_cmp_le_u32_e32 vcc, s53, v4
	v_add_u32_e32 v3, s10, v3
	s_mov_b64 s[8:9], 0
	s_orn2_b64 s[22:23], vcc, exec
	s_branch .LBB56_327
.LBB56_332:                             ;   in Loop: Header=BB56_6 Depth=1
	s_or_b64 exec, exec, s[16:17]
	v_lshrrev_b32_e32 v43, 16, v8
	s_and_b64 s[16:17], s[28:29], exec
.LBB56_333:                             ;   in Loop: Header=BB56_6 Depth=1
	s_or_b64 exec, exec, s[24:25]
.LBB56_334:                             ;   in Loop: Header=BB56_6 Depth=1
	s_and_b64 vcc, exec, s[2:3]
	s_cbranch_vccz .LBB56_345
; %bb.335:                              ;   in Loop: Header=BB56_6 Depth=1
                                        ; implicit-def: $vgpr43
	s_mov_b64 s[2:3], exec
	v_readlane_b32 s8, v49, 43
	v_readlane_b32 s9, v49, 44
	s_and_b64 s[8:9], s[2:3], s[8:9]
	s_mov_b64 exec, s[8:9]
	s_cbranch_execz .LBB56_344
; %bb.336:                              ;   in Loop: Header=BB56_6 Depth=1
	s_mov_b64 s[24:25], 0
	v_mov_b32_e32 v8, v7
	v_mov_b32_e32 v3, v0
                                        ; implicit-def: $sgpr28_sgpr29
	s_branch .LBB56_339
.LBB56_337:                             ;   in Loop: Header=BB56_339 Depth=2
	s_or_b64 exec, exec, s[40:41]
	s_waitcnt lgkmcnt(0)
	s_barrier
	ds_read_b32 v4, v9 offset:3072
	s_mov_b64 s[22:23], -1
	s_waitcnt lgkmcnt(0)
	s_barrier
	v_cmp_eq_u32_sdwa s[8:9], v4, v9 src0_sel:WORD_0 src1_sel:DWORD
	s_and_b64 vcc, exec, s[8:9]
	s_mov_b64 s[8:9], -1
	s_cbranch_vccnz .LBB56_342
.LBB56_338:                             ;   in Loop: Header=BB56_339 Depth=2
	s_and_b64 s[22:23], exec, s[22:23]
	s_or_b64 s[24:25], s[22:23], s[24:25]
	s_andn2_b64 s[22:23], s[28:29], exec
	s_and_b64 s[8:9], s[8:9], exec
	s_or_b64 s[28:29], s[22:23], s[8:9]
	s_andn2_b64 exec, exec, s[24:25]
	s_cbranch_execz .LBB56_343
.LBB56_339:                             ;   Parent Loop BB56_6 Depth=1
                                        ; =>  This Inner Loop Header: Depth=2
	v_cmp_gt_u32_e32 vcc, s36, v3
	s_and_saveexec_b64 s[40:41], vcc
	s_cbranch_execz .LBB56_337
; %bb.340:                              ;   in Loop: Header=BB56_339 Depth=2
	v_lshlrev_b64 v[12:13], 1, v[8:9]
	v_mov_b32_e32 v4, s44
	v_add_co_u32_e32 v12, vcc, s33, v12
	v_addc_co_u32_e32 v13, vcc, v4, v13, vcc
	global_load_ushort v4, v[12:13], off
	s_waitcnt vmcnt(0)
	v_add_u32_sdwa v12, sext(v4), s11 dst_sel:DWORD dst_unused:UNUSED_PAD src0_sel:WORD_0 src1_sel:DWORD
	v_and_b32_e32 v12, v12, v42
	v_cmp_eq_u32_e32 vcc, v12, v37
	s_and_b64 exec, exec, vcc
	s_cbranch_execz .LBB56_337
; %bb.341:                              ;   in Loop: Header=BB56_339 Depth=2
	v_perm_b32 v4, v4, 1, v41
	ds_write_b32 v9, v4 offset:3072
	s_branch .LBB56_337
.LBB56_342:                             ;   in Loop: Header=BB56_339 Depth=2
	v_add_u32_e32 v3, s48, v3
	v_cmp_le_u32_e32 vcc, s20, v3
	v_add_u32_e32 v8, s49, v8
	s_mov_b64 s[8:9], 0
	s_orn2_b64 s[22:23], vcc, exec
	s_branch .LBB56_338
.LBB56_343:                             ;   in Loop: Header=BB56_6 Depth=1
	s_or_b64 exec, exec, s[24:25]
	s_andn2_b64 s[8:9], s[16:17], exec
	s_and_b64 s[16:17], s[28:29], exec
	v_lshrrev_b32_e32 v43, 16, v4
	s_or_b64 s[16:17], s[8:9], s[16:17]
.LBB56_344:                             ;   in Loop: Header=BB56_6 Depth=1
	s_or_b64 exec, exec, s[2:3]
	s_mov_b64 s[92:93], 0
	s_mov_b64 s[42:43], -1
.LBB56_345:                             ;   in Loop: Header=BB56_6 Depth=1
	s_orn2_b64 s[2:3], s[16:17], exec
.LBB56_346:                             ;   in Loop: Header=BB56_6 Depth=1
	s_or_b64 exec, exec, s[12:13]
	s_mov_b64 s[12:13], 0
	s_and_saveexec_b64 s[40:41], s[2:3]
	s_cbranch_execz .LBB56_396
; %bb.347:                              ;   in Loop: Header=BB56_6 Depth=1
	s_xor_b64 s[8:9], s[14:15], -1
	v_mov_b32_e32 v3, 1
	v_mov_b32_e32 v1, 1
	s_and_saveexec_b64 s[2:3], s[8:9]
	s_cbranch_execz .LBB56_356
; %bb.348:                              ;   in Loop: Header=BB56_6 Depth=1
	v_cmp_ge_u32_e32 vcc, s94, v2
	s_and_saveexec_b64 s[8:9], vcc
	s_xor_b64 s[12:13], exec, s[8:9]
	s_cbranch_execz .LBB56_353
; %bb.349:                              ;   in Loop: Header=BB56_6 Depth=1
	v_and_b32_e32 v1, s47, v37
	v_lshl_or_b32 v37, 1, s38, v1
	ds_read_b32 v1, v9 offset:4096
	v_or_b32_e32 v42, s46, v42
	s_waitcnt lgkmcnt(0)
	v_cmp_ne_u32_e32 vcc, 0, v1
	s_cbranch_vccnz .LBB56_353
; %bb.350:                              ;   in Loop: Header=BB56_6 Depth=1
	s_mov_b64 s[8:9], exec
	v_readlane_b32 s14, v49, 6
	v_readlane_b32 s15, v49, 7
	s_and_b64 s[14:15], s[8:9], s[14:15]
	s_mov_b64 exec, s[14:15]
; %bb.351:                              ;   in Loop: Header=BB56_6 Depth=1
	v_mov_b32_e32 v1, s94
	ds_write_b32 v9, v1 offset:4100
; %bb.352:                              ;   in Loop: Header=BB56_6 Depth=1
	s_or_b64 exec, exec, s[8:9]
	s_waitcnt lgkmcnt(0)
	s_barrier
.LBB56_353:                             ;   in Loop: Header=BB56_6 Depth=1
	s_or_saveexec_b64 s[12:13], s[12:13]
	s_mov_b64 s[14:15], 0
	v_mov_b32_e32 v1, 5
	s_xor_b64 exec, exec, s[12:13]
; %bb.354:                              ;   in Loop: Header=BB56_6 Depth=1
	v_subrev_u32_e32 v2, s94, v2
	v_mov_b32_e32 v1, 0
	s_mov_b64 s[14:15], exec
; %bb.355:                              ;   in Loop: Header=BB56_6 Depth=1
	s_or_b64 exec, exec, s[12:13]
	s_and_b64 s[12:13], s[14:15], exec
	v_mov_b32_e32 v3, v2
.LBB56_356:                             ;   in Loop: Header=BB56_6 Depth=1
	s_or_b64 exec, exec, s[2:3]
	s_mov_b64 s[2:3], -1
                                        ; implicit-def: $sgpr16_sgpr17
                                        ; implicit-def: $sgpr14_sgpr15
	s_and_saveexec_b64 s[94:95], s[12:13]
	s_cbranch_execz .LBB56_395
; %bb.357:                              ;   in Loop: Header=BB56_6 Depth=1
	s_cmp_eq_u32 s39, 1
	s_cselect_b64 s[2:3], -1, 0
	v_cmp_eq_u32_e32 vcc, 1, v3
	s_mov_b64 s[28:29], -1
	s_and_b64 s[2:3], s[2:3], vcc
                                        ; implicit-def: $sgpr16_sgpr17
                                        ; implicit-def: $sgpr14_sgpr15
	s_mov_b64 s[24:25], exec
	v_writelane_b32 v49, s2, 47
	v_writelane_b32 v49, s3, 48
	s_and_b64 s[2:3], s[24:25], s[2:3]
	s_mov_b64 exec, s[2:3]
	s_cbranch_execz .LBB56_383
; %bb.358:                              ;   in Loop: Header=BB56_6 Depth=1
	ds_read_b32 v2, v9 offset:4096
	s_waitcnt lgkmcnt(0)
	s_barrier
	v_readfirstlane_b32 s12, v2
	s_mov_b64 s[2:3], exec
	v_readlane_b32 s8, v49, 21
	v_readlane_b32 s9, v49, 22
	s_and_b64 s[8:9], s[2:3], s[8:9]
	s_mov_b64 exec, s[8:9]
; %bb.359:                              ;   in Loop: Header=BB56_6 Depth=1
	ds_write_b16 v26, v9
; %bb.360:                              ;   in Loop: Header=BB56_6 Depth=1
	s_or_b64 exec, exec, s[2:3]
	v_and_b32_e32 v37, s47, v37
	v_or_b32_e32 v42, s46, v42
	s_mov_b64 s[14:15], -1
	s_mov_b64 s[16:17], 0
	s_cmp_eq_u32 s12, 0
	s_mov_b64 s[28:29], 0
	s_mov_b64 s[2:3], -1
	s_waitcnt lgkmcnt(0)
	s_barrier
                                        ; implicit-def: $vgpr43
	s_cbranch_scc1 .LBB56_371
; %bb.361:                              ;   in Loop: Header=BB56_6 Depth=1
	v_readlane_b32 s2, v49, 23
	s_add_i32 s2, s12, s2
	v_readlane_b32 s3, v49, 42
	s_mul_hi_u32 s3, s2, s3
	s_mul_i32 s3, s3, s48
	s_sub_i32 s3, s2, s3
	s_sub_i32 s8, s3, s48
	s_cmp_ge_u32 s3, s48
	s_cselect_b32 s3, s8, s3
	s_sub_i32 s8, s3, s48
	s_cmp_ge_u32 s3, s48
	s_cselect_b32 s3, s8, s3
	s_sub_i32 s13, s2, s3
	v_cmp_gt_u32_e32 vcc, s13, v0
	s_mov_b64 s[2:3], 0
                                        ; implicit-def: $vgpr43
	s_and_saveexec_b64 s[52:53], vcc
	s_cbranch_execz .LBB56_370
; %bb.362:                              ;   in Loop: Header=BB56_6 Depth=1
	v_mov_b32_e32 v2, v25
	v_mov_b32_e32 v4, v0
                                        ; implicit-def: $sgpr54_sgpr55
	s_branch .LBB56_365
.LBB56_363:                             ;   in Loop: Header=BB56_365 Depth=2
	s_or_b64 exec, exec, s[56:57]
	s_waitcnt lgkmcnt(0)
	s_barrier
	ds_read_b32 v8, v9 offset:3072
	s_mov_b64 s[22:23], -1
	s_waitcnt lgkmcnt(0)
	s_barrier
	v_cmp_ne_u32_sdwa s[8:9], v8, v9 src0_sel:WORD_0 src1_sel:DWORD
	s_and_b64 vcc, exec, s[8:9]
	s_mov_b64 s[8:9], -1
	s_cbranch_vccz .LBB56_368
.LBB56_364:                             ;   in Loop: Header=BB56_365 Depth=2
	s_and_b64 s[22:23], exec, s[22:23]
	s_or_b64 s[28:29], s[22:23], s[28:29]
	s_andn2_b64 s[22:23], s[54:55], exec
	s_and_b64 s[8:9], s[8:9], exec
	s_or_b64 s[54:55], s[22:23], s[8:9]
	s_andn2_b64 exec, exec, s[28:29]
	s_cbranch_execz .LBB56_369
.LBB56_365:                             ;   Parent Loop BB56_6 Depth=1
                                        ; =>  This Inner Loop Header: Depth=2
	v_cmp_gt_u32_e32 vcc, s12, v4
	s_and_saveexec_b64 s[56:57], vcc
	s_cbranch_execz .LBB56_363
; %bb.366:                              ;   in Loop: Header=BB56_365 Depth=2
	ds_read_u16 v8, v2
	s_waitcnt lgkmcnt(0)
	v_add_u32_sdwa v12, sext(v8), s11 dst_sel:DWORD dst_unused:UNUSED_PAD src0_sel:WORD_0 src1_sel:DWORD
	v_and_b32_e32 v12, v12, v42
	v_cmp_eq_u32_e32 vcc, v12, v37
	s_and_b64 exec, exec, vcc
	s_cbranch_execz .LBB56_363
; %bb.367:                              ;   in Loop: Header=BB56_365 Depth=2
	v_perm_b32 v8, v8, 1, v41
	ds_write_b32 v9, v8 offset:3072
	s_branch .LBB56_363
.LBB56_368:                             ;   in Loop: Header=BB56_365 Depth=2
	v_add_u32_e32 v4, s48, v4
	v_cmp_le_u32_e32 vcc, s13, v4
	v_add_u32_e32 v2, s10, v2
	s_mov_b64 s[8:9], 0
	s_orn2_b64 s[22:23], vcc, exec
	s_branch .LBB56_364
.LBB56_369:                             ;   in Loop: Header=BB56_6 Depth=1
	s_or_b64 exec, exec, s[28:29]
	v_lshrrev_b32_e32 v43, 16, v8
	s_and_b64 s[28:29], s[54:55], exec
.LBB56_370:                             ;   in Loop: Header=BB56_6 Depth=1
	s_or_b64 exec, exec, s[52:53]
.LBB56_371:                             ;   in Loop: Header=BB56_6 Depth=1
	s_and_b64 vcc, exec, s[2:3]
	s_cbranch_vccz .LBB56_382
; %bb.372:                              ;   in Loop: Header=BB56_6 Depth=1
                                        ; implicit-def: $vgpr43
	s_mov_b64 s[2:3], exec
	v_readlane_b32 s8, v49, 43
	v_readlane_b32 s9, v49, 44
	s_and_b64 s[8:9], s[2:3], s[8:9]
	s_mov_b64 exec, s[8:9]
	s_cbranch_execz .LBB56_381
; %bb.373:                              ;   in Loop: Header=BB56_6 Depth=1
	s_mov_b64 s[14:15], 0
	v_mov_b32_e32 v8, v7
	v_mov_b32_e32 v2, v0
                                        ; implicit-def: $sgpr16_sgpr17
	s_branch .LBB56_376
.LBB56_374:                             ;   in Loop: Header=BB56_376 Depth=2
	s_or_b64 exec, exec, s[52:53]
	s_waitcnt lgkmcnt(0)
	s_barrier
	ds_read_b32 v4, v9 offset:3072
	s_mov_b64 s[22:23], -1
	s_waitcnt lgkmcnt(0)
	s_barrier
	v_cmp_eq_u32_sdwa s[8:9], v4, v9 src0_sel:WORD_0 src1_sel:DWORD
	s_and_b64 vcc, exec, s[8:9]
	s_mov_b64 s[8:9], -1
	s_cbranch_vccnz .LBB56_379
.LBB56_375:                             ;   in Loop: Header=BB56_376 Depth=2
	s_and_b64 s[12:13], exec, s[22:23]
	s_or_b64 s[14:15], s[12:13], s[14:15]
	s_andn2_b64 s[12:13], s[16:17], exec
	s_and_b64 s[8:9], s[8:9], exec
	s_or_b64 s[16:17], s[12:13], s[8:9]
	s_andn2_b64 exec, exec, s[14:15]
	s_cbranch_execz .LBB56_380
.LBB56_376:                             ;   Parent Loop BB56_6 Depth=1
                                        ; =>  This Inner Loop Header: Depth=2
	v_cmp_gt_u32_e32 vcc, s36, v2
	s_and_saveexec_b64 s[52:53], vcc
	s_cbranch_execz .LBB56_374
; %bb.377:                              ;   in Loop: Header=BB56_376 Depth=2
	v_lshlrev_b64 v[12:13], 1, v[8:9]
	v_mov_b32_e32 v4, s44
	v_add_co_u32_e32 v12, vcc, s33, v12
	v_addc_co_u32_e32 v13, vcc, v4, v13, vcc
	global_load_ushort v4, v[12:13], off
	s_waitcnt vmcnt(0)
	v_add_u32_sdwa v12, sext(v4), s11 dst_sel:DWORD dst_unused:UNUSED_PAD src0_sel:WORD_0 src1_sel:DWORD
	v_and_b32_e32 v12, v12, v42
	v_cmp_eq_u32_e32 vcc, v12, v37
	s_and_b64 exec, exec, vcc
	s_cbranch_execz .LBB56_374
; %bb.378:                              ;   in Loop: Header=BB56_376 Depth=2
	v_perm_b32 v4, v4, 1, v41
	ds_write_b32 v9, v4 offset:3072
	s_branch .LBB56_374
.LBB56_379:                             ;   in Loop: Header=BB56_376 Depth=2
	v_add_u32_e32 v2, s48, v2
	v_cmp_le_u32_e32 vcc, s20, v2
	v_add_u32_e32 v8, s49, v8
	s_mov_b64 s[8:9], 0
	s_orn2_b64 s[22:23], vcc, exec
	s_branch .LBB56_375
.LBB56_380:                             ;   in Loop: Header=BB56_6 Depth=1
	s_or_b64 exec, exec, s[14:15]
	s_andn2_b64 s[8:9], s[28:29], exec
	s_and_b64 s[12:13], s[16:17], exec
	v_lshrrev_b32_e32 v43, 16, v4
	s_or_b64 s[28:29], s[8:9], s[12:13]
.LBB56_381:                             ;   in Loop: Header=BB56_6 Depth=1
	s_or_b64 exec, exec, s[2:3]
	s_mov_b64 s[14:15], 0
	s_mov_b64 s[16:17], -1
.LBB56_382:                             ;   in Loop: Header=BB56_6 Depth=1
	s_orn2_b64 s[28:29], s[28:29], exec
.LBB56_383:                             ;   in Loop: Header=BB56_6 Depth=1
	s_or_b64 exec, exec, s[24:25]
	s_mov_b64 s[24:25], 0
	s_and_saveexec_b64 s[2:3], s[28:29]
	s_cbranch_execz .LBB56_394
; %bb.384:                              ;   in Loop: Header=BB56_6 Depth=1
	v_readlane_b32 s8, v49, 47
	v_readlane_b32 s9, v49, 48
	s_xor_b64 s[8:9], s[8:9], -1
	v_mov_b32_e32 v1, 1
	v_mov_b32_e32 v2, 1
	s_and_saveexec_b64 s[12:13], s[8:9]
	s_cbranch_execz .LBB56_393
; %bb.385:                              ;   in Loop: Header=BB56_6 Depth=1
	v_cmp_ge_u32_e32 vcc, s39, v3
	s_and_saveexec_b64 s[8:9], vcc
	s_xor_b64 s[24:25], exec, s[8:9]
	s_cbranch_execz .LBB56_390
; %bb.386:                              ;   in Loop: Header=BB56_6 Depth=1
	ds_read_b32 v1, v9 offset:4096
	v_and_b32_e32 v37, s47, v37
	v_or_b32_e32 v42, s46, v42
	s_waitcnt lgkmcnt(0)
	v_cmp_ne_u32_e32 vcc, 0, v1
	s_cbranch_vccnz .LBB56_390
; %bb.387:                              ;   in Loop: Header=BB56_6 Depth=1
	s_mov_b64 s[8:9], exec
	v_readlane_b32 s22, v49, 6
	v_readlane_b32 s23, v49, 7
	s_and_b64 s[22:23], s[8:9], s[22:23]
	s_mov_b64 exec, s[22:23]
; %bb.388:                              ;   in Loop: Header=BB56_6 Depth=1
	v_mov_b32_e32 v1, s39
	ds_write_b32 v9, v1 offset:4100
; %bb.389:                              ;   in Loop: Header=BB56_6 Depth=1
	s_or_b64 exec, exec, s[8:9]
	s_waitcnt lgkmcnt(0)
	s_barrier
.LBB56_390:                             ;   in Loop: Header=BB56_6 Depth=1
	s_andn2_saveexec_b64 s[24:25], s[24:25]
; %bb.391:                              ;   in Loop: Header=BB56_6 Depth=1
	v_subrev_u32_e32 v3, s39, v3
; %bb.392:                              ;   in Loop: Header=BB56_6 Depth=1
	s_or_b64 exec, exec, s[24:25]
	v_mov_b32_e32 v1, 5
	v_mov_b32_e32 v2, v3
.LBB56_393:                             ;   in Loop: Header=BB56_6 Depth=1
	s_or_b64 exec, exec, s[12:13]
	s_mov_b64 s[24:25], exec
	v_mov_b32_e32 v3, v2
.LBB56_394:                             ;   in Loop: Header=BB56_6 Depth=1
	s_or_b64 exec, exec, s[2:3]
	s_orn2_b64 s[2:3], s[24:25], exec
.LBB56_395:                             ;   in Loop: Header=BB56_6 Depth=1
	s_or_b64 exec, exec, s[94:95]
	s_andn2_b64 s[8:9], s[42:43], exec
	s_and_b64 s[12:13], s[16:17], exec
	s_or_b64 s[42:43], s[8:9], s[12:13]
	s_andn2_b64 s[8:9], s[92:93], exec
	s_and_b64 s[12:13], s[14:15], exec
	s_or_b64 s[92:93], s[8:9], s[12:13]
	s_and_b64 s[12:13], s[2:3], exec
	v_mov_b32_e32 v2, v3
.LBB56_396:                             ;   in Loop: Header=BB56_6 Depth=1
	s_or_b64 exec, exec, s[40:41]
	s_orn2_b64 s[2:3], s[12:13], exec
.LBB56_397:                             ;   in Loop: Header=BB56_6 Depth=1
	s_or_b64 exec, exec, s[90:91]
	s_andn2_b64 s[8:9], s[86:87], exec
	s_and_b64 s[12:13], s[42:43], exec
	s_or_b64 s[86:87], s[8:9], s[12:13]
	s_andn2_b64 s[8:9], s[84:85], exec
	s_and_b64 s[12:13], s[92:93], exec
	s_or_b64 s[84:85], s[8:9], s[12:13]
	s_and_b64 s[12:13], s[2:3], exec
	v_mov_b32_e32 v4, v2
.LBB56_398:                             ;   in Loop: Header=BB56_6 Depth=1
	s_or_b64 exec, exec, s[88:89]
	s_orn2_b64 s[2:3], s[12:13], exec
.LBB56_399:                             ;   in Loop: Header=BB56_6 Depth=1
	s_or_b64 exec, exec, s[6:7]
	s_mov_b64 s[6:7], s[80:81]
	s_mov_b64 s[12:13], s[34:35]
	s_and_saveexec_b64 s[14:15], s[2:3]
; %bb.400:                              ;   in Loop: Header=BB56_6 Depth=1
	v_cmp_ne_u32_e64 s[6:7], 5, v1
	v_cmp_eq_u32_e32 vcc, 5, v1
	s_andn2_b64 s[2:3], s[34:35], exec
	s_and_b64 s[6:7], s[6:7], exec
	s_or_b64 s[12:13], s[2:3], s[6:7]
	s_andn2_b64 s[2:3], s[80:81], exec
	s_and_b64 s[6:7], vcc, exec
	s_or_b64 s[6:7], s[2:3], s[6:7]
; %bb.401:                              ;   in Loop: Header=BB56_6 Depth=1
	s_or_b64 exec, exec, s[14:15]
	s_andn2_b64 s[2:3], s[26:27], exec
	s_and_b64 s[8:9], s[86:87], exec
	s_or_b64 s[26:27], s[2:3], s[8:9]
	s_andn2_b64 s[2:3], s[30:31], exec
	s_and_b64 s[8:9], s[84:85], exec
	s_or_b64 s[30:31], s[2:3], s[8:9]
	;; [unrolled: 3-line block ×4, first 2 shown]
.LBB56_402:                             ;   in Loop: Header=BB56_6 Depth=1
	s_or_b64 exec, exec, s[82:83]
	s_mov_b64 s[82:83], 0
	s_mov_b64 s[84:85], 0
	s_and_saveexec_b64 s[2:3], s[80:81]
.LBB56_403:                             ;   in Loop: Header=BB56_6 Depth=1
	v_mov_b32_e32 v1, 0
	s_or_b64 s[34:35], s[34:35], exec
.LBB56_404:                             ;   in Loop: Header=BB56_6 Depth=1
	s_or_b64 exec, exec, s[2:3]
	s_andn2_b64 s[2:3], s[76:77], exec
	s_and_b64 s[8:9], s[26:27], exec
	s_or_b64 s[76:77], s[2:3], s[8:9]
	s_andn2_b64 s[2:3], s[74:75], exec
	s_and_b64 s[8:9], s[30:31], exec
	s_or_b64 s[74:75], s[2:3], s[8:9]
	;; [unrolled: 3-line block ×3, first 2 shown]
	s_andn2_b64 s[2:3], s[70:71], exec
	s_and_b64 s[8:9], s[82:83], exec
	s_mov_b64 s[6:7], -1
	s_andn2_b64 s[78:79], s[78:79], exec
	s_or_b64 s[70:71], s[2:3], s[8:9]
	v_mov_b32_e32 v44, v4
	s_and_saveexec_b64 s[2:3], s[34:35]
	s_xor_b64 s[2:3], exec, s[2:3]
	s_cbranch_execz .LBB56_5
; %bb.405:                              ;   in Loop: Header=BB56_6 Depth=1
	v_cmp_eq_u32_e32 vcc, 0, v1
	s_mov_b64 s[12:13], -1
	s_and_saveexec_b64 s[14:15], vcc
	s_cbranch_execz .LBB56_4
; %bb.406:                              ;   in Loop: Header=BB56_6 Depth=1
	s_xor_b32 s45, s45, 1
	s_add_i32 s8, s38, -2
	s_cmp_eq_u32 s38, 0
	s_cselect_b64 s[6:7], -1, 0
	s_xor_b64 s[12:13], exec, -1
	s_orn2_b64 s[6:7], s[6:7], exec
	s_mov_b32 s38, s8
	s_branch .LBB56_4
.LBB56_407:
	s_or_b64 exec, exec, s[58:59]
	s_xor_b64 s[6:7], s[68:69], -1
	s_xor_b64 s[18:19], s[64:65], -1
	;; [unrolled: 1-line block ×5, first 2 shown]
	s_mov_b64 s[12:13], 0
	s_and_saveexec_b64 s[10:11], s[4:5]
	s_xor_b64 s[10:11], exec, s[10:11]
	s_cbranch_execnz .LBB56_412
; %bb.408:
	s_andn2_saveexec_b64 s[0:1], s[10:11]
	s_cbranch_execnz .LBB56_431
.LBB56_409:
	s_or_b64 exec, exec, s[0:1]
	s_and_saveexec_b64 s[0:1], s[12:13]
.LBB56_410:
	; divergent unreachable
.LBB56_411:
	s_endpgm
.LBB56_412:
	s_mov_b64 s[14:15], 0
	s_and_saveexec_b64 s[4:5], s[8:9]
	s_xor_b64 s[12:13], exec, s[4:5]
	s_cbranch_execz .LBB56_429
; %bb.413:
	s_mov_b64 s[16:17], 0
	s_and_saveexec_b64 s[4:5], s[18:19]
	s_xor_b64 s[14:15], exec, s[4:5]
	s_cbranch_execz .LBB56_427
; %bb.414:
	;; [unrolled: 5-line block ×3, first 2 shown]
	s_and_saveexec_b64 s[4:5], s[2:3]
	s_xor_b64 s[2:3], exec, s[4:5]
; %bb.416:
	v_xor_b32_e32 v43, 0xffff8000, v37
; %bb.417:
	s_or_b64 exec, exec, s[2:3]
	s_mov_b64 s[2:3], exec
	v_readlane_b32 s4, v49, 6
	v_readlane_b32 s5, v49, 7
	;; [unrolled: 1-line block ×3, first 2 shown]
	s_and_b64 s[4:5], s[2:3], s[4:5]
	v_readlane_b32 s47, v49, 10
	s_mov_b64 exec, s[4:5]
; %bb.418:
	v_mov_b32_e32 v1, 0
	ds_write_b32 v1, v1 offset:4108
; %bb.419:
	s_or_b64 exec, exec, s[2:3]
	v_mov_b32_e32 v4, 0
	s_waitcnt lgkmcnt(0)
	s_barrier
	s_mov_b64 s[2:3], exec
	v_readlane_b32 s4, v49, 17
	v_readlane_b32 s5, v49, 18
	s_and_b64 s[4:5], s[2:3], s[4:5]
	s_mov_b64 exec, s[4:5]
	s_cbranch_execz .LBB56_421
; %bb.420:
	global_load_ushort v4, v[5:6], off
.LBB56_421:
	s_or_b64 exec, exec, s[2:3]
	v_readlane_b32 s4, v49, 4
	v_readlane_b32 s5, v49, 5
	s_load_dword s2, s[4:5], 0x15c
	s_load_dword s3, s[4:5], 0x23c
	;; [unrolled: 1-line block ×4, first 2 shown]
	v_readlane_b32 s4, v49, 8
	s_add_i32 s30, s36, 63
	s_waitcnt lgkmcnt(0)
	s_mul_i32 s2, s2, s4
	s_mul_i32 s4, s3, s4
	s_mov_b32 s3, 0
	s_andn2_b32 s30, s30, 63
	s_lshl_b64 s[6:7], s[2:3], 1
	v_readlane_b32 s8, v49, 2
	v_readlane_b32 s9, v49, 3
	s_add_u32 s35, s8, s6
	s_mov_b32 s5, s3
	s_addc_u32 s38, s9, s7
	s_lshl_b64 s[2:3], s[4:5], 3
	v_readlane_b32 s4, v49, 0
	v_readlane_b32 s5, v49, 1
	s_add_u32 s39, s4, s2
	s_addc_u32 s40, s5, s3
	v_cmp_gt_u32_e32 vcc, s30, v0
	s_mov_b64 s[2:3], -1
	s_mov_b64 s[8:9], 0
	s_mov_b64 s[4:5], 0
	s_and_saveexec_b64 s[18:19], vcc
	s_cbranch_execnz .LBB56_432
; %bb.422:
	s_or_b64 exec, exec, s[18:19]
	s_and_saveexec_b64 s[6:7], s[2:3]
	s_cbranch_execnz .LBB56_447
.LBB56_423:
	s_or_b64 exec, exec, s[6:7]
	s_and_saveexec_b64 s[0:1], s[4:5]
	s_xor_b64 s[0:1], exec, s[0:1]
	s_cbranch_execnz .LBB56_470
.LBB56_424:
	s_or_b64 exec, exec, s[0:1]
	s_and_b64 s[18:19], s[8:9], exec
.LBB56_425:
	s_andn2_saveexec_b64 s[0:1], s[16:17]
	s_cbranch_execnz .LBB56_472
.LBB56_426:
	s_or_b64 exec, exec, s[0:1]
	s_and_b64 s[16:17], s[18:19], exec
.LBB56_427:
	s_andn2_saveexec_b64 s[0:1], s[14:15]
	s_cbranch_execnz .LBB56_471
.LBB56_428:
	s_or_b64 exec, exec, s[0:1]
	s_and_b64 s[14:15], s[16:17], exec
.LBB56_429:
	s_andn2_saveexec_b64 s[0:1], s[12:13]
	s_cbranch_execnz .LBB56_466
.LBB56_430:
	s_or_b64 exec, exec, s[0:1]
	s_and_b64 s[12:13], s[14:15], exec
	s_andn2_saveexec_b64 s[0:1], s[10:11]
	s_cbranch_execz .LBB56_409
.LBB56_431:
	s_or_b64 s[12:13], s[12:13], exec
	s_trap 2
	s_or_b64 exec, exec, s[0:1]
	s_and_saveexec_b64 s[0:1], s[12:13]
	s_cbranch_execnz .LBB56_410
	s_branch .LBB56_411
.LBB56_432:
	v_add_u32_e32 v1, s48, v0
	v_mul_lo_u32 v1, s50, v1
	s_mov_b32 s41, 0x8000
	v_add_u32_sdwa v7, sext(v43), s41 dst_sel:DWORD dst_unused:UNUSED_PAD src0_sel:WORD_0 src1_sel:DWORD
	s_mov_b64 s[20:21], 0
	v_mov_b32_e32 v2, 0
	v_mov_b32_e32 v3, v0
                                        ; implicit-def: $sgpr22_sgpr23
                                        ; implicit-def: $vgpr9
	s_branch .LBB56_434
.LBB56_433:                             ;   in Loop: Header=BB56_434 Depth=1
	s_or_b64 exec, exec, s[24:25]
	s_xor_b64 s[4:5], s[6:7], -1
	s_and_b64 s[2:3], exec, s[2:3]
	s_or_b64 s[20:21], s[2:3], s[20:21]
	s_andn2_b64 s[2:3], s[22:23], exec
	s_and_b64 s[4:5], s[4:5], exec
	s_or_b64 s[22:23], s[2:3], s[4:5]
	v_mov_b32_e32 v4, v10
	v_mov_b32_e32 v3, v8
	s_andn2_b64 exec, exec, s[20:21]
	s_cbranch_execz .LBB56_446
.LBB56_434:                             ; =>This Inner Loop Header: Depth=1
	v_add_u32_e32 v8, s48, v3
	v_cmp_gt_u32_e64 s[4:5], s36, v8
	v_mov_b32_e32 v10, 0
	s_and_saveexec_b64 s[2:3], s[4:5]
	s_cbranch_execz .LBB56_436
; %bb.435:                              ;   in Loop: Header=BB56_434 Depth=1
	v_lshlrev_b64 v[10:11], 1, v[1:2]
	v_mov_b32_e32 v12, s44
	v_add_co_u32_e64 v10, s[4:5], s33, v10
	v_addc_co_u32_e64 v11, s[4:5], v12, v11, s[4:5]
	global_load_ushort v10, v[10:11], off
.LBB56_436:                             ;   in Loop: Header=BB56_434 Depth=1
	s_or_b64 exec, exec, s[2:3]
	s_waitcnt vmcnt(0)
	v_add_u32_sdwa v11, sext(v4), s41 dst_sel:DWORD dst_unused:UNUSED_PAD src0_sel:WORD_0 src1_sel:DWORD
	v_cmp_gt_u32_e64 s[6:7], v11, v7
	v_cndmask_b32_e64 v12, 0, 1, s[6:7]
	v_cmp_lt_u32_e64 s[6:7], v11, v7
	v_cndmask_b32_e64 v11, 0, 1, s[6:7]
	v_cndmask_b32_e64 v11, v11, v12, s[46:47]
	v_and_b32_e32 v11, 1, v11
	v_cmp_gt_u32_e64 s[4:5], s36, v3
	v_cmp_eq_u32_e64 s[6:7], 1, v11
	s_and_b64 s[24:25], s[4:5], s[6:7]
	v_cndmask_b32_e64 v11, 0, 1, s[24:25]
	v_cmp_ne_u32_e64 s[4:5], 0, v11
	s_cmp_lg_u64 s[4:5], 0
	s_cselect_b64 s[2:3], -1, 0
	s_and_b64 s[6:7], s[0:1], s[2:3]
	s_and_saveexec_b64 s[2:3], s[6:7]
	s_cbranch_execz .LBB56_440
; %bb.437:                              ;   in Loop: Header=BB56_434 Depth=1
	s_mov_b64 s[28:29], exec
	s_waitcnt lgkmcnt(0)
	v_mbcnt_lo_u32_b32 v9, s28, 0
	v_mbcnt_hi_u32_b32 v9, s29, v9
	s_bcnt1_i32_b64 s42, s[4:5]
	v_cmp_eq_u32_e64 s[6:7], 0, v9
                                        ; implicit-def: $vgpr11
	s_and_saveexec_b64 s[26:27], s[6:7]
; %bb.438:                              ;   in Loop: Header=BB56_434 Depth=1
	s_bcnt1_i32_b64 s6, s[28:29]
	s_mul_i32 s6, s42, s6
	v_mov_b32_e32 v11, s6
	ds_add_rtn_u32 v11, v2, v11 offset:4108
; %bb.439:                              ;   in Loop: Header=BB56_434 Depth=1
	s_or_b64 exec, exec, s[26:27]
	s_waitcnt lgkmcnt(0)
	v_readfirstlane_b32 s6, v11
	v_mov_b32_e32 v11, s6
	v_mad_u32_u24 v9, s42, v9, v11
.LBB56_440:                             ;   in Loop: Header=BB56_434 Depth=1
	s_or_b64 exec, exec, s[2:3]
	s_waitcnt lgkmcnt(0)
	ds_bpermute_b32 v9, v20, v9
	s_mov_b64 s[2:3], -1
	s_mov_b64 s[26:27], -1
	s_and_saveexec_b64 s[6:7], s[24:25]
	s_cbranch_execz .LBB56_444
; %bb.441:                              ;   in Loop: Header=BB56_434 Depth=1
	v_and_b32_e32 v12, s4, v22
	v_and_b32_e32 v11, s5, v21
	v_bcnt_u32_b32 v12, v12, 0
	v_bcnt_u32_b32 v11, v11, v12
	s_waitcnt lgkmcnt(0)
	v_add_u32_e32 v11, v9, v11
	v_cmp_gt_u32_e64 s[4:5], s37, v11
	s_mov_b64 s[24:25], 0
	s_and_saveexec_b64 s[26:27], s[4:5]
; %bb.442:                              ;   in Loop: Header=BB56_434 Depth=1
	v_mul_lo_u32 v12, v11, s34
	v_mov_b32_e32 v13, v2
	v_mul_lo_u32 v11, v11, s31
	v_mov_b32_e32 v14, s38
	v_lshlrev_b64 v[12:13], 1, v[12:13]
	s_mov_b64 s[24:25], exec
	v_add_co_u32_e64 v12, s[4:5], s35, v12
	v_addc_co_u32_e64 v13, s[4:5], v14, v13, s[4:5]
	global_store_short v[12:13], v4, off
	v_mov_b32_e32 v12, v2
	v_lshlrev_b64 v[11:12], 3, v[11:12]
	v_mov_b32_e32 v13, s40
	v_add_co_u32_e64 v11, s[4:5], s39, v11
	v_mov_b32_e32 v4, v2
	v_addc_co_u32_e64 v12, s[4:5], v13, v12, s[4:5]
	global_store_dwordx2 v[11:12], v[3:4], off
; %bb.443:                              ;   in Loop: Header=BB56_434 Depth=1
	s_or_b64 exec, exec, s[26:27]
	s_orn2_b64 s[26:27], s[24:25], exec
.LBB56_444:                             ;   in Loop: Header=BB56_434 Depth=1
	s_or_b64 exec, exec, s[6:7]
	s_mov_b64 s[6:7], -1
	s_and_saveexec_b64 s[24:25], s[26:27]
	s_cbranch_execz .LBB56_433
; %bb.445:                              ;   in Loop: Header=BB56_434 Depth=1
	v_cmp_le_u32_e64 s[4:5], s30, v8
	v_add_u32_e32 v1, s49, v1
	s_xor_b64 s[6:7], exec, -1
	s_orn2_b64 s[2:3], s[4:5], exec
	s_branch .LBB56_433
.LBB56_446:
	s_or_b64 exec, exec, s[20:21]
	s_mov_b64 s[4:5], exec
	s_orn2_b64 s[2:3], s[22:23], exec
	s_or_b64 exec, exec, s[18:19]
	s_and_saveexec_b64 s[6:7], s[2:3]
	s_cbranch_execz .LBB56_423
.LBB56_447:
	v_mov_b32_e32 v1, 0
	s_waitcnt vmcnt(0) lgkmcnt(0)
	s_barrier
	s_mov_b64 s[2:3], exec
	v_readlane_b32 s8, v49, 17
	v_readlane_b32 s9, v49, 18
	s_and_b64 s[8:9], s[2:3], s[8:9]
	s_mov_b64 exec, s[8:9]
	s_cbranch_execz .LBB56_449
; %bb.448:
	global_load_ushort v1, v[5:6], off
.LBB56_449:
	s_or_b64 exec, exec, s[2:3]
	s_mov_b64 s[2:3], 0
	s_and_saveexec_b64 s[8:9], vcc
	s_cbranch_execz .LBB56_469
; %bb.450:
	v_add_u32_e32 v2, s48, v0
	v_mul_lo_u32 v2, s50, v2
	s_mov_b64 s[18:19], 0
	v_mov_b32_e32 v3, 0
                                        ; implicit-def: $sgpr20_sgpr21
                                        ; implicit-def: $vgpr5
	s_branch .LBB56_453
.LBB56_451:                             ;   in Loop: Header=BB56_453 Depth=1
	s_or_b64 exec, exec, s[24:25]
	s_orn2_b64 s[26:27], s[28:29], exec
	s_orn2_b64 s[24:25], s[22:23], exec
.LBB56_452:                             ;   in Loop: Header=BB56_453 Depth=1
	s_or_b64 exec, exec, s[2:3]
	s_xor_b64 s[2:3], s[26:27], -1
	s_and_b64 s[22:23], exec, s[24:25]
	s_or_b64 s[18:19], s[22:23], s[18:19]
	s_andn2_b64 s[20:21], s[20:21], exec
	s_and_b64 s[2:3], s[2:3], exec
	s_or_b64 s[20:21], s[20:21], s[2:3]
	v_mov_b32_e32 v0, v4
	v_mov_b32_e32 v1, v6
	s_andn2_b64 exec, exec, s[18:19]
	s_cbranch_execz .LBB56_467
.LBB56_453:                             ; =>This Inner Loop Header: Depth=1
	v_add_u32_e32 v4, s48, v0
	v_cmp_gt_u32_e32 vcc, s36, v4
	v_mov_b32_e32 v6, 0
	s_and_saveexec_b64 s[2:3], vcc
	s_cbranch_execz .LBB56_455
; %bb.454:                              ;   in Loop: Header=BB56_453 Depth=1
	v_lshlrev_b64 v[6:7], 1, v[2:3]
	v_mov_b32_e32 v8, s44
	v_add_co_u32_e32 v6, vcc, s33, v6
	v_addc_co_u32_e32 v7, vcc, v8, v7, vcc
	global_load_ushort v6, v[6:7], off
.LBB56_455:                             ;   in Loop: Header=BB56_453 Depth=1
	s_or_b64 exec, exec, s[2:3]
	v_cmp_gt_u32_e32 vcc, s36, v0
	s_waitcnt vmcnt(0)
	v_cmp_eq_u16_e64 s[2:3], v1, v43
	s_and_b64 s[22:23], vcc, s[2:3]
	v_cndmask_b32_e64 v1, 0, 1, s[22:23]
	v_cmp_ne_u32_e32 vcc, 0, v1
	s_cmp_lg_u64 vcc, 0
	s_cselect_b64 s[2:3], -1, 0
	s_and_b64 s[2:3], s[0:1], s[2:3]
	s_and_saveexec_b64 s[24:25], s[2:3]
	s_cbranch_execz .LBB56_459
; %bb.456:                              ;   in Loop: Header=BB56_453 Depth=1
	s_mov_b64 s[28:29], exec
	v_mbcnt_lo_u32_b32 v1, s28, 0
	v_mbcnt_hi_u32_b32 v1, s29, v1
	s_bcnt1_i32_b64 s41, vcc
	v_cmp_eq_u32_e64 s[2:3], 0, v1
                                        ; implicit-def: $vgpr5
	s_and_saveexec_b64 s[26:27], s[2:3]
; %bb.457:                              ;   in Loop: Header=BB56_453 Depth=1
	s_bcnt1_i32_b64 s2, s[28:29]
	s_mul_i32 s2, s41, s2
	v_mov_b32_e32 v5, s2
	ds_add_rtn_u32 v5, v3, v5 offset:4108
; %bb.458:                              ;   in Loop: Header=BB56_453 Depth=1
	s_or_b64 exec, exec, s[26:27]
	s_waitcnt lgkmcnt(0)
	v_readfirstlane_b32 s2, v5
	v_mov_b32_e32 v5, s2
	v_mad_u32_u24 v5, s41, v1, v5
.LBB56_459:                             ;   in Loop: Header=BB56_453 Depth=1
	s_or_b64 exec, exec, s[24:25]
	ds_bpermute_b32 v5, v20, v5
	s_cmp_eq_u64 vcc, 0
	s_cselect_b64 s[26:27], -1, 0
	s_mov_b64 s[24:25], -1
	s_waitcnt lgkmcnt(0)
	v_cmp_gt_u32_e64 s[2:3], s37, v5
	s_or_b64 s[28:29], s[26:27], s[2:3]
	s_mov_b64 s[26:27], -1
	s_and_saveexec_b64 s[2:3], s[28:29]
	s_cbranch_execz .LBB56_452
; %bb.460:                              ;   in Loop: Header=BB56_453 Depth=1
	v_and_b32_e32 v7, vcc_lo, v22
	v_and_b32_e32 v1, vcc_hi, v21
	v_bcnt_u32_b32 v7, v7, 0
	v_bcnt_u32_b32 v1, v1, v7
	v_sub_u32_e32 v7, s37, v5
	v_cmp_gt_u32_e32 vcc, v7, v1
	s_and_b64 s[42:43], s[22:23], vcc
	s_mov_b64 s[22:23], -1
	s_mov_b64 s[28:29], -1
	s_and_saveexec_b64 s[24:25], s[42:43]
	s_cbranch_execz .LBB56_464
; %bb.461:                              ;   in Loop: Header=BB56_453 Depth=1
	v_add_u32_e32 v1, v5, v1
	v_cmp_gt_u32_e32 vcc, s37, v1
	s_mov_b64 s[26:27], 0
	s_and_saveexec_b64 s[28:29], vcc
; %bb.462:                              ;   in Loop: Header=BB56_453 Depth=1
	v_mul_lo_u32 v7, v1, s34
	v_mov_b32_e32 v8, v3
	v_mul_lo_u32 v9, v1, s31
	v_mov_b32_e32 v1, s38
	v_lshlrev_b64 v[7:8], 1, v[7:8]
	v_mov_b32_e32 v10, v3
	v_add_co_u32_e32 v7, vcc, s35, v7
	v_addc_co_u32_e32 v8, vcc, v1, v8, vcc
	global_store_short v[7:8], v43, off
	v_lshlrev_b64 v[7:8], 3, v[9:10]
	v_mov_b32_e32 v9, s40
	v_add_co_u32_e32 v7, vcc, s39, v7
	s_mov_b64 s[26:27], exec
	v_mov_b32_e32 v1, v3
	v_addc_co_u32_e32 v8, vcc, v9, v8, vcc
	global_store_dwordx2 v[7:8], v[0:1], off
; %bb.463:                              ;   in Loop: Header=BB56_453 Depth=1
	s_or_b64 exec, exec, s[28:29]
	s_xor_b64 s[28:29], exec, -1
	s_orn2_b64 s[26:27], s[26:27], exec
.LBB56_464:                             ;   in Loop: Header=BB56_453 Depth=1
	s_or_b64 exec, exec, s[24:25]
	s_and_saveexec_b64 s[24:25], s[26:27]
	s_cbranch_execz .LBB56_451
; %bb.465:                              ;   in Loop: Header=BB56_453 Depth=1
	v_cmp_le_u32_e32 vcc, s30, v4
	v_add_u32_e32 v2, s49, v2
	s_or_b64 s[28:29], s[28:29], exec
	s_orn2_b64 s[22:23], vcc, exec
	s_branch .LBB56_451
.LBB56_466:
	s_or_b64 s[14:15], s[14:15], exec
	s_trap 2
	s_branch .LBB56_430
.LBB56_467:
	s_or_b64 exec, exec, s[18:19]
	s_mov_b64 s[0:1], 0
	s_and_saveexec_b64 s[2:3], s[20:21]
	s_xor_b64 s[2:3], exec, s[2:3]
	s_cbranch_execnz .LBB56_473
.LBB56_468:
	s_or_b64 exec, exec, s[2:3]
	s_and_b64 s[2:3], s[0:1], exec
.LBB56_469:
	s_or_b64 exec, exec, s[8:9]
	s_and_b64 s[8:9], s[2:3], exec
	s_andn2_b64 s[4:5], s[4:5], exec
	s_or_b64 exec, exec, s[6:7]
	s_and_saveexec_b64 s[0:1], s[4:5]
	s_xor_b64 s[0:1], exec, s[0:1]
	s_cbranch_execz .LBB56_424
.LBB56_470:
	s_trap 2
	s_or_b64 s[8:9], s[8:9], exec
	s_branch .LBB56_424
.LBB56_471:
	s_or_b64 s[16:17], s[16:17], exec
	s_trap 2
	s_branch .LBB56_428
.LBB56_472:
	s_trap 2
	s_or_b64 s[18:19], s[18:19], exec
	s_branch .LBB56_426
.LBB56_473:
	s_mov_b64 s[0:1], exec
	s_trap 2
	s_branch .LBB56_468
	.section	.rodata,"a",@progbits
	.p2align	6, 0x0
	.amdhsa_kernel _ZN2at6native6sbtopk10gatherTopKIsjLi1ELb0EEEvNS_4cuda6detail10TensorInfoIKT_T0_EES8_S8_bS8_S8_NS5_IS6_S8_EES8_NS5_IlS8_EES8_PS6_
		.amdhsa_group_segment_fixed_size 4112
		.amdhsa_private_segment_fixed_size 0
		.amdhsa_kernarg_size 952
		.amdhsa_user_sgpr_count 6
		.amdhsa_user_sgpr_private_segment_buffer 1
		.amdhsa_user_sgpr_dispatch_ptr 0
		.amdhsa_user_sgpr_queue_ptr 0
		.amdhsa_user_sgpr_kernarg_segment_ptr 1
		.amdhsa_user_sgpr_dispatch_id 0
		.amdhsa_user_sgpr_flat_scratch_init 0
		.amdhsa_user_sgpr_private_segment_size 0
		.amdhsa_uses_dynamic_stack 0
		.amdhsa_system_sgpr_private_segment_wavefront_offset 0
		.amdhsa_system_sgpr_workgroup_id_x 1
		.amdhsa_system_sgpr_workgroup_id_y 1
		.amdhsa_system_sgpr_workgroup_id_z 1
		.amdhsa_system_sgpr_workgroup_info 0
		.amdhsa_system_vgpr_workitem_id 0
		.amdhsa_next_free_vgpr 50
		.amdhsa_next_free_sgpr 96
		.amdhsa_reserve_vcc 1
		.amdhsa_reserve_flat_scratch 0
		.amdhsa_float_round_mode_32 0
		.amdhsa_float_round_mode_16_64 0
		.amdhsa_float_denorm_mode_32 3
		.amdhsa_float_denorm_mode_16_64 3
		.amdhsa_dx10_clamp 1
		.amdhsa_ieee_mode 1
		.amdhsa_fp16_overflow 0
		.amdhsa_exception_fp_ieee_invalid_op 0
		.amdhsa_exception_fp_denorm_src 0
		.amdhsa_exception_fp_ieee_div_zero 0
		.amdhsa_exception_fp_ieee_overflow 0
		.amdhsa_exception_fp_ieee_underflow 0
		.amdhsa_exception_fp_ieee_inexact 0
		.amdhsa_exception_int_div_zero 0
	.end_amdhsa_kernel
	.section	.text._ZN2at6native6sbtopk10gatherTopKIsjLi1ELb0EEEvNS_4cuda6detail10TensorInfoIKT_T0_EES8_S8_bS8_S8_NS5_IS6_S8_EES8_NS5_IlS8_EES8_PS6_,"axG",@progbits,_ZN2at6native6sbtopk10gatherTopKIsjLi1ELb0EEEvNS_4cuda6detail10TensorInfoIKT_T0_EES8_S8_bS8_S8_NS5_IS6_S8_EES8_NS5_IlS8_EES8_PS6_,comdat
.Lfunc_end56:
	.size	_ZN2at6native6sbtopk10gatherTopKIsjLi1ELb0EEEvNS_4cuda6detail10TensorInfoIKT_T0_EES8_S8_bS8_S8_NS5_IS6_S8_EES8_NS5_IlS8_EES8_PS6_, .Lfunc_end56-_ZN2at6native6sbtopk10gatherTopKIsjLi1ELb0EEEvNS_4cuda6detail10TensorInfoIKT_T0_EES8_S8_bS8_S8_NS5_IS6_S8_EES8_NS5_IlS8_EES8_PS6_
                                        ; -- End function
	.set _ZN2at6native6sbtopk10gatherTopKIsjLi1ELb0EEEvNS_4cuda6detail10TensorInfoIKT_T0_EES8_S8_bS8_S8_NS5_IS6_S8_EES8_NS5_IlS8_EES8_PS6_.num_vgpr, 50
	.set _ZN2at6native6sbtopk10gatherTopKIsjLi1ELb0EEEvNS_4cuda6detail10TensorInfoIKT_T0_EES8_S8_bS8_S8_NS5_IS6_S8_EES8_NS5_IlS8_EES8_PS6_.num_agpr, 0
	.set _ZN2at6native6sbtopk10gatherTopKIsjLi1ELb0EEEvNS_4cuda6detail10TensorInfoIKT_T0_EES8_S8_bS8_S8_NS5_IS6_S8_EES8_NS5_IlS8_EES8_PS6_.numbered_sgpr, 96
	.set _ZN2at6native6sbtopk10gatherTopKIsjLi1ELb0EEEvNS_4cuda6detail10TensorInfoIKT_T0_EES8_S8_bS8_S8_NS5_IS6_S8_EES8_NS5_IlS8_EES8_PS6_.num_named_barrier, 0
	.set _ZN2at6native6sbtopk10gatherTopKIsjLi1ELb0EEEvNS_4cuda6detail10TensorInfoIKT_T0_EES8_S8_bS8_S8_NS5_IS6_S8_EES8_NS5_IlS8_EES8_PS6_.private_seg_size, 0
	.set _ZN2at6native6sbtopk10gatherTopKIsjLi1ELb0EEEvNS_4cuda6detail10TensorInfoIKT_T0_EES8_S8_bS8_S8_NS5_IS6_S8_EES8_NS5_IlS8_EES8_PS6_.uses_vcc, 1
	.set _ZN2at6native6sbtopk10gatherTopKIsjLi1ELb0EEEvNS_4cuda6detail10TensorInfoIKT_T0_EES8_S8_bS8_S8_NS5_IS6_S8_EES8_NS5_IlS8_EES8_PS6_.uses_flat_scratch, 0
	.set _ZN2at6native6sbtopk10gatherTopKIsjLi1ELb0EEEvNS_4cuda6detail10TensorInfoIKT_T0_EES8_S8_bS8_S8_NS5_IS6_S8_EES8_NS5_IlS8_EES8_PS6_.has_dyn_sized_stack, 0
	.set _ZN2at6native6sbtopk10gatherTopKIsjLi1ELb0EEEvNS_4cuda6detail10TensorInfoIKT_T0_EES8_S8_bS8_S8_NS5_IS6_S8_EES8_NS5_IlS8_EES8_PS6_.has_recursion, 0
	.set _ZN2at6native6sbtopk10gatherTopKIsjLi1ELb0EEEvNS_4cuda6detail10TensorInfoIKT_T0_EES8_S8_bS8_S8_NS5_IS6_S8_EES8_NS5_IlS8_EES8_PS6_.has_indirect_call, 0
	.section	.AMDGPU.csdata,"",@progbits
; Kernel info:
; codeLenInByte = 16196
; TotalNumSgprs: 100
; NumVgprs: 50
; ScratchSize: 0
; MemoryBound: 0
; FloatMode: 240
; IeeeMode: 1
; LDSByteSize: 4112 bytes/workgroup (compile time only)
; SGPRBlocks: 12
; VGPRBlocks: 12
; NumSGPRsForWavesPerEU: 100
; NumVGPRsForWavesPerEU: 50
; Occupancy: 4
; WaveLimiterHint : 1
; COMPUTE_PGM_RSRC2:SCRATCH_EN: 0
; COMPUTE_PGM_RSRC2:USER_SGPR: 6
; COMPUTE_PGM_RSRC2:TRAP_HANDLER: 0
; COMPUTE_PGM_RSRC2:TGID_X_EN: 1
; COMPUTE_PGM_RSRC2:TGID_Y_EN: 1
; COMPUTE_PGM_RSRC2:TGID_Z_EN: 1
; COMPUTE_PGM_RSRC2:TIDIG_COMP_CNT: 0
	.section	.text._ZN2at6native6mbtopk23computeBlockDigitCountsIsjjLi2EEEvNS_4cuda6detail10TensorInfoIKT_T0_EEjPjjS8_iijT1_PSB_Ps,"axG",@progbits,_ZN2at6native6mbtopk23computeBlockDigitCountsIsjjLi2EEEvNS_4cuda6detail10TensorInfoIKT_T0_EEjPjjS8_iijT1_PSB_Ps,comdat
	.protected	_ZN2at6native6mbtopk23computeBlockDigitCountsIsjjLi2EEEvNS_4cuda6detail10TensorInfoIKT_T0_EEjPjjS8_iijT1_PSB_Ps ; -- Begin function _ZN2at6native6mbtopk23computeBlockDigitCountsIsjjLi2EEEvNS_4cuda6detail10TensorInfoIKT_T0_EEjPjjS8_iijT1_PSB_Ps
	.globl	_ZN2at6native6mbtopk23computeBlockDigitCountsIsjjLi2EEEvNS_4cuda6detail10TensorInfoIKT_T0_EEjPjjS8_iijT1_PSB_Ps
	.p2align	8
	.type	_ZN2at6native6mbtopk23computeBlockDigitCountsIsjjLi2EEEvNS_4cuda6detail10TensorInfoIKT_T0_EEjPjjS8_iijT1_PSB_Ps,@function
_ZN2at6native6mbtopk23computeBlockDigitCountsIsjjLi2EEEvNS_4cuda6detail10TensorInfoIKT_T0_EEjPjjS8_iijT1_PSB_Ps: ; @_ZN2at6native6mbtopk23computeBlockDigitCountsIsjjLi2EEEvNS_4cuda6detail10TensorInfoIKT_T0_EEjPjjS8_iijT1_PSB_Ps
; %bb.0:
	s_load_dwordx2 s[10:11], s[4:5], 0xf8
	s_load_dwordx4 s[12:15], s[4:5], 0xe8
	s_load_dwordx2 s[0:1], s[4:5], 0x110
	s_waitcnt lgkmcnt(0)
	v_cvt_f32_u32_e32 v1, s10
	s_sub_i32 s2, 0, s10
	s_mul_i32 s1, s1, s8
	s_add_i32 s1, s1, s7
	v_rcp_iflag_f32_e32 v1, v1
	s_mul_i32 s16, s1, s0
	s_add_i32 s16, s16, s6
	s_mov_b32 s7, 0
	v_mul_f32_e32 v1, 0x4f7ffffe, v1
	v_cvt_u32_f32_e32 v1, v1
	v_readfirstlane_b32 s0, v1
	s_mul_i32 s2, s2, s0
	s_mul_hi_u32 s1, s0, s2
	s_add_i32 s0, s0, s1
	s_mul_hi_u32 s0, s16, s0
	s_mul_i32 s1, s0, s10
	s_sub_i32 s1, s16, s1
	s_add_i32 s2, s0, 1
	s_sub_i32 s3, s1, s10
	s_cmp_ge_u32 s1, s10
	s_cselect_b32 s0, s2, s0
	s_cselect_b32 s1, s3, s1
	s_add_i32 s2, s0, 1
	s_cmp_ge_u32 s1, s10
	s_cselect_b32 s6, s2, s0
	s_cmp_ge_u32 s6, s12
	s_cbranch_scc1 .LBB57_27
; %bb.1:
	s_load_dword s12, s[4:5], 0xc
	s_load_dwordx4 s[0:3], s[4:5], 0x100
	s_lshl_b64 s[8:9], s[6:7], 2
	s_movk_i32 s7, 0x100
	v_cmp_gt_u32_e32 vcc, s7, v0
	s_waitcnt lgkmcnt(0)
	v_cvt_f32_u32_e32 v1, s12
	s_add_u32 s0, s0, s8
	s_addc_u32 s1, s1, s9
	v_lshlrev_b32_e32 v3, 2, v0
	v_rcp_iflag_f32_e32 v1, v1
	v_mul_f32_e32 v1, 0x4f7ffffe, v1
	v_cvt_u32_f32_e32 v1, v1
	v_readfirstlane_b32 s18, v1
	s_and_saveexec_b64 s[8:9], vcc
; %bb.2:
	v_mov_b32_e32 v1, 0
	ds_write_b32 v3, v1
; %bb.3:
	s_or_b64 exec, exec, s[8:9]
	s_load_dword s8, s[4:5], 0xd8
	s_mul_i32 s7, s6, s10
	s_sub_i32 s7, s16, s7
	s_add_i32 s9, s7, 1
	s_mul_i32 s7, s15, s7
	s_lshl_b32 s17, s7, 8
	s_waitcnt lgkmcnt(0)
	s_sub_i32 s7, s8, s17
	s_add_u32 s20, s7, 0xff
	s_addc_u32 s21, 0, 0
	s_lshr_b64 s[20:21], s[20:21], 8
	s_cmp_lt_u32 s9, s10
	s_cselect_b32 s15, s15, s20
	s_cmp_lt_i32 s15, 1
	s_mov_b32 s7, 0
	s_barrier
	s_cbranch_scc1 .LBB57_25
; %bb.4:
	s_sub_i32 s9, 0, s12
	s_mul_i32 s9, s9, s18
	s_mul_hi_u32 s9, s18, s9
	s_add_i32 s9, s18, s9
	s_load_dwordx2 s[18:19], s[4:5], 0x6c
	s_load_dwordx2 s[20:21], s[4:5], 0x0
	s_mul_hi_u32 s4, s6, s9
	s_load_dword s9, s[0:1], 0x0
	s_mul_i32 s0, s4, s12
	s_sub_i32 s0, s6, s0
	s_add_i32 s1, s4, 1
	s_sub_i32 s5, s0, s12
	s_cmp_ge_u32 s0, s12
	s_cselect_b32 s1, s1, s4
	s_cselect_b32 s0, s5, s0
	s_add_i32 s4, s1, 1
	s_cmp_ge_u32 s0, s12
	s_cselect_b32 s0, s4, s1
	s_mul_i32 s1, s0, s12
	s_sub_i32 s1, s6, s1
	s_waitcnt lgkmcnt(0)
	s_mul_i32 s1, s1, s19
	s_mul_i32 s0, s0, s18
	s_add_i32 s6, s0, s1
	s_lshl_b64 s[0:1], s[6:7], 1
	s_add_u32 s6, s20, s0
	s_addc_u32 s10, s21, s1
	s_and_b32 s12, s14, 0xff
	s_cmp_lt_u32 s15, 4
	s_cbranch_scc1 .LBB57_19
; %bb.5:
	v_add_u32_e32 v1, s17, v0
	v_add_u32_e32 v2, 0x200, v1
	;; [unrolled: 1-line block ×3, first 2 shown]
	v_mul_lo_u32 v6, s13, v2
	v_add_u32_e32 v2, 0x100, v1
	v_mul_lo_u32 v5, s13, v4
	v_mul_lo_u32 v7, s13, v2
	;; [unrolled: 1-line block ×3, first 2 shown]
	s_and_b32 s7, s15, 0x7ffffffc
	s_lshl_b32 s14, s13, 10
	s_mov_b32 s18, 0
	v_mov_b32_e32 v2, 0
	v_mov_b32_e32 v9, 1
	s_mov_b32 s19, 0
	s_branch .LBB57_7
.LBB57_6:                               ;   in Loop: Header=BB57_7 Depth=1
	s_or_b64 exec, exec, s[4:5]
	s_add_i32 s19, s19, 4
	s_add_i32 s18, s18, s14
	s_cmp_eq_u32 s7, s19
	v_add_u32_e32 v4, 0x400, v4
	s_cbranch_scc1 .LBB57_19
.LBB57_7:                               ; =>This Inner Loop Header: Depth=1
	v_add_u32_e32 v1, 0xfffffd00, v4
	v_cmp_gt_u32_e64 s[0:1], s8, v1
	s_and_saveexec_b64 s[4:5], s[0:1]
	s_cbranch_execz .LBB57_10
; %bb.8:                                ;   in Loop: Header=BB57_7 Depth=1
	v_add_u32_e32 v1, s18, v8
	v_lshlrev_b64 v[10:11], 1, v[1:2]
	v_mov_b32_e32 v1, s10
	v_add_co_u32_e64 v10, s[0:1], s6, v10
	v_addc_co_u32_e64 v11, s[0:1], v1, v11, s[0:1]
	global_load_sshort v1, v[10:11], off
	s_waitcnt vmcnt(0)
	v_add_u32_e32 v1, 0x8000, v1
	v_xor_b32_e32 v10, s9, v1
	v_and_b32_e32 v10, s11, v10
	v_cmp_eq_u32_e64 s[0:1], 0, v10
	s_and_b64 exec, exec, s[0:1]
; %bb.9:                                ;   in Loop: Header=BB57_7 Depth=1
	v_bfe_u32 v1, v1, s12, 8
	v_lshlrev_b32_e32 v1, 2, v1
	ds_add_u32 v1, v9
.LBB57_10:                              ;   in Loop: Header=BB57_7 Depth=1
	s_or_b64 exec, exec, s[4:5]
	v_add_u32_e32 v1, 0xfffffe00, v4
	v_cmp_gt_u32_e64 s[0:1], s8, v1
	s_and_saveexec_b64 s[4:5], s[0:1]
	s_cbranch_execz .LBB57_13
; %bb.11:                               ;   in Loop: Header=BB57_7 Depth=1
	v_add_u32_e32 v1, s18, v7
	v_lshlrev_b64 v[10:11], 1, v[1:2]
	v_mov_b32_e32 v1, s10
	v_add_co_u32_e64 v10, s[0:1], s6, v10
	v_addc_co_u32_e64 v11, s[0:1], v1, v11, s[0:1]
	global_load_sshort v1, v[10:11], off
	s_waitcnt vmcnt(0)
	v_add_u32_e32 v1, 0x8000, v1
	v_xor_b32_e32 v10, s9, v1
	v_and_b32_e32 v10, s11, v10
	v_cmp_eq_u32_e64 s[0:1], 0, v10
	s_and_b64 exec, exec, s[0:1]
; %bb.12:                               ;   in Loop: Header=BB57_7 Depth=1
	v_bfe_u32 v1, v1, s12, 8
	v_lshlrev_b32_e32 v1, 2, v1
	ds_add_u32 v1, v9
.LBB57_13:                              ;   in Loop: Header=BB57_7 Depth=1
	s_or_b64 exec, exec, s[4:5]
	v_add_u32_e32 v1, 0xffffff00, v4
	v_cmp_gt_u32_e64 s[0:1], s8, v1
	s_and_saveexec_b64 s[4:5], s[0:1]
	s_cbranch_execz .LBB57_16
; %bb.14:                               ;   in Loop: Header=BB57_7 Depth=1
	v_add_u32_e32 v1, s18, v6
	v_lshlrev_b64 v[10:11], 1, v[1:2]
	v_mov_b32_e32 v1, s10
	v_add_co_u32_e64 v10, s[0:1], s6, v10
	v_addc_co_u32_e64 v11, s[0:1], v1, v11, s[0:1]
	global_load_sshort v1, v[10:11], off
	s_waitcnt vmcnt(0)
	v_add_u32_e32 v1, 0x8000, v1
	v_xor_b32_e32 v10, s9, v1
	v_and_b32_e32 v10, s11, v10
	v_cmp_eq_u32_e64 s[0:1], 0, v10
	s_and_b64 exec, exec, s[0:1]
; %bb.15:                               ;   in Loop: Header=BB57_7 Depth=1
	v_bfe_u32 v1, v1, s12, 8
	v_lshlrev_b32_e32 v1, 2, v1
	ds_add_u32 v1, v9
.LBB57_16:                              ;   in Loop: Header=BB57_7 Depth=1
	s_or_b64 exec, exec, s[4:5]
	v_cmp_gt_u32_e64 s[0:1], s8, v4
	s_and_saveexec_b64 s[4:5], s[0:1]
	s_cbranch_execz .LBB57_6
; %bb.17:                               ;   in Loop: Header=BB57_7 Depth=1
	v_add_u32_e32 v1, s18, v5
	v_lshlrev_b64 v[10:11], 1, v[1:2]
	v_mov_b32_e32 v1, s10
	v_add_co_u32_e64 v10, s[0:1], s6, v10
	v_addc_co_u32_e64 v11, s[0:1], v1, v11, s[0:1]
	global_load_sshort v1, v[10:11], off
	s_waitcnt vmcnt(0)
	v_add_u32_e32 v1, 0x8000, v1
	v_xor_b32_e32 v10, s9, v1
	v_and_b32_e32 v10, s11, v10
	v_cmp_eq_u32_e64 s[0:1], 0, v10
	s_and_b64 exec, exec, s[0:1]
	s_cbranch_execz .LBB57_6
; %bb.18:                               ;   in Loop: Header=BB57_7 Depth=1
	v_bfe_u32 v1, v1, s12, 8
	v_lshlrev_b32_e32 v1, 2, v1
	ds_add_u32 v1, v9
	s_branch .LBB57_6
.LBB57_19:
	s_and_b32 s14, s15, 3
	s_cmp_eq_u32 s14, 0
	s_cbranch_scc1 .LBB57_25
; %bb.20:
	s_lshl_b32 s0, s7, 8
	s_add_i32 s0, s0, s17
	v_add_u32_e32 v4, s0, v0
	v_mul_lo_u32 v1, s13, v4
	s_lshl_b32 s7, s13, 8
	v_mov_b32_e32 v2, 0
	v_mov_b32_e32 v5, 1
	s_branch .LBB57_22
.LBB57_21:                              ;   in Loop: Header=BB57_22 Depth=1
	s_or_b64 exec, exec, s[4:5]
	s_add_i32 s14, s14, -1
	v_add_u32_e32 v1, s7, v1
	s_cmp_lg_u32 s14, 0
	v_add_u32_e32 v4, 0x100, v4
	s_cbranch_scc0 .LBB57_25
.LBB57_22:                              ; =>This Inner Loop Header: Depth=1
	v_cmp_gt_u32_e64 s[0:1], s8, v4
	s_and_saveexec_b64 s[4:5], s[0:1]
	s_cbranch_execz .LBB57_21
; %bb.23:                               ;   in Loop: Header=BB57_22 Depth=1
	v_lshlrev_b64 v[6:7], 1, v[1:2]
	v_mov_b32_e32 v8, s10
	v_add_co_u32_e64 v6, s[0:1], s6, v6
	v_addc_co_u32_e64 v7, s[0:1], v8, v7, s[0:1]
	global_load_sshort v6, v[6:7], off
	s_waitcnt vmcnt(0)
	v_add_u32_e32 v6, 0x8000, v6
	v_xor_b32_e32 v7, s9, v6
	v_and_b32_e32 v7, s11, v7
	v_cmp_eq_u32_e64 s[0:1], 0, v7
	s_and_b64 exec, exec, s[0:1]
	s_cbranch_execz .LBB57_21
; %bb.24:                               ;   in Loop: Header=BB57_22 Depth=1
	v_bfe_u32 v6, v6, s12, 8
	v_lshlrev_b32_e32 v6, 2, v6
	ds_add_u32 v6, v5
	s_branch .LBB57_21
.LBB57_25:
	s_waitcnt lgkmcnt(0)
	s_barrier
	s_and_saveexec_b64 s[0:1], vcc
	s_cbranch_execz .LBB57_27
; %bb.26:
	v_lshl_or_b32 v0, s16, 8, v0
	v_mov_b32_e32 v1, 0
	ds_read_b32 v3, v3
	v_lshlrev_b64 v[0:1], 1, v[0:1]
	v_mov_b32_e32 v2, s3
	v_add_co_u32_e32 v0, vcc, s2, v0
	v_addc_co_u32_e32 v1, vcc, v2, v1, vcc
	s_waitcnt lgkmcnt(0)
	global_store_short v[0:1], v3, off
.LBB57_27:
	s_endpgm
	.section	.rodata,"a",@progbits
	.p2align	6, 0x0
	.amdhsa_kernel _ZN2at6native6mbtopk23computeBlockDigitCountsIsjjLi2EEEvNS_4cuda6detail10TensorInfoIKT_T0_EEjPjjS8_iijT1_PSB_Ps
		.amdhsa_group_segment_fixed_size 1024
		.amdhsa_private_segment_fixed_size 0
		.amdhsa_kernarg_size 528
		.amdhsa_user_sgpr_count 6
		.amdhsa_user_sgpr_private_segment_buffer 1
		.amdhsa_user_sgpr_dispatch_ptr 0
		.amdhsa_user_sgpr_queue_ptr 0
		.amdhsa_user_sgpr_kernarg_segment_ptr 1
		.amdhsa_user_sgpr_dispatch_id 0
		.amdhsa_user_sgpr_flat_scratch_init 0
		.amdhsa_user_sgpr_private_segment_size 0
		.amdhsa_uses_dynamic_stack 0
		.amdhsa_system_sgpr_private_segment_wavefront_offset 0
		.amdhsa_system_sgpr_workgroup_id_x 1
		.amdhsa_system_sgpr_workgroup_id_y 1
		.amdhsa_system_sgpr_workgroup_id_z 1
		.amdhsa_system_sgpr_workgroup_info 0
		.amdhsa_system_vgpr_workitem_id 0
		.amdhsa_next_free_vgpr 12
		.amdhsa_next_free_sgpr 22
		.amdhsa_reserve_vcc 1
		.amdhsa_reserve_flat_scratch 0
		.amdhsa_float_round_mode_32 0
		.amdhsa_float_round_mode_16_64 0
		.amdhsa_float_denorm_mode_32 3
		.amdhsa_float_denorm_mode_16_64 3
		.amdhsa_dx10_clamp 1
		.amdhsa_ieee_mode 1
		.amdhsa_fp16_overflow 0
		.amdhsa_exception_fp_ieee_invalid_op 0
		.amdhsa_exception_fp_denorm_src 0
		.amdhsa_exception_fp_ieee_div_zero 0
		.amdhsa_exception_fp_ieee_overflow 0
		.amdhsa_exception_fp_ieee_underflow 0
		.amdhsa_exception_fp_ieee_inexact 0
		.amdhsa_exception_int_div_zero 0
	.end_amdhsa_kernel
	.section	.text._ZN2at6native6mbtopk23computeBlockDigitCountsIsjjLi2EEEvNS_4cuda6detail10TensorInfoIKT_T0_EEjPjjS8_iijT1_PSB_Ps,"axG",@progbits,_ZN2at6native6mbtopk23computeBlockDigitCountsIsjjLi2EEEvNS_4cuda6detail10TensorInfoIKT_T0_EEjPjjS8_iijT1_PSB_Ps,comdat
.Lfunc_end57:
	.size	_ZN2at6native6mbtopk23computeBlockDigitCountsIsjjLi2EEEvNS_4cuda6detail10TensorInfoIKT_T0_EEjPjjS8_iijT1_PSB_Ps, .Lfunc_end57-_ZN2at6native6mbtopk23computeBlockDigitCountsIsjjLi2EEEvNS_4cuda6detail10TensorInfoIKT_T0_EEjPjjS8_iijT1_PSB_Ps
                                        ; -- End function
	.set _ZN2at6native6mbtopk23computeBlockDigitCountsIsjjLi2EEEvNS_4cuda6detail10TensorInfoIKT_T0_EEjPjjS8_iijT1_PSB_Ps.num_vgpr, 12
	.set _ZN2at6native6mbtopk23computeBlockDigitCountsIsjjLi2EEEvNS_4cuda6detail10TensorInfoIKT_T0_EEjPjjS8_iijT1_PSB_Ps.num_agpr, 0
	.set _ZN2at6native6mbtopk23computeBlockDigitCountsIsjjLi2EEEvNS_4cuda6detail10TensorInfoIKT_T0_EEjPjjS8_iijT1_PSB_Ps.numbered_sgpr, 22
	.set _ZN2at6native6mbtopk23computeBlockDigitCountsIsjjLi2EEEvNS_4cuda6detail10TensorInfoIKT_T0_EEjPjjS8_iijT1_PSB_Ps.num_named_barrier, 0
	.set _ZN2at6native6mbtopk23computeBlockDigitCountsIsjjLi2EEEvNS_4cuda6detail10TensorInfoIKT_T0_EEjPjjS8_iijT1_PSB_Ps.private_seg_size, 0
	.set _ZN2at6native6mbtopk23computeBlockDigitCountsIsjjLi2EEEvNS_4cuda6detail10TensorInfoIKT_T0_EEjPjjS8_iijT1_PSB_Ps.uses_vcc, 1
	.set _ZN2at6native6mbtopk23computeBlockDigitCountsIsjjLi2EEEvNS_4cuda6detail10TensorInfoIKT_T0_EEjPjjS8_iijT1_PSB_Ps.uses_flat_scratch, 0
	.set _ZN2at6native6mbtopk23computeBlockDigitCountsIsjjLi2EEEvNS_4cuda6detail10TensorInfoIKT_T0_EEjPjjS8_iijT1_PSB_Ps.has_dyn_sized_stack, 0
	.set _ZN2at6native6mbtopk23computeBlockDigitCountsIsjjLi2EEEvNS_4cuda6detail10TensorInfoIKT_T0_EEjPjjS8_iijT1_PSB_Ps.has_recursion, 0
	.set _ZN2at6native6mbtopk23computeBlockDigitCountsIsjjLi2EEEvNS_4cuda6detail10TensorInfoIKT_T0_EEjPjjS8_iijT1_PSB_Ps.has_indirect_call, 0
	.section	.AMDGPU.csdata,"",@progbits
; Kernel info:
; codeLenInByte = 1296
; TotalNumSgprs: 26
; NumVgprs: 12
; ScratchSize: 0
; MemoryBound: 0
; FloatMode: 240
; IeeeMode: 1
; LDSByteSize: 1024 bytes/workgroup (compile time only)
; SGPRBlocks: 3
; VGPRBlocks: 2
; NumSGPRsForWavesPerEU: 26
; NumVGPRsForWavesPerEU: 12
; Occupancy: 10
; WaveLimiterHint : 1
; COMPUTE_PGM_RSRC2:SCRATCH_EN: 0
; COMPUTE_PGM_RSRC2:USER_SGPR: 6
; COMPUTE_PGM_RSRC2:TRAP_HANDLER: 0
; COMPUTE_PGM_RSRC2:TGID_X_EN: 1
; COMPUTE_PGM_RSRC2:TGID_Y_EN: 1
; COMPUTE_PGM_RSRC2:TGID_Z_EN: 1
; COMPUTE_PGM_RSRC2:TIDIG_COMP_CNT: 0
	.section	.text._ZN2at6native6mbtopk10gatherTopKIsjLi2EEEvNS_4cuda6detail10TensorInfoIKT_T0_EES8_S8_bjS8_NS5_IS6_S8_EES8_NS5_IlS8_EES8_jjPS6_PjSD_j,"axG",@progbits,_ZN2at6native6mbtopk10gatherTopKIsjLi2EEEvNS_4cuda6detail10TensorInfoIKT_T0_EES8_S8_bjS8_NS5_IS6_S8_EES8_NS5_IlS8_EES8_jjPS6_PjSD_j,comdat
	.protected	_ZN2at6native6mbtopk10gatherTopKIsjLi2EEEvNS_4cuda6detail10TensorInfoIKT_T0_EES8_S8_bjS8_NS5_IS6_S8_EES8_NS5_IlS8_EES8_jjPS6_PjSD_j ; -- Begin function _ZN2at6native6mbtopk10gatherTopKIsjLi2EEEvNS_4cuda6detail10TensorInfoIKT_T0_EES8_S8_bjS8_NS5_IS6_S8_EES8_NS5_IlS8_EES8_jjPS6_PjSD_j
	.globl	_ZN2at6native6mbtopk10gatherTopKIsjLi2EEEvNS_4cuda6detail10TensorInfoIKT_T0_EES8_S8_bjS8_NS5_IS6_S8_EES8_NS5_IlS8_EES8_jjPS6_PjSD_j
	.p2align	8
	.type	_ZN2at6native6mbtopk10gatherTopKIsjLi2EEEvNS_4cuda6detail10TensorInfoIKT_T0_EES8_S8_bjS8_NS5_IS6_S8_EES8_NS5_IlS8_EES8_jjPS6_PjSD_j,@function
_ZN2at6native6mbtopk10gatherTopKIsjLi2EEEvNS_4cuda6detail10TensorInfoIKT_T0_EES8_S8_bjS8_NS5_IS6_S8_EES8_NS5_IlS8_EES8_jjPS6_PjSD_j: ; @_ZN2at6native6mbtopk10gatherTopKIsjLi2EEEvNS_4cuda6detail10TensorInfoIKT_T0_EES8_S8_bjS8_NS5_IS6_S8_EES8_NS5_IlS8_EES8_jjPS6_PjSD_j
; %bb.0:
	s_load_dwordx2 s[0:1], s[4:5], 0x2d8
	s_load_dword s2, s[4:5], 0x2d0
	s_waitcnt lgkmcnt(0)
	s_mul_i32 s1, s1, s8
	s_add_i32 s1, s1, s7
	s_mul_i32 s0, s1, s0
	s_add_i32 s0, s0, s6
	s_cmp_ge_u32 s0, s2
	s_cbranch_scc1 .LBB58_40
; %bb.1:
	s_load_dwordx8 s[8:15], s[4:5], 0x2a8
	s_load_dword s41, s[4:5], 0xc
	s_load_dword s33, s[4:5], 0x1dc
	s_load_dwordx2 s[6:7], s[4:5], 0x1d0
	s_load_dword s40, s[4:5], 0xfc
	s_mov_b32 s21, 0
	s_waitcnt lgkmcnt(0)
	v_cvt_f32_u32_e32 v1, s10
	v_cvt_f32_u32_e32 v2, s41
	s_sub_i32 s1, 0, s10
	v_cvt_f32_u32_e32 v3, s40
	v_rcp_iflag_f32_e32 v1, v1
	v_rcp_iflag_f32_e32 v2, v2
	v_mul_f32_e32 v1, 0x4f7ffffe, v1
	v_cvt_u32_f32_e32 v1, v1
	v_mul_f32_e32 v2, 0x4f7ffffe, v2
	v_cvt_u32_f32_e32 v2, v2
	v_readfirstlane_b32 s2, v1
	s_mul_i32 s1, s1, s2
	s_mul_hi_u32 s1, s2, s1
	s_add_i32 s2, s2, s1
	s_mul_hi_u32 s1, s0, s2
	s_mul_i32 s2, s1, s10
	s_sub_i32 s2, s0, s2
	s_add_i32 s3, s1, 1
	s_sub_i32 s11, s2, s10
	s_cmp_ge_u32 s2, s10
	s_cselect_b32 s1, s3, s1
	s_cselect_b32 s2, s11, s2
	s_add_i32 s3, s1, 1
	s_cmp_ge_u32 s2, s10
	v_rcp_iflag_f32_e32 v1, v3
	s_cselect_b32 s20, s3, s1
	v_readfirstlane_b32 s1, v2
	v_cvt_f32_u32_e32 v2, s33
	v_mul_f32_e32 v1, 0x4f7ffffe, v1
	s_mul_i32 s16, s20, s10
	v_cvt_u32_f32_e32 v1, v1
	v_rcp_iflag_f32_e32 v2, v2
	s_sub_i32 s11, s0, s16
	s_sub_i32 s0, 0, s41
	s_mul_i32 s0, s0, s1
	s_mul_hi_u32 s0, s1, s0
	s_add_i32 s2, s1, s0
	v_readfirstlane_b32 s1, v1
	v_mul_f32_e32 v1, 0x4f7ffffe, v2
	v_cvt_u32_f32_e32 v1, v1
	s_sub_i32 s0, 0, s40
	s_mul_i32 s0, s0, s1
	s_mul_hi_u32 s0, s1, s0
	s_add_i32 s3, s1, s0
	s_sub_i32 s0, 0, s33
	v_readfirstlane_b32 s1, v1
	s_mul_i32 s0, s0, s1
	s_mul_hi_u32 s0, s1, s0
	s_add_i32 s17, s1, s0
	s_lshl_b64 s[0:1], s[20:21], 1
	s_add_u32 s0, s12, s0
	s_addc_u32 s1, s13, s1
	v_mov_b32_e32 v1, 0
	global_load_ushort v6, v1, s[0:1]
	s_load_dwordx2 s[28:29], s[4:5], 0x15c
	s_load_dwordx2 s[22:23], s[4:5], 0xf0
	;; [unrolled: 1-line block ×5, first 2 shown]
	s_mul_hi_u32 s44, s20, s2
	s_mul_hi_u32 s43, s20, s3
	;; [unrolled: 1-line block ×3, first 2 shown]
	v_cmp_ne_u32_e64 s[0:1], 0, v0
	v_cmp_eq_u32_e64 s[2:3], 0, v0
	s_and_saveexec_b64 s[12:13], s[2:3]
	s_cbranch_execz .LBB58_17
; %bb.2:
	s_load_dwordx2 s[34:35], s[4:5], 0x2c8
	s_mov_b32 s17, s21
	s_lshl_b64 s[36:37], s[16:17], 2
	s_add_u32 s16, s14, s36
	s_addc_u32 s17, s15, s37
	s_waitcnt lgkmcnt(0)
	s_add_u32 s18, s34, s36
	s_addc_u32 s19, s35, s37
	s_cmp_lt_u32 s10, 4
	s_cbranch_scc1 .LBB58_14
; %bb.3:
	s_mov_b32 s45, s21
	s_mov_b32 s46, s21
	;; [unrolled: 1-line block ×3, first 2 shown]
.LBB58_4:                               ; =>This Inner Loop Header: Depth=1
	s_add_u32 s38, s14, s36
	s_addc_u32 s39, s15, s37
	s_load_dwordx4 s[16:19], s[38:39], 0x0
	s_add_u32 s38, s34, s36
	s_addc_u32 s39, s35, s37
	s_cmp_ge_u32 s47, s11
	s_cbranch_scc0 .LBB58_11
; %bb.5:                                ;   in Loop: Header=BB58_4 Depth=1
	s_add_i32 s48, s47, 1
	s_cmp_ge_u32 s48, s11
	s_cbranch_scc0 .LBB58_12
.LBB58_6:                               ;   in Loop: Header=BB58_4 Depth=1
	s_add_i32 s48, s48, 1
	s_cmp_ge_u32 s48, s11
	s_cbranch_scc0 .LBB58_13
.LBB58_7:                               ;   in Loop: Header=BB58_4 Depth=1
	s_add_i32 s48, s48, 1
	s_cmp_ge_u32 s48, s11
	s_cbranch_scc1 .LBB58_9
.LBB58_8:                               ;   in Loop: Header=BB58_4 Depth=1
	s_load_dword s38, s[38:39], 0xc
	s_waitcnt lgkmcnt(0)
	s_add_i32 s21, s21, s19
	s_add_i32 s45, s38, s45
.LBB58_9:                               ;   in Loop: Header=BB58_4 Depth=1
	s_waitcnt lgkmcnt(0)
	s_add_i32 s16, s16, s46
	s_add_i32 s16, s16, s17
	;; [unrolled: 1-line block ×4, first 2 shown]
	s_add_u32 s14, s14, 16
	s_addc_u32 s15, s15, 0
	s_add_u32 s34, s34, 16
	s_addc_u32 s35, s35, 0
	s_add_i32 s39, s48, 4
	s_add_u32 s18, s34, s36
	s_addc_u32 s19, s35, s37
	s_add_u32 s16, s14, s36
	s_addc_u32 s17, s15, s37
	s_add_i32 s38, s48, 1
	s_cmp_ge_u32 s39, s10
	s_cbranch_scc1 .LBB58_15
; %bb.10:                               ;   in Loop: Header=BB58_4 Depth=1
	s_mov_b32 s47, s38
	s_branch .LBB58_4
.LBB58_11:                              ;   in Loop: Header=BB58_4 Depth=1
	s_load_dword s48, s[38:39], 0x0
	s_waitcnt lgkmcnt(0)
	s_add_i32 s21, s16, s21
	s_add_i32 s45, s48, s45
	;; [unrolled: 1-line block ×3, first 2 shown]
	s_cmp_ge_u32 s48, s11
	s_cbranch_scc1 .LBB58_6
.LBB58_12:                              ;   in Loop: Header=BB58_4 Depth=1
	s_load_dword s49, s[38:39], 0x4
	s_waitcnt lgkmcnt(0)
	s_add_i32 s21, s21, s17
	s_add_i32 s45, s49, s45
	;; [unrolled: 1-line block ×3, first 2 shown]
	s_cmp_ge_u32 s48, s11
	s_cbranch_scc1 .LBB58_7
.LBB58_13:                              ;   in Loop: Header=BB58_4 Depth=1
	s_load_dword s49, s[38:39], 0x8
	s_waitcnt lgkmcnt(0)
	s_add_i32 s21, s21, s18
	s_add_i32 s45, s49, s45
	;; [unrolled: 1-line block ×3, first 2 shown]
	s_cmp_ge_u32 s48, s11
	s_cbranch_scc0 .LBB58_8
	s_branch .LBB58_9
.LBB58_14:
	s_mov_b32 s45, 0
	s_mov_b32 s46, 0
	;; [unrolled: 1-line block ×3, first 2 shown]
	s_cmp_ge_u32 s14, s10
	s_cbranch_scc0 .LBB58_38
	s_branch .LBB58_16
.LBB58_15:
	s_add_i32 s14, s47, 4
	s_cmp_ge_u32 s14, s10
	s_cbranch_scc0 .LBB58_38
.LBB58_16:
	v_mov_b32_e32 v1, s45
	v_mov_b32_e32 v2, s46
	;; [unrolled: 1-line block ×4, first 2 shown]
	ds_write_b96 v4, v[1:3] offset:1056
.LBB58_17:
	s_or_b64 exec, exec, s[12:13]
	s_load_dwordx4 s[12:15], s[4:5], 0xd8
	s_mul_i32 s16, s9, s11
	s_lshl_b32 s34, s16, 8
	s_waitcnt lgkmcnt(0)
	s_add_i32 s15, s11, 1
	s_mov_b32 s11, 0
	s_sub_i32 s16, s12, s34
	s_add_u32 s16, s16, 0xff
	s_addc_u32 s17, 0, 0
	s_lshr_b64 s[16:17], s[16:17], 8
	s_cmp_lt_u32 s15, s10
	s_cselect_b32 s9, s9, s16
	s_cmp_eq_u32 s9, 0
	s_waitcnt vmcnt(0)
	s_barrier
	s_cbranch_scc1 .LBB58_40
; %bb.18:
	s_mul_i32 s10, s44, s41
	s_sub_i32 s10, s20, s10
	s_add_i32 s15, s44, 1
	s_sub_i32 s16, s10, s41
	s_cmp_ge_u32 s10, s41
	s_cselect_b32 s15, s15, s44
	s_cselect_b32 s10, s16, s10
	s_add_i32 s16, s15, 1
	s_cmp_ge_u32 s10, s41
	s_cselect_b32 s10, s16, s15
	s_mul_i32 s15, s10, s41
	s_sub_i32 s15, s20, s15
	s_mul_i32 s15, s15, s31
	s_mul_i32 s10, s10, s30
	s_add_i32 s10, s10, s15
	s_mul_i32 s15, s43, s40
	s_sub_i32 s15, s20, s15
	s_add_i32 s16, s43, 1
	s_sub_i32 s17, s15, s40
	s_cmp_ge_u32 s15, s40
	s_cselect_b32 s16, s16, s43
	s_cselect_b32 s15, s17, s15
	s_add_i32 s17, s16, 1
	s_cmp_ge_u32 s15, s40
	s_cselect_b32 s15, s17, s16
	s_mul_i32 s16, s15, s40
	s_sub_i32 s16, s20, s16
	s_mul_i32 s16, s16, s29
	s_mul_i32 s15, s15, s28
	s_add_i32 s18, s15, s16
	s_mul_i32 s15, s42, s33
	s_sub_i32 s15, s20, s15
	s_add_i32 s16, s42, 1
	s_sub_i32 s17, s15, s33
	s_cmp_ge_u32 s15, s33
	s_cselect_b32 s16, s16, s42
	s_cselect_b32 s15, s17, s15
	s_add_i32 s17, s16, 1
	s_cmp_ge_u32 s15, s33
	s_cselect_b32 s15, s17, s16
	s_mul_i32 s16, s15, s33
	s_sub_i32 s16, s20, s16
	s_mul_i32 s16, s16, s27
	s_mul_i32 s15, s15, s26
	v_mov_b32_e32 v5, 0
	s_add_i32 s20, s15, s16
	s_lshl_b64 s[16:17], s[10:11], 1
	ds_read_b96 v[1:3], v5 offset:1056
	s_add_u32 s15, s24, s16
	s_mov_b32 s19, s11
	s_addc_u32 s16, s25, s17
	s_lshl_b64 s[18:19], s[18:19], 1
	s_add_u32 s17, s22, s18
	s_mov_b32 s21, s11
	s_addc_u32 s18, s23, s19
	s_lshl_b64 s[10:11], s[20:21], 3
	s_add_u32 s19, s6, s10
	s_waitcnt lgkmcnt(0)
	v_add_u32_e32 v2, v1, v2
	v_lshrrev_b32_e32 v1, 3, v0
	s_addc_u32 s20, s7, s11
	v_and_b32_e32 v1, 28, v1
	s_bitcmp1_b32 s14, 0
	s_load_dword s10, s[4:5], 0xe8
	s_load_dword s14, s[4:5], 0x1c8
	v_lshl_add_u32 v8, v0, 2, v1
	v_lshrrev_b32_e32 v1, 1, v0
	v_and_b32_e32 v9, 0x7c, v1
	v_add_u32_e32 v1, -1, v0
	v_lshrrev_b32_e32 v4, 3, v1
	v_cmp_gt_u32_e64 s[4:5], 64, v0
	v_lshlrev_b32_e32 v10, 4, v0
	v_and_b32_e32 v4, 0x1ffffffc, v4
	v_add_u32_e32 v0, s34, v0
	v_lshl_add_u32 v11, v1, 2, v4
	s_waitcnt lgkmcnt(0)
	v_mul_lo_u32 v4, s10, v0
	s_mov_b32 s21, 0x8000
	v_mbcnt_lo_u32_b32 v1, -1, 0
	v_add_u32_sdwa v7, sext(v6), s21 dst_sel:DWORD dst_unused:UNUSED_PAD src0_sel:WORD_0 src1_sel:DWORD
	s_cselect_b64 s[6:7], -1, 0
	s_lshl_b32 s22, s10, 8
	v_mbcnt_hi_u32_b32 v12, -1, v1
                                        ; implicit-def: $vgpr13
	s_branch .LBB58_21
.LBB58_19:                              ;   in Loop: Header=BB58_21 Depth=1
	s_or_b64 exec, exec, s[10:11]
	v_add_u32_e32 v2, v16, v2
.LBB58_20:                              ;   in Loop: Header=BB58_21 Depth=1
	s_add_i32 s9, s9, -1
	v_add_u32_e32 v3, v15, v3
	v_add_u32_e32 v4, s22, v4
	s_cmp_lg_u32 s9, 0
	v_add_u32_e32 v0, 0x100, v0
	s_cbranch_scc0 .LBB58_40
.LBB58_21:                              ; =>This Inner Loop Header: Depth=1
	v_cmp_gt_u32_e32 vcc, s12, v0
	v_mov_b32_e32 v1, 0
	v_mov_b32_e32 v14, 0
	s_and_saveexec_b64 s[10:11], vcc
	s_cbranch_execz .LBB58_23
; %bb.22:                               ;   in Loop: Header=BB58_21 Depth=1
	v_lshlrev_b64 v[13:14], 1, v[4:5]
	v_mov_b32_e32 v1, s16
	v_add_co_u32_e32 v13, vcc, s15, v13
	v_addc_co_u32_e32 v14, vcc, v1, v14, vcc
	global_load_ushort v13, v[13:14], off
	s_waitcnt vmcnt(0)
	v_add_u32_sdwa v1, sext(v13), s21 dst_sel:DWORD dst_unused:UNUSED_PAD src0_sel:WORD_0 src1_sel:DWORD
	v_cmp_gt_u32_e32 vcc, v1, v7
	v_cndmask_b32_e64 v14, 0, 1, vcc
	v_cmp_lt_u32_e32 vcc, v1, v7
	v_cndmask_b32_e64 v1, 0, 1, vcc
	v_cndmask_b32_e64 v1, v1, v14, s[6:7]
	v_cmp_eq_u16_e32 vcc, v13, v6
	v_and_b32_e32 v1, 1, v1
	v_cndmask_b32_e64 v14, 0, 1, vcc
.LBB58_23:                              ;   in Loop: Header=BB58_21 Depth=1
	s_or_b64 exec, exec, s[10:11]
	ds_write_b32 v8, v1
	s_waitcnt vmcnt(0) lgkmcnt(0)
	s_barrier
	s_and_saveexec_b64 s[10:11], s[4:5]
	s_cbranch_execz .LBB58_25
; %bb.24:                               ;   in Loop: Header=BB58_21 Depth=1
	v_add_u32_e32 v19, v9, v10
	ds_read2_b32 v[15:16], v19 offset1:1
	ds_read2_b32 v[17:18], v19 offset0:2 offset1:3
	v_and_b32_e32 v20, 15, v12
	v_cmp_ne_u32_e32 vcc, 0, v20
	s_waitcnt lgkmcnt(1)
	v_add_u32_e32 v16, v16, v15
	s_waitcnt lgkmcnt(0)
	v_add3_u32 v16, v16, v17, v18
	v_bfe_i32 v18, v12, 4, 1
	; wave barrier
	s_nop 0
	v_mov_b32_dpp v17, v16 row_shr:1 row_mask:0xf bank_mask:0xf
	v_cndmask_b32_e32 v17, 0, v17, vcc
	v_add_u32_e32 v16, v17, v16
	v_cmp_lt_u32_e32 vcc, 1, v20
	s_nop 0
	v_mov_b32_dpp v17, v16 row_shr:2 row_mask:0xf bank_mask:0xf
	v_cndmask_b32_e32 v17, 0, v17, vcc
	v_add_u32_e32 v16, v16, v17
	v_cmp_lt_u32_e32 vcc, 3, v20
	;; [unrolled: 5-line block ×4, first 2 shown]
	s_nop 0
	v_mov_b32_dpp v17, v16 row_bcast:15 row_mask:0xf bank_mask:0xf
	v_and_b32_e32 v17, v18, v17
	v_add_u32_e32 v16, v16, v17
	v_and_b32_e32 v18, 64, v12
	s_nop 0
	v_mov_b32_dpp v17, v16 row_bcast:31 row_mask:0xf bank_mask:0xf
	v_cndmask_b32_e32 v17, 0, v17, vcc
	v_add_u32_e32 v16, v16, v17
	v_add_u32_e32 v17, -1, v12
	v_cmp_lt_i32_e32 vcc, v17, v18
	v_cndmask_b32_e32 v17, v17, v12, vcc
	v_lshlrev_b32_e32 v17, 2, v17
	ds_bpermute_b32 v16, v17, v16
	s_waitcnt lgkmcnt(0)
	v_add_u32_e32 v15, v16, v15
	v_cndmask_b32_e64 v17, v15, v1, s[2:3]
	ds_write_b32 v19, v17
	; wave barrier
	ds_read2_b32 v[15:16], v19 offset0:1 offset1:2
	ds_read_b32 v18, v19 offset:12
	s_waitcnt lgkmcnt(1)
	v_add_u32_e32 v15, v15, v17
	v_add_u32_e32 v16, v16, v15
	ds_write2_b32 v19, v15, v16 offset0:1 offset1:2
	s_waitcnt lgkmcnt(1)
	v_add_u32_e32 v15, v18, v16
	ds_write_b32 v19, v15 offset:12
.LBB58_25:                              ;   in Loop: Header=BB58_21 Depth=1
	s_or_b64 exec, exec, s[10:11]
	v_mov_b32_e32 v16, 0
	s_waitcnt lgkmcnt(0)
	s_barrier
	s_and_saveexec_b64 s[10:11], s[0:1]
; %bb.26:                               ;   in Loop: Header=BB58_21 Depth=1
	ds_read_b32 v16, v11
; %bb.27:                               ;   in Loop: Header=BB58_21 Depth=1
	s_or_b64 exec, exec, s[10:11]
	ds_read_b32 v15, v5 offset:1048
	v_cmp_ne_u32_e32 vcc, 0, v1
	s_waitcnt lgkmcnt(0)
	s_barrier
	s_and_saveexec_b64 s[10:11], vcc
	s_cbranch_execz .LBB58_29
; %bb.28:                               ;   in Loop: Header=BB58_21 Depth=1
	v_add_u32_e32 v1, v16, v3
	v_mul_lo_u32 v16, v1, s14
	v_mov_b32_e32 v17, v5
	v_mov_b32_e32 v18, s18
	;; [unrolled: 1-line block ×3, first 2 shown]
	v_lshlrev_b64 v[16:17], 1, v[16:17]
	v_add_co_u32_e32 v16, vcc, s17, v16
	v_addc_co_u32_e32 v17, vcc, v18, v17, vcc
	v_mul_lo_u32 v18, v1, s8
	global_store_short v[16:17], v13, off
	v_mov_b32_e32 v1, v5
	v_lshlrev_b64 v[16:17], 3, v[18:19]
	v_mov_b32_e32 v18, s20
	v_add_co_u32_e32 v16, vcc, s19, v16
	v_addc_co_u32_e32 v17, vcc, v18, v17, vcc
	global_store_dwordx2 v[16:17], v[0:1], off
.LBB58_29:                              ;   in Loop: Header=BB58_21 Depth=1
	s_or_b64 exec, exec, s[10:11]
	v_cmp_le_u32_e32 vcc, s13, v2
	s_cbranch_vccnz .LBB58_20
; %bb.30:                               ;   in Loop: Header=BB58_21 Depth=1
	ds_write_b32 v8, v14
	s_waitcnt vmcnt(0) lgkmcnt(0)
	s_barrier
	s_and_saveexec_b64 s[10:11], s[4:5]
	s_cbranch_execz .LBB58_32
; %bb.31:                               ;   in Loop: Header=BB58_21 Depth=1
	v_add_u32_e32 v1, v9, v10
	ds_read2_b32 v[16:17], v1 offset1:1
	ds_read2_b32 v[18:19], v1 offset0:2 offset1:3
	v_and_b32_e32 v20, 15, v12
	v_cmp_ne_u32_e32 vcc, 0, v20
	s_waitcnt lgkmcnt(1)
	v_add_u32_e32 v17, v17, v16
	s_waitcnt lgkmcnt(0)
	v_add3_u32 v17, v17, v18, v19
	v_bfe_i32 v19, v12, 4, 1
	; wave barrier
	s_nop 0
	v_mov_b32_dpp v18, v17 row_shr:1 row_mask:0xf bank_mask:0xf
	v_cndmask_b32_e32 v18, 0, v18, vcc
	v_add_u32_e32 v17, v18, v17
	v_cmp_lt_u32_e32 vcc, 1, v20
	s_nop 0
	v_mov_b32_dpp v18, v17 row_shr:2 row_mask:0xf bank_mask:0xf
	v_cndmask_b32_e32 v18, 0, v18, vcc
	v_add_u32_e32 v17, v17, v18
	v_cmp_lt_u32_e32 vcc, 3, v20
	;; [unrolled: 5-line block ×4, first 2 shown]
	s_nop 0
	v_mov_b32_dpp v18, v17 row_bcast:15 row_mask:0xf bank_mask:0xf
	v_and_b32_e32 v18, v19, v18
	v_add_u32_e32 v17, v17, v18
	v_and_b32_e32 v19, 64, v12
	s_nop 0
	v_mov_b32_dpp v18, v17 row_bcast:31 row_mask:0xf bank_mask:0xf
	v_cndmask_b32_e32 v18, 0, v18, vcc
	v_add_u32_e32 v17, v17, v18
	v_add_u32_e32 v18, -1, v12
	v_cmp_lt_i32_e32 vcc, v18, v19
	v_cndmask_b32_e32 v18, v18, v12, vcc
	v_lshlrev_b32_e32 v18, 2, v18
	ds_bpermute_b32 v17, v18, v17
	s_waitcnt lgkmcnt(0)
	v_add_u32_e32 v16, v17, v16
	v_cndmask_b32_e64 v18, v16, v14, s[2:3]
	ds_write_b32 v1, v18
	; wave barrier
	ds_read2_b32 v[16:17], v1 offset0:1 offset1:2
	ds_read_b32 v19, v1 offset:12
	s_waitcnt lgkmcnt(1)
	v_add_u32_e32 v16, v16, v18
	v_add_u32_e32 v17, v17, v16
	ds_write2_b32 v1, v16, v17 offset0:1 offset1:2
	s_waitcnt lgkmcnt(1)
	v_add_u32_e32 v16, v19, v17
	ds_write_b32 v1, v16 offset:12
.LBB58_32:                              ;   in Loop: Header=BB58_21 Depth=1
	s_or_b64 exec, exec, s[10:11]
	v_mov_b32_e32 v1, 0
	s_waitcnt lgkmcnt(0)
	s_barrier
	s_and_saveexec_b64 s[10:11], s[0:1]
; %bb.33:                               ;   in Loop: Header=BB58_21 Depth=1
	ds_read_b32 v1, v11
; %bb.34:                               ;   in Loop: Header=BB58_21 Depth=1
	s_or_b64 exec, exec, s[10:11]
	ds_read_b32 v16, v5 offset:1048
	v_cmp_ne_u32_e32 vcc, 0, v14
	s_waitcnt lgkmcnt(0)
	s_barrier
	s_and_saveexec_b64 s[10:11], vcc
	s_cbranch_execz .LBB58_19
; %bb.35:                               ;   in Loop: Header=BB58_21 Depth=1
	v_add_u32_e32 v1, v1, v2
	v_cmp_gt_u32_e32 vcc, s13, v1
	s_and_b64 exec, exec, vcc
	s_cbranch_execz .LBB58_19
; %bb.36:                               ;   in Loop: Header=BB58_21 Depth=1
	v_mul_lo_u32 v17, v1, s14
	v_mov_b32_e32 v18, v5
	v_mul_lo_u32 v19, v1, s8
	v_mov_b32_e32 v14, s18
	v_lshlrev_b64 v[17:18], 1, v[17:18]
	v_mov_b32_e32 v20, v5
	v_add_co_u32_e32 v17, vcc, s17, v17
	v_addc_co_u32_e32 v18, vcc, v14, v18, vcc
	global_store_short v[17:18], v13, off
	v_lshlrev_b64 v[17:18], 3, v[19:20]
	v_mov_b32_e32 v14, s20
	v_add_co_u32_e32 v17, vcc, s19, v17
	v_mov_b32_e32 v1, v5
	v_addc_co_u32_e32 v18, vcc, v14, v18, vcc
	global_store_dwordx2 v[17:18], v[0:1], off
	s_branch .LBB58_19
.LBB58_37:                              ;   in Loop: Header=BB58_38 Depth=1
	s_add_u32 s16, s16, 4
	s_addc_u32 s17, s17, 0
	s_waitcnt lgkmcnt(0)
	s_add_i32 s46, s15, s46
	s_add_u32 s18, s18, 4
	s_addc_u32 s19, s19, 0
	s_add_i32 s14, s14, 1
	s_cmp_lt_u32 s14, s10
	s_cbranch_scc0 .LBB58_16
.LBB58_38:                              ; =>This Inner Loop Header: Depth=1
	s_load_dword s15, s[16:17], 0x0
	s_cmp_ge_u32 s14, s11
	s_cbranch_scc1 .LBB58_37
; %bb.39:                               ;   in Loop: Header=BB58_38 Depth=1
	s_load_dword s34, s[18:19], 0x0
	s_waitcnt lgkmcnt(0)
	s_add_i32 s21, s15, s21
	s_add_i32 s45, s34, s45
	s_branch .LBB58_37
.LBB58_40:
	s_endpgm
	.section	.rodata,"a",@progbits
	.p2align	6, 0x0
	.amdhsa_kernel _ZN2at6native6mbtopk10gatherTopKIsjLi2EEEvNS_4cuda6detail10TensorInfoIKT_T0_EES8_S8_bjS8_NS5_IS6_S8_EES8_NS5_IlS8_EES8_jjPS6_PjSD_j
		.amdhsa_group_segment_fixed_size 1068
		.amdhsa_private_segment_fixed_size 0
		.amdhsa_kernarg_size 984
		.amdhsa_user_sgpr_count 6
		.amdhsa_user_sgpr_private_segment_buffer 1
		.amdhsa_user_sgpr_dispatch_ptr 0
		.amdhsa_user_sgpr_queue_ptr 0
		.amdhsa_user_sgpr_kernarg_segment_ptr 1
		.amdhsa_user_sgpr_dispatch_id 0
		.amdhsa_user_sgpr_flat_scratch_init 0
		.amdhsa_user_sgpr_private_segment_size 0
		.amdhsa_uses_dynamic_stack 0
		.amdhsa_system_sgpr_private_segment_wavefront_offset 0
		.amdhsa_system_sgpr_workgroup_id_x 1
		.amdhsa_system_sgpr_workgroup_id_y 1
		.amdhsa_system_sgpr_workgroup_id_z 1
		.amdhsa_system_sgpr_workgroup_info 0
		.amdhsa_system_vgpr_workitem_id 0
		.amdhsa_next_free_vgpr 21
		.amdhsa_next_free_sgpr 50
		.amdhsa_reserve_vcc 1
		.amdhsa_reserve_flat_scratch 0
		.amdhsa_float_round_mode_32 0
		.amdhsa_float_round_mode_16_64 0
		.amdhsa_float_denorm_mode_32 3
		.amdhsa_float_denorm_mode_16_64 3
		.amdhsa_dx10_clamp 1
		.amdhsa_ieee_mode 1
		.amdhsa_fp16_overflow 0
		.amdhsa_exception_fp_ieee_invalid_op 0
		.amdhsa_exception_fp_denorm_src 0
		.amdhsa_exception_fp_ieee_div_zero 0
		.amdhsa_exception_fp_ieee_overflow 0
		.amdhsa_exception_fp_ieee_underflow 0
		.amdhsa_exception_fp_ieee_inexact 0
		.amdhsa_exception_int_div_zero 0
	.end_amdhsa_kernel
	.section	.text._ZN2at6native6mbtopk10gatherTopKIsjLi2EEEvNS_4cuda6detail10TensorInfoIKT_T0_EES8_S8_bjS8_NS5_IS6_S8_EES8_NS5_IlS8_EES8_jjPS6_PjSD_j,"axG",@progbits,_ZN2at6native6mbtopk10gatherTopKIsjLi2EEEvNS_4cuda6detail10TensorInfoIKT_T0_EES8_S8_bjS8_NS5_IS6_S8_EES8_NS5_IlS8_EES8_jjPS6_PjSD_j,comdat
.Lfunc_end58:
	.size	_ZN2at6native6mbtopk10gatherTopKIsjLi2EEEvNS_4cuda6detail10TensorInfoIKT_T0_EES8_S8_bjS8_NS5_IS6_S8_EES8_NS5_IlS8_EES8_jjPS6_PjSD_j, .Lfunc_end58-_ZN2at6native6mbtopk10gatherTopKIsjLi2EEEvNS_4cuda6detail10TensorInfoIKT_T0_EES8_S8_bjS8_NS5_IS6_S8_EES8_NS5_IlS8_EES8_jjPS6_PjSD_j
                                        ; -- End function
	.set _ZN2at6native6mbtopk10gatherTopKIsjLi2EEEvNS_4cuda6detail10TensorInfoIKT_T0_EES8_S8_bjS8_NS5_IS6_S8_EES8_NS5_IlS8_EES8_jjPS6_PjSD_j.num_vgpr, 21
	.set _ZN2at6native6mbtopk10gatherTopKIsjLi2EEEvNS_4cuda6detail10TensorInfoIKT_T0_EES8_S8_bjS8_NS5_IS6_S8_EES8_NS5_IlS8_EES8_jjPS6_PjSD_j.num_agpr, 0
	.set _ZN2at6native6mbtopk10gatherTopKIsjLi2EEEvNS_4cuda6detail10TensorInfoIKT_T0_EES8_S8_bjS8_NS5_IS6_S8_EES8_NS5_IlS8_EES8_jjPS6_PjSD_j.numbered_sgpr, 50
	.set _ZN2at6native6mbtopk10gatherTopKIsjLi2EEEvNS_4cuda6detail10TensorInfoIKT_T0_EES8_S8_bjS8_NS5_IS6_S8_EES8_NS5_IlS8_EES8_jjPS6_PjSD_j.num_named_barrier, 0
	.set _ZN2at6native6mbtopk10gatherTopKIsjLi2EEEvNS_4cuda6detail10TensorInfoIKT_T0_EES8_S8_bjS8_NS5_IS6_S8_EES8_NS5_IlS8_EES8_jjPS6_PjSD_j.private_seg_size, 0
	.set _ZN2at6native6mbtopk10gatherTopKIsjLi2EEEvNS_4cuda6detail10TensorInfoIKT_T0_EES8_S8_bjS8_NS5_IS6_S8_EES8_NS5_IlS8_EES8_jjPS6_PjSD_j.uses_vcc, 1
	.set _ZN2at6native6mbtopk10gatherTopKIsjLi2EEEvNS_4cuda6detail10TensorInfoIKT_T0_EES8_S8_bjS8_NS5_IS6_S8_EES8_NS5_IlS8_EES8_jjPS6_PjSD_j.uses_flat_scratch, 0
	.set _ZN2at6native6mbtopk10gatherTopKIsjLi2EEEvNS_4cuda6detail10TensorInfoIKT_T0_EES8_S8_bjS8_NS5_IS6_S8_EES8_NS5_IlS8_EES8_jjPS6_PjSD_j.has_dyn_sized_stack, 0
	.set _ZN2at6native6mbtopk10gatherTopKIsjLi2EEEvNS_4cuda6detail10TensorInfoIKT_T0_EES8_S8_bjS8_NS5_IS6_S8_EES8_NS5_IlS8_EES8_jjPS6_PjSD_j.has_recursion, 0
	.set _ZN2at6native6mbtopk10gatherTopKIsjLi2EEEvNS_4cuda6detail10TensorInfoIKT_T0_EES8_S8_bjS8_NS5_IS6_S8_EES8_NS5_IlS8_EES8_jjPS6_PjSD_j.has_indirect_call, 0
	.section	.AMDGPU.csdata,"",@progbits
; Kernel info:
; codeLenInByte = 2440
; TotalNumSgprs: 54
; NumVgprs: 21
; ScratchSize: 0
; MemoryBound: 0
; FloatMode: 240
; IeeeMode: 1
; LDSByteSize: 1068 bytes/workgroup (compile time only)
; SGPRBlocks: 6
; VGPRBlocks: 5
; NumSGPRsForWavesPerEU: 54
; NumVGPRsForWavesPerEU: 21
; Occupancy: 10
; WaveLimiterHint : 1
; COMPUTE_PGM_RSRC2:SCRATCH_EN: 0
; COMPUTE_PGM_RSRC2:USER_SGPR: 6
; COMPUTE_PGM_RSRC2:TRAP_HANDLER: 0
; COMPUTE_PGM_RSRC2:TGID_X_EN: 1
; COMPUTE_PGM_RSRC2:TGID_Y_EN: 1
; COMPUTE_PGM_RSRC2:TGID_Z_EN: 1
; COMPUTE_PGM_RSRC2:TIDIG_COMP_CNT: 0
	.section	.text._ZN2at6native6sbtopk10gatherTopKIsjLi2ELb0EEEvNS_4cuda6detail10TensorInfoIKT_T0_EES8_S8_bS8_S8_NS5_IS6_S8_EES8_NS5_IlS8_EES8_PS6_,"axG",@progbits,_ZN2at6native6sbtopk10gatherTopKIsjLi2ELb0EEEvNS_4cuda6detail10TensorInfoIKT_T0_EES8_S8_bS8_S8_NS5_IS6_S8_EES8_NS5_IlS8_EES8_PS6_,comdat
	.protected	_ZN2at6native6sbtopk10gatherTopKIsjLi2ELb0EEEvNS_4cuda6detail10TensorInfoIKT_T0_EES8_S8_bS8_S8_NS5_IS6_S8_EES8_NS5_IlS8_EES8_PS6_ ; -- Begin function _ZN2at6native6sbtopk10gatherTopKIsjLi2ELb0EEEvNS_4cuda6detail10TensorInfoIKT_T0_EES8_S8_bS8_S8_NS5_IS6_S8_EES8_NS5_IlS8_EES8_PS6_
	.globl	_ZN2at6native6sbtopk10gatherTopKIsjLi2ELb0EEEvNS_4cuda6detail10TensorInfoIKT_T0_EES8_S8_bS8_S8_NS5_IS6_S8_EES8_NS5_IlS8_EES8_PS6_
	.p2align	8
	.type	_ZN2at6native6sbtopk10gatherTopKIsjLi2ELb0EEEvNS_4cuda6detail10TensorInfoIKT_T0_EES8_S8_bS8_S8_NS5_IS6_S8_EES8_NS5_IlS8_EES8_PS6_,@function
_ZN2at6native6sbtopk10gatherTopKIsjLi2ELb0EEEvNS_4cuda6detail10TensorInfoIKT_T0_EES8_S8_bS8_S8_NS5_IS6_S8_EES8_NS5_IlS8_EES8_PS6_: ; @_ZN2at6native6sbtopk10gatherTopKIsjLi2ELb0EEEvNS_4cuda6detail10TensorInfoIKT_T0_EES8_S8_bS8_S8_NS5_IS6_S8_EES8_NS5_IlS8_EES8_PS6_
; %bb.0:
	s_load_dwordx2 s[14:15], s[4:5], 0x2b8
	s_load_dwordx4 s[36:39], s[4:5], 0xd8
	s_add_u32 s12, s4, 0x2b8
	s_addc_u32 s13, s5, 0
	s_waitcnt lgkmcnt(0)
	s_mul_i32 s0, s15, s8
	s_add_i32 s0, s0, s7
	s_mul_i32 s0, s0, s14
	s_add_i32 s16, s0, s6
	s_cmp_ge_u32 s16, s39
	s_cbranch_scc1 .LBB59_411
; %bb.1:
	s_load_dwordx2 s[8:9], s[4:5], 0x23c
                                        ; implicit-def: $vgpr49 : SGPR spill to VGPR lane
	s_load_dword s15, s[4:5], 0xc
	s_load_dword s53, s[4:5], 0xe8
	s_load_dwordx2 s[2:3], s[4:5], 0x6c
	s_load_dwordx2 s[0:1], s[4:5], 0x0
	s_load_dword s10, s[4:5], 0x1dc
	s_load_dword s11, s[4:5], 0xfc
	s_waitcnt lgkmcnt(0)
	v_cvt_f32_u32_e32 v1, s15
	s_mov_b32 s49, 0
	v_writelane_b32 v49, s8, 0
	v_writelane_b32 v49, s9, 1
	s_load_dwordx2 s[8:9], s[4:5], 0x1d0
	v_rcp_iflag_f32_e32 v1, v1
	v_cvt_f32_u32_e32 v2, s11
	v_mul_f32_e32 v1, 0x4f7ffffe, v1
	s_waitcnt lgkmcnt(0)
	v_writelane_b32 v49, s8, 2
	v_writelane_b32 v49, s9, 3
	s_load_dwordx2 s[8:9], s[4:5], 0x15c
	v_cvt_u32_f32_e32 v1, v1
	v_rcp_iflag_f32_e32 v2, v2
	s_waitcnt lgkmcnt(0)
	v_writelane_b32 v49, s8, 4
	v_writelane_b32 v49, s9, 5
	;; [unrolled: 1-line block ×4, first 2 shown]
	s_load_dwordx2 s[4:5], s[4:5], 0xf0
	v_readfirstlane_b32 s7, v1
	v_mul_f32_e32 v1, 0x4f7ffffe, v2
	v_cvt_f32_u32_e32 v2, s10
	v_cvt_u32_f32_e32 v1, v1
	s_waitcnt lgkmcnt(0)
	v_writelane_b32 v49, s4, 8
	v_writelane_b32 v49, s5, 9
	v_rcp_iflag_f32_e32 v2, v2
	s_sub_i32 s5, 0, s15
	s_mul_i32 s5, s5, s7
	s_mul_hi_u32 s5, s7, s5
	s_add_i32 s7, s7, s5
	v_readfirstlane_b32 s8, v1
	v_mul_f32_e32 v1, 0x4f7ffffe, v2
	s_mul_hi_u32 s5, s16, s7
	s_sub_i32 s7, 0, s11
	v_cvt_u32_f32_e32 v1, v1
	s_mul_i32 s7, s7, s8
	s_mul_hi_u32 s7, s8, s7
	s_add_i32 s8, s8, s7
	s_mul_hi_u32 s4, s16, s8
	s_sub_i32 s7, 0, s10
	v_readfirstlane_b32 s8, v1
	s_mul_i32 s7, s7, s8
	v_writelane_b32 v49, s11, 10
	s_mul_hi_u32 s7, s8, s7
	v_writelane_b32 v49, s4, 11
	s_add_i32 s8, s8, s7
	v_writelane_b32 v49, s10, 12
	s_mul_hi_u32 s4, s16, s8
	v_writelane_b32 v49, s4, 13
	v_cmp_eq_u32_e64 s[10:11], 0, v0
	s_mov_b64 s[8:9], exec
	v_writelane_b32 v49, s10, 14
	v_writelane_b32 v49, s11, 15
	s_and_b64 s[10:11], s[8:9], s[10:11]
	s_mov_b64 exec, s[10:11]
; %bb.2:
	v_mov_b32_e32 v1, 0
	v_mov_b32_e32 v2, s36
	;; [unrolled: 1-line block ×3, first 2 shown]
	ds_write_b96 v1, v[1:3] offset:4096
; %bb.3:
	s_or_b64 exec, exec, s[8:9]
	s_mul_i32 s7, s5, s15
	s_sub_i32 s7, s16, s7
	s_add_i32 s8, s5, 1
	s_sub_i32 s9, s7, s15
	s_cmp_ge_u32 s7, s15
	s_cselect_b32 s5, s8, s5
	s_cselect_b32 s7, s9, s7
	s_add_i32 s8, s5, 1
	s_cmp_ge_u32 s7, s15
	s_cselect_b32 s5, s8, s5
	s_mul_i32 s4, s5, s15
	s_sub_i32 s4, s16, s4
	s_mul_i32 s4, s4, s3
	s_mul_i32 s2, s5, s2
	s_add_i32 s48, s2, s4
	s_lshl_b64 s[2:3], s[48:49], 1
	s_add_u32 s33, s0, s2
	s_addc_u32 s48, s1, s3
	s_waitcnt lgkmcnt(0)
	s_barrier
	s_load_dword s0, s[12:13], 0xc
	s_bitcmp1_b32 s38, 0
	v_writelane_b32 v49, s16, 16
	s_cselect_b64 s[2:3], -1, 0
	v_writelane_b32 v49, s2, 17
	v_writelane_b32 v49, s3, 18
	s_xor_b64 s[2:3], s[2:3], -1
	v_mbcnt_lo_u32_b32 v1, -1, 0
	v_writelane_b32 v49, s2, 19
	v_mbcnt_hi_u32_b32 v24, -1, v1
	v_writelane_b32 v49, s3, 20
	s_waitcnt lgkmcnt(0)
	s_and_b32 s52, s0, 0xffff
	v_cmp_gt_u32_e32 vcc, 64, v0
	v_cmp_gt_i32_e64 s[2:3], 4, v24
	s_lshl_b32 s55, s52, 2
	s_bfe_u32 s4, s0, 0xa0006
	s_and_b64 s[2:3], vcc, s[2:3]
	v_writelane_b32 v49, s2, 21
	s_cmpk_gt_u32 s36, 0x600
	v_writelane_b32 v49, s3, 22
	s_cselect_b64 s[2:3], -1, 0
	v_writelane_b32 v49, s2, 23
	v_writelane_b32 v49, s3, 24
	v_cmp_gt_u32_e64 s[2:3], s36, v0
	v_writelane_b32 v49, s2, 25
	s_cmp_gt_u32 s52, 63
	v_mul_lo_u32 v7, s53, v0
	v_writelane_b32 v49, s3, 26
	s_cselect_b64 s[2:3], -1, 0
	v_writelane_b32 v49, s2, 27
	v_mov_b32_e32 v9, 0
	v_writelane_b32 v49, s3, 28
	v_cmp_gt_u32_e64 s[2:3], 2, v0
	v_mov_b32_e32 v8, v9
	v_writelane_b32 v49, s2, 29
	v_lshlrev_b64 v[1:2], 1, v[7:8]
	v_writelane_b32 v49, s3, 30
	s_add_i32 s2, s52, -1
	v_writelane_b32 v49, s2, 31
	s_add_i32 s2, s2, s36
	v_add_co_u32_e32 v5, vcc, s33, v1
	v_lshrrev_b32_e32 v1, 2, v0
	s_cmp_lt_u32 s6, s14
	v_and_b32_e32 v1, 0xf0, v1
	s_cselect_b32 s3, 12, 18
	v_or_b32_e32 v27, 0xc00, v1
	s_add_u32 s6, s12, s3
	v_add_u32_e32 v1, 2, v0
	v_mov_b32_e32 v3, s48
	s_addc_u32 s7, s13, 0
	v_max_u32_e32 v1, s36, v1
	v_addc_co_u32_e32 v6, vcc, v3, v2, vcc
	v_lshlrev_b64 v[3:4], v24, -1
	v_writelane_b32 v49, s6, 32
	v_xad_u32 v1, v0, -1, v1
	v_writelane_b32 v49, s7, 33
	v_cmp_lt_u32_e64 s[6:7], 31, v1
	v_not_b32_e32 v22, v3
	v_add_u32_e32 v3, -2, v1
	v_writelane_b32 v49, s6, 34
	v_not_b32_e32 v21, v4
	v_lshrrev_b32_e32 v4, 1, v3
	v_writelane_b32 v49, s7, 35
	v_cmp_lt_u32_e64 s[6:7], 13, v3
	v_cvt_f32_u32_e32 v3, s55
	v_add_u32_e32 v4, 1, v4
	v_writelane_b32 v49, s53, 36
	v_and_b32_e32 v12, 7, v4
	v_rcp_iflag_f32_e32 v3, v3
	v_writelane_b32 v49, s6, 37
	s_add_i32 s3, s4, -1
	v_writelane_b32 v49, s7, 38
	v_cmp_ne_u32_e64 s[6:7], 0, v12
	s_bfe_u32 s5, s52, 0x30006
	s_and_b32 s3, s3, 0xffff
	v_writelane_b32 v49, s6, 39
	s_cmp_gt_u32 s3, 6
	v_writelane_b32 v49, s7, 40
	s_cselect_b64 s[6:7], -1, 0
	v_mul_f32_e32 v3, 0x4f7ffffe, v3
	v_writelane_b32 v49, s6, 41
	s_and_b32 s19, s4, 0x3f8
	v_cvt_u32_f32_e32 v3, v3
	v_writelane_b32 v49, s7, 42
	s_cmp_lg_u32 s5, 0
	v_writelane_b32 v49, s5, 43
	s_cselect_b64 s[4:5], -1, 0
	v_writelane_b32 v49, s4, 44
	v_writelane_b32 v49, s5, 45
	s_sub_i32 s3, 0, s55
	v_readfirstlane_b32 s4, v3
	s_mul_i32 s3, s3, s4
	s_mul_hi_u32 s3, s4, s3
	s_add_i32 s3, s4, s3
	v_writelane_b32 v49, s3, 46
	s_mul_hi_u32 s3, s36, s3
	s_mul_i32 s3, s3, s55
	v_cvt_f32_u32_e32 v3, s52
	s_sub_i32 s3, s36, s3
	s_sub_i32 s4, s3, s55
	s_cmp_ge_u32 s3, s55
	s_cselect_b32 s3, s4, s3
	v_rcp_iflag_f32_e32 v10, v3
	s_sub_i32 s4, s3, s55
	s_cmp_ge_u32 s3, s55
	s_cselect_b32 s3, s4, s3
	v_lshlrev_b32_e32 v23, 2, v0
	s_sub_i32 s21, s36, s3
	v_mul_f32_e32 v10, 0x4f7ffffe, v10
	v_cmp_gt_u32_e64 s[4:5], s21, v23
	v_cvt_u32_f32_e32 v13, v10
	v_add_u32_e32 v30, s21, v0
	v_writelane_b32 v49, s4, 47
	v_writelane_b32 v49, s5, 48
	v_cmp_gt_u32_e64 s[4:5], s36, v30
	v_writelane_b32 v49, s4, 49
	v_writelane_b32 v49, s5, 50
	s_sub_i32 s4, 0, s52
	v_readfirstlane_b32 s5, v13
	s_mul_i32 s4, s4, s5
	v_mul_lo_u32 v8, v30, s53
	s_mul_hi_u32 s4, s5, s4
	s_add_i32 s4, s5, s4
	v_writelane_b32 v49, s4, 51
	s_mul_hi_u32 s4, s2, s4
	s_mul_i32 s4, s4, s52
	v_and_b32_e32 v29, -8, v4
	v_lshlrev_b64 v[3:4], 1, v[8:9]
	s_sub_i32 s4, s2, s4
	s_sub_i32 s5, s4, s52
	v_add_co_u32_e32 v10, vcc, s33, v3
	s_cmp_ge_u32 s4, s52
	v_mul_lo_u32 v3, s53, v23
	s_cselect_b32 s4, s5, s4
	s_sub_i32 s5, s4, s52
	s_cmp_ge_u32 s4, s52
	s_cselect_b32 s4, s5, s4
	v_add_u32_e32 v32, s53, v3
	v_or_b32_e32 v3, 2, v23
	s_sub_i32 s20, s2, s4
	v_mul_lo_u32 v33, s53, v3
	v_or_b32_e32 v3, 3, v23
	s_add_i32 s2, s52, s36
	v_mul_lo_u32 v34, s53, v3
	v_add_u32_e32 v3, s2, v0
	v_subrev_u32_e32 v3, s3, v3
	v_cmp_gt_u32_e64 s[4:5], s20, v0
	v_mul_lo_u32 v35, s53, v3
	v_and_b32_e32 v28, -2, v1
	v_writelane_b32 v49, s4, 52
	v_lshlrev_b32_e32 v25, 1, v0
	v_lshlrev_b32_e32 v2, 2, v24
	v_mov_b32_e32 v8, s48
	v_writelane_b32 v49, s5, 53
	s_mul_i32 s54, s53, s52
	v_cmp_ne_u32_e64 s[2:3], v1, v28
	v_cmp_eq_u32_e64 s[0:1], 0, v24
	v_add_u32_e32 v26, 0xc00, v25
	v_and_b32_e32 v20, 0x100, v2
	v_addc_co_u32_e32 v11, vcc, v8, v4, vcc
	v_lshlrev_b32_e32 v31, 2, v12
	s_lshl_b32 s10, s54, 2
	s_lshl_b32 s11, s52, 3
	;; [unrolled: 1-line block ×3, first 2 shown]
	v_or_b32_e32 v36, 0xc00, v2
	s_mov_b32 s38, 14
	s_mov_b64 s[62:63], 0
	s_mov_b32 s5, 0x8000
	v_add_u32_e32 v38, v0, v28
	v_lshlrev_b32_e32 v39, 2, v7
	v_lshlrev_b32_e32 v40, 3, v0
	v_mov_b32_e32 v44, s37
	v_writelane_b32 v49, s2, 54
	v_mov_b32_e32 v41, 0x5040100
	v_mov_b32_e32 v43, 0
	;; [unrolled: 1-line block ×4, first 2 shown]
                                        ; implicit-def: $sgpr64_sgpr65
                                        ; implicit-def: $sgpr66_sgpr67
                                        ; implicit-def: $sgpr70_sgpr71
                                        ; implicit-def: $sgpr72_sgpr73
                                        ; implicit-def: $sgpr68_sgpr69
                                        ; implicit-def: $sgpr74_sgpr75
                                        ; implicit-def: $sgpr76_sgpr77
                                        ; implicit-def: $sgpr78_sgpr79
	v_writelane_b32 v49, s3, 55
                                        ; implicit-def: $sgpr80_sgpr81
                                        ; implicit-def: $sgpr82_sgpr83
	s_branch .LBB59_6
.LBB59_4:                               ;   in Loop: Header=BB59_6 Depth=1
	s_or_b64 exec, exec, s[14:15]
	s_andn2_b64 s[8:9], s[82:83], exec
	s_and_b64 s[12:13], s[12:13], exec
	s_or_b64 s[82:83], s[8:9], s[12:13]
	s_andn2_b64 s[80:81], s[80:81], exec
	s_andn2_b64 s[78:79], s[78:79], exec
	;; [unrolled: 1-line block ×4, first 2 shown]
	s_orn2_b64 s[6:7], s[6:7], exec
	v_mov_b32_e32 v44, v4
.LBB59_5:                               ;   in Loop: Header=BB59_6 Depth=1
	s_or_b64 exec, exec, s[2:3]
	s_and_b64 s[2:3], exec, s[6:7]
	s_or_b64 s[62:63], s[2:3], s[62:63]
	s_andn2_b64 s[2:3], s[68:69], exec
	s_and_b64 s[6:7], s[82:83], exec
	s_or_b64 s[68:69], s[2:3], s[6:7]
	s_andn2_b64 s[2:3], s[72:73], exec
	s_and_b64 s[6:7], s[80:81], exec
	;; [unrolled: 3-line block ×5, first 2 shown]
	s_or_b64 s[64:65], s[2:3], s[6:7]
	s_andn2_b64 exec, exec, s[62:63]
	s_cbranch_execz .LBB59_407
.LBB59_6:                               ; =>This Loop Header: Depth=1
                                        ;     Child Loop BB59_11 Depth 2
                                        ;     Child Loop BB59_32 Depth 2
	;; [unrolled: 1-line block ×26, first 2 shown]
	ds_read_b64 v[1:2], v9 offset:4096
	s_waitcnt lgkmcnt(0)
	v_readfirstlane_b32 s8, v1
	s_cmp_lg_u32 s8, 0
	s_cbranch_scc1 .LBB59_51
; %bb.7:                                ;   in Loop: Header=BB59_6 Depth=1
	v_readlane_b32 s2, v49, 23
	v_readlane_b32 s3, v49, 24
	s_and_b64 vcc, exec, s[2:3]
	s_cbranch_vccz .LBB59_19
; %bb.8:                                ;   in Loop: Header=BB59_6 Depth=1
	s_movk_i32 s6, 0x601
	v_cmp_gt_u32_e32 vcc, s6, v2
	s_mov_b64 s[2:3], 0
	s_mov_b64 s[6:7], 0
	s_cbranch_vccz .LBB59_20
; %bb.9:                                ;   in Loop: Header=BB59_6 Depth=1
	v_readlane_b32 s6, v49, 32
	v_readlane_b32 s7, v49, 33
	s_nop 4
	global_load_ushort v1, v9, s[6:7]
	global_load_ushort v3, v[5:6], off
	s_mov_b64 s[12:13], 0
	v_mov_b32_e32 v4, v0
	s_waitcnt vmcnt(1)
	v_add_u32_e32 v2, v0, v1
	v_mul_lo_u32 v8, s53, v2
	v_mul_lo_u32 v2, s53, v1
	s_branch .LBB59_11
.LBB59_10:                              ;   in Loop: Header=BB59_11 Depth=2
	s_or_b64 exec, exec, s[6:7]
	v_add_u32_e32 v8, v8, v2
	v_mov_b32_e32 v3, v12
	s_andn2_b64 exec, exec, s[12:13]
	s_cbranch_execz .LBB59_26
.LBB59_11:                              ;   Parent Loop BB59_6 Depth=1
                                        ; =>  This Inner Loop Header: Depth=2
	v_add_u32_e32 v4, v4, v1
	v_cmp_gt_u32_e64 s[6:7], s36, v4
	v_cmp_le_u32_e32 vcc, s36, v4
	s_waitcnt lgkmcnt(0)
	v_mov_b32_e32 v13, 0
	v_mov_b32_e32 v12, 0
	s_and_saveexec_b64 s[14:15], s[6:7]
	s_cbranch_execz .LBB59_13
; %bb.12:                               ;   in Loop: Header=BB59_11 Depth=2
	v_lshlrev_b64 v[14:15], 1, v[8:9]
	v_mov_b32_e32 v12, s48
	v_add_co_u32_e64 v14, s[6:7], s33, v14
	v_addc_co_u32_e64 v15, s[6:7], v12, v15, s[6:7]
	global_load_ushort v12, v[14:15], off
.LBB59_13:                              ;   in Loop: Header=BB59_11 Depth=2
	s_or_b64 exec, exec, s[14:15]
	s_waitcnt vmcnt(0)
	v_add_u32_sdwa v14, sext(v3), s5 dst_sel:DWORD dst_unused:UNUSED_PAD src0_sel:WORD_0 src1_sel:DWORD
	v_and_b32_e32 v14, v14, v42
	v_cmp_eq_u32_e64 s[26:27], v14, v37
	s_cmp_lg_u64 s[26:27], 0
	s_cselect_b64 s[6:7], -1, 0
	s_and_b64 s[6:7], s[0:1], s[6:7]
	s_and_saveexec_b64 s[14:15], s[6:7]
	s_cbranch_execz .LBB59_17
; %bb.14:                               ;   in Loop: Header=BB59_11 Depth=2
	s_mov_b64 s[16:17], exec
	v_mbcnt_lo_u32_b32 v13, s16, 0
	v_mbcnt_hi_u32_b32 v13, s17, v13
	s_bcnt1_i32_b64 s18, s[26:27]
	v_cmp_eq_u32_e64 s[6:7], 0, v13
                                        ; implicit-def: $vgpr14
	s_and_saveexec_b64 s[8:9], s[6:7]
; %bb.15:                               ;   in Loop: Header=BB59_11 Depth=2
	s_bcnt1_i32_b64 s6, s[16:17]
	s_mul_i32 s6, s18, s6
	v_mov_b32_e32 v14, s6
	ds_add_rtn_u32 v14, v9, v14 offset:4104
; %bb.16:                               ;   in Loop: Header=BB59_11 Depth=2
	s_or_b64 exec, exec, s[8:9]
	s_waitcnt lgkmcnt(0)
	v_readfirstlane_b32 s6, v14
	v_mov_b32_e32 v14, s6
	v_mad_u32_u24 v13, s18, v13, v14
.LBB59_17:                              ;   in Loop: Header=BB59_11 Depth=2
	s_or_b64 exec, exec, s[14:15]
	ds_bpermute_b32 v13, v20, v13
	s_and_b64 s[6:7], exec, vcc
	s_or_b64 s[12:13], s[6:7], s[12:13]
	s_and_saveexec_b64 s[6:7], s[26:27]
	s_cbranch_execz .LBB59_10
; %bb.18:                               ;   in Loop: Header=BB59_11 Depth=2
	v_and_b32_e32 v15, s26, v22
	v_and_b32_e32 v14, s27, v21
	v_bcnt_u32_b32 v15, v15, 0
	v_bcnt_u32_b32 v14, v14, v15
	v_lshlrev_b32_e32 v14, 1, v14
	s_waitcnt lgkmcnt(0)
	v_lshl_add_u32 v13, v13, 1, v14
	ds_write_b16 v13, v3
	s_branch .LBB59_10
.LBB59_19:                              ;   in Loop: Header=BB59_6 Depth=1
	s_mov_b64 s[2:3], -1
	s_mov_b64 s[6:7], 0
.LBB59_20:                              ;   in Loop: Header=BB59_6 Depth=1
	s_and_b64 vcc, exec, s[2:3]
	s_cbranch_vccz .LBB59_49
.LBB59_21:                              ;   in Loop: Header=BB59_6 Depth=1
	s_mov_b64 s[26:27], exec
	v_readlane_b32 s2, v49, 25
	v_readlane_b32 s3, v49, 26
	s_and_b64 s[2:3], s[26:27], s[2:3]
	s_mov_b64 exec, s[2:3]
	s_cbranch_execz .LBB59_46
; %bb.22:                               ;   in Loop: Header=BB59_6 Depth=1
	v_readlane_b32 s2, v49, 32
	v_readlane_b32 s3, v49, 33
	s_nop 4
	global_load_ushort v1, v9, s[2:3]
	global_load_ushort v16, v[5:6], off
	s_waitcnt vmcnt(1)
	v_add_u32_e32 v12, v0, v1
	v_readfirstlane_b32 s8, v1
	v_cmp_gt_u32_e32 vcc, s36, v12
	v_mov_b32_e32 v1, v0
	s_and_saveexec_b64 s[30:31], vcc
	s_cbranch_execz .LBB59_45
; %bb.23:                               ;   in Loop: Header=BB59_6 Depth=1
	s_mov_b64 s[2:3], 0
	s_mul_i32 s9, s53, s8
                                        ; implicit-def: $vgpr1
                                        ; implicit-def: $vgpr4
                                        ; implicit-def: $vgpr2
                                        ; implicit-def: $vgpr3
	s_mov_b64 s[6:7], exec
	v_readlane_b32 s12, v49, 34
	v_readlane_b32 s13, v49, 35
	s_and_b64 s[12:13], s[6:7], s[12:13]
	s_xor_b64 s[34:35], s[12:13], s[6:7]
	s_mov_b64 exec, s[12:13]
	s_cbranch_execnz .LBB59_29
; %bb.24:                               ;   in Loop: Header=BB59_6 Depth=1
	s_andn2_saveexec_b64 s[6:7], s[34:35]
	s_cbranch_execnz .LBB59_40
.LBB59_25:                              ;   in Loop: Header=BB59_6 Depth=1
	s_or_b64 exec, exec, s[6:7]
	s_and_saveexec_b64 s[6:7], s[2:3]
	s_cbranch_execnz .LBB59_41
	s_branch .LBB59_44
.LBB59_26:                              ;   in Loop: Header=BB59_6 Depth=1
	s_or_b64 exec, exec, s[12:13]
	s_waitcnt lgkmcnt(0)
	s_barrier
	s_mov_b64 s[6:7], exec
	v_readlane_b32 s8, v49, 14
	v_readlane_b32 s9, v49, 15
	s_and_b64 s[8:9], s[6:7], s[8:9]
	s_mov_b64 exec, s[8:9]
	s_cbranch_execz .LBB59_28
; %bb.27:                               ;   in Loop: Header=BB59_6 Depth=1
	ds_read_b32 v1, v9 offset:4104
	s_waitcnt lgkmcnt(0)
	ds_write_b32 v9, v1 offset:4096
.LBB59_28:                              ;   in Loop: Header=BB59_6 Depth=1
	s_or_b64 exec, exec, s[6:7]
	s_waitcnt lgkmcnt(0)
	s_barrier
	s_mov_b64 s[6:7], -1
	s_and_b64 vcc, exec, s[2:3]
	s_cbranch_vccnz .LBB59_21
	s_branch .LBB59_49
.LBB59_29:                              ;   in Loop: Header=BB59_6 Depth=1
	v_cvt_f32_u32_e32 v1, s8
	s_sub_i32 s3, 0, s8
	v_add_u32_e32 v2, s8, v12
	v_max_u32_e32 v2, s36, v2
	v_rcp_iflag_f32_e32 v1, v1
	s_lshl_b32 s2, s8, 1
	v_sub_u32_e32 v2, v2, v0
	v_cmp_ne_u32_e32 vcc, s2, v2
	v_mul_f32_e32 v1, 0x4f7ffffe, v1
	v_cvt_u32_f32_e32 v1, v1
	v_cndmask_b32_e64 v8, 0, 1, vcc
	v_or_b32_e32 v8, s2, v8
	v_sub_u32_e32 v2, v2, v8
	v_mul_lo_u32 v3, s3, v1
	s_not_b32 s6, s9
	s_ashr_i32 s14, s6, 31
	s_abs_i32 s12, s9
	v_mul_hi_u32 v3, v1, v3
	v_mul_lo_u32 v4, s53, v12
	s_cmp_eq_u32 s8, 1
	s_mov_b64 s[2:3], -1
	v_add_u32_e32 v1, v1, v3
	v_mul_hi_u32 v3, v2, v1
	v_xor_b32_e32 v4, s14, v4
                                        ; implicit-def: $vgpr1
	v_mul_lo_u32 v8, v3, s8
	v_add_u32_e32 v13, 1, v3
	v_sub_u32_e32 v2, v2, v8
	v_subrev_u32_e32 v8, s8, v2
	v_cmp_le_u32_e64 s[6:7], s8, v2
	v_cndmask_b32_e64 v3, v3, v13, s[6:7]
	v_cndmask_b32_e64 v2, v2, v8, s[6:7]
	v_add_u32_e32 v8, 1, v3
	v_cmp_le_u32_e64 s[6:7], s8, v2
	v_cndmask_b32_e64 v2, v3, v8, s[6:7]
	v_addc_co_u32_e32 v2, vcc, 0, v2, vcc
	v_mul_hi_u32 v3, s12, v2
	v_mul_lo_u32 v2, s12, v2
	s_cselect_b64 s[12:13], -1, 0
	v_cmp_eq_u32_e32 vcc, 0, v3
	v_cmp_le_u32_e64 s[6:7], v2, v4
	s_and_b64 s[12:13], vcc, s[12:13]
	s_and_b64 s[12:13], s[12:13], s[6:7]
	v_mov_b32_e32 v2, v0
	s_and_saveexec_b64 s[6:7], s[12:13]
	s_cbranch_execz .LBB59_39
; %bb.30:                               ;   in Loop: Header=BB59_6 Depth=1
	v_add_u32_e32 v13, 1, v12
	v_mov_b32_e32 v15, v13
	s_waitcnt vmcnt(0)
	v_lshlrev_b32_e32 v17, 16, v16
	v_mov_b32_e32 v1, 0
	v_mov_b32_e32 v14, v12
                                        ; implicit-def: $vgpr16
	s_mov_b64 s[40:41], exec
	v_readlane_b32 s2, v49, 37
	v_readlane_b32 s3, v49, 38
	s_and_b64 s[2:3], s[40:41], s[2:3]
	s_mov_b64 exec, s[2:3]
	s_cbranch_execz .LBB59_34
; %bb.31:                               ;   in Loop: Header=BB59_6 Depth=1
	v_mov_b32_e32 v15, v13
	s_mov_b32 s2, 0
	s_mov_b64 s[84:85], 0
	v_mov_b32_e32 v45, v29
	v_mov_b32_e32 v46, v25
	;; [unrolled: 1-line block ×3, first 2 shown]
	v_readlane_b32 s3, v49, 36
	s_mov_b32 s12, 0x5040100
.LBB59_32:                              ;   Parent Loop BB59_6 Depth=1
                                        ; =>  This Inner Loop Header: Depth=2
	v_mul_lo_u32 v8, v14, s53
	v_mul_lo_u32 v1, v15, s3
	v_mov_b32_e32 v13, s48
	v_add_u32_e32 v45, -8, v45
	v_lshlrev_b64 v[2:3], 1, v[8:9]
	s_add_i32 s2, s2, 16
	v_add_co_u32_e32 v18, vcc, s33, v2
	v_mov_b32_e32 v2, v9
	v_lshlrev_b64 v[1:2], 1, v[1:2]
	v_addc_co_u32_e32 v19, vcc, v13, v3, vcc
	v_add_co_u32_e32 v1, vcc, s33, v1
	v_addc_co_u32_e32 v2, vcc, v13, v2, vcc
	global_load_ushort v3, v[18:19], off
	s_nop 0
	global_load_ushort v18, v[1:2], off
	v_add_u32_e32 v2, 2, v15
	v_mul_lo_u32 v2, v2, s3
	s_waitcnt vmcnt(1)
	v_alignbit_b32 v1, v3, v17, 16
	v_add_u32_e32 v3, 2, v14
	v_mul_lo_u32 v8, v3, s53
	v_lshlrev_b64 v[3:4], 1, v[8:9]
	v_add_co_u32_e32 v16, vcc, s33, v3
	v_mov_b32_e32 v3, v9
	v_lshlrev_b64 v[2:3], 1, v[2:3]
	v_addc_co_u32_e32 v17, vcc, v13, v4, vcc
	v_add_co_u32_e32 v2, vcc, s33, v2
	v_addc_co_u32_e32 v3, vcc, v13, v3, vcc
	global_load_ushort v4, v[16:17], off
	global_load_ushort v19, v[2:3], off
	v_add_u32_e32 v3, 4, v15
	v_mul_lo_u32 v3, v3, s3
	s_waitcnt vmcnt(1)
	v_perm_b32 v2, v4, v18, s12
	v_add_u32_e32 v4, 4, v14
	v_mul_lo_u32 v8, v4, s53
	v_mov_b32_e32 v4, v9
	v_lshlrev_b64 v[3:4], 1, v[3:4]
	v_lshlrev_b64 v[16:17], 1, v[8:9]
	v_add_co_u32_e32 v16, vcc, s33, v16
	v_addc_co_u32_e32 v17, vcc, v13, v17, vcc
	v_add_co_u32_e32 v3, vcc, s33, v3
	v_addc_co_u32_e32 v4, vcc, v13, v4, vcc
	global_load_ushort v8, v[16:17], off
	s_nop 0
	global_load_ushort v4, v[3:4], off
	v_add_u32_e32 v16, 6, v15
	v_mul_lo_u32 v16, v16, s3
	s_waitcnt vmcnt(1)
	v_perm_b32 v3, v8, v19, s12
	v_add_u32_e32 v8, 6, v14
	v_mul_lo_u32 v8, v8, s53
	v_lshlrev_b64 v[17:18], 1, v[8:9]
	v_add_co_u32_e32 v47, vcc, s33, v17
	v_mov_b32_e32 v17, v9
	v_lshlrev_b64 v[16:17], 1, v[16:17]
	v_addc_co_u32_e32 v48, vcc, v13, v18, vcc
	v_add_co_u32_e32 v16, vcc, s33, v16
	v_addc_co_u32_e32 v17, vcc, v13, v17, vcc
	global_load_ushort v8, v[47:48], off
	global_load_ushort v18, v[16:17], off
	s_waitcnt vmcnt(1)
	v_perm_b32 v4, v8, v4, s12
	ds_write_b128 v46, v[1:4]
	v_add_u32_e32 v2, 8, v14
	v_mul_lo_u32 v8, v2, s53
	v_add_u32_e32 v1, 8, v15
	v_mul_lo_u32 v1, v1, s3
	v_lshlrev_b64 v[2:3], 1, v[8:9]
	v_add_co_u32_e32 v16, vcc, s33, v2
	v_mov_b32_e32 v2, v9
	v_lshlrev_b64 v[1:2], 1, v[1:2]
	v_addc_co_u32_e32 v17, vcc, v13, v3, vcc
	v_add_co_u32_e32 v1, vcc, s33, v1
	v_addc_co_u32_e32 v2, vcc, v13, v2, vcc
	global_load_ushort v3, v[16:17], off
	global_load_ushort v19, v[1:2], off
	v_add_u32_e32 v2, 10, v15
	v_mul_lo_u32 v2, v2, s3
	s_waitcnt vmcnt(1)
	v_perm_b32 v1, v3, v18, s12
	v_add_u32_e32 v3, 10, v14
	v_mul_lo_u32 v8, v3, s53
	v_lshlrev_b64 v[3:4], 1, v[8:9]
	v_add_co_u32_e32 v16, vcc, s33, v3
	v_mov_b32_e32 v3, v9
	v_lshlrev_b64 v[2:3], 1, v[2:3]
	v_addc_co_u32_e32 v17, vcc, v13, v4, vcc
	v_add_co_u32_e32 v2, vcc, s33, v2
	v_addc_co_u32_e32 v3, vcc, v13, v3, vcc
	global_load_ushort v4, v[16:17], off
	global_load_ushort v18, v[2:3], off
	v_add_u32_e32 v3, 12, v15
	v_mul_lo_u32 v3, v3, s3
	s_waitcnt vmcnt(1)
	v_perm_b32 v2, v4, v19, s12
	v_add_u32_e32 v4, 12, v14
	v_mul_lo_u32 v8, v4, s53
	v_mov_b32_e32 v4, v9
	v_lshlrev_b64 v[3:4], 1, v[3:4]
	v_mov_b32_e32 v19, v9
	v_lshlrev_b64 v[16:17], 1, v[8:9]
	v_add_co_u32_e32 v16, vcc, s33, v16
	v_addc_co_u32_e32 v17, vcc, v13, v17, vcc
	v_add_co_u32_e32 v3, vcc, s33, v3
	v_addc_co_u32_e32 v4, vcc, v13, v4, vcc
	global_load_ushort v8, v[16:17], off
	s_nop 0
	global_load_ushort v4, v[3:4], off
	v_add_u32_e32 v16, 14, v15
	v_add_u32_e32 v15, 16, v15
	s_waitcnt vmcnt(1)
	v_perm_b32 v3, v8, v18, s12
	v_add_u32_e32 v8, 14, v14
	v_mul_lo_u32 v8, v8, s53
	v_mul_lo_u32 v18, v16, s3
	v_add_u32_e32 v14, 16, v14
	v_lshlrev_b64 v[16:17], 1, v[8:9]
	v_lshlrev_b64 v[18:19], 1, v[18:19]
	v_add_co_u32_e32 v16, vcc, s33, v16
	v_addc_co_u32_e32 v17, vcc, v13, v17, vcc
	v_add_co_u32_e32 v18, vcc, s33, v18
	v_addc_co_u32_e32 v19, vcc, v13, v19, vcc
	global_load_ushort v8, v[16:17], off
	s_nop 0
	global_load_ushort v16, v[18:19], off
	v_cmp_eq_u32_e32 vcc, 0, v45
	s_or_b64 s[84:85], vcc, s[84:85]
	s_waitcnt vmcnt(1)
	v_perm_b32 v4, v8, v4, s12
	s_waitcnt vmcnt(0)
	v_perm_b32 v17, v16, v8, s12
	ds_write_b128 v46, v[1:4] offset:16
	v_add_u32_e32 v46, 32, v46
	v_mov_b32_e32 v1, s2
	s_andn2_b64 exec, exec, s[84:85]
	s_cbranch_execnz .LBB59_32
; %bb.33:                               ;   in Loop: Header=BB59_6 Depth=1
	s_or_b64 exec, exec, s[84:85]
.LBB59_34:                              ;   in Loop: Header=BB59_6 Depth=1
	s_or_b64 exec, exec, s[40:41]
	s_mov_b64 s[2:3], exec
	v_readlane_b32 s12, v49, 39
	v_readlane_b32 s13, v49, 40
	s_and_b64 s[12:13], s[2:3], s[12:13]
	s_mov_b64 exec, s[12:13]
	s_cbranch_execz .LBB59_38
; %bb.35:                               ;   in Loop: Header=BB59_6 Depth=1
	v_lshl_add_u32 v1, v1, 1, v25
	s_mov_b64 s[12:13], 0
	v_mov_b32_e32 v2, v31
	v_readlane_b32 s14, v49, 36
	s_mov_b32 s15, 0x5040100
.LBB59_36:                              ;   Parent Loop BB59_6 Depth=1
                                        ; =>  This Inner Loop Header: Depth=2
	v_mul_lo_u32 v8, v14, s53
	v_mul_lo_u32 v3, v15, s14
	v_mov_b32_e32 v4, v9
	v_mov_b32_e32 v13, s48
	v_lshlrev_b64 v[18:19], 1, v[8:9]
	v_lshlrev_b64 v[3:4], 1, v[3:4]
	v_add_co_u32_e32 v18, vcc, s33, v18
	v_addc_co_u32_e32 v19, vcc, v13, v19, vcc
	v_add_co_u32_e32 v3, vcc, s33, v3
	v_addc_co_u32_e32 v4, vcc, v13, v4, vcc
	global_load_ushort v8, v[18:19], off
	global_load_ushort v16, v[3:4], off
	v_add_u32_e32 v2, -4, v2
	v_cmp_eq_u32_e32 vcc, 0, v2
	v_add_u32_e32 v15, 2, v15
	v_add_u32_e32 v14, 2, v14
	s_or_b64 s[12:13], vcc, s[12:13]
	s_waitcnt vmcnt(1)
	v_alignbit_b32 v4, v8, v17, 16
	s_waitcnt vmcnt(0)
	v_perm_b32 v3, v16, v8, s15
	ds_write_b32 v1, v4
	v_add_u32_e32 v1, 4, v1
	v_mov_b32_e32 v17, v3
	s_andn2_b64 exec, exec, s[12:13]
	s_cbranch_execnz .LBB59_36
; %bb.37:                               ;   in Loop: Header=BB59_6 Depth=1
	s_or_b64 exec, exec, s[12:13]
.LBB59_38:                              ;   in Loop: Header=BB59_6 Depth=1
	s_or_b64 exec, exec, s[2:3]
	v_readlane_b32 s2, v49, 54
	v_add_u32_e32 v12, v12, v28
	v_readlane_b32 s3, v49, 55
	v_add_u32_e32 v1, -1, v12
	s_orn2_b64 s[2:3], s[2:3], exec
	v_mov_b32_e32 v2, v38
.LBB59_39:                              ;   in Loop: Header=BB59_6 Depth=1
	s_or_b64 exec, exec, s[6:7]
	v_mov_b32_e32 v3, s9
	s_and_b64 s[2:3], s[2:3], exec
	s_waitcnt vmcnt(0)
	v_mov_b32_e32 v4, v16
	s_andn2_saveexec_b64 s[6:7], s[34:35]
	s_cbranch_execz .LBB59_25
.LBB59_40:                              ;   in Loop: Header=BB59_6 Depth=1
	v_mov_b32_e32 v3, s9
	s_or_b64 s[2:3], s[2:3], exec
	s_waitcnt vmcnt(0)
	v_mov_b32_e32 v4, v16
	v_mov_b32_e32 v2, v0
	s_or_b64 exec, exec, s[6:7]
	s_and_saveexec_b64 s[6:7], s[2:3]
	s_cbranch_execz .LBB59_44
.LBB59_41:                              ;   in Loop: Header=BB59_6 Depth=1
	v_mul_lo_u32 v8, s53, v12
	s_sub_i32 s9, 0, s8
	s_mov_b64 s[2:3], 0
.LBB59_42:                              ;   Parent Loop BB59_6 Depth=1
                                        ; =>  This Inner Loop Header: Depth=2
	v_lshlrev_b64 v[13:14], 1, v[8:9]
	v_mov_b32_e32 v1, s48
	v_add_co_u32_e32 v13, vcc, s33, v13
	v_addc_co_u32_e32 v14, vcc, v1, v14, vcc
	global_load_ushort v16, v[13:14], off
	v_mov_b32_e32 v1, v12
	v_add_u32_e32 v12, s8, v1
	v_lshlrev_b32_e32 v2, 1, v2
	v_cmp_le_u32_e32 vcc, s36, v12
	v_add_u32_e32 v8, v8, v3
	ds_write_b16 v2, v4
	v_mov_b32_e32 v2, v1
	s_or_b64 s[2:3], vcc, s[2:3]
	s_waitcnt vmcnt(0)
	v_mov_b32_e32 v4, v16
	s_andn2_b64 exec, exec, s[2:3]
	s_cbranch_execnz .LBB59_42
; %bb.43:                               ;   in Loop: Header=BB59_6 Depth=1
	s_or_b64 exec, exec, s[2:3]
	v_add_u32_e32 v1, s9, v12
.LBB59_44:                              ;   in Loop: Header=BB59_6 Depth=1
	s_or_b64 exec, exec, s[6:7]
.LBB59_45:                              ;   in Loop: Header=BB59_6 Depth=1
	s_or_b64 exec, exec, s[30:31]
	v_lshlrev_b32_e32 v1, 1, v1
	s_waitcnt vmcnt(0)
	ds_write_b16 v1, v16
.LBB59_46:                              ;   in Loop: Header=BB59_6 Depth=1
	s_or_b64 exec, exec, s[26:27]
	s_waitcnt lgkmcnt(0)
	s_barrier
	s_mov_b64 s[2:3], exec
	v_readlane_b32 s6, v49, 14
	v_readlane_b32 s7, v49, 15
	s_and_b64 s[6:7], s[2:3], s[6:7]
	s_mov_b64 exec, s[6:7]
; %bb.47:                               ;   in Loop: Header=BB59_6 Depth=1
	v_mov_b32_e32 v1, s36
	ds_write_b32 v9, v1 offset:4096
; %bb.48:                               ;   in Loop: Header=BB59_6 Depth=1
	s_or_b64 exec, exec, s[2:3]
	s_mov_b64 s[6:7], -1
	s_waitcnt lgkmcnt(0)
	s_barrier
.LBB59_49:                              ;   in Loop: Header=BB59_6 Depth=1
	s_mov_b32 s8, 0
	s_and_b64 vcc, exec, s[6:7]
	s_cbranch_vccz .LBB59_51
; %bb.50:                               ;   in Loop: Header=BB59_6 Depth=1
	ds_read_b32 v1, v9 offset:4096
	s_waitcnt lgkmcnt(0)
	v_readfirstlane_b32 s8, v1
.LBB59_51:                              ;   in Loop: Header=BB59_6 Depth=1
	s_cmp_lt_i32 s8, 1
	s_mov_b64 s[2:3], -1
                                        ; implicit-def: $vgpr1
	s_cbranch_scc1 .LBB59_61
; %bb.52:                               ;   in Loop: Header=BB59_6 Depth=1
	s_and_b64 vcc, exec, s[2:3]
	s_cbranch_vccnz .LBB59_72
.LBB59_53:                              ;   in Loop: Header=BB59_6 Depth=1
	s_lshl_b32 s6, s49, 6
	s_and_saveexec_b64 s[2:3], s[0:1]
.LBB59_54:                              ;   in Loop: Header=BB59_6 Depth=1
	v_lshl_add_u32 v8, s6, 2, v27
	ds_write_b128 v8, v[1:4]
.LBB59_55:                              ;   in Loop: Header=BB59_6 Depth=1
	s_or_b64 exec, exec, s[2:3]
	s_waitcnt lgkmcnt(0)
	s_barrier
	s_mov_b64 s[2:3], exec
	v_readlane_b32 s8, v49, 21
	v_readlane_b32 s9, v49, 22
	s_and_b64 s[8:9], s[2:3], s[8:9]
	s_mov_b64 exec, s[8:9]
	s_cbranch_execz .LBB59_86
; %bb.56:                               ;   in Loop: Header=BB59_6 Depth=1
	v_readlane_b32 s8, v49, 27
	v_readlane_b32 s9, v49, 28
	s_andn2_b64 vcc, exec, s[8:9]
	v_mov_b32_e32 v1, 0
	s_cbranch_vccnz .LBB59_85
; %bb.57:                               ;   in Loop: Header=BB59_6 Depth=1
	v_readlane_b32 s8, v49, 41
	v_readlane_b32 s9, v49, 42
	s_andn2_b64 vcc, exec, s[8:9]
	s_cbranch_vccnz .LBB59_81
; %bb.58:                               ;   in Loop: Header=BB59_6 Depth=1
	v_lshl_add_u32 v2, s49, 8, v36
	s_mov_b32 s7, 0
	v_mov_b32_e32 v1, 0
.LBB59_59:                              ;   Parent Loop BB59_6 Depth=1
                                        ; =>  This Inner Loop Header: Depth=2
	ds_read2_b32 v[3:4], v2 offset1:4
	ds_read2_b32 v[12:13], v2 offset0:8 offset1:12
	s_add_i32 s7, s7, 8
	s_cmp_eq_u32 s19, s7
	s_waitcnt lgkmcnt(1)
	v_add3_u32 v1, v3, v1, v4
	ds_read2_b32 v[3:4], v2 offset0:16 offset1:20
	s_waitcnt lgkmcnt(1)
	v_add3_u32 v1, v12, v1, v13
	s_waitcnt lgkmcnt(0)
	v_add3_u32 v1, v3, v1, v4
	ds_read2_b32 v[3:4], v2 offset0:24 offset1:28
	v_add_u32_e32 v2, 0x80, v2
	s_waitcnt lgkmcnt(0)
	v_add3_u32 v1, v3, v1, v4
	s_cbranch_scc0 .LBB59_59
; %bb.60:                               ;   in Loop: Header=BB59_6 Depth=1
	s_mov_b32 s7, s19
	s_branch .LBB59_82
.LBB59_61:                              ;   in Loop: Header=BB59_6 Depth=1
	v_mov_b32_e32 v1, 0
	v_mov_b32_e32 v2, 0
	v_mov_b32_e32 v3, 0
	v_mov_b32_e32 v4, 0
	s_mov_b64 s[84:85], exec
	v_readlane_b32 s2, v49, 47
	v_readlane_b32 s3, v49, 48
	s_and_b64 s[2:3], s[84:85], s[2:3]
	s_mov_b64 exec, s[2:3]
	s_cbranch_execz .LBB59_65
; %bb.62:                               ;   in Loop: Header=BB59_6 Depth=1
	s_mov_b32 s2, 0
	s_mov_b64 s[86:87], 0
	s_mov_b32 s3, 0
	s_mov_b32 s9, 0
	;; [unrolled: 1-line block ×4, first 2 shown]
	v_mov_b32_e32 v12, v23
.LBB59_63:                              ;   Parent Loop BB59_6 Depth=1
                                        ; =>  This Inner Loop Header: Depth=2
	v_add_u32_e32 v8, s2, v39
	v_lshlrev_b64 v[1:2], 1, v[8:9]
	v_mov_b32_e32 v3, s48
	v_add_co_u32_e32 v1, vcc, s33, v1
	v_addc_co_u32_e32 v2, vcc, v3, v2, vcc
	v_add_u32_e32 v8, s2, v32
	global_load_sshort v4, v[1:2], off
	v_lshlrev_b64 v[1:2], 1, v[8:9]
	v_add_u32_e32 v8, s2, v33
	v_add_co_u32_e32 v1, vcc, s33, v1
	v_addc_co_u32_e32 v2, vcc, v3, v2, vcc
	global_load_sshort v13, v[1:2], off
	v_lshlrev_b64 v[1:2], 1, v[8:9]
	v_add_u32_e32 v8, s2, v34
	v_add_co_u32_e32 v1, vcc, s33, v1
	v_addc_co_u32_e32 v2, vcc, v3, v2, vcc
	global_load_sshort v14, v[1:2], off
	v_lshlrev_b64 v[1:2], 1, v[8:9]
	v_add_u32_e32 v12, s55, v12
	v_add_co_u32_e32 v1, vcc, s33, v1
	v_addc_co_u32_e32 v2, vcc, v3, v2, vcc
	global_load_sshort v1, v[1:2], off
	s_add_i32 s2, s2, s10
	s_waitcnt vmcnt(3)
	v_add_u32_e32 v2, 0x8000, v4
	v_and_b32_e32 v8, v2, v42
	v_bfe_u32 v2, v2, s38, 2
	v_cmp_eq_u32_e32 vcc, v8, v37
	v_cmp_eq_u32_e64 s[34:35], 0, v2
	s_and_b64 s[14:15], vcc, s[34:35]
	s_waitcnt vmcnt(2)
	v_add_u32_e32 v3, 0x8000, v13
	v_and_b32_e32 v8, v3, v42
	v_bfe_u32 v3, v3, s38, 2
	v_cmp_eq_u32_e64 s[6:7], v8, v37
	v_cmp_eq_u32_e64 s[34:35], 0, v3
	s_and_b64 s[16:17], s[6:7], s[34:35]
	s_waitcnt vmcnt(1)
	v_add_u32_e32 v4, 0x8000, v14
	v_and_b32_e32 v8, v4, v42
	v_bfe_u32 v4, v4, s38, 2
	v_cmp_eq_u32_e64 s[26:27], v8, v37
	v_cmp_eq_u32_e64 s[34:35], 0, v4
	s_and_b64 s[22:23], s[26:27], s[34:35]
	s_waitcnt vmcnt(0)
	v_add_u32_e32 v1, 0x8000, v1
	v_and_b32_e32 v8, v1, v42
	v_bfe_u32 v1, v1, s38, 2
	v_cmp_eq_u32_e64 s[30:31], v8, v37
	v_cmp_eq_u32_e64 s[34:35], 0, v1
	v_cndmask_b32_e64 v8, 0, 1, s[14:15]
	s_and_b64 s[24:25], s[30:31], s[34:35]
	v_cmp_ne_u32_e64 s[34:35], 0, v8
	v_cndmask_b32_e64 v8, 0, 1, s[16:17]
	s_bcnt1_i32_b64 s14, s[34:35]
	v_cmp_ne_u32_e64 s[34:35], 0, v8
	v_cndmask_b32_e64 v8, 0, 1, s[22:23]
	s_bcnt1_i32_b64 s15, s[34:35]
	;; [unrolled: 3-line block ×3, first 2 shown]
	v_cmp_ne_u32_e64 s[34:35], 0, v8
	s_add_i32 s13, s13, s14
	s_bcnt1_i32_b64 s17, s[34:35]
	s_add_i32 s13, s13, s15
	v_cmp_eq_u32_e64 s[34:35], 1, v2
	s_add_i32 s13, s13, s16
	s_and_b64 s[14:15], vcc, s[34:35]
	v_cmp_eq_u32_e64 s[34:35], 1, v3
	s_add_i32 s13, s13, s17
	s_and_b64 s[16:17], s[6:7], s[34:35]
	v_cmp_eq_u32_e64 s[34:35], 1, v4
	s_and_b64 s[22:23], s[26:27], s[34:35]
	v_cmp_eq_u32_e64 s[34:35], 1, v1
	v_cndmask_b32_e64 v8, 0, 1, s[14:15]
	s_and_b64 s[24:25], s[30:31], s[34:35]
	v_cmp_ne_u32_e64 s[34:35], 0, v8
	v_cndmask_b32_e64 v8, 0, 1, s[16:17]
	s_bcnt1_i32_b64 s14, s[34:35]
	v_cmp_ne_u32_e64 s[34:35], 0, v8
	v_cndmask_b32_e64 v8, 0, 1, s[22:23]
	s_bcnt1_i32_b64 s15, s[34:35]
	;; [unrolled: 3-line block ×3, first 2 shown]
	v_cmp_ne_u32_e64 s[34:35], 0, v8
	s_add_i32 s12, s12, s14
	s_bcnt1_i32_b64 s17, s[34:35]
	s_add_i32 s12, s12, s15
	v_cmp_eq_u32_e64 s[34:35], 2, v2
	s_add_i32 s12, s12, s16
	s_and_b64 s[14:15], vcc, s[34:35]
	v_cmp_eq_u32_e64 s[34:35], 2, v3
	s_add_i32 s12, s12, s17
	s_and_b64 s[16:17], s[6:7], s[34:35]
	v_cmp_eq_u32_e64 s[34:35], 2, v4
	s_and_b64 s[22:23], s[26:27], s[34:35]
	v_cmp_eq_u32_e64 s[34:35], 2, v1
	v_cndmask_b32_e64 v8, 0, 1, s[14:15]
	s_and_b64 s[24:25], s[30:31], s[34:35]
	v_cmp_ne_u32_e64 s[34:35], 0, v8
	v_cndmask_b32_e64 v8, 0, 1, s[16:17]
	s_bcnt1_i32_b64 s14, s[34:35]
	v_cmp_ne_u32_e64 s[34:35], 0, v8
	v_cndmask_b32_e64 v8, 0, 1, s[22:23]
	s_bcnt1_i32_b64 s15, s[34:35]
	;; [unrolled: 3-line block ×3, first 2 shown]
	v_cmp_ne_u32_e64 s[34:35], 0, v8
	s_bcnt1_i32_b64 s17, s[34:35]
	s_add_i32 s9, s9, s14
	v_cmp_eq_u32_e64 s[34:35], 3, v2
	s_add_i32 s9, s9, s15
	s_and_b64 s[14:15], vcc, s[34:35]
	v_cmp_eq_u32_e32 vcc, 3, v3
	s_add_i32 s9, s9, s16
	s_and_b64 s[6:7], s[6:7], vcc
	v_cmp_eq_u32_e32 vcc, 3, v4
	s_add_i32 s9, s9, s17
	s_and_b64 s[16:17], s[26:27], vcc
	v_cmp_eq_u32_e32 vcc, 3, v1
	v_cndmask_b32_e64 v1, 0, 1, s[14:15]
	s_and_b64 s[22:23], s[30:31], vcc
	v_cmp_ne_u32_e32 vcc, 0, v1
	v_cndmask_b32_e64 v1, 0, 1, s[6:7]
	s_bcnt1_i32_b64 s14, vcc
	v_cmp_ne_u32_e32 vcc, 0, v1
	v_cndmask_b32_e64 v1, 0, 1, s[16:17]
	s_bcnt1_i32_b64 s6, vcc
	v_cmp_ne_u32_e32 vcc, 0, v1
	v_cndmask_b32_e64 v1, 0, 1, s[22:23]
	s_add_i32 s3, s3, s14
	s_bcnt1_i32_b64 s7, vcc
	v_cmp_ne_u32_e32 vcc, 0, v1
	s_add_i32 s3, s3, s6
	s_bcnt1_i32_b64 s15, vcc
	s_add_i32 s3, s3, s7
	s_add_i32 s3, s3, s15
	v_cmp_le_u32_e32 vcc, s21, v12
	s_or_b64 s[86:87], vcc, s[86:87]
	v_mov_b32_e32 v1, s13
	v_mov_b32_e32 v2, s12
	v_mov_b32_e32 v3, s9
	v_mov_b32_e32 v4, s3
	s_andn2_b64 exec, exec, s[86:87]
	s_cbranch_execnz .LBB59_63
; %bb.64:                               ;   in Loop: Header=BB59_6 Depth=1
	s_or_b64 exec, exec, s[86:87]
.LBB59_65:                              ;   in Loop: Header=BB59_6 Depth=1
	s_or_b64 exec, exec, s[84:85]
	s_mov_b64 s[2:3], exec
	v_readlane_b32 s6, v49, 49
	v_readlane_b32 s7, v49, 50
	s_and_b64 s[6:7], s[2:3], s[6:7]
	s_mov_b64 exec, s[6:7]
	s_cbranch_execz .LBB59_71
; %bb.66:                               ;   in Loop: Header=BB59_6 Depth=1
	global_load_ushort v13, v[10:11], off
	s_mov_b64 s[12:13], 0
	v_mov_b32_e32 v8, v35
	v_mov_b32_e32 v12, v30
	s_branch .LBB59_68
.LBB59_67:                              ;   in Loop: Header=BB59_68 Depth=2
	s_or_b64 exec, exec, s[14:15]
	s_waitcnt vmcnt(0)
	v_add_u32_sdwa v13, sext(v13), s5 dst_sel:DWORD dst_unused:UNUSED_PAD src0_sel:WORD_0 src1_sel:DWORD
	s_and_b64 s[6:7], exec, vcc
	v_and_b32_e32 v15, v13, v42
	v_bfe_u32 v13, v13, s38, 2
	s_or_b64 s[12:13], s[6:7], s[12:13]
	v_cmp_eq_u32_e32 vcc, v15, v37
	v_cmp_eq_u32_e64 s[6:7], 0, v13
	s_and_b64 s[6:7], vcc, s[6:7]
	v_cndmask_b32_e64 v15, 0, 1, s[6:7]
	v_cmp_ne_u32_e64 s[6:7], 0, v15
	s_bcnt1_i32_b64 s6, s[6:7]
	v_add_u32_e32 v1, s6, v1
	v_cmp_eq_u32_e64 s[6:7], 1, v13
	s_and_b64 s[6:7], vcc, s[6:7]
	v_cndmask_b32_e64 v15, 0, 1, s[6:7]
	v_cmp_ne_u32_e64 s[6:7], 0, v15
	s_bcnt1_i32_b64 s6, s[6:7]
	v_add_u32_e32 v2, s6, v2
	;; [unrolled: 6-line block ×3, first 2 shown]
	v_cmp_eq_u32_e64 s[6:7], 3, v13
	s_and_b64 s[6:7], vcc, s[6:7]
	v_cndmask_b32_e64 v13, 0, 1, s[6:7]
	v_cmp_ne_u32_e32 vcc, 0, v13
	s_bcnt1_i32_b64 s6, vcc
	v_add_u32_e32 v4, s6, v4
	v_add_u32_e32 v8, s54, v8
	v_mov_b32_e32 v13, v14
	s_andn2_b64 exec, exec, s[12:13]
	s_cbranch_execz .LBB59_70
.LBB59_68:                              ;   Parent Loop BB59_6 Depth=1
                                        ; =>  This Inner Loop Header: Depth=2
	v_add_u32_e32 v12, s52, v12
	v_cmp_gt_u32_e64 s[6:7], s36, v12
	v_cmp_le_u32_e32 vcc, s36, v12
	v_mov_b32_e32 v14, 0
	s_and_saveexec_b64 s[14:15], s[6:7]
	s_cbranch_execz .LBB59_67
; %bb.69:                               ;   in Loop: Header=BB59_68 Depth=2
	v_lshlrev_b64 v[14:15], 1, v[8:9]
	v_mov_b32_e32 v16, s48
	v_add_co_u32_e64 v14, s[6:7], s33, v14
	v_addc_co_u32_e64 v15, s[6:7], v16, v15, s[6:7]
	global_load_ushort v14, v[14:15], off
	s_branch .LBB59_67
.LBB59_70:                              ;   in Loop: Header=BB59_6 Depth=1
	s_or_b64 exec, exec, s[12:13]
.LBB59_71:                              ;   in Loop: Header=BB59_6 Depth=1
	s_or_b64 exec, exec, s[2:3]
	s_branch .LBB59_53
.LBB59_72:                              ;   in Loop: Header=BB59_6 Depth=1
	v_readlane_b32 s2, v49, 46
	s_mul_hi_u32 s2, s8, s2
	s_mul_i32 s2, s2, s55
	s_sub_i32 s2, s8, s2
	s_sub_i32 s3, s2, s55
	s_cmp_ge_u32 s2, s55
	s_cselect_b32 s2, s3, s2
	s_sub_i32 s3, s2, s55
	s_cmp_ge_u32 s2, s55
	s_cselect_b32 s2, s3, s2
	s_sub_i32 s2, s8, s2
	v_cmp_gt_u32_e32 vcc, s2, v23
	v_mov_b32_e32 v1, 0
	v_mov_b32_e32 v2, 0
	;; [unrolled: 1-line block ×4, first 2 shown]
	s_and_saveexec_b64 s[84:85], vcc
	s_cbranch_execz .LBB59_76
; %bb.73:                               ;   in Loop: Header=BB59_6 Depth=1
	s_mov_b32 s3, 0
	s_mov_b64 s[86:87], 0
	v_mov_b32_e32 v8, v40
	s_mov_b32 s9, 0
	s_mov_b32 s12, 0
	;; [unrolled: 1-line block ×3, first 2 shown]
	v_mov_b32_e32 v12, v23
.LBB59_74:                              ;   Parent Loop BB59_6 Depth=1
                                        ; =>  This Inner Loop Header: Depth=2
	ds_read_b64 v[1:2], v8
	v_add_u32_e32 v12, s55, v12
	v_add_u32_e32 v8, s11, v8
	s_waitcnt lgkmcnt(0)
	v_add_u32_sdwa v3, sext(v1), s5 dst_sel:DWORD dst_unused:UNUSED_PAD src0_sel:WORD_0 src1_sel:DWORD
	v_add_u32_sdwa v1, sext(v1), s5 dst_sel:DWORD dst_unused:UNUSED_PAD src0_sel:WORD_1 src1_sel:DWORD
	v_and_b32_e32 v13, v3, v42
	v_bfe_u32 v3, v3, s38, 2
	v_add_u32_sdwa v4, sext(v2), s5 dst_sel:DWORD dst_unused:UNUSED_PAD src0_sel:WORD_0 src1_sel:DWORD
	v_cmp_eq_u32_e32 vcc, v13, v37
	v_and_b32_e32 v13, v1, v42
	v_bfe_u32 v1, v1, s38, 2
	v_cmp_eq_u32_e64 s[34:35], 0, v3
	v_add_u32_sdwa v2, sext(v2), s5 dst_sel:DWORD dst_unused:UNUSED_PAD src0_sel:WORD_1 src1_sel:DWORD
	v_cmp_eq_u32_e64 s[6:7], v13, v37
	v_and_b32_e32 v13, v4, v42
	v_bfe_u32 v4, v4, s38, 2
	s_and_b64 s[14:15], vcc, s[34:35]
	v_cmp_eq_u32_e64 s[34:35], 0, v1
	v_cmp_eq_u32_e64 s[26:27], v13, v37
	v_and_b32_e32 v13, v2, v42
	v_bfe_u32 v2, v2, s38, 2
	s_and_b64 s[16:17], s[6:7], s[34:35]
	v_cmp_eq_u32_e64 s[34:35], 0, v4
	v_cmp_eq_u32_e64 s[30:31], v13, v37
	s_and_b64 s[22:23], s[26:27], s[34:35]
	v_cmp_eq_u32_e64 s[34:35], 0, v2
	v_cndmask_b32_e64 v13, 0, 1, s[14:15]
	s_and_b64 s[24:25], s[30:31], s[34:35]
	v_cmp_ne_u32_e64 s[34:35], 0, v13
	v_cndmask_b32_e64 v13, 0, 1, s[16:17]
	s_bcnt1_i32_b64 s14, s[34:35]
	v_cmp_ne_u32_e64 s[34:35], 0, v13
	v_cndmask_b32_e64 v13, 0, 1, s[22:23]
	s_bcnt1_i32_b64 s15, s[34:35]
	;; [unrolled: 3-line block ×3, first 2 shown]
	v_cmp_ne_u32_e64 s[34:35], 0, v13
	s_add_i32 s13, s13, s14
	s_bcnt1_i32_b64 s17, s[34:35]
	s_add_i32 s13, s13, s15
	v_cmp_eq_u32_e64 s[34:35], 1, v3
	s_add_i32 s13, s13, s16
	s_and_b64 s[14:15], vcc, s[34:35]
	v_cmp_eq_u32_e64 s[34:35], 1, v1
	s_add_i32 s13, s13, s17
	s_and_b64 s[16:17], s[6:7], s[34:35]
	v_cmp_eq_u32_e64 s[34:35], 1, v4
	s_and_b64 s[22:23], s[26:27], s[34:35]
	v_cmp_eq_u32_e64 s[34:35], 1, v2
	v_cndmask_b32_e64 v13, 0, 1, s[14:15]
	s_and_b64 s[24:25], s[30:31], s[34:35]
	v_cmp_ne_u32_e64 s[34:35], 0, v13
	v_cndmask_b32_e64 v13, 0, 1, s[16:17]
	s_bcnt1_i32_b64 s14, s[34:35]
	v_cmp_ne_u32_e64 s[34:35], 0, v13
	v_cndmask_b32_e64 v13, 0, 1, s[22:23]
	s_bcnt1_i32_b64 s15, s[34:35]
	;; [unrolled: 3-line block ×3, first 2 shown]
	v_cmp_ne_u32_e64 s[34:35], 0, v13
	s_add_i32 s12, s12, s14
	s_bcnt1_i32_b64 s17, s[34:35]
	s_add_i32 s12, s12, s15
	v_cmp_eq_u32_e64 s[34:35], 2, v3
	s_add_i32 s12, s12, s16
	s_and_b64 s[14:15], vcc, s[34:35]
	v_cmp_eq_u32_e64 s[34:35], 2, v1
	s_add_i32 s12, s12, s17
	s_and_b64 s[16:17], s[6:7], s[34:35]
	v_cmp_eq_u32_e64 s[34:35], 2, v4
	s_and_b64 s[22:23], s[26:27], s[34:35]
	v_cmp_eq_u32_e64 s[34:35], 2, v2
	v_cndmask_b32_e64 v13, 0, 1, s[14:15]
	s_and_b64 s[24:25], s[30:31], s[34:35]
	v_cmp_ne_u32_e64 s[34:35], 0, v13
	v_cndmask_b32_e64 v13, 0, 1, s[16:17]
	s_bcnt1_i32_b64 s14, s[34:35]
	v_cmp_ne_u32_e64 s[34:35], 0, v13
	v_cndmask_b32_e64 v13, 0, 1, s[22:23]
	s_bcnt1_i32_b64 s15, s[34:35]
	;; [unrolled: 3-line block ×3, first 2 shown]
	v_cmp_ne_u32_e64 s[34:35], 0, v13
	s_bcnt1_i32_b64 s17, s[34:35]
	s_add_i32 s9, s9, s14
	v_cmp_eq_u32_e64 s[34:35], 3, v3
	s_add_i32 s9, s9, s15
	s_and_b64 s[14:15], vcc, s[34:35]
	v_cmp_eq_u32_e32 vcc, 3, v1
	s_add_i32 s9, s9, s16
	s_and_b64 s[6:7], s[6:7], vcc
	v_cmp_eq_u32_e32 vcc, 3, v4
	s_add_i32 s9, s9, s17
	s_and_b64 s[16:17], s[26:27], vcc
	v_cmp_eq_u32_e32 vcc, 3, v2
	v_cndmask_b32_e64 v1, 0, 1, s[14:15]
	s_and_b64 s[22:23], s[30:31], vcc
	v_cmp_ne_u32_e32 vcc, 0, v1
	v_cndmask_b32_e64 v1, 0, 1, s[6:7]
	s_bcnt1_i32_b64 s14, vcc
	v_cmp_ne_u32_e32 vcc, 0, v1
	v_cndmask_b32_e64 v1, 0, 1, s[16:17]
	s_bcnt1_i32_b64 s6, vcc
	v_cmp_ne_u32_e32 vcc, 0, v1
	v_cndmask_b32_e64 v1, 0, 1, s[22:23]
	s_add_i32 s3, s3, s14
	s_bcnt1_i32_b64 s7, vcc
	v_cmp_ne_u32_e32 vcc, 0, v1
	s_add_i32 s3, s3, s6
	s_bcnt1_i32_b64 s15, vcc
	s_add_i32 s3, s3, s7
	s_add_i32 s3, s3, s15
	v_cmp_le_u32_e32 vcc, s2, v12
	s_or_b64 s[86:87], vcc, s[86:87]
	v_mov_b32_e32 v1, s13
	v_mov_b32_e32 v2, s12
	;; [unrolled: 1-line block ×4, first 2 shown]
	s_andn2_b64 exec, exec, s[86:87]
	s_cbranch_execnz .LBB59_74
; %bb.75:                               ;   in Loop: Header=BB59_6 Depth=1
	s_or_b64 exec, exec, s[86:87]
.LBB59_76:                              ;   in Loop: Header=BB59_6 Depth=1
	s_or_b64 exec, exec, s[84:85]
	v_add_u32_e32 v8, s2, v0
	v_cmp_gt_u32_e32 vcc, s8, v8
	s_and_saveexec_b64 s[12:13], vcc
	s_cbranch_execz .LBB59_80
; %bb.77:                               ;   in Loop: Header=BB59_6 Depth=1
	v_lshlrev_b32_e32 v12, 1, v8
	s_mov_b64 s[14:15], 0
.LBB59_78:                              ;   Parent Loop BB59_6 Depth=1
                                        ; =>  This Inner Loop Header: Depth=2
	ds_read_i16 v13, v12
	v_add_u32_e32 v8, s52, v8
	v_add_u32_e32 v12, s4, v12
	s_waitcnt lgkmcnt(0)
	v_add_u32_e32 v13, 0x8000, v13
	v_and_b32_e32 v14, v13, v42
	v_bfe_u32 v13, v13, s38, 2
	v_cmp_eq_u32_e32 vcc, v14, v37
	v_cmp_eq_u32_e64 s[6:7], 0, v13
	s_and_b64 s[2:3], vcc, s[6:7]
	v_cndmask_b32_e64 v14, 0, 1, s[2:3]
	v_cmp_ne_u32_e64 s[6:7], 0, v14
	s_bcnt1_i32_b64 s2, s[6:7]
	v_cmp_eq_u32_e64 s[6:7], 1, v13
	v_add_u32_e32 v1, s2, v1
	s_and_b64 s[2:3], vcc, s[6:7]
	v_cndmask_b32_e64 v14, 0, 1, s[2:3]
	v_cmp_ne_u32_e64 s[6:7], 0, v14
	s_bcnt1_i32_b64 s2, s[6:7]
	v_cmp_eq_u32_e64 s[6:7], 2, v13
	v_add_u32_e32 v2, s2, v2
	;; [unrolled: 6-line block ×3, first 2 shown]
	s_and_b64 s[2:3], vcc, s[6:7]
	v_cndmask_b32_e64 v13, 0, 1, s[2:3]
	v_cmp_ne_u32_e32 vcc, 0, v13
	s_bcnt1_i32_b64 s2, vcc
	v_cmp_le_u32_e32 vcc, s8, v8
	v_add_u32_e32 v4, s2, v4
	s_or_b64 s[14:15], vcc, s[14:15]
	s_andn2_b64 exec, exec, s[14:15]
	s_cbranch_execnz .LBB59_78
; %bb.79:                               ;   in Loop: Header=BB59_6 Depth=1
	s_or_b64 exec, exec, s[14:15]
.LBB59_80:                              ;   in Loop: Header=BB59_6 Depth=1
	s_or_b64 exec, exec, s[12:13]
	s_lshl_b32 s6, s49, 6
	s_and_saveexec_b64 s[2:3], s[0:1]
	s_cbranch_execnz .LBB59_54
	s_branch .LBB59_55
.LBB59_81:                              ;   in Loop: Header=BB59_6 Depth=1
	v_mov_b32_e32 v1, 0
	s_mov_b32 s7, 0
.LBB59_82:                              ;   in Loop: Header=BB59_6 Depth=1
	v_readlane_b32 s8, v49, 44
	v_readlane_b32 s9, v49, 45
	s_andn2_b64 vcc, exec, s[8:9]
	s_cbranch_vccnz .LBB59_85
; %bb.83:                               ;   in Loop: Header=BB59_6 Depth=1
	s_lshl_b32 s8, s49, 8
	s_lshl_b32 s7, s7, 4
	s_add_i32 s8, s8, s7
	v_add_u32_e32 v2, s8, v36
	v_readlane_b32 s7, v49, 43
.LBB59_84:                              ;   Parent Loop BB59_6 Depth=1
                                        ; =>  This Inner Loop Header: Depth=2
	ds_read_b32 v3, v2
	s_add_i32 s7, s7, -1
	v_add_u32_e32 v2, 16, v2
	s_cmp_lg_u32 s7, 0
	s_waitcnt lgkmcnt(0)
	v_add_u32_e32 v1, v3, v1
	s_cbranch_scc1 .LBB59_84
.LBB59_85:                              ;   in Loop: Header=BB59_6 Depth=1
	v_add_lshl_u32 v2, s6, v24, 2
	ds_write_b32 v2, v1 offset:3072
.LBB59_86:                              ;   in Loop: Header=BB59_6 Depth=1
	s_or_b64 exec, exec, s[2:3]
	s_lshl_b32 s2, s6, 2
	v_mov_b32_e32 v1, s2
	s_waitcnt lgkmcnt(0)
	s_barrier
	ds_read_b128 v[1:4], v1 offset:3072
	v_readlane_b32 s2, v49, 19
	s_lshl_b32 s50, 3, s38
	v_readlane_b32 s3, v49, 20
	s_not_b32 s51, s50
	s_waitcnt lgkmcnt(0)
	v_readfirstlane_b32 s39, v1
	v_readfirstlane_b32 s18, v2
	;; [unrolled: 1-line block ×4, first 2 shown]
	v_cmp_eq_u32_e64 s[26:27], 1, v44
	s_mov_b64 s[90:91], -1
	s_mov_b64 s[30:31], 0
	s_andn2_b64 vcc, exec, s[2:3]
	s_mov_b64 s[84:85], 0
	s_mov_b64 s[34:35], 0
                                        ; implicit-def: $sgpr86_sgpr87
                                        ; implicit-def: $sgpr88_sgpr89
                                        ; implicit-def: $vgpr4
                                        ; implicit-def: $vgpr1
                                        ; implicit-def: $vgpr3
                                        ; implicit-def: $vgpr2
                                        ; implicit-def: $vgpr8
	s_cbranch_vccnz .LBB59_244
; %bb.87:                               ;   in Loop: Header=BB59_6 Depth=1
	s_cmp_eq_u32 s39, 1
	s_cselect_b64 s[2:3], -1, 0
	s_and_b64 s[6:7], s[2:3], s[26:27]
	s_mov_b64 s[2:3], -1
	v_mov_b32_e32 v3, v37
	v_mov_b32_e32 v2, v42
	;; [unrolled: 1-line block ×3, first 2 shown]
                                        ; implicit-def: $sgpr88_sgpr89
                                        ; implicit-def: $sgpr86_sgpr87
	s_and_saveexec_b64 s[12:13], s[6:7]
	s_cbranch_execz .LBB59_113
; %bb.88:                               ;   in Loop: Header=BB59_6 Depth=1
	ds_read_b32 v1, v9 offset:4096
	s_waitcnt lgkmcnt(0)
	s_barrier
	v_readfirstlane_b32 s8, v1
	s_mov_b64 s[2:3], exec
	v_readlane_b32 s14, v49, 29
	v_readlane_b32 s15, v49, 30
	s_and_b64 s[14:15], s[2:3], s[14:15]
	s_mov_b64 exec, s[14:15]
; %bb.89:                               ;   in Loop: Header=BB59_6 Depth=1
	ds_write_b16 v26, v9
; %bb.90:                               ;   in Loop: Header=BB59_6 Depth=1
	s_or_b64 exec, exec, s[2:3]
	v_and_b32_e32 v3, s51, v37
	v_or_b32_e32 v2, s50, v42
	s_mov_b64 s[86:87], -1
	s_mov_b64 s[88:89], 0
	s_cmp_eq_u32 s8, 0
	s_mov_b64 s[2:3], 0
	s_mov_b64 s[14:15], -1
	s_waitcnt lgkmcnt(0)
	s_barrier
                                        ; implicit-def: $vgpr8
	s_cbranch_scc1 .LBB59_101
; %bb.91:                               ;   in Loop: Header=BB59_6 Depth=1
	v_readlane_b32 s2, v49, 31
	s_add_i32 s2, s8, s2
	v_readlane_b32 s3, v49, 51
	s_mul_hi_u32 s3, s2, s3
	s_mul_i32 s3, s3, s52
	s_sub_i32 s3, s2, s3
	s_sub_i32 s9, s3, s52
	s_cmp_ge_u32 s3, s52
	s_cselect_b32 s3, s9, s3
	s_sub_i32 s9, s3, s52
	s_cmp_ge_u32 s3, s52
	s_cselect_b32 s3, s9, s3
	s_sub_i32 s9, s2, s3
	v_cmp_gt_u32_e32 vcc, s9, v0
	s_mov_b64 s[14:15], 0
	s_mov_b64 s[2:3], 0
                                        ; implicit-def: $vgpr8
	s_and_saveexec_b64 s[16:17], vcc
	s_cbranch_execz .LBB59_100
; %bb.92:                               ;   in Loop: Header=BB59_6 Depth=1
	v_mov_b32_e32 v1, v25
	v_mov_b32_e32 v4, v0
                                        ; implicit-def: $sgpr24_sgpr25
	s_branch .LBB59_95
.LBB59_93:                              ;   in Loop: Header=BB59_95 Depth=2
	s_or_b64 exec, exec, s[22:23]
	s_waitcnt lgkmcnt(0)
	s_barrier
	ds_read_b32 v8, v9 offset:3072
	s_mov_b64 s[22:23], -1
	s_waitcnt lgkmcnt(0)
	s_barrier
	v_cmp_ne_u32_sdwa s[28:29], v8, v9 src0_sel:WORD_0 src1_sel:DWORD
	s_and_b64 vcc, exec, s[28:29]
	s_mov_b64 s[28:29], -1
	s_cbranch_vccz .LBB59_98
.LBB59_94:                              ;   in Loop: Header=BB59_95 Depth=2
	s_and_b64 s[22:23], exec, s[22:23]
	s_or_b64 s[2:3], s[22:23], s[2:3]
	s_andn2_b64 s[22:23], s[24:25], exec
	s_and_b64 s[24:25], s[28:29], exec
	s_or_b64 s[24:25], s[22:23], s[24:25]
	s_andn2_b64 exec, exec, s[2:3]
	s_cbranch_execz .LBB59_99
.LBB59_95:                              ;   Parent Loop BB59_6 Depth=1
                                        ; =>  This Inner Loop Header: Depth=2
	v_cmp_gt_u32_e32 vcc, s8, v4
	s_and_saveexec_b64 s[22:23], vcc
	s_cbranch_execz .LBB59_93
; %bb.96:                               ;   in Loop: Header=BB59_95 Depth=2
	ds_read_u16 v8, v1
	s_waitcnt lgkmcnt(0)
	v_add_u32_sdwa v12, sext(v8), s5 dst_sel:DWORD dst_unused:UNUSED_PAD src0_sel:WORD_0 src1_sel:DWORD
	v_and_b32_e32 v12, v12, v2
	v_cmp_eq_u32_e32 vcc, v12, v3
	s_and_b64 exec, exec, vcc
	s_cbranch_execz .LBB59_93
; %bb.97:                               ;   in Loop: Header=BB59_95 Depth=2
	v_perm_b32 v8, v8, 1, v41
	ds_write_b32 v9, v8 offset:3072
	s_branch .LBB59_93
.LBB59_98:                              ;   in Loop: Header=BB59_95 Depth=2
	v_add_u32_e32 v4, s52, v4
	v_cmp_le_u32_e32 vcc, s9, v4
	v_add_u32_e32 v1, s4, v1
	s_mov_b64 s[28:29], 0
	s_orn2_b64 s[22:23], vcc, exec
	s_branch .LBB59_94
.LBB59_99:                              ;   in Loop: Header=BB59_6 Depth=1
	s_or_b64 exec, exec, s[2:3]
	v_lshrrev_b32_e32 v8, 16, v8
	s_and_b64 s[2:3], s[24:25], exec
.LBB59_100:                             ;   in Loop: Header=BB59_6 Depth=1
	s_or_b64 exec, exec, s[16:17]
.LBB59_101:                             ;   in Loop: Header=BB59_6 Depth=1
	s_and_b64 vcc, exec, s[14:15]
	s_cbranch_vccz .LBB59_112
; %bb.102:                              ;   in Loop: Header=BB59_6 Depth=1
                                        ; implicit-def: $vgpr8
	s_mov_b64 s[14:15], exec
	v_readlane_b32 s8, v49, 52
	v_readlane_b32 s9, v49, 53
	s_and_b64 s[8:9], s[14:15], s[8:9]
	s_mov_b64 exec, s[8:9]
	s_cbranch_execz .LBB59_111
; %bb.103:                              ;   in Loop: Header=BB59_6 Depth=1
	s_mov_b64 s[16:17], 0
	v_mov_b32_e32 v8, v7
	v_mov_b32_e32 v1, v0
                                        ; implicit-def: $sgpr24_sgpr25
	s_branch .LBB59_106
.LBB59_104:                             ;   in Loop: Header=BB59_106 Depth=2
	s_or_b64 exec, exec, s[28:29]
	s_waitcnt lgkmcnt(0)
	s_barrier
	ds_read_b32 v4, v9 offset:3072
	s_mov_b64 s[22:23], -1
	s_mov_b64 s[28:29], -1
	s_waitcnt lgkmcnt(0)
	s_barrier
	v_cmp_ne_u32_sdwa s[8:9], v4, v9 src0_sel:WORD_0 src1_sel:DWORD
	s_and_b64 vcc, exec, s[8:9]
	s_cbranch_vccz .LBB59_109
.LBB59_105:                             ;   in Loop: Header=BB59_106 Depth=2
	s_and_b64 s[8:9], exec, s[22:23]
	s_or_b64 s[16:17], s[8:9], s[16:17]
	s_andn2_b64 s[8:9], s[24:25], exec
	s_and_b64 s[22:23], s[28:29], exec
	s_or_b64 s[24:25], s[8:9], s[22:23]
	s_andn2_b64 exec, exec, s[16:17]
	s_cbranch_execz .LBB59_110
.LBB59_106:                             ;   Parent Loop BB59_6 Depth=1
                                        ; =>  This Inner Loop Header: Depth=2
	v_cmp_gt_u32_e32 vcc, s36, v1
	s_and_saveexec_b64 s[28:29], vcc
	s_cbranch_execz .LBB59_104
; %bb.107:                              ;   in Loop: Header=BB59_106 Depth=2
	v_lshlrev_b64 v[12:13], 1, v[8:9]
	v_mov_b32_e32 v4, s48
	v_add_co_u32_e32 v12, vcc, s33, v12
	v_addc_co_u32_e32 v13, vcc, v4, v13, vcc
	global_load_ushort v4, v[12:13], off
	s_waitcnt vmcnt(0)
	v_add_u32_sdwa v12, sext(v4), s5 dst_sel:DWORD dst_unused:UNUSED_PAD src0_sel:WORD_0 src1_sel:DWORD
	v_and_b32_e32 v12, v12, v2
	v_cmp_eq_u32_e32 vcc, v12, v3
	s_and_b64 exec, exec, vcc
	s_cbranch_execz .LBB59_104
; %bb.108:                              ;   in Loop: Header=BB59_106 Depth=2
	v_perm_b32 v4, v4, 1, v41
	ds_write_b32 v9, v4 offset:3072
	s_branch .LBB59_104
.LBB59_109:                             ;   in Loop: Header=BB59_106 Depth=2
	v_add_u32_e32 v1, s52, v1
	v_cmp_le_u32_e32 vcc, s20, v1
	v_add_u32_e32 v8, s54, v8
	s_mov_b64 s[28:29], 0
	s_orn2_b64 s[22:23], vcc, exec
	s_branch .LBB59_105
.LBB59_110:                             ;   in Loop: Header=BB59_6 Depth=1
	s_or_b64 exec, exec, s[16:17]
	s_andn2_b64 s[2:3], s[2:3], exec
	s_and_b64 s[8:9], s[24:25], exec
	v_lshrrev_b32_e32 v8, 16, v4
	s_or_b64 s[2:3], s[2:3], s[8:9]
.LBB59_111:                             ;   in Loop: Header=BB59_6 Depth=1
	s_or_b64 exec, exec, s[14:15]
	s_mov_b64 s[86:87], 0
	s_mov_b64 s[88:89], -1
.LBB59_112:                             ;   in Loop: Header=BB59_6 Depth=1
	s_orn2_b64 s[2:3], s[2:3], exec
.LBB59_113:                             ;   in Loop: Header=BB59_6 Depth=1
	s_or_b64 exec, exec, s[12:13]
	s_mov_b64 s[90:91], 0
	s_mov_b64 s[84:85], 0
	;; [unrolled: 1-line block ×3, first 2 shown]
                                        ; implicit-def: $vgpr4
                                        ; implicit-def: $vgpr1
	s_and_saveexec_b64 s[92:93], s[2:3]
	s_cbranch_execz .LBB59_243
; %bb.114:                              ;   in Loop: Header=BB59_6 Depth=1
	s_xor_b64 s[8:9], s[6:7], -1
	s_mov_b64 s[6:7], 0
	v_mov_b32_e32 v4, 1
	v_mov_b32_e32 v1, 1
	s_and_saveexec_b64 s[2:3], s[8:9]
	s_cbranch_execz .LBB59_123
; %bb.115:                              ;   in Loop: Header=BB59_6 Depth=1
	v_cmp_ge_u32_e32 vcc, s39, v44
	s_and_saveexec_b64 s[6:7], vcc
	s_xor_b64 s[6:7], exec, s[6:7]
	s_cbranch_execz .LBB59_120
; %bb.116:                              ;   in Loop: Header=BB59_6 Depth=1
	ds_read_b32 v1, v9 offset:4096
	v_and_b32_e32 v3, s51, v3
	v_or_b32_e32 v2, s50, v2
	s_waitcnt lgkmcnt(0)
	v_cmp_ne_u32_e32 vcc, 0, v1
	s_cbranch_vccnz .LBB59_120
; %bb.117:                              ;   in Loop: Header=BB59_6 Depth=1
	s_mov_b64 s[8:9], exec
	v_readlane_b32 s12, v49, 14
	v_readlane_b32 s13, v49, 15
	s_and_b64 s[12:13], s[8:9], s[12:13]
	s_mov_b64 exec, s[12:13]
; %bb.118:                              ;   in Loop: Header=BB59_6 Depth=1
	v_mov_b32_e32 v1, s39
	ds_write_b32 v9, v1 offset:4100
; %bb.119:                              ;   in Loop: Header=BB59_6 Depth=1
	s_or_b64 exec, exec, s[8:9]
	s_waitcnt lgkmcnt(0)
	s_barrier
.LBB59_120:                             ;   in Loop: Header=BB59_6 Depth=1
	s_or_saveexec_b64 s[6:7], s[6:7]
	s_mov_b64 s[12:13], 0
	v_mov_b32_e32 v1, 8
	v_mov_b32_e32 v4, v44
	s_xor_b64 exec, exec, s[6:7]
; %bb.121:                              ;   in Loop: Header=BB59_6 Depth=1
	s_mov_b64 s[12:13], exec
	v_subrev_u32_e32 v4, s39, v44
	v_mov_b32_e32 v1, 0
; %bb.122:                              ;   in Loop: Header=BB59_6 Depth=1
	s_or_b64 exec, exec, s[6:7]
	s_and_b64 s[6:7], s[12:13], exec
.LBB59_123:                             ;   in Loop: Header=BB59_6 Depth=1
	s_or_b64 exec, exec, s[2:3]
	s_mov_b64 s[2:3], -1
                                        ; implicit-def: $sgpr34_sgpr35
                                        ; implicit-def: $sgpr84_sgpr85
	s_and_saveexec_b64 s[8:9], s[6:7]
	s_xor_b64 s[6:7], exec, s[8:9]
	s_cbranch_execz .LBB59_240
; %bb.124:                              ;   in Loop: Header=BB59_6 Depth=1
	s_cmp_eq_u32 s18, 1
	s_cselect_b64 s[2:3], -1, 0
	v_cmp_eq_u32_e32 vcc, 1, v4
	s_and_b64 s[14:15], s[2:3], vcc
	s_mov_b64 s[2:3], -1
                                        ; implicit-def: $sgpr84_sgpr85
                                        ; implicit-def: $sgpr34_sgpr35
	s_and_saveexec_b64 s[12:13], s[14:15]
	s_cbranch_execz .LBB59_150
; %bb.125:                              ;   in Loop: Header=BB59_6 Depth=1
	ds_read_b32 v8, v9 offset:4096
	s_waitcnt lgkmcnt(0)
	s_barrier
	v_readfirstlane_b32 s8, v8
	s_mov_b64 s[2:3], exec
	v_readlane_b32 s16, v49, 29
	v_readlane_b32 s17, v49, 30
	s_and_b64 s[16:17], s[2:3], s[16:17]
	s_mov_b64 exec, s[16:17]
; %bb.126:                              ;   in Loop: Header=BB59_6 Depth=1
	ds_write_b16 v26, v9
; %bb.127:                              ;   in Loop: Header=BB59_6 Depth=1
	s_or_b64 exec, exec, s[2:3]
	v_and_b32_e32 v3, s51, v3
	v_lshl_or_b32 v3, 1, s38, v3
	v_or_b32_e32 v2, s50, v2
	s_mov_b64 s[34:35], -1
	s_mov_b64 s[84:85], 0
	s_cmp_eq_u32 s8, 0
	s_mov_b64 s[16:17], 0
	s_mov_b64 s[2:3], -1
	s_waitcnt lgkmcnt(0)
	s_barrier
                                        ; implicit-def: $vgpr8
	s_cbranch_scc1 .LBB59_138
; %bb.128:                              ;   in Loop: Header=BB59_6 Depth=1
	v_readlane_b32 s2, v49, 31
	s_add_i32 s2, s8, s2
	v_readlane_b32 s3, v49, 51
	s_mul_hi_u32 s3, s2, s3
	s_mul_i32 s3, s3, s52
	s_sub_i32 s3, s2, s3
	s_sub_i32 s9, s3, s52
	s_cmp_ge_u32 s3, s52
	s_cselect_b32 s3, s9, s3
	s_sub_i32 s9, s3, s52
	s_cmp_ge_u32 s3, s52
	s_cselect_b32 s3, s9, s3
	s_sub_i32 s9, s2, s3
	v_cmp_gt_u32_e32 vcc, s9, v0
	s_mov_b64 s[2:3], 0
                                        ; implicit-def: $vgpr8
	s_and_saveexec_b64 s[24:25], vcc
	s_cbranch_execz .LBB59_137
; %bb.129:                              ;   in Loop: Header=BB59_6 Depth=1
	v_mov_b32_e32 v8, v25
	v_mov_b32_e32 v12, v0
                                        ; implicit-def: $sgpr28_sgpr29
	s_branch .LBB59_132
.LBB59_130:                             ;   in Loop: Header=BB59_132 Depth=2
	s_or_b64 exec, exec, s[40:41]
	s_waitcnt lgkmcnt(0)
	s_barrier
	ds_read_b32 v13, v9 offset:3072
	s_mov_b64 s[22:23], -1
	s_waitcnt lgkmcnt(0)
	s_barrier
	v_cmp_ne_u32_sdwa s[40:41], v13, v9 src0_sel:WORD_0 src1_sel:DWORD
	s_and_b64 vcc, exec, s[40:41]
	s_mov_b64 s[40:41], -1
	s_cbranch_vccz .LBB59_135
.LBB59_131:                             ;   in Loop: Header=BB59_132 Depth=2
	s_and_b64 s[22:23], exec, s[22:23]
	s_or_b64 s[16:17], s[22:23], s[16:17]
	s_andn2_b64 s[22:23], s[28:29], exec
	s_and_b64 s[28:29], s[40:41], exec
	s_or_b64 s[28:29], s[22:23], s[28:29]
	s_andn2_b64 exec, exec, s[16:17]
	s_cbranch_execz .LBB59_136
.LBB59_132:                             ;   Parent Loop BB59_6 Depth=1
                                        ; =>  This Inner Loop Header: Depth=2
	v_cmp_gt_u32_e32 vcc, s8, v12
	s_and_saveexec_b64 s[40:41], vcc
	s_cbranch_execz .LBB59_130
; %bb.133:                              ;   in Loop: Header=BB59_132 Depth=2
	ds_read_u16 v13, v8
	s_waitcnt lgkmcnt(0)
	v_add_u32_sdwa v14, sext(v13), s5 dst_sel:DWORD dst_unused:UNUSED_PAD src0_sel:WORD_0 src1_sel:DWORD
	v_and_b32_e32 v14, v14, v2
	v_cmp_eq_u32_e32 vcc, v14, v3
	s_and_b64 exec, exec, vcc
	s_cbranch_execz .LBB59_130
; %bb.134:                              ;   in Loop: Header=BB59_132 Depth=2
	v_perm_b32 v13, v13, 1, v41
	ds_write_b32 v9, v13 offset:3072
	s_branch .LBB59_130
.LBB59_135:                             ;   in Loop: Header=BB59_132 Depth=2
	v_add_u32_e32 v12, s52, v12
	v_cmp_le_u32_e32 vcc, s9, v12
	v_add_u32_e32 v8, s4, v8
	s_mov_b64 s[40:41], 0
	s_orn2_b64 s[22:23], vcc, exec
	s_branch .LBB59_131
.LBB59_136:                             ;   in Loop: Header=BB59_6 Depth=1
	s_or_b64 exec, exec, s[16:17]
	v_lshrrev_b32_e32 v8, 16, v13
	s_and_b64 s[16:17], s[28:29], exec
.LBB59_137:                             ;   in Loop: Header=BB59_6 Depth=1
	s_or_b64 exec, exec, s[24:25]
.LBB59_138:                             ;   in Loop: Header=BB59_6 Depth=1
	s_and_b64 vcc, exec, s[2:3]
	s_cbranch_vccz .LBB59_149
; %bb.139:                              ;   in Loop: Header=BB59_6 Depth=1
                                        ; implicit-def: $vgpr8
	s_mov_b64 s[2:3], exec
	v_readlane_b32 s8, v49, 52
	v_readlane_b32 s9, v49, 53
	s_and_b64 s[8:9], s[2:3], s[8:9]
	s_mov_b64 exec, s[8:9]
	s_cbranch_execz .LBB59_148
; %bb.140:                              ;   in Loop: Header=BB59_6 Depth=1
	s_mov_b64 s[24:25], 0
	v_mov_b32_e32 v8, v7
	v_mov_b32_e32 v12, v0
                                        ; implicit-def: $sgpr28_sgpr29
	s_branch .LBB59_143
.LBB59_141:                             ;   in Loop: Header=BB59_143 Depth=2
	s_or_b64 exec, exec, s[34:35]
	s_waitcnt lgkmcnt(0)
	s_barrier
	ds_read_b32 v13, v9 offset:3072
	s_mov_b64 s[22:23], -1
	s_mov_b64 s[34:35], -1
	s_waitcnt lgkmcnt(0)
	s_barrier
	v_cmp_eq_u32_sdwa s[8:9], v13, v9 src0_sel:WORD_0 src1_sel:DWORD
	s_and_b64 vcc, exec, s[8:9]
	s_cbranch_vccnz .LBB59_146
.LBB59_142:                             ;   in Loop: Header=BB59_143 Depth=2
	s_and_b64 s[8:9], exec, s[22:23]
	s_or_b64 s[24:25], s[8:9], s[24:25]
	s_andn2_b64 s[8:9], s[28:29], exec
	s_and_b64 s[22:23], s[34:35], exec
	s_or_b64 s[28:29], s[8:9], s[22:23]
	s_andn2_b64 exec, exec, s[24:25]
	s_cbranch_execz .LBB59_147
.LBB59_143:                             ;   Parent Loop BB59_6 Depth=1
                                        ; =>  This Inner Loop Header: Depth=2
	v_cmp_gt_u32_e32 vcc, s36, v12
	s_and_saveexec_b64 s[34:35], vcc
	s_cbranch_execz .LBB59_141
; %bb.144:                              ;   in Loop: Header=BB59_143 Depth=2
	v_lshlrev_b64 v[13:14], 1, v[8:9]
	v_mov_b32_e32 v15, s48
	v_add_co_u32_e32 v13, vcc, s33, v13
	v_addc_co_u32_e32 v14, vcc, v15, v14, vcc
	global_load_ushort v13, v[13:14], off
	s_waitcnt vmcnt(0)
	v_add_u32_sdwa v14, sext(v13), s5 dst_sel:DWORD dst_unused:UNUSED_PAD src0_sel:WORD_0 src1_sel:DWORD
	v_and_b32_e32 v14, v14, v2
	v_cmp_eq_u32_e32 vcc, v14, v3
	s_and_b64 exec, exec, vcc
	s_cbranch_execz .LBB59_141
; %bb.145:                              ;   in Loop: Header=BB59_143 Depth=2
	v_perm_b32 v13, v13, 1, v41
	ds_write_b32 v9, v13 offset:3072
	s_branch .LBB59_141
.LBB59_146:                             ;   in Loop: Header=BB59_143 Depth=2
	v_add_u32_e32 v12, s52, v12
	v_cmp_le_u32_e32 vcc, s20, v12
	v_add_u32_e32 v8, s54, v8
	s_mov_b64 s[34:35], 0
	s_orn2_b64 s[22:23], vcc, exec
	s_branch .LBB59_142
.LBB59_147:                             ;   in Loop: Header=BB59_6 Depth=1
	s_or_b64 exec, exec, s[24:25]
	s_andn2_b64 s[8:9], s[16:17], exec
	s_and_b64 s[16:17], s[28:29], exec
	v_lshrrev_b32_e32 v8, 16, v13
	s_or_b64 s[16:17], s[8:9], s[16:17]
.LBB59_148:                             ;   in Loop: Header=BB59_6 Depth=1
	s_or_b64 exec, exec, s[2:3]
	s_mov_b64 s[34:35], 0
	s_mov_b64 s[84:85], -1
.LBB59_149:                             ;   in Loop: Header=BB59_6 Depth=1
	s_orn2_b64 s[2:3], s[16:17], exec
.LBB59_150:                             ;   in Loop: Header=BB59_6 Depth=1
	s_or_b64 exec, exec, s[12:13]
	s_mov_b64 s[12:13], 0
	s_and_saveexec_b64 s[94:95], s[2:3]
	s_cbranch_execz .LBB59_239
; %bb.151:                              ;   in Loop: Header=BB59_6 Depth=1
	s_xor_b64 s[8:9], s[14:15], -1
	v_mov_b32_e32 v12, 1
	v_mov_b32_e32 v1, 1
	s_and_saveexec_b64 s[2:3], s[8:9]
	s_cbranch_execz .LBB59_160
; %bb.152:                              ;   in Loop: Header=BB59_6 Depth=1
	v_cmp_ge_u32_e32 vcc, s18, v4
	s_and_saveexec_b64 s[8:9], vcc
	s_xor_b64 s[12:13], exec, s[8:9]
	s_cbranch_execz .LBB59_157
; %bb.153:                              ;   in Loop: Header=BB59_6 Depth=1
	v_and_b32_e32 v1, s51, v3
	v_lshl_or_b32 v3, 1, s38, v1
	ds_read_b32 v1, v9 offset:4096
	v_or_b32_e32 v2, s50, v2
	s_waitcnt lgkmcnt(0)
	v_cmp_ne_u32_e32 vcc, 0, v1
	s_cbranch_vccnz .LBB59_157
; %bb.154:                              ;   in Loop: Header=BB59_6 Depth=1
	s_mov_b64 s[8:9], exec
	v_readlane_b32 s14, v49, 14
	v_readlane_b32 s15, v49, 15
	s_and_b64 s[14:15], s[8:9], s[14:15]
	s_mov_b64 exec, s[14:15]
; %bb.155:                              ;   in Loop: Header=BB59_6 Depth=1
	v_mov_b32_e32 v1, s18
	ds_write_b32 v9, v1 offset:4100
; %bb.156:                              ;   in Loop: Header=BB59_6 Depth=1
	s_or_b64 exec, exec, s[8:9]
	s_waitcnt lgkmcnt(0)
	s_barrier
.LBB59_157:                             ;   in Loop: Header=BB59_6 Depth=1
	s_or_saveexec_b64 s[12:13], s[12:13]
	s_mov_b64 s[14:15], 0
	v_mov_b32_e32 v1, 8
	s_xor_b64 exec, exec, s[12:13]
; %bb.158:                              ;   in Loop: Header=BB59_6 Depth=1
	s_mov_b64 s[14:15], exec
	v_subrev_u32_e32 v4, s18, v4
	v_mov_b32_e32 v1, 0
; %bb.159:                              ;   in Loop: Header=BB59_6 Depth=1
	s_or_b64 exec, exec, s[12:13]
	s_and_b64 s[12:13], s[14:15], exec
	v_mov_b32_e32 v12, v4
.LBB59_160:                             ;   in Loop: Header=BB59_6 Depth=1
	s_or_b64 exec, exec, s[2:3]
	s_mov_b64 s[2:3], -1
                                        ; implicit-def: $sgpr8_sgpr9
                                        ; kill: killed $sgpr8_sgpr9
                                        ; implicit-def: $sgpr42_sgpr43
	s_and_saveexec_b64 s[40:41], s[12:13]
	s_cbranch_execz .LBB59_238
; %bb.161:                              ;   in Loop: Header=BB59_6 Depth=1
	s_cmp_eq_u32 s44, 1
	s_cselect_b64 s[2:3], -1, 0
	v_cmp_eq_u32_e32 vcc, 1, v12
	s_and_b64 s[14:15], s[2:3], vcc
	s_mov_b64 s[2:3], -1
                                        ; implicit-def: $sgpr42_sgpr43
                                        ; implicit-def: $sgpr8_sgpr9
                                        ; kill: killed $sgpr8_sgpr9
	s_and_saveexec_b64 s[12:13], s[14:15]
	s_cbranch_execz .LBB59_187
; %bb.162:                              ;   in Loop: Header=BB59_6 Depth=1
	ds_read_b32 v4, v9 offset:4096
	s_waitcnt lgkmcnt(0)
	s_barrier
	v_readfirstlane_b32 s8, v4
	s_mov_b64 s[2:3], exec
	v_readlane_b32 s16, v49, 29
	v_readlane_b32 s17, v49, 30
	s_and_b64 s[16:17], s[2:3], s[16:17]
	s_mov_b64 exec, s[16:17]
; %bb.163:                              ;   in Loop: Header=BB59_6 Depth=1
	ds_write_b16 v26, v9
; %bb.164:                              ;   in Loop: Header=BB59_6 Depth=1
	s_or_b64 exec, exec, s[2:3]
	s_mov_b64 s[2:3], -1
	v_and_b32_e32 v3, s51, v3
	v_writelane_b32 v49, s2, 56
	v_lshl_or_b32 v3, 2, s38, v3
	v_or_b32_e32 v2, s50, v2
	v_writelane_b32 v49, s3, 57
	s_mov_b64 s[42:43], 0
	s_cmp_eq_u32 s8, 0
	s_mov_b64 s[16:17], 0
	s_mov_b64 s[2:3], -1
	s_waitcnt lgkmcnt(0)
	s_barrier
                                        ; implicit-def: $vgpr8
	s_cbranch_scc1 .LBB59_175
; %bb.165:                              ;   in Loop: Header=BB59_6 Depth=1
	v_readlane_b32 s2, v49, 31
	s_add_i32 s2, s8, s2
	v_readlane_b32 s3, v49, 51
	s_mul_hi_u32 s3, s2, s3
	s_mul_i32 s3, s3, s52
	s_sub_i32 s3, s2, s3
	s_sub_i32 s9, s3, s52
	s_cmp_ge_u32 s3, s52
	s_cselect_b32 s3, s9, s3
	s_sub_i32 s9, s3, s52
	s_cmp_ge_u32 s3, s52
	s_cselect_b32 s3, s9, s3
	s_sub_i32 s9, s2, s3
	v_cmp_gt_u32_e32 vcc, s9, v0
	s_mov_b64 s[2:3], 0
                                        ; implicit-def: $vgpr8
	s_and_saveexec_b64 s[24:25], vcc
	s_cbranch_execz .LBB59_174
; %bb.166:                              ;   in Loop: Header=BB59_6 Depth=1
	v_mov_b32_e32 v4, v25
	v_mov_b32_e32 v8, v0
                                        ; implicit-def: $sgpr28_sgpr29
	s_branch .LBB59_169
.LBB59_167:                             ;   in Loop: Header=BB59_169 Depth=2
	s_or_b64 exec, exec, s[46:47]
	s_waitcnt lgkmcnt(0)
	s_barrier
	ds_read_b32 v13, v9 offset:3072
	s_mov_b64 s[22:23], -1
	s_waitcnt lgkmcnt(0)
	s_barrier
	v_cmp_ne_u32_sdwa s[46:47], v13, v9 src0_sel:WORD_0 src1_sel:DWORD
	s_and_b64 vcc, exec, s[46:47]
	s_mov_b64 s[46:47], -1
	s_cbranch_vccz .LBB59_172
.LBB59_168:                             ;   in Loop: Header=BB59_169 Depth=2
	s_and_b64 s[22:23], exec, s[22:23]
	s_or_b64 s[16:17], s[22:23], s[16:17]
	s_andn2_b64 s[22:23], s[28:29], exec
	s_and_b64 s[28:29], s[46:47], exec
	s_or_b64 s[28:29], s[22:23], s[28:29]
	s_andn2_b64 exec, exec, s[16:17]
	s_cbranch_execz .LBB59_173
.LBB59_169:                             ;   Parent Loop BB59_6 Depth=1
                                        ; =>  This Inner Loop Header: Depth=2
	v_cmp_gt_u32_e32 vcc, s8, v8
	s_and_saveexec_b64 s[46:47], vcc
	s_cbranch_execz .LBB59_167
; %bb.170:                              ;   in Loop: Header=BB59_169 Depth=2
	ds_read_u16 v13, v4
	s_waitcnt lgkmcnt(0)
	v_add_u32_sdwa v14, sext(v13), s5 dst_sel:DWORD dst_unused:UNUSED_PAD src0_sel:WORD_0 src1_sel:DWORD
	v_and_b32_e32 v14, v14, v2
	v_cmp_eq_u32_e32 vcc, v14, v3
	s_and_b64 exec, exec, vcc
	s_cbranch_execz .LBB59_167
; %bb.171:                              ;   in Loop: Header=BB59_169 Depth=2
	v_perm_b32 v13, v13, 1, v41
	ds_write_b32 v9, v13 offset:3072
	s_branch .LBB59_167
.LBB59_172:                             ;   in Loop: Header=BB59_169 Depth=2
	v_add_u32_e32 v8, s52, v8
	v_cmp_le_u32_e32 vcc, s9, v8
	v_add_u32_e32 v4, s4, v4
	s_mov_b64 s[46:47], 0
	s_orn2_b64 s[22:23], vcc, exec
	s_branch .LBB59_168
.LBB59_173:                             ;   in Loop: Header=BB59_6 Depth=1
	s_or_b64 exec, exec, s[16:17]
	v_lshrrev_b32_e32 v8, 16, v13
	s_and_b64 s[16:17], s[28:29], exec
.LBB59_174:                             ;   in Loop: Header=BB59_6 Depth=1
	s_or_b64 exec, exec, s[24:25]
.LBB59_175:                             ;   in Loop: Header=BB59_6 Depth=1
	s_and_b64 vcc, exec, s[2:3]
	s_cbranch_vccz .LBB59_186
; %bb.176:                              ;   in Loop: Header=BB59_6 Depth=1
                                        ; implicit-def: $vgpr8
	s_mov_b64 s[2:3], exec
	v_readlane_b32 s8, v49, 52
	v_readlane_b32 s9, v49, 53
	s_and_b64 s[8:9], s[2:3], s[8:9]
	s_mov_b64 exec, s[8:9]
	s_cbranch_execz .LBB59_185
; %bb.177:                              ;   in Loop: Header=BB59_6 Depth=1
	s_mov_b64 s[24:25], 0
	v_mov_b32_e32 v8, v7
	v_mov_b32_e32 v4, v0
                                        ; implicit-def: $sgpr28_sgpr29
	s_branch .LBB59_180
.LBB59_178:                             ;   in Loop: Header=BB59_180 Depth=2
	s_or_b64 exec, exec, s[42:43]
	s_waitcnt lgkmcnt(0)
	s_barrier
	ds_read_b32 v13, v9 offset:3072
	s_mov_b64 s[22:23], -1
	s_mov_b64 s[42:43], -1
	s_waitcnt lgkmcnt(0)
	s_barrier
	v_cmp_eq_u32_sdwa s[8:9], v13, v9 src0_sel:WORD_0 src1_sel:DWORD
	s_and_b64 vcc, exec, s[8:9]
	s_cbranch_vccnz .LBB59_183
.LBB59_179:                             ;   in Loop: Header=BB59_180 Depth=2
	s_and_b64 s[8:9], exec, s[22:23]
	s_or_b64 s[24:25], s[8:9], s[24:25]
	s_andn2_b64 s[8:9], s[28:29], exec
	s_and_b64 s[22:23], s[42:43], exec
	s_or_b64 s[28:29], s[8:9], s[22:23]
	s_andn2_b64 exec, exec, s[24:25]
	s_cbranch_execz .LBB59_184
.LBB59_180:                             ;   Parent Loop BB59_6 Depth=1
                                        ; =>  This Inner Loop Header: Depth=2
	v_cmp_gt_u32_e32 vcc, s36, v4
	s_and_saveexec_b64 s[42:43], vcc
	s_cbranch_execz .LBB59_178
; %bb.181:                              ;   in Loop: Header=BB59_180 Depth=2
	v_lshlrev_b64 v[13:14], 1, v[8:9]
	v_mov_b32_e32 v15, s48
	v_add_co_u32_e32 v13, vcc, s33, v13
	v_addc_co_u32_e32 v14, vcc, v15, v14, vcc
	global_load_ushort v13, v[13:14], off
	s_waitcnt vmcnt(0)
	v_add_u32_sdwa v14, sext(v13), s5 dst_sel:DWORD dst_unused:UNUSED_PAD src0_sel:WORD_0 src1_sel:DWORD
	v_and_b32_e32 v14, v14, v2
	v_cmp_eq_u32_e32 vcc, v14, v3
	s_and_b64 exec, exec, vcc
	s_cbranch_execz .LBB59_178
; %bb.182:                              ;   in Loop: Header=BB59_180 Depth=2
	v_perm_b32 v13, v13, 1, v41
	ds_write_b32 v9, v13 offset:3072
	s_branch .LBB59_178
.LBB59_183:                             ;   in Loop: Header=BB59_180 Depth=2
	v_add_u32_e32 v4, s52, v4
	v_cmp_le_u32_e32 vcc, s20, v4
	v_add_u32_e32 v8, s54, v8
	s_mov_b64 s[42:43], 0
	s_orn2_b64 s[22:23], vcc, exec
	s_branch .LBB59_179
.LBB59_184:                             ;   in Loop: Header=BB59_6 Depth=1
	s_or_b64 exec, exec, s[24:25]
	s_andn2_b64 s[8:9], s[16:17], exec
	s_and_b64 s[16:17], s[28:29], exec
	v_lshrrev_b32_e32 v8, 16, v13
	s_or_b64 s[16:17], s[8:9], s[16:17]
.LBB59_185:                             ;   in Loop: Header=BB59_6 Depth=1
	s_or_b64 exec, exec, s[2:3]
	s_mov_b64 s[2:3], 0
	v_writelane_b32 v49, s2, 56
	s_mov_b64 s[42:43], -1
	v_writelane_b32 v49, s3, 57
.LBB59_186:                             ;   in Loop: Header=BB59_6 Depth=1
	s_orn2_b64 s[2:3], s[16:17], exec
.LBB59_187:                             ;   in Loop: Header=BB59_6 Depth=1
	s_or_b64 exec, exec, s[12:13]
	s_mov_b64 s[12:13], 0
	s_and_saveexec_b64 s[46:47], s[2:3]
	s_cbranch_execz .LBB59_237
; %bb.188:                              ;   in Loop: Header=BB59_6 Depth=1
	s_xor_b64 s[8:9], s[14:15], -1
	v_mov_b32_e32 v4, 1
	v_mov_b32_e32 v1, 1
	s_and_saveexec_b64 s[2:3], s[8:9]
	s_cbranch_execz .LBB59_197
; %bb.189:                              ;   in Loop: Header=BB59_6 Depth=1
	v_cmp_ge_u32_e32 vcc, s44, v12
	s_and_saveexec_b64 s[8:9], vcc
	s_xor_b64 s[12:13], exec, s[8:9]
	s_cbranch_execz .LBB59_194
; %bb.190:                              ;   in Loop: Header=BB59_6 Depth=1
	v_and_b32_e32 v1, s51, v3
	v_lshl_or_b32 v3, 2, s38, v1
	ds_read_b32 v1, v9 offset:4096
	v_or_b32_e32 v2, s50, v2
	s_waitcnt lgkmcnt(0)
	v_cmp_ne_u32_e32 vcc, 0, v1
	s_cbranch_vccnz .LBB59_194
; %bb.191:                              ;   in Loop: Header=BB59_6 Depth=1
	s_mov_b64 s[8:9], exec
	v_readlane_b32 s14, v49, 14
	v_readlane_b32 s15, v49, 15
	s_and_b64 s[14:15], s[8:9], s[14:15]
	s_mov_b64 exec, s[14:15]
; %bb.192:                              ;   in Loop: Header=BB59_6 Depth=1
	v_mov_b32_e32 v1, s44
	ds_write_b32 v9, v1 offset:4100
; %bb.193:                              ;   in Loop: Header=BB59_6 Depth=1
	s_or_b64 exec, exec, s[8:9]
	s_waitcnt lgkmcnt(0)
	s_barrier
.LBB59_194:                             ;   in Loop: Header=BB59_6 Depth=1
	s_or_saveexec_b64 s[12:13], s[12:13]
	s_mov_b64 s[14:15], 0
	v_mov_b32_e32 v1, 8
	s_xor_b64 exec, exec, s[12:13]
; %bb.195:                              ;   in Loop: Header=BB59_6 Depth=1
	s_mov_b64 s[14:15], exec
	v_subrev_u32_e32 v12, s44, v12
	v_mov_b32_e32 v1, 0
; %bb.196:                              ;   in Loop: Header=BB59_6 Depth=1
	s_or_b64 exec, exec, s[12:13]
	s_and_b64 s[12:13], s[14:15], exec
	v_mov_b32_e32 v4, v12
.LBB59_197:                             ;   in Loop: Header=BB59_6 Depth=1
	s_or_b64 exec, exec, s[2:3]
	s_mov_b64 s[2:3], -1
                                        ; implicit-def: $sgpr24_sgpr25
                                        ; implicit-def: $sgpr16_sgpr17
	s_and_saveexec_b64 s[14:15], s[12:13]
	s_cbranch_execz .LBB59_236
; %bb.198:                              ;   in Loop: Header=BB59_6 Depth=1
	s_cmp_eq_u32 s45, 1
	s_cselect_b64 s[2:3], -1, 0
	v_cmp_eq_u32_e32 vcc, 1, v4
	s_mov_b64 s[56:57], -1
	s_and_b64 s[2:3], s[2:3], vcc
                                        ; implicit-def: $sgpr24_sgpr25
                                        ; implicit-def: $sgpr16_sgpr17
	s_mov_b64 s[28:29], exec
	v_writelane_b32 v49, s2, 58
	v_writelane_b32 v49, s3, 59
	s_and_b64 s[2:3], s[28:29], s[2:3]
	s_mov_b64 exec, s[2:3]
	s_cbranch_execz .LBB59_224
; %bb.199:                              ;   in Loop: Header=BB59_6 Depth=1
	ds_read_b32 v8, v9 offset:4096
	s_waitcnt lgkmcnt(0)
	s_barrier
	v_readfirstlane_b32 s12, v8
	s_mov_b64 s[2:3], exec
	v_readlane_b32 s8, v49, 29
	v_readlane_b32 s9, v49, 30
	s_and_b64 s[8:9], s[2:3], s[8:9]
	s_mov_b64 exec, s[8:9]
; %bb.200:                              ;   in Loop: Header=BB59_6 Depth=1
	ds_write_b16 v26, v9
; %bb.201:                              ;   in Loop: Header=BB59_6 Depth=1
	s_or_b64 exec, exec, s[2:3]
	v_or_b32_e32 v3, s50, v3
	v_or_b32_e32 v2, s50, v2
	s_mov_b64 s[16:17], -1
	s_mov_b64 s[24:25], 0
	s_cmp_eq_u32 s12, 0
	s_mov_b64 s[2:3], 0
	s_waitcnt lgkmcnt(0)
	s_barrier
                                        ; implicit-def: $vgpr8
	s_cbranch_scc1 .LBB59_212
; %bb.202:                              ;   in Loop: Header=BB59_6 Depth=1
	v_readlane_b32 s2, v49, 31
	s_add_i32 s2, s12, s2
	v_readlane_b32 s3, v49, 51
	s_mul_hi_u32 s3, s2, s3
	s_mul_i32 s3, s3, s52
	s_sub_i32 s3, s2, s3
	s_sub_i32 s8, s3, s52
	s_cmp_ge_u32 s3, s52
	s_cselect_b32 s3, s8, s3
	s_sub_i32 s8, s3, s52
	s_cmp_ge_u32 s3, s52
	s_cselect_b32 s3, s8, s3
	s_sub_i32 s13, s2, s3
	v_cmp_gt_u32_e32 vcc, s13, v0
	s_mov_b64 s[56:57], 0
	s_mov_b64 s[2:3], 0
                                        ; implicit-def: $vgpr8
	s_and_saveexec_b64 s[58:59], vcc
	s_cbranch_execz .LBB59_211
; %bb.203:                              ;   in Loop: Header=BB59_6 Depth=1
	v_mov_b32_e32 v8, v25
	v_mov_b32_e32 v12, v0
                                        ; implicit-def: $sgpr60_sgpr61
	s_branch .LBB59_206
.LBB59_204:                             ;   in Loop: Header=BB59_206 Depth=2
	s_or_b64 exec, exec, s[22:23]
	s_waitcnt lgkmcnt(0)
	s_barrier
	ds_read_b32 v13, v9 offset:3072
	s_mov_b64 s[22:23], -1
	s_waitcnt lgkmcnt(0)
	s_barrier
	v_cmp_ne_u32_sdwa s[8:9], v13, v9 src0_sel:WORD_0 src1_sel:DWORD
	s_and_b64 vcc, exec, s[8:9]
	s_mov_b64 s[8:9], -1
	s_cbranch_vccz .LBB59_209
.LBB59_205:                             ;   in Loop: Header=BB59_206 Depth=2
	s_and_b64 s[22:23], exec, s[22:23]
	s_or_b64 s[2:3], s[22:23], s[2:3]
	s_andn2_b64 s[22:23], s[60:61], exec
	s_and_b64 s[8:9], s[8:9], exec
	s_or_b64 s[60:61], s[22:23], s[8:9]
	s_andn2_b64 exec, exec, s[2:3]
	s_cbranch_execz .LBB59_210
.LBB59_206:                             ;   Parent Loop BB59_6 Depth=1
                                        ; =>  This Inner Loop Header: Depth=2
	v_cmp_gt_u32_e32 vcc, s12, v12
	s_and_saveexec_b64 s[22:23], vcc
	s_cbranch_execz .LBB59_204
; %bb.207:                              ;   in Loop: Header=BB59_206 Depth=2
	ds_read_u16 v13, v8
	s_waitcnt lgkmcnt(0)
	v_add_u32_sdwa v14, sext(v13), s5 dst_sel:DWORD dst_unused:UNUSED_PAD src0_sel:WORD_0 src1_sel:DWORD
	v_and_b32_e32 v14, v14, v2
	v_cmp_eq_u32_e32 vcc, v14, v3
	s_and_b64 exec, exec, vcc
	s_cbranch_execz .LBB59_204
; %bb.208:                              ;   in Loop: Header=BB59_206 Depth=2
	v_perm_b32 v13, v13, 1, v41
	ds_write_b32 v9, v13 offset:3072
	s_branch .LBB59_204
.LBB59_209:                             ;   in Loop: Header=BB59_206 Depth=2
	v_add_u32_e32 v12, s52, v12
	v_cmp_le_u32_e32 vcc, s13, v12
	v_add_u32_e32 v8, s4, v8
	s_mov_b64 s[8:9], 0
	s_orn2_b64 s[22:23], vcc, exec
	s_branch .LBB59_205
.LBB59_210:                             ;   in Loop: Header=BB59_6 Depth=1
	s_or_b64 exec, exec, s[2:3]
	v_lshrrev_b32_e32 v8, 16, v13
	s_and_b64 s[2:3], s[60:61], exec
.LBB59_211:                             ;   in Loop: Header=BB59_6 Depth=1
	s_or_b64 exec, exec, s[58:59]
.LBB59_212:                             ;   in Loop: Header=BB59_6 Depth=1
	s_and_b64 vcc, exec, s[56:57]
	s_cbranch_vccz .LBB59_223
; %bb.213:                              ;   in Loop: Header=BB59_6 Depth=1
                                        ; implicit-def: $vgpr8
	s_mov_b64 s[16:17], exec
	v_readlane_b32 s8, v49, 52
	v_readlane_b32 s9, v49, 53
	s_and_b64 s[8:9], s[16:17], s[8:9]
	s_mov_b64 exec, s[8:9]
	s_cbranch_execz .LBB59_222
; %bb.214:                              ;   in Loop: Header=BB59_6 Depth=1
	s_mov_b64 s[24:25], 0
	v_mov_b32_e32 v8, v7
	v_mov_b32_e32 v12, v0
                                        ; implicit-def: $sgpr56_sgpr57
	s_branch .LBB59_217
.LBB59_215:                             ;   in Loop: Header=BB59_217 Depth=2
	s_or_b64 exec, exec, s[58:59]
	s_waitcnt lgkmcnt(0)
	s_barrier
	ds_read_b32 v13, v9 offset:3072
	s_mov_b64 s[22:23], -1
	s_waitcnt lgkmcnt(0)
	s_barrier
	v_cmp_eq_u32_sdwa s[8:9], v13, v9 src0_sel:WORD_0 src1_sel:DWORD
	s_and_b64 vcc, exec, s[8:9]
	s_mov_b64 s[8:9], -1
	s_cbranch_vccnz .LBB59_220
.LBB59_216:                             ;   in Loop: Header=BB59_217 Depth=2
	s_and_b64 s[12:13], exec, s[22:23]
	s_or_b64 s[24:25], s[12:13], s[24:25]
	s_andn2_b64 s[12:13], s[56:57], exec
	s_and_b64 s[8:9], s[8:9], exec
	s_or_b64 s[56:57], s[12:13], s[8:9]
	s_andn2_b64 exec, exec, s[24:25]
	s_cbranch_execz .LBB59_221
.LBB59_217:                             ;   Parent Loop BB59_6 Depth=1
                                        ; =>  This Inner Loop Header: Depth=2
	v_cmp_gt_u32_e32 vcc, s36, v12
	s_and_saveexec_b64 s[58:59], vcc
	s_cbranch_execz .LBB59_215
; %bb.218:                              ;   in Loop: Header=BB59_217 Depth=2
	v_lshlrev_b64 v[13:14], 1, v[8:9]
	v_mov_b32_e32 v15, s48
	v_add_co_u32_e32 v13, vcc, s33, v13
	v_addc_co_u32_e32 v14, vcc, v15, v14, vcc
	global_load_ushort v13, v[13:14], off
	s_waitcnt vmcnt(0)
	v_add_u32_sdwa v14, sext(v13), s5 dst_sel:DWORD dst_unused:UNUSED_PAD src0_sel:WORD_0 src1_sel:DWORD
	v_and_b32_e32 v14, v14, v2
	v_cmp_eq_u32_e32 vcc, v14, v3
	s_and_b64 exec, exec, vcc
	s_cbranch_execz .LBB59_215
; %bb.219:                              ;   in Loop: Header=BB59_217 Depth=2
	v_perm_b32 v13, v13, 1, v41
	ds_write_b32 v9, v13 offset:3072
	s_branch .LBB59_215
.LBB59_220:                             ;   in Loop: Header=BB59_217 Depth=2
	v_add_u32_e32 v12, s52, v12
	v_cmp_le_u32_e32 vcc, s20, v12
	v_add_u32_e32 v8, s54, v8
	s_mov_b64 s[8:9], 0
	s_orn2_b64 s[22:23], vcc, exec
	s_branch .LBB59_216
.LBB59_221:                             ;   in Loop: Header=BB59_6 Depth=1
	s_or_b64 exec, exec, s[24:25]
	s_andn2_b64 s[2:3], s[2:3], exec
	s_and_b64 s[8:9], s[56:57], exec
	v_lshrrev_b32_e32 v8, 16, v13
	s_or_b64 s[2:3], s[2:3], s[8:9]
.LBB59_222:                             ;   in Loop: Header=BB59_6 Depth=1
	s_or_b64 exec, exec, s[16:17]
	s_mov_b64 s[16:17], 0
	s_mov_b64 s[24:25], -1
.LBB59_223:                             ;   in Loop: Header=BB59_6 Depth=1
	s_orn2_b64 s[56:57], s[2:3], exec
.LBB59_224:                             ;   in Loop: Header=BB59_6 Depth=1
	s_or_b64 exec, exec, s[28:29]
	s_mov_b64 s[28:29], 0
	s_and_saveexec_b64 s[2:3], s[56:57]
	s_cbranch_execz .LBB59_235
; %bb.225:                              ;   in Loop: Header=BB59_6 Depth=1
	v_readlane_b32 s8, v49, 58
	v_readlane_b32 s9, v49, 59
	s_xor_b64 s[8:9], s[8:9], -1
	v_mov_b32_e32 v1, 1
	v_mov_b32_e32 v12, 1
	s_and_saveexec_b64 s[12:13], s[8:9]
	s_cbranch_execz .LBB59_234
; %bb.226:                              ;   in Loop: Header=BB59_6 Depth=1
	v_cmp_ge_u32_e32 vcc, s45, v4
	s_and_saveexec_b64 s[8:9], vcc
	s_xor_b64 s[28:29], exec, s[8:9]
	s_cbranch_execz .LBB59_231
; %bb.227:                              ;   in Loop: Header=BB59_6 Depth=1
	ds_read_b32 v1, v9 offset:4096
	v_or_b32_e32 v3, s50, v3
	v_or_b32_e32 v2, s50, v2
	s_waitcnt lgkmcnt(0)
	v_cmp_ne_u32_e32 vcc, 0, v1
	s_cbranch_vccnz .LBB59_231
; %bb.228:                              ;   in Loop: Header=BB59_6 Depth=1
	s_mov_b64 s[8:9], exec
	v_readlane_b32 s22, v49, 14
	v_readlane_b32 s23, v49, 15
	s_and_b64 s[22:23], s[8:9], s[22:23]
	s_mov_b64 exec, s[22:23]
; %bb.229:                              ;   in Loop: Header=BB59_6 Depth=1
	v_mov_b32_e32 v1, s45
	ds_write_b32 v9, v1 offset:4100
; %bb.230:                              ;   in Loop: Header=BB59_6 Depth=1
	s_or_b64 exec, exec, s[8:9]
	s_waitcnt lgkmcnt(0)
	s_barrier
.LBB59_231:                             ;   in Loop: Header=BB59_6 Depth=1
	s_andn2_saveexec_b64 s[22:23], s[28:29]
; %bb.232:                              ;   in Loop: Header=BB59_6 Depth=1
	v_subrev_u32_e32 v4, s45, v4
; %bb.233:                              ;   in Loop: Header=BB59_6 Depth=1
	s_or_b64 exec, exec, s[22:23]
	v_mov_b32_e32 v1, 8
	v_mov_b32_e32 v12, v4
.LBB59_234:                             ;   in Loop: Header=BB59_6 Depth=1
	s_or_b64 exec, exec, s[12:13]
	s_mov_b64 s[28:29], exec
	v_mov_b32_e32 v4, v12
.LBB59_235:                             ;   in Loop: Header=BB59_6 Depth=1
	s_or_b64 exec, exec, s[2:3]
	s_orn2_b64 s[2:3], s[28:29], exec
.LBB59_236:                             ;   in Loop: Header=BB59_6 Depth=1
	s_or_b64 exec, exec, s[14:15]
	s_andn2_b64 s[8:9], s[42:43], exec
	s_and_b64 s[12:13], s[24:25], exec
	s_or_b64 s[42:43], s[8:9], s[12:13]
	v_readlane_b32 s8, v49, 56
	v_readlane_b32 s9, v49, 57
	s_andn2_b64 s[8:9], s[8:9], exec
	s_and_b64 s[12:13], s[16:17], exec
	s_or_b64 s[8:9], s[8:9], s[12:13]
	v_writelane_b32 v49, s8, 56
	s_and_b64 s[12:13], s[2:3], exec
	v_mov_b32_e32 v12, v4
	v_writelane_b32 v49, s9, 57
.LBB59_237:                             ;   in Loop: Header=BB59_6 Depth=1
	s_or_b64 exec, exec, s[46:47]
	s_orn2_b64 s[2:3], s[12:13], exec
.LBB59_238:                             ;   in Loop: Header=BB59_6 Depth=1
	s_or_b64 exec, exec, s[40:41]
	s_andn2_b64 s[8:9], s[84:85], exec
	s_and_b64 s[12:13], s[42:43], exec
	s_or_b64 s[84:85], s[8:9], s[12:13]
	v_readlane_b32 s12, v49, 56
	v_readlane_b32 s13, v49, 57
	s_andn2_b64 s[8:9], s[34:35], exec
	s_and_b64 s[12:13], s[12:13], exec
	s_or_b64 s[34:35], s[8:9], s[12:13]
	s_and_b64 s[12:13], s[2:3], exec
	v_mov_b32_e32 v4, v12
.LBB59_239:                             ;   in Loop: Header=BB59_6 Depth=1
	s_or_b64 exec, exec, s[94:95]
	s_orn2_b64 s[2:3], s[12:13], exec
.LBB59_240:                             ;   in Loop: Header=BB59_6 Depth=1
	s_or_b64 exec, exec, s[6:7]
	s_mov_b64 s[6:7], 0
	s_mov_b64 s[12:13], 0
	s_and_saveexec_b64 s[8:9], s[2:3]
	s_xor_b64 s[2:3], exec, s[8:9]
; %bb.241:                              ;   in Loop: Header=BB59_6 Depth=1
	v_cmp_eq_u32_e32 vcc, 8, v1
	v_cmp_ne_u32_e64 s[6:7], 8, v1
	s_and_b64 s[12:13], s[6:7], exec
	s_and_b64 s[6:7], vcc, exec
; %bb.242:                              ;   in Loop: Header=BB59_6 Depth=1
	s_or_b64 exec, exec, s[2:3]
	s_andn2_b64 s[2:3], s[88:89], exec
	s_and_b64 s[8:9], s[84:85], exec
	s_or_b64 s[88:89], s[2:3], s[8:9]
	s_andn2_b64 s[2:3], s[86:87], exec
	s_and_b64 s[8:9], s[34:35], exec
	s_or_b64 s[86:87], s[2:3], s[8:9]
	s_and_b64 s[34:35], s[12:13], exec
	s_and_b64 s[84:85], s[6:7], exec
.LBB59_243:                             ;   in Loop: Header=BB59_6 Depth=1
	s_or_b64 exec, exec, s[92:93]
.LBB59_244:                             ;   in Loop: Header=BB59_6 Depth=1
	s_and_b64 vcc, exec, s[90:91]
	s_cbranch_vccz .LBB59_257
; %bb.245:                              ;   in Loop: Header=BB59_6 Depth=1
	s_cmp_eq_u32 s45, 1
	s_cselect_b64 s[2:3], -1, 0
	s_and_b64 s[6:7], s[2:3], s[26:27]
	s_mov_b64 s[2:3], -1
                                        ; implicit-def: $sgpr26_sgpr27
                                        ; implicit-def: $sgpr30_sgpr31
	s_and_saveexec_b64 s[12:13], s[6:7]
	s_cbranch_execz .LBB59_272
; %bb.246:                              ;   in Loop: Header=BB59_6 Depth=1
	ds_read_b32 v1, v9 offset:4096
	s_waitcnt lgkmcnt(0)
	s_barrier
	v_readfirstlane_b32 s40, v1
	s_mov_b64 s[2:3], exec
	v_readlane_b32 s8, v49, 29
	v_readlane_b32 s9, v49, 30
	s_and_b64 s[8:9], s[2:3], s[8:9]
	s_mov_b64 exec, s[8:9]
; %bb.247:                              ;   in Loop: Header=BB59_6 Depth=1
	ds_write_b16 v26, v9
; %bb.248:                              ;   in Loop: Header=BB59_6 Depth=1
	s_or_b64 exec, exec, s[2:3]
	v_or_b32_e32 v37, s50, v37
	v_or_b32_e32 v42, s50, v42
	s_mov_b64 s[30:31], -1
	s_mov_b64 s[26:27], 0
	s_cmp_eq_u32 s40, 0
	s_mov_b64 s[14:15], 0
	s_mov_b64 s[2:3], -1
	s_waitcnt lgkmcnt(0)
	s_barrier
                                        ; implicit-def: $vgpr43
	s_cbranch_scc1 .LBB59_260
; %bb.249:                              ;   in Loop: Header=BB59_6 Depth=1
	v_readlane_b32 s2, v49, 31
	s_add_i32 s2, s40, s2
	v_readlane_b32 s3, v49, 51
	s_mul_hi_u32 s3, s2, s3
	s_mul_i32 s3, s3, s52
	s_sub_i32 s3, s2, s3
	s_sub_i32 s8, s3, s52
	s_cmp_ge_u32 s3, s52
	s_cselect_b32 s3, s8, s3
	s_sub_i32 s8, s3, s52
	s_cmp_ge_u32 s3, s52
	s_cselect_b32 s3, s8, s3
	s_sub_i32 s41, s2, s3
	v_cmp_gt_u32_e32 vcc, s41, v0
	s_mov_b64 s[2:3], 0
                                        ; implicit-def: $vgpr43
	s_and_saveexec_b64 s[16:17], vcc
	s_cbranch_execz .LBB59_259
; %bb.250:                              ;   in Loop: Header=BB59_6 Depth=1
	v_mov_b32_e32 v1, v25
	v_mov_b32_e32 v2, v0
                                        ; implicit-def: $sgpr24_sgpr25
	s_branch .LBB59_253
.LBB59_251:                             ;   in Loop: Header=BB59_253 Depth=2
	s_or_b64 exec, exec, s[28:29]
	s_waitcnt lgkmcnt(0)
	s_barrier
	ds_read_b32 v3, v9 offset:3072
	s_mov_b64 s[22:23], -1
	s_waitcnt lgkmcnt(0)
	s_barrier
	v_cmp_ne_u32_sdwa s[8:9], v3, v9 src0_sel:WORD_0 src1_sel:DWORD
	s_and_b64 vcc, exec, s[8:9]
	s_mov_b64 s[8:9], -1
	s_cbranch_vccz .LBB59_256
.LBB59_252:                             ;   in Loop: Header=BB59_253 Depth=2
	s_and_b64 s[22:23], exec, s[22:23]
	s_or_b64 s[14:15], s[22:23], s[14:15]
	s_andn2_b64 s[22:23], s[24:25], exec
	s_and_b64 s[8:9], s[8:9], exec
	s_or_b64 s[24:25], s[22:23], s[8:9]
	s_andn2_b64 exec, exec, s[14:15]
	s_cbranch_execz .LBB59_258
.LBB59_253:                             ;   Parent Loop BB59_6 Depth=1
                                        ; =>  This Inner Loop Header: Depth=2
	v_cmp_gt_u32_e32 vcc, s40, v2
	s_and_saveexec_b64 s[28:29], vcc
	s_cbranch_execz .LBB59_251
; %bb.254:                              ;   in Loop: Header=BB59_253 Depth=2
	ds_read_u16 v3, v1
	s_waitcnt lgkmcnt(0)
	v_add_u32_sdwa v4, sext(v3), s5 dst_sel:DWORD dst_unused:UNUSED_PAD src0_sel:WORD_0 src1_sel:DWORD
	v_and_b32_e32 v4, v4, v42
	v_cmp_eq_u32_e32 vcc, v4, v37
	s_and_b64 exec, exec, vcc
	s_cbranch_execz .LBB59_251
; %bb.255:                              ;   in Loop: Header=BB59_253 Depth=2
	v_perm_b32 v3, v3, 1, v41
	ds_write_b32 v9, v3 offset:3072
	s_branch .LBB59_251
.LBB59_256:                             ;   in Loop: Header=BB59_253 Depth=2
	v_add_u32_e32 v2, s52, v2
	v_cmp_le_u32_e32 vcc, s41, v2
	v_add_u32_e32 v1, s4, v1
	s_mov_b64 s[8:9], 0
	s_orn2_b64 s[22:23], vcc, exec
	s_branch .LBB59_252
.LBB59_257:                             ;   in Loop: Header=BB59_6 Depth=1
	s_mov_b64 s[26:27], 0
	v_mov_b32_e32 v37, v3
	v_mov_b32_e32 v42, v2
	;; [unrolled: 1-line block ×3, first 2 shown]
	s_and_saveexec_b64 s[2:3], s[84:85]
	s_cbranch_execnz .LBB59_403
	s_branch .LBB59_404
.LBB59_258:                             ;   in Loop: Header=BB59_6 Depth=1
	s_or_b64 exec, exec, s[14:15]
	v_lshrrev_b32_e32 v43, 16, v3
	s_and_b64 s[14:15], s[24:25], exec
.LBB59_259:                             ;   in Loop: Header=BB59_6 Depth=1
	s_or_b64 exec, exec, s[16:17]
.LBB59_260:                             ;   in Loop: Header=BB59_6 Depth=1
	s_and_b64 vcc, exec, s[2:3]
	s_cbranch_vccz .LBB59_271
; %bb.261:                              ;   in Loop: Header=BB59_6 Depth=1
                                        ; implicit-def: $vgpr43
	s_mov_b64 s[2:3], exec
	v_readlane_b32 s8, v49, 52
	v_readlane_b32 s9, v49, 53
	s_and_b64 s[8:9], s[2:3], s[8:9]
	s_mov_b64 exec, s[8:9]
	s_cbranch_execz .LBB59_270
; %bb.262:                              ;   in Loop: Header=BB59_6 Depth=1
	s_mov_b64 s[16:17], 0
	v_mov_b32_e32 v8, v7
	v_mov_b32_e32 v1, v0
                                        ; implicit-def: $sgpr24_sgpr25
	s_branch .LBB59_265
.LBB59_263:                             ;   in Loop: Header=BB59_265 Depth=2
	s_or_b64 exec, exec, s[26:27]
	s_waitcnt lgkmcnt(0)
	s_barrier
	ds_read_b32 v2, v9 offset:3072
	s_mov_b64 s[22:23], -1
	s_waitcnt lgkmcnt(0)
	s_barrier
	v_cmp_ne_u32_sdwa s[8:9], v2, v9 src0_sel:WORD_0 src1_sel:DWORD
	s_and_b64 vcc, exec, s[8:9]
	s_mov_b64 s[8:9], -1
	s_cbranch_vccz .LBB59_268
.LBB59_264:                             ;   in Loop: Header=BB59_265 Depth=2
	s_and_b64 s[22:23], exec, s[22:23]
	s_or_b64 s[16:17], s[22:23], s[16:17]
	s_andn2_b64 s[22:23], s[24:25], exec
	s_and_b64 s[8:9], s[8:9], exec
	s_or_b64 s[24:25], s[22:23], s[8:9]
	s_andn2_b64 exec, exec, s[16:17]
	s_cbranch_execz .LBB59_269
.LBB59_265:                             ;   Parent Loop BB59_6 Depth=1
                                        ; =>  This Inner Loop Header: Depth=2
	v_cmp_gt_u32_e32 vcc, s36, v1
	s_and_saveexec_b64 s[26:27], vcc
	s_cbranch_execz .LBB59_263
; %bb.266:                              ;   in Loop: Header=BB59_265 Depth=2
	v_lshlrev_b64 v[2:3], 1, v[8:9]
	v_mov_b32_e32 v4, s48
	v_add_co_u32_e32 v2, vcc, s33, v2
	v_addc_co_u32_e32 v3, vcc, v4, v3, vcc
	global_load_ushort v2, v[2:3], off
	s_waitcnt vmcnt(0)
	v_add_u32_sdwa v3, sext(v2), s5 dst_sel:DWORD dst_unused:UNUSED_PAD src0_sel:WORD_0 src1_sel:DWORD
	v_and_b32_e32 v3, v3, v42
	v_cmp_eq_u32_e32 vcc, v3, v37
	s_and_b64 exec, exec, vcc
	s_cbranch_execz .LBB59_263
; %bb.267:                              ;   in Loop: Header=BB59_265 Depth=2
	v_perm_b32 v2, v2, 1, v41
	ds_write_b32 v9, v2 offset:3072
	s_branch .LBB59_263
.LBB59_268:                             ;   in Loop: Header=BB59_265 Depth=2
	v_add_u32_e32 v1, s52, v1
	v_cmp_le_u32_e32 vcc, s20, v1
	v_add_u32_e32 v8, s54, v8
	s_mov_b64 s[8:9], 0
	s_orn2_b64 s[22:23], vcc, exec
	s_branch .LBB59_264
.LBB59_269:                             ;   in Loop: Header=BB59_6 Depth=1
	s_or_b64 exec, exec, s[16:17]
	s_andn2_b64 s[8:9], s[14:15], exec
	s_and_b64 s[14:15], s[24:25], exec
	v_lshrrev_b32_e32 v43, 16, v2
	s_or_b64 s[14:15], s[8:9], s[14:15]
.LBB59_270:                             ;   in Loop: Header=BB59_6 Depth=1
	s_or_b64 exec, exec, s[2:3]
	s_mov_b64 s[30:31], 0
	s_mov_b64 s[26:27], -1
.LBB59_271:                             ;   in Loop: Header=BB59_6 Depth=1
	s_orn2_b64 s[2:3], s[14:15], exec
.LBB59_272:                             ;   in Loop: Header=BB59_6 Depth=1
	s_or_b64 exec, exec, s[12:13]
                                        ; implicit-def: $vgpr4
                                        ; implicit-def: $vgpr1
	s_and_saveexec_b64 s[86:87], s[2:3]
	s_cbranch_execz .LBB59_402
; %bb.273:                              ;   in Loop: Header=BB59_6 Depth=1
	s_xor_b64 s[8:9], s[6:7], -1
	s_mov_b64 s[6:7], 0
	v_mov_b32_e32 v4, 1
	v_mov_b32_e32 v1, 1
	s_and_saveexec_b64 s[2:3], s[8:9]
	s_cbranch_execz .LBB59_282
; %bb.274:                              ;   in Loop: Header=BB59_6 Depth=1
	v_cmp_ge_u32_e32 vcc, s45, v44
	s_and_saveexec_b64 s[6:7], vcc
	s_xor_b64 s[6:7], exec, s[6:7]
	s_cbranch_execz .LBB59_279
; %bb.275:                              ;   in Loop: Header=BB59_6 Depth=1
	ds_read_b32 v1, v9 offset:4096
	v_or_b32_e32 v37, s50, v37
	v_or_b32_e32 v42, s50, v42
	s_waitcnt lgkmcnt(0)
	v_cmp_ne_u32_e32 vcc, 0, v1
	s_cbranch_vccnz .LBB59_279
; %bb.276:                              ;   in Loop: Header=BB59_6 Depth=1
	s_mov_b64 s[8:9], exec
	v_readlane_b32 s12, v49, 14
	v_readlane_b32 s13, v49, 15
	s_and_b64 s[12:13], s[8:9], s[12:13]
	s_mov_b64 exec, s[12:13]
; %bb.277:                              ;   in Loop: Header=BB59_6 Depth=1
	v_mov_b32_e32 v1, s45
	ds_write_b32 v9, v1 offset:4100
; %bb.278:                              ;   in Loop: Header=BB59_6 Depth=1
	s_or_b64 exec, exec, s[8:9]
	s_waitcnt lgkmcnt(0)
	s_barrier
.LBB59_279:                             ;   in Loop: Header=BB59_6 Depth=1
	s_or_saveexec_b64 s[6:7], s[6:7]
	s_mov_b64 s[12:13], 0
	v_mov_b32_e32 v1, 5
	s_xor_b64 exec, exec, s[6:7]
; %bb.280:                              ;   in Loop: Header=BB59_6 Depth=1
	v_subrev_u32_e32 v44, s45, v44
	v_mov_b32_e32 v1, 0
	s_mov_b64 s[12:13], exec
; %bb.281:                              ;   in Loop: Header=BB59_6 Depth=1
	s_or_b64 exec, exec, s[6:7]
	s_and_b64 s[6:7], s[12:13], exec
	v_mov_b32_e32 v4, v44
.LBB59_282:                             ;   in Loop: Header=BB59_6 Depth=1
	s_or_b64 exec, exec, s[2:3]
	s_mov_b64 s[2:3], -1
                                        ; implicit-def: $sgpr88_sgpr89
                                        ; implicit-def: $sgpr90_sgpr91
	s_and_saveexec_b64 s[8:9], s[6:7]
	s_xor_b64 s[6:7], exec, s[8:9]
	s_cbranch_execz .LBB59_399
; %bb.283:                              ;   in Loop: Header=BB59_6 Depth=1
	s_cmp_eq_u32 s44, 1
	s_cselect_b64 s[2:3], -1, 0
	v_cmp_eq_u32_e32 vcc, 1, v4
	s_and_b64 s[14:15], s[2:3], vcc
	s_mov_b64 s[2:3], -1
                                        ; implicit-def: $sgpr90_sgpr91
                                        ; implicit-def: $sgpr88_sgpr89
	s_and_saveexec_b64 s[12:13], s[14:15]
	s_cbranch_execz .LBB59_309
; %bb.284:                              ;   in Loop: Header=BB59_6 Depth=1
	ds_read_b32 v2, v9 offset:4096
	s_waitcnt lgkmcnt(0)
	s_barrier
	v_readfirstlane_b32 s42, v2
	s_mov_b64 s[2:3], exec
	v_readlane_b32 s8, v49, 29
	v_readlane_b32 s9, v49, 30
	s_and_b64 s[8:9], s[2:3], s[8:9]
	s_mov_b64 exec, s[8:9]
; %bb.285:                              ;   in Loop: Header=BB59_6 Depth=1
	ds_write_b16 v26, v9
; %bb.286:                              ;   in Loop: Header=BB59_6 Depth=1
	s_or_b64 exec, exec, s[2:3]
	v_and_b32_e32 v2, s51, v37
	v_lshl_or_b32 v37, 2, s38, v2
	v_or_b32_e32 v42, s50, v42
	s_mov_b64 s[88:89], -1
	s_mov_b64 s[90:91], 0
	s_cmp_eq_u32 s42, 0
	s_mov_b64 s[16:17], 0
	s_mov_b64 s[2:3], -1
	s_waitcnt lgkmcnt(0)
	s_barrier
                                        ; implicit-def: $vgpr43
	s_cbranch_scc1 .LBB59_297
; %bb.287:                              ;   in Loop: Header=BB59_6 Depth=1
	v_readlane_b32 s2, v49, 31
	s_add_i32 s2, s42, s2
	v_readlane_b32 s3, v49, 51
	s_mul_hi_u32 s3, s2, s3
	s_mul_i32 s3, s3, s52
	s_sub_i32 s3, s2, s3
	s_sub_i32 s8, s3, s52
	s_cmp_ge_u32 s3, s52
	s_cselect_b32 s3, s8, s3
	s_sub_i32 s8, s3, s52
	s_cmp_ge_u32 s3, s52
	s_cselect_b32 s3, s8, s3
	s_sub_i32 s43, s2, s3
	v_cmp_gt_u32_e32 vcc, s43, v0
	s_mov_b64 s[2:3], 0
                                        ; implicit-def: $vgpr43
	s_and_saveexec_b64 s[24:25], vcc
	s_cbranch_execz .LBB59_296
; %bb.288:                              ;   in Loop: Header=BB59_6 Depth=1
	v_mov_b32_e32 v2, v25
	v_mov_b32_e32 v3, v0
                                        ; implicit-def: $sgpr28_sgpr29
	s_branch .LBB59_291
.LBB59_289:                             ;   in Loop: Header=BB59_291 Depth=2
	s_or_b64 exec, exec, s[40:41]
	s_waitcnt lgkmcnt(0)
	s_barrier
	ds_read_b32 v8, v9 offset:3072
	s_mov_b64 s[22:23], -1
	s_waitcnt lgkmcnt(0)
	s_barrier
	v_cmp_ne_u32_sdwa s[8:9], v8, v9 src0_sel:WORD_0 src1_sel:DWORD
	s_and_b64 vcc, exec, s[8:9]
	s_mov_b64 s[8:9], -1
	s_cbranch_vccz .LBB59_294
.LBB59_290:                             ;   in Loop: Header=BB59_291 Depth=2
	s_and_b64 s[22:23], exec, s[22:23]
	s_or_b64 s[16:17], s[22:23], s[16:17]
	s_andn2_b64 s[22:23], s[28:29], exec
	s_and_b64 s[8:9], s[8:9], exec
	s_or_b64 s[28:29], s[22:23], s[8:9]
	s_andn2_b64 exec, exec, s[16:17]
	s_cbranch_execz .LBB59_295
.LBB59_291:                             ;   Parent Loop BB59_6 Depth=1
                                        ; =>  This Inner Loop Header: Depth=2
	v_cmp_gt_u32_e32 vcc, s42, v3
	s_and_saveexec_b64 s[40:41], vcc
	s_cbranch_execz .LBB59_289
; %bb.292:                              ;   in Loop: Header=BB59_291 Depth=2
	ds_read_u16 v8, v2
	s_waitcnt lgkmcnt(0)
	v_add_u32_sdwa v12, sext(v8), s5 dst_sel:DWORD dst_unused:UNUSED_PAD src0_sel:WORD_0 src1_sel:DWORD
	v_and_b32_e32 v12, v12, v42
	v_cmp_eq_u32_e32 vcc, v12, v37
	s_and_b64 exec, exec, vcc
	s_cbranch_execz .LBB59_289
; %bb.293:                              ;   in Loop: Header=BB59_291 Depth=2
	v_perm_b32 v8, v8, 1, v41
	ds_write_b32 v9, v8 offset:3072
	s_branch .LBB59_289
.LBB59_294:                             ;   in Loop: Header=BB59_291 Depth=2
	v_add_u32_e32 v3, s52, v3
	v_cmp_le_u32_e32 vcc, s43, v3
	v_add_u32_e32 v2, s4, v2
	s_mov_b64 s[8:9], 0
	s_orn2_b64 s[22:23], vcc, exec
	s_branch .LBB59_290
.LBB59_295:                             ;   in Loop: Header=BB59_6 Depth=1
	s_or_b64 exec, exec, s[16:17]
	v_lshrrev_b32_e32 v43, 16, v8
	s_and_b64 s[16:17], s[28:29], exec
.LBB59_296:                             ;   in Loop: Header=BB59_6 Depth=1
	s_or_b64 exec, exec, s[24:25]
.LBB59_297:                             ;   in Loop: Header=BB59_6 Depth=1
	s_and_b64 vcc, exec, s[2:3]
	s_cbranch_vccz .LBB59_308
; %bb.298:                              ;   in Loop: Header=BB59_6 Depth=1
                                        ; implicit-def: $vgpr43
	s_mov_b64 s[2:3], exec
	v_readlane_b32 s8, v49, 52
	v_readlane_b32 s9, v49, 53
	s_and_b64 s[8:9], s[2:3], s[8:9]
	s_mov_b64 exec, s[8:9]
	s_cbranch_execz .LBB59_307
; %bb.299:                              ;   in Loop: Header=BB59_6 Depth=1
	s_mov_b64 s[24:25], 0
	v_mov_b32_e32 v8, v7
	v_mov_b32_e32 v2, v0
                                        ; implicit-def: $sgpr28_sgpr29
	s_branch .LBB59_302
.LBB59_300:                             ;   in Loop: Header=BB59_302 Depth=2
	s_or_b64 exec, exec, s[40:41]
	s_waitcnt lgkmcnt(0)
	s_barrier
	ds_read_b32 v3, v9 offset:3072
	s_mov_b64 s[22:23], -1
	s_waitcnt lgkmcnt(0)
	s_barrier
	v_cmp_eq_u32_sdwa s[8:9], v3, v9 src0_sel:WORD_0 src1_sel:DWORD
	s_and_b64 vcc, exec, s[8:9]
	s_mov_b64 s[8:9], -1
	s_cbranch_vccnz .LBB59_305
.LBB59_301:                             ;   in Loop: Header=BB59_302 Depth=2
	s_and_b64 s[22:23], exec, s[22:23]
	s_or_b64 s[24:25], s[22:23], s[24:25]
	s_andn2_b64 s[22:23], s[28:29], exec
	s_and_b64 s[8:9], s[8:9], exec
	s_or_b64 s[28:29], s[22:23], s[8:9]
	s_andn2_b64 exec, exec, s[24:25]
	s_cbranch_execz .LBB59_306
.LBB59_302:                             ;   Parent Loop BB59_6 Depth=1
                                        ; =>  This Inner Loop Header: Depth=2
	v_cmp_gt_u32_e32 vcc, s36, v2
	s_and_saveexec_b64 s[40:41], vcc
	s_cbranch_execz .LBB59_300
; %bb.303:                              ;   in Loop: Header=BB59_302 Depth=2
	v_lshlrev_b64 v[12:13], 1, v[8:9]
	v_mov_b32_e32 v3, s48
	v_add_co_u32_e32 v12, vcc, s33, v12
	v_addc_co_u32_e32 v13, vcc, v3, v13, vcc
	global_load_ushort v3, v[12:13], off
	s_waitcnt vmcnt(0)
	v_add_u32_sdwa v12, sext(v3), s5 dst_sel:DWORD dst_unused:UNUSED_PAD src0_sel:WORD_0 src1_sel:DWORD
	v_and_b32_e32 v12, v12, v42
	v_cmp_eq_u32_e32 vcc, v12, v37
	s_and_b64 exec, exec, vcc
	s_cbranch_execz .LBB59_300
; %bb.304:                              ;   in Loop: Header=BB59_302 Depth=2
	v_perm_b32 v3, v3, 1, v41
	ds_write_b32 v9, v3 offset:3072
	s_branch .LBB59_300
.LBB59_305:                             ;   in Loop: Header=BB59_302 Depth=2
	v_add_u32_e32 v2, s52, v2
	v_cmp_le_u32_e32 vcc, s20, v2
	v_add_u32_e32 v8, s54, v8
	s_mov_b64 s[8:9], 0
	s_orn2_b64 s[22:23], vcc, exec
	s_branch .LBB59_301
.LBB59_306:                             ;   in Loop: Header=BB59_6 Depth=1
	s_or_b64 exec, exec, s[24:25]
	s_andn2_b64 s[8:9], s[16:17], exec
	s_and_b64 s[16:17], s[28:29], exec
	v_lshrrev_b32_e32 v43, 16, v3
	s_or_b64 s[16:17], s[8:9], s[16:17]
.LBB59_307:                             ;   in Loop: Header=BB59_6 Depth=1
	s_or_b64 exec, exec, s[2:3]
	s_mov_b64 s[88:89], 0
	s_mov_b64 s[90:91], -1
.LBB59_308:                             ;   in Loop: Header=BB59_6 Depth=1
	s_orn2_b64 s[2:3], s[16:17], exec
.LBB59_309:                             ;   in Loop: Header=BB59_6 Depth=1
	s_or_b64 exec, exec, s[12:13]
	s_mov_b64 s[12:13], 0
	s_and_saveexec_b64 s[92:93], s[2:3]
	s_cbranch_execz .LBB59_398
; %bb.310:                              ;   in Loop: Header=BB59_6 Depth=1
	s_xor_b64 s[8:9], s[14:15], -1
	v_mov_b32_e32 v2, 1
	v_mov_b32_e32 v1, 1
	s_and_saveexec_b64 s[2:3], s[8:9]
	s_cbranch_execz .LBB59_319
; %bb.311:                              ;   in Loop: Header=BB59_6 Depth=1
	v_cmp_ge_u32_e32 vcc, s44, v4
	s_and_saveexec_b64 s[8:9], vcc
	s_xor_b64 s[12:13], exec, s[8:9]
	s_cbranch_execz .LBB59_316
; %bb.312:                              ;   in Loop: Header=BB59_6 Depth=1
	v_and_b32_e32 v1, s51, v37
	v_lshl_or_b32 v37, 2, s38, v1
	ds_read_b32 v1, v9 offset:4096
	v_or_b32_e32 v42, s50, v42
	s_waitcnt lgkmcnt(0)
	v_cmp_ne_u32_e32 vcc, 0, v1
	s_cbranch_vccnz .LBB59_316
; %bb.313:                              ;   in Loop: Header=BB59_6 Depth=1
	s_mov_b64 s[8:9], exec
	v_readlane_b32 s14, v49, 14
	v_readlane_b32 s15, v49, 15
	s_and_b64 s[14:15], s[8:9], s[14:15]
	s_mov_b64 exec, s[14:15]
; %bb.314:                              ;   in Loop: Header=BB59_6 Depth=1
	v_mov_b32_e32 v1, s44
	ds_write_b32 v9, v1 offset:4100
; %bb.315:                              ;   in Loop: Header=BB59_6 Depth=1
	s_or_b64 exec, exec, s[8:9]
	s_waitcnt lgkmcnt(0)
	s_barrier
.LBB59_316:                             ;   in Loop: Header=BB59_6 Depth=1
	s_or_saveexec_b64 s[12:13], s[12:13]
	s_mov_b64 s[14:15], 0
	v_mov_b32_e32 v1, 5
	s_xor_b64 exec, exec, s[12:13]
; %bb.317:                              ;   in Loop: Header=BB59_6 Depth=1
	v_subrev_u32_e32 v4, s44, v4
	v_mov_b32_e32 v1, 0
	s_mov_b64 s[14:15], exec
; %bb.318:                              ;   in Loop: Header=BB59_6 Depth=1
	s_or_b64 exec, exec, s[12:13]
	s_and_b64 s[12:13], s[14:15], exec
	v_mov_b32_e32 v2, v4
.LBB59_319:                             ;   in Loop: Header=BB59_6 Depth=1
	s_or_b64 exec, exec, s[2:3]
	s_mov_b64 s[2:3], -1
                                        ; implicit-def: $sgpr40_sgpr41
                                        ; implicit-def: $sgpr42_sgpr43
	s_and_saveexec_b64 s[94:95], s[12:13]
	s_cbranch_execz .LBB59_397
; %bb.320:                              ;   in Loop: Header=BB59_6 Depth=1
	s_cmp_eq_u32 s18, 1
	s_cselect_b64 s[2:3], -1, 0
	v_cmp_eq_u32_e32 vcc, 1, v2
	s_and_b64 s[14:15], s[2:3], vcc
	s_mov_b64 s[2:3], -1
                                        ; implicit-def: $sgpr42_sgpr43
                                        ; implicit-def: $sgpr40_sgpr41
	s_and_saveexec_b64 s[12:13], s[14:15]
	s_cbranch_execz .LBB59_346
; %bb.321:                              ;   in Loop: Header=BB59_6 Depth=1
	ds_read_b32 v3, v9 offset:4096
	s_waitcnt lgkmcnt(0)
	s_barrier
	v_readfirstlane_b32 s46, v3
	s_mov_b64 s[2:3], exec
	v_readlane_b32 s8, v49, 29
	v_readlane_b32 s9, v49, 30
	s_and_b64 s[8:9], s[2:3], s[8:9]
	s_mov_b64 exec, s[8:9]
; %bb.322:                              ;   in Loop: Header=BB59_6 Depth=1
	ds_write_b16 v26, v9
; %bb.323:                              ;   in Loop: Header=BB59_6 Depth=1
	s_or_b64 exec, exec, s[2:3]
	v_and_b32_e32 v3, s51, v37
	v_lshl_or_b32 v37, 1, s38, v3
	v_or_b32_e32 v42, s50, v42
	s_mov_b64 s[40:41], -1
	s_mov_b64 s[42:43], 0
	s_cmp_eq_u32 s46, 0
	s_mov_b64 s[16:17], 0
	s_mov_b64 s[2:3], -1
	s_waitcnt lgkmcnt(0)
	s_barrier
                                        ; implicit-def: $vgpr43
	s_cbranch_scc1 .LBB59_334
; %bb.324:                              ;   in Loop: Header=BB59_6 Depth=1
	v_readlane_b32 s2, v49, 31
	s_add_i32 s2, s46, s2
	v_readlane_b32 s3, v49, 51
	s_mul_hi_u32 s3, s2, s3
	s_mul_i32 s3, s3, s52
	s_sub_i32 s3, s2, s3
	s_sub_i32 s8, s3, s52
	s_cmp_ge_u32 s3, s52
	s_cselect_b32 s3, s8, s3
	s_sub_i32 s8, s3, s52
	s_cmp_ge_u32 s3, s52
	s_cselect_b32 s3, s8, s3
	s_sub_i32 s47, s2, s3
	v_cmp_gt_u32_e32 vcc, s47, v0
	s_mov_b64 s[2:3], 0
                                        ; implicit-def: $vgpr43
	s_and_saveexec_b64 s[24:25], vcc
	s_cbranch_execz .LBB59_333
; %bb.325:                              ;   in Loop: Header=BB59_6 Depth=1
	v_mov_b32_e32 v3, v25
	v_mov_b32_e32 v4, v0
                                        ; implicit-def: $sgpr28_sgpr29
	s_branch .LBB59_328
.LBB59_326:                             ;   in Loop: Header=BB59_328 Depth=2
	s_or_b64 exec, exec, s[44:45]
	s_waitcnt lgkmcnt(0)
	s_barrier
	ds_read_b32 v8, v9 offset:3072
	s_mov_b64 s[22:23], -1
	s_waitcnt lgkmcnt(0)
	s_barrier
	v_cmp_ne_u32_sdwa s[8:9], v8, v9 src0_sel:WORD_0 src1_sel:DWORD
	s_and_b64 vcc, exec, s[8:9]
	s_mov_b64 s[8:9], -1
	s_cbranch_vccz .LBB59_331
.LBB59_327:                             ;   in Loop: Header=BB59_328 Depth=2
	s_and_b64 s[22:23], exec, s[22:23]
	s_or_b64 s[16:17], s[22:23], s[16:17]
	s_andn2_b64 s[22:23], s[28:29], exec
	s_and_b64 s[8:9], s[8:9], exec
	s_or_b64 s[28:29], s[22:23], s[8:9]
	s_andn2_b64 exec, exec, s[16:17]
	s_cbranch_execz .LBB59_332
.LBB59_328:                             ;   Parent Loop BB59_6 Depth=1
                                        ; =>  This Inner Loop Header: Depth=2
	v_cmp_gt_u32_e32 vcc, s46, v4
	s_and_saveexec_b64 s[44:45], vcc
	s_cbranch_execz .LBB59_326
; %bb.329:                              ;   in Loop: Header=BB59_328 Depth=2
	ds_read_u16 v8, v3
	s_waitcnt lgkmcnt(0)
	v_add_u32_sdwa v12, sext(v8), s5 dst_sel:DWORD dst_unused:UNUSED_PAD src0_sel:WORD_0 src1_sel:DWORD
	v_and_b32_e32 v12, v12, v42
	v_cmp_eq_u32_e32 vcc, v12, v37
	s_and_b64 exec, exec, vcc
	s_cbranch_execz .LBB59_326
; %bb.330:                              ;   in Loop: Header=BB59_328 Depth=2
	v_perm_b32 v8, v8, 1, v41
	ds_write_b32 v9, v8 offset:3072
	s_branch .LBB59_326
.LBB59_331:                             ;   in Loop: Header=BB59_328 Depth=2
	v_add_u32_e32 v4, s52, v4
	v_cmp_le_u32_e32 vcc, s47, v4
	v_add_u32_e32 v3, s4, v3
	s_mov_b64 s[8:9], 0
	s_orn2_b64 s[22:23], vcc, exec
	s_branch .LBB59_327
.LBB59_332:                             ;   in Loop: Header=BB59_6 Depth=1
	s_or_b64 exec, exec, s[16:17]
	v_lshrrev_b32_e32 v43, 16, v8
	s_and_b64 s[16:17], s[28:29], exec
.LBB59_333:                             ;   in Loop: Header=BB59_6 Depth=1
	s_or_b64 exec, exec, s[24:25]
.LBB59_334:                             ;   in Loop: Header=BB59_6 Depth=1
	s_and_b64 vcc, exec, s[2:3]
	s_cbranch_vccz .LBB59_345
; %bb.335:                              ;   in Loop: Header=BB59_6 Depth=1
                                        ; implicit-def: $vgpr43
	s_mov_b64 s[2:3], exec
	v_readlane_b32 s8, v49, 52
	v_readlane_b32 s9, v49, 53
	s_and_b64 s[8:9], s[2:3], s[8:9]
	s_mov_b64 exec, s[8:9]
	s_cbranch_execz .LBB59_344
; %bb.336:                              ;   in Loop: Header=BB59_6 Depth=1
	s_mov_b64 s[24:25], 0
	v_mov_b32_e32 v8, v7
	v_mov_b32_e32 v3, v0
                                        ; implicit-def: $sgpr28_sgpr29
	s_branch .LBB59_339
.LBB59_337:                             ;   in Loop: Header=BB59_339 Depth=2
	s_or_b64 exec, exec, s[40:41]
	s_waitcnt lgkmcnt(0)
	s_barrier
	ds_read_b32 v4, v9 offset:3072
	s_mov_b64 s[22:23], -1
	s_waitcnt lgkmcnt(0)
	s_barrier
	v_cmp_eq_u32_sdwa s[8:9], v4, v9 src0_sel:WORD_0 src1_sel:DWORD
	s_and_b64 vcc, exec, s[8:9]
	s_mov_b64 s[8:9], -1
	s_cbranch_vccnz .LBB59_342
.LBB59_338:                             ;   in Loop: Header=BB59_339 Depth=2
	s_and_b64 s[22:23], exec, s[22:23]
	s_or_b64 s[24:25], s[22:23], s[24:25]
	s_andn2_b64 s[22:23], s[28:29], exec
	s_and_b64 s[8:9], s[8:9], exec
	s_or_b64 s[28:29], s[22:23], s[8:9]
	s_andn2_b64 exec, exec, s[24:25]
	s_cbranch_execz .LBB59_343
.LBB59_339:                             ;   Parent Loop BB59_6 Depth=1
                                        ; =>  This Inner Loop Header: Depth=2
	v_cmp_gt_u32_e32 vcc, s36, v3
	s_and_saveexec_b64 s[40:41], vcc
	s_cbranch_execz .LBB59_337
; %bb.340:                              ;   in Loop: Header=BB59_339 Depth=2
	v_lshlrev_b64 v[12:13], 1, v[8:9]
	v_mov_b32_e32 v4, s48
	v_add_co_u32_e32 v12, vcc, s33, v12
	v_addc_co_u32_e32 v13, vcc, v4, v13, vcc
	global_load_ushort v4, v[12:13], off
	s_waitcnt vmcnt(0)
	v_add_u32_sdwa v12, sext(v4), s5 dst_sel:DWORD dst_unused:UNUSED_PAD src0_sel:WORD_0 src1_sel:DWORD
	v_and_b32_e32 v12, v12, v42
	v_cmp_eq_u32_e32 vcc, v12, v37
	s_and_b64 exec, exec, vcc
	s_cbranch_execz .LBB59_337
; %bb.341:                              ;   in Loop: Header=BB59_339 Depth=2
	v_perm_b32 v4, v4, 1, v41
	ds_write_b32 v9, v4 offset:3072
	s_branch .LBB59_337
.LBB59_342:                             ;   in Loop: Header=BB59_339 Depth=2
	v_add_u32_e32 v3, s52, v3
	v_cmp_le_u32_e32 vcc, s20, v3
	v_add_u32_e32 v8, s54, v8
	s_mov_b64 s[8:9], 0
	s_orn2_b64 s[22:23], vcc, exec
	s_branch .LBB59_338
.LBB59_343:                             ;   in Loop: Header=BB59_6 Depth=1
	s_or_b64 exec, exec, s[24:25]
	s_andn2_b64 s[8:9], s[16:17], exec
	s_and_b64 s[16:17], s[28:29], exec
	v_lshrrev_b32_e32 v43, 16, v4
	s_or_b64 s[16:17], s[8:9], s[16:17]
.LBB59_344:                             ;   in Loop: Header=BB59_6 Depth=1
	s_or_b64 exec, exec, s[2:3]
	s_mov_b64 s[40:41], 0
	s_mov_b64 s[42:43], -1
.LBB59_345:                             ;   in Loop: Header=BB59_6 Depth=1
	s_orn2_b64 s[2:3], s[16:17], exec
.LBB59_346:                             ;   in Loop: Header=BB59_6 Depth=1
	s_or_b64 exec, exec, s[12:13]
	s_mov_b64 s[12:13], 0
	s_and_saveexec_b64 s[44:45], s[2:3]
	s_cbranch_execz .LBB59_396
; %bb.347:                              ;   in Loop: Header=BB59_6 Depth=1
	s_xor_b64 s[8:9], s[14:15], -1
	v_mov_b32_e32 v3, 1
	v_mov_b32_e32 v1, 1
	s_and_saveexec_b64 s[2:3], s[8:9]
	s_cbranch_execz .LBB59_356
; %bb.348:                              ;   in Loop: Header=BB59_6 Depth=1
	v_cmp_ge_u32_e32 vcc, s18, v2
	s_and_saveexec_b64 s[8:9], vcc
	s_xor_b64 s[12:13], exec, s[8:9]
	s_cbranch_execz .LBB59_353
; %bb.349:                              ;   in Loop: Header=BB59_6 Depth=1
	v_and_b32_e32 v1, s51, v37
	v_lshl_or_b32 v37, 1, s38, v1
	ds_read_b32 v1, v9 offset:4096
	v_or_b32_e32 v42, s50, v42
	s_waitcnt lgkmcnt(0)
	v_cmp_ne_u32_e32 vcc, 0, v1
	s_cbranch_vccnz .LBB59_353
; %bb.350:                              ;   in Loop: Header=BB59_6 Depth=1
	s_mov_b64 s[8:9], exec
	v_readlane_b32 s14, v49, 14
	v_readlane_b32 s15, v49, 15
	s_and_b64 s[14:15], s[8:9], s[14:15]
	s_mov_b64 exec, s[14:15]
; %bb.351:                              ;   in Loop: Header=BB59_6 Depth=1
	v_mov_b32_e32 v1, s18
	ds_write_b32 v9, v1 offset:4100
; %bb.352:                              ;   in Loop: Header=BB59_6 Depth=1
	s_or_b64 exec, exec, s[8:9]
	s_waitcnt lgkmcnt(0)
	s_barrier
.LBB59_353:                             ;   in Loop: Header=BB59_6 Depth=1
	s_or_saveexec_b64 s[12:13], s[12:13]
	s_mov_b64 s[14:15], 0
	v_mov_b32_e32 v1, 5
	s_xor_b64 exec, exec, s[12:13]
; %bb.354:                              ;   in Loop: Header=BB59_6 Depth=1
	v_subrev_u32_e32 v2, s18, v2
	v_mov_b32_e32 v1, 0
	s_mov_b64 s[14:15], exec
; %bb.355:                              ;   in Loop: Header=BB59_6 Depth=1
	s_or_b64 exec, exec, s[12:13]
	s_and_b64 s[12:13], s[14:15], exec
	v_mov_b32_e32 v3, v2
.LBB59_356:                             ;   in Loop: Header=BB59_6 Depth=1
	s_or_b64 exec, exec, s[2:3]
	s_mov_b64 s[2:3], -1
                                        ; implicit-def: $sgpr16_sgpr17
                                        ; implicit-def: $sgpr14_sgpr15
	s_and_saveexec_b64 s[46:47], s[12:13]
	s_cbranch_execz .LBB59_395
; %bb.357:                              ;   in Loop: Header=BB59_6 Depth=1
	s_cmp_eq_u32 s39, 1
	s_cselect_b64 s[2:3], -1, 0
	v_cmp_eq_u32_e32 vcc, 1, v3
	s_mov_b64 s[28:29], -1
	s_and_b64 s[2:3], s[2:3], vcc
                                        ; implicit-def: $sgpr16_sgpr17
                                        ; implicit-def: $sgpr14_sgpr15
	s_mov_b64 s[24:25], exec
	v_writelane_b32 v49, s2, 56
	v_writelane_b32 v49, s3, 57
	s_and_b64 s[2:3], s[24:25], s[2:3]
	s_mov_b64 exec, s[2:3]
	s_cbranch_execz .LBB59_383
; %bb.358:                              ;   in Loop: Header=BB59_6 Depth=1
	ds_read_b32 v2, v9 offset:4096
	s_waitcnt lgkmcnt(0)
	s_barrier
	v_readfirstlane_b32 s18, v2
	s_mov_b64 s[2:3], exec
	v_readlane_b32 s8, v49, 29
	v_readlane_b32 s9, v49, 30
	s_and_b64 s[8:9], s[2:3], s[8:9]
	s_mov_b64 exec, s[8:9]
; %bb.359:                              ;   in Loop: Header=BB59_6 Depth=1
	ds_write_b16 v26, v9
; %bb.360:                              ;   in Loop: Header=BB59_6 Depth=1
	s_or_b64 exec, exec, s[2:3]
	v_and_b32_e32 v37, s51, v37
	v_or_b32_e32 v42, s50, v42
	s_mov_b64 s[14:15], -1
	s_mov_b64 s[16:17], 0
	s_cmp_eq_u32 s18, 0
	s_mov_b64 s[28:29], 0
	s_mov_b64 s[2:3], -1
	s_waitcnt lgkmcnt(0)
	s_barrier
                                        ; implicit-def: $vgpr43
	s_cbranch_scc1 .LBB59_371
; %bb.361:                              ;   in Loop: Header=BB59_6 Depth=1
	v_readlane_b32 s2, v49, 31
	s_add_i32 s2, s18, s2
	v_readlane_b32 s3, v49, 51
	s_mul_hi_u32 s3, s2, s3
	s_mul_i32 s3, s3, s52
	s_sub_i32 s3, s2, s3
	s_sub_i32 s8, s3, s52
	s_cmp_ge_u32 s3, s52
	s_cselect_b32 s3, s8, s3
	s_sub_i32 s8, s3, s52
	s_cmp_ge_u32 s3, s52
	s_cselect_b32 s3, s8, s3
	s_sub_i32 s12, s2, s3
	v_cmp_gt_u32_e32 vcc, s12, v0
	s_mov_b64 s[2:3], 0
                                        ; implicit-def: $vgpr43
	s_and_saveexec_b64 s[56:57], vcc
	s_cbranch_execz .LBB59_370
; %bb.362:                              ;   in Loop: Header=BB59_6 Depth=1
	v_mov_b32_e32 v2, v25
	v_mov_b32_e32 v4, v0
                                        ; implicit-def: $sgpr58_sgpr59
	s_branch .LBB59_365
.LBB59_363:                             ;   in Loop: Header=BB59_365 Depth=2
	s_or_b64 exec, exec, s[60:61]
	s_waitcnt lgkmcnt(0)
	s_barrier
	ds_read_b32 v8, v9 offset:3072
	s_mov_b64 s[22:23], -1
	s_waitcnt lgkmcnt(0)
	s_barrier
	v_cmp_ne_u32_sdwa s[8:9], v8, v9 src0_sel:WORD_0 src1_sel:DWORD
	s_and_b64 vcc, exec, s[8:9]
	s_mov_b64 s[8:9], -1
	s_cbranch_vccz .LBB59_368
.LBB59_364:                             ;   in Loop: Header=BB59_365 Depth=2
	s_and_b64 s[22:23], exec, s[22:23]
	s_or_b64 s[28:29], s[22:23], s[28:29]
	s_andn2_b64 s[22:23], s[58:59], exec
	s_and_b64 s[8:9], s[8:9], exec
	s_or_b64 s[58:59], s[22:23], s[8:9]
	s_andn2_b64 exec, exec, s[28:29]
	s_cbranch_execz .LBB59_369
.LBB59_365:                             ;   Parent Loop BB59_6 Depth=1
                                        ; =>  This Inner Loop Header: Depth=2
	v_cmp_gt_u32_e32 vcc, s18, v4
	s_and_saveexec_b64 s[60:61], vcc
	s_cbranch_execz .LBB59_363
; %bb.366:                              ;   in Loop: Header=BB59_365 Depth=2
	ds_read_u16 v8, v2
	s_waitcnt lgkmcnt(0)
	v_add_u32_sdwa v12, sext(v8), s5 dst_sel:DWORD dst_unused:UNUSED_PAD src0_sel:WORD_0 src1_sel:DWORD
	v_and_b32_e32 v12, v12, v42
	v_cmp_eq_u32_e32 vcc, v12, v37
	s_and_b64 exec, exec, vcc
	s_cbranch_execz .LBB59_363
; %bb.367:                              ;   in Loop: Header=BB59_365 Depth=2
	v_perm_b32 v8, v8, 1, v41
	ds_write_b32 v9, v8 offset:3072
	s_branch .LBB59_363
.LBB59_368:                             ;   in Loop: Header=BB59_365 Depth=2
	v_add_u32_e32 v4, s52, v4
	v_cmp_le_u32_e32 vcc, s12, v4
	v_add_u32_e32 v2, s4, v2
	s_mov_b64 s[8:9], 0
	s_orn2_b64 s[22:23], vcc, exec
	s_branch .LBB59_364
.LBB59_369:                             ;   in Loop: Header=BB59_6 Depth=1
	s_or_b64 exec, exec, s[28:29]
	v_lshrrev_b32_e32 v43, 16, v8
	s_and_b64 s[28:29], s[58:59], exec
.LBB59_370:                             ;   in Loop: Header=BB59_6 Depth=1
	s_or_b64 exec, exec, s[56:57]
.LBB59_371:                             ;   in Loop: Header=BB59_6 Depth=1
	s_and_b64 vcc, exec, s[2:3]
	s_cbranch_vccz .LBB59_382
; %bb.372:                              ;   in Loop: Header=BB59_6 Depth=1
                                        ; implicit-def: $vgpr43
	s_mov_b64 s[2:3], exec
	v_readlane_b32 s8, v49, 52
	v_readlane_b32 s9, v49, 53
	s_and_b64 s[8:9], s[2:3], s[8:9]
	s_mov_b64 exec, s[8:9]
	s_cbranch_execz .LBB59_381
; %bb.373:                              ;   in Loop: Header=BB59_6 Depth=1
	s_mov_b64 s[14:15], 0
	v_mov_b32_e32 v8, v7
	v_mov_b32_e32 v2, v0
                                        ; implicit-def: $sgpr16_sgpr17
	s_branch .LBB59_376
.LBB59_374:                             ;   in Loop: Header=BB59_376 Depth=2
	s_or_b64 exec, exec, s[56:57]
	s_waitcnt lgkmcnt(0)
	s_barrier
	ds_read_b32 v4, v9 offset:3072
	s_mov_b64 s[22:23], -1
	s_waitcnt lgkmcnt(0)
	s_barrier
	v_cmp_eq_u32_sdwa s[8:9], v4, v9 src0_sel:WORD_0 src1_sel:DWORD
	s_and_b64 vcc, exec, s[8:9]
	s_mov_b64 s[8:9], -1
	s_cbranch_vccnz .LBB59_379
.LBB59_375:                             ;   in Loop: Header=BB59_376 Depth=2
	s_and_b64 s[12:13], exec, s[22:23]
	s_or_b64 s[14:15], s[12:13], s[14:15]
	s_andn2_b64 s[12:13], s[16:17], exec
	s_and_b64 s[8:9], s[8:9], exec
	s_or_b64 s[16:17], s[12:13], s[8:9]
	s_andn2_b64 exec, exec, s[14:15]
	s_cbranch_execz .LBB59_380
.LBB59_376:                             ;   Parent Loop BB59_6 Depth=1
                                        ; =>  This Inner Loop Header: Depth=2
	v_cmp_gt_u32_e32 vcc, s36, v2
	s_and_saveexec_b64 s[56:57], vcc
	s_cbranch_execz .LBB59_374
; %bb.377:                              ;   in Loop: Header=BB59_376 Depth=2
	v_lshlrev_b64 v[12:13], 1, v[8:9]
	v_mov_b32_e32 v4, s48
	v_add_co_u32_e32 v12, vcc, s33, v12
	v_addc_co_u32_e32 v13, vcc, v4, v13, vcc
	global_load_ushort v4, v[12:13], off
	s_waitcnt vmcnt(0)
	v_add_u32_sdwa v12, sext(v4), s5 dst_sel:DWORD dst_unused:UNUSED_PAD src0_sel:WORD_0 src1_sel:DWORD
	v_and_b32_e32 v12, v12, v42
	v_cmp_eq_u32_e32 vcc, v12, v37
	s_and_b64 exec, exec, vcc
	s_cbranch_execz .LBB59_374
; %bb.378:                              ;   in Loop: Header=BB59_376 Depth=2
	v_perm_b32 v4, v4, 1, v41
	ds_write_b32 v9, v4 offset:3072
	s_branch .LBB59_374
.LBB59_379:                             ;   in Loop: Header=BB59_376 Depth=2
	v_add_u32_e32 v2, s52, v2
	v_cmp_le_u32_e32 vcc, s20, v2
	v_add_u32_e32 v8, s54, v8
	s_mov_b64 s[8:9], 0
	s_orn2_b64 s[22:23], vcc, exec
	s_branch .LBB59_375
.LBB59_380:                             ;   in Loop: Header=BB59_6 Depth=1
	s_or_b64 exec, exec, s[14:15]
	s_andn2_b64 s[8:9], s[28:29], exec
	s_and_b64 s[12:13], s[16:17], exec
	v_lshrrev_b32_e32 v43, 16, v4
	s_or_b64 s[28:29], s[8:9], s[12:13]
.LBB59_381:                             ;   in Loop: Header=BB59_6 Depth=1
	s_or_b64 exec, exec, s[2:3]
	s_mov_b64 s[14:15], 0
	s_mov_b64 s[16:17], -1
.LBB59_382:                             ;   in Loop: Header=BB59_6 Depth=1
	s_orn2_b64 s[28:29], s[28:29], exec
.LBB59_383:                             ;   in Loop: Header=BB59_6 Depth=1
	s_or_b64 exec, exec, s[24:25]
	s_mov_b64 s[24:25], 0
	s_and_saveexec_b64 s[2:3], s[28:29]
	s_cbranch_execz .LBB59_394
; %bb.384:                              ;   in Loop: Header=BB59_6 Depth=1
	v_readlane_b32 s8, v49, 56
	v_readlane_b32 s9, v49, 57
	s_xor_b64 s[8:9], s[8:9], -1
	v_mov_b32_e32 v1, 1
	v_mov_b32_e32 v2, 1
	s_and_saveexec_b64 s[12:13], s[8:9]
	s_cbranch_execz .LBB59_393
; %bb.385:                              ;   in Loop: Header=BB59_6 Depth=1
	v_cmp_ge_u32_e32 vcc, s39, v3
	s_and_saveexec_b64 s[8:9], vcc
	s_xor_b64 s[24:25], exec, s[8:9]
	s_cbranch_execz .LBB59_390
; %bb.386:                              ;   in Loop: Header=BB59_6 Depth=1
	ds_read_b32 v1, v9 offset:4096
	v_and_b32_e32 v37, s51, v37
	v_or_b32_e32 v42, s50, v42
	s_waitcnt lgkmcnt(0)
	v_cmp_ne_u32_e32 vcc, 0, v1
	s_cbranch_vccnz .LBB59_390
; %bb.387:                              ;   in Loop: Header=BB59_6 Depth=1
	s_mov_b64 s[8:9], exec
	v_readlane_b32 s22, v49, 14
	v_readlane_b32 s23, v49, 15
	s_and_b64 s[22:23], s[8:9], s[22:23]
	s_mov_b64 exec, s[22:23]
; %bb.388:                              ;   in Loop: Header=BB59_6 Depth=1
	v_mov_b32_e32 v1, s39
	ds_write_b32 v9, v1 offset:4100
; %bb.389:                              ;   in Loop: Header=BB59_6 Depth=1
	s_or_b64 exec, exec, s[8:9]
	s_waitcnt lgkmcnt(0)
	s_barrier
.LBB59_390:                             ;   in Loop: Header=BB59_6 Depth=1
	s_andn2_saveexec_b64 s[24:25], s[24:25]
; %bb.391:                              ;   in Loop: Header=BB59_6 Depth=1
	v_subrev_u32_e32 v3, s39, v3
; %bb.392:                              ;   in Loop: Header=BB59_6 Depth=1
	s_or_b64 exec, exec, s[24:25]
	v_mov_b32_e32 v1, 5
	v_mov_b32_e32 v2, v3
.LBB59_393:                             ;   in Loop: Header=BB59_6 Depth=1
	s_or_b64 exec, exec, s[12:13]
	s_mov_b64 s[24:25], exec
	v_mov_b32_e32 v3, v2
.LBB59_394:                             ;   in Loop: Header=BB59_6 Depth=1
	s_or_b64 exec, exec, s[2:3]
	s_orn2_b64 s[2:3], s[24:25], exec
.LBB59_395:                             ;   in Loop: Header=BB59_6 Depth=1
	s_or_b64 exec, exec, s[46:47]
	s_andn2_b64 s[8:9], s[42:43], exec
	s_and_b64 s[12:13], s[16:17], exec
	s_or_b64 s[42:43], s[8:9], s[12:13]
	s_andn2_b64 s[8:9], s[40:41], exec
	s_and_b64 s[12:13], s[14:15], exec
	s_or_b64 s[40:41], s[8:9], s[12:13]
	s_and_b64 s[12:13], s[2:3], exec
	v_mov_b32_e32 v2, v3
.LBB59_396:                             ;   in Loop: Header=BB59_6 Depth=1
	s_or_b64 exec, exec, s[44:45]
	s_orn2_b64 s[2:3], s[12:13], exec
.LBB59_397:                             ;   in Loop: Header=BB59_6 Depth=1
	s_or_b64 exec, exec, s[94:95]
	s_andn2_b64 s[8:9], s[90:91], exec
	s_and_b64 s[12:13], s[42:43], exec
	s_or_b64 s[90:91], s[8:9], s[12:13]
	s_andn2_b64 s[8:9], s[88:89], exec
	s_and_b64 s[12:13], s[40:41], exec
	s_or_b64 s[88:89], s[8:9], s[12:13]
	s_and_b64 s[12:13], s[2:3], exec
	v_mov_b32_e32 v4, v2
.LBB59_398:                             ;   in Loop: Header=BB59_6 Depth=1
	s_or_b64 exec, exec, s[92:93]
	s_orn2_b64 s[2:3], s[12:13], exec
.LBB59_399:                             ;   in Loop: Header=BB59_6 Depth=1
	s_or_b64 exec, exec, s[6:7]
	s_mov_b64 s[6:7], s[84:85]
	s_mov_b64 s[12:13], s[34:35]
	s_and_saveexec_b64 s[14:15], s[2:3]
; %bb.400:                              ;   in Loop: Header=BB59_6 Depth=1
	v_cmp_ne_u32_e64 s[6:7], 5, v1
	v_cmp_eq_u32_e32 vcc, 5, v1
	s_andn2_b64 s[2:3], s[34:35], exec
	s_and_b64 s[6:7], s[6:7], exec
	s_or_b64 s[12:13], s[2:3], s[6:7]
	s_andn2_b64 s[2:3], s[84:85], exec
	s_and_b64 s[6:7], vcc, exec
	s_or_b64 s[6:7], s[2:3], s[6:7]
; %bb.401:                              ;   in Loop: Header=BB59_6 Depth=1
	s_or_b64 exec, exec, s[14:15]
	s_andn2_b64 s[2:3], s[26:27], exec
	s_and_b64 s[8:9], s[90:91], exec
	s_or_b64 s[26:27], s[2:3], s[8:9]
	s_andn2_b64 s[2:3], s[30:31], exec
	s_and_b64 s[8:9], s[88:89], exec
	s_or_b64 s[30:31], s[2:3], s[8:9]
	;; [unrolled: 3-line block ×4, first 2 shown]
.LBB59_402:                             ;   in Loop: Header=BB59_6 Depth=1
	s_or_b64 exec, exec, s[86:87]
	s_mov_b64 s[86:87], 0
	s_mov_b64 s[88:89], 0
	s_and_saveexec_b64 s[2:3], s[84:85]
.LBB59_403:                             ;   in Loop: Header=BB59_6 Depth=1
	v_mov_b32_e32 v1, 0
	s_or_b64 s[34:35], s[34:35], exec
.LBB59_404:                             ;   in Loop: Header=BB59_6 Depth=1
	s_or_b64 exec, exec, s[2:3]
	s_andn2_b64 s[2:3], s[80:81], exec
	s_and_b64 s[8:9], s[26:27], exec
	s_or_b64 s[80:81], s[2:3], s[8:9]
	s_andn2_b64 s[2:3], s[78:79], exec
	s_and_b64 s[8:9], s[30:31], exec
	s_or_b64 s[78:79], s[2:3], s[8:9]
	;; [unrolled: 3-line block ×3, first 2 shown]
	s_andn2_b64 s[2:3], s[74:75], exec
	s_and_b64 s[8:9], s[86:87], exec
	s_mov_b64 s[6:7], -1
	s_andn2_b64 s[82:83], s[82:83], exec
	s_or_b64 s[74:75], s[2:3], s[8:9]
	v_mov_b32_e32 v44, v4
	s_and_saveexec_b64 s[2:3], s[34:35]
	s_xor_b64 s[2:3], exec, s[2:3]
	s_cbranch_execz .LBB59_5
; %bb.405:                              ;   in Loop: Header=BB59_6 Depth=1
	v_cmp_eq_u32_e32 vcc, 0, v1
	s_mov_b64 s[12:13], -1
	s_and_saveexec_b64 s[14:15], vcc
	s_cbranch_execz .LBB59_4
; %bb.406:                              ;   in Loop: Header=BB59_6 Depth=1
	s_xor_b32 s49, s49, 1
	s_add_i32 s8, s38, -2
	s_cmp_eq_u32 s38, 0
	s_cselect_b64 s[6:7], -1, 0
	s_xor_b64 s[12:13], exec, -1
	s_orn2_b64 s[6:7], s[6:7], exec
	s_mov_b32 s38, s8
	s_branch .LBB59_4
.LBB59_407:
	s_or_b64 exec, exec, s[62:63]
	s_xor_b64 s[6:7], s[72:73], -1
	s_xor_b64 s[18:19], s[70:71], -1
	;; [unrolled: 1-line block ×5, first 2 shown]
	s_mov_b64 s[12:13], 0
	s_and_saveexec_b64 s[10:11], s[4:5]
	s_xor_b64 s[10:11], exec, s[10:11]
	s_cbranch_execnz .LBB59_412
; %bb.408:
	s_andn2_saveexec_b64 s[0:1], s[10:11]
	s_cbranch_execnz .LBB59_431
.LBB59_409:
	s_or_b64 exec, exec, s[0:1]
	s_and_saveexec_b64 s[0:1], s[12:13]
.LBB59_410:
	; divergent unreachable
.LBB59_411:
	s_endpgm
.LBB59_412:
	s_mov_b64 s[14:15], 0
	s_and_saveexec_b64 s[4:5], s[8:9]
	s_xor_b64 s[12:13], exec, s[4:5]
	s_cbranch_execz .LBB59_429
; %bb.413:
	s_mov_b64 s[16:17], 0
	s_and_saveexec_b64 s[4:5], s[18:19]
	s_xor_b64 s[14:15], exec, s[4:5]
	s_cbranch_execz .LBB59_427
; %bb.414:
	;; [unrolled: 5-line block ×3, first 2 shown]
	s_and_saveexec_b64 s[4:5], s[2:3]
	s_xor_b64 s[2:3], exec, s[4:5]
; %bb.416:
	v_xor_b32_e32 v43, 0xffff8000, v37
; %bb.417:
	s_or_b64 exec, exec, s[2:3]
	s_mov_b64 s[2:3], exec
	v_readlane_b32 s4, v49, 14
	v_readlane_b32 s5, v49, 15
	;; [unrolled: 1-line block ×3, first 2 shown]
	s_and_b64 s[4:5], s[2:3], s[4:5]
	v_readlane_b32 s45, v49, 18
	v_readlane_b32 s6, v49, 16
	s_mov_b64 exec, s[4:5]
; %bb.418:
	v_mov_b32_e32 v1, 0
	ds_write_b32 v1, v1 offset:4108
; %bb.419:
	s_or_b64 exec, exec, s[2:3]
	v_mov_b32_e32 v4, 0
	s_waitcnt lgkmcnt(0)
	s_barrier
	s_mov_b64 s[2:3], exec
	v_readlane_b32 s4, v49, 25
	v_readlane_b32 s5, v49, 26
	s_and_b64 s[4:5], s[2:3], s[4:5]
	s_mov_b64 exec, s[4:5]
	s_cbranch_execz .LBB59_421
; %bb.420:
	global_load_ushort v4, v[5:6], off
.LBB59_421:
	s_or_b64 exec, exec, s[2:3]
	v_readlane_b32 s5, v49, 10
	v_readlane_b32 s7, v49, 11
	s_mul_i32 s2, s7, s5
	s_add_i32 s30, s36, 63
	s_sub_i32 s2, s6, s2
	s_andn2_b32 s30, s30, 63
	s_add_i32 s3, s7, 1
	s_sub_i32 s4, s2, s5
	s_cmp_ge_u32 s2, s5
	s_cselect_b32 s3, s3, s7
	s_cselect_b32 s2, s4, s2
	s_add_i32 s4, s3, 1
	s_cmp_ge_u32 s2, s5
	s_cselect_b32 s2, s4, s3
	s_mul_i32 s3, s2, s5
	v_readlane_b32 s4, v49, 4
	s_sub_i32 s3, s6, s3
	v_readlane_b32 s5, v49, 5
	s_mul_i32 s3, s3, s5
	s_mul_i32 s2, s2, s4
	v_readlane_b32 s7, v49, 12
	v_readlane_b32 s8, v49, 13
	s_add_i32 s2, s2, s3
	s_mul_i32 s3, s8, s7
	s_sub_i32 s3, s6, s3
	s_add_i32 s4, s8, 1
	s_sub_i32 s5, s3, s7
	s_cmp_ge_u32 s3, s7
	s_cselect_b32 s4, s4, s8
	s_cselect_b32 s3, s5, s3
	s_add_i32 s5, s4, 1
	s_cmp_ge_u32 s3, s7
	s_cselect_b32 s3, s5, s4
	s_mul_i32 s4, s3, s7
	s_sub_i32 s4, s6, s4
	v_readlane_b32 s6, v49, 0
	v_readlane_b32 s7, v49, 1
	s_mul_i32 s4, s4, s7
	s_mul_i32 s3, s3, s6
	s_add_i32 s4, s3, s4
	s_mov_b32 s3, 0
	s_lshl_b64 s[6:7], s[2:3], 1
	v_readlane_b32 s8, v49, 8
	v_readlane_b32 s9, v49, 9
	s_add_u32 s31, s8, s6
	s_mov_b32 s5, s3
	s_addc_u32 s34, s9, s7
	s_lshl_b64 s[2:3], s[4:5], 3
	v_readlane_b32 s4, v49, 2
	v_readlane_b32 s5, v49, 3
	s_add_u32 s35, s4, s2
	s_addc_u32 s38, s5, s3
	v_readlane_b32 s2, v49, 6
	v_readlane_b32 s3, v49, 7
	s_load_dword s39, s[2:3], 0x1c8
	s_load_dword s40, s[2:3], 0x2a8
	v_cmp_gt_u32_e32 vcc, s30, v0
	s_mov_b64 s[2:3], -1
	s_mov_b64 s[8:9], 0
	s_mov_b64 s[4:5], 0
	s_and_saveexec_b64 s[18:19], vcc
	s_cbranch_execnz .LBB59_432
; %bb.422:
	s_or_b64 exec, exec, s[18:19]
	s_and_saveexec_b64 s[6:7], s[2:3]
	s_cbranch_execnz .LBB59_447
.LBB59_423:
	s_or_b64 exec, exec, s[6:7]
	s_and_saveexec_b64 s[0:1], s[4:5]
	s_xor_b64 s[0:1], exec, s[0:1]
	s_cbranch_execnz .LBB59_470
.LBB59_424:
	s_or_b64 exec, exec, s[0:1]
	s_and_b64 s[18:19], s[8:9], exec
.LBB59_425:
	s_andn2_saveexec_b64 s[0:1], s[16:17]
	s_cbranch_execnz .LBB59_472
.LBB59_426:
	s_or_b64 exec, exec, s[0:1]
	s_and_b64 s[16:17], s[18:19], exec
.LBB59_427:
	s_andn2_saveexec_b64 s[0:1], s[14:15]
	s_cbranch_execnz .LBB59_471
.LBB59_428:
	s_or_b64 exec, exec, s[0:1]
	s_and_b64 s[14:15], s[16:17], exec
.LBB59_429:
	s_andn2_saveexec_b64 s[0:1], s[12:13]
	s_cbranch_execnz .LBB59_466
.LBB59_430:
	s_or_b64 exec, exec, s[0:1]
	s_and_b64 s[12:13], s[14:15], exec
	s_andn2_saveexec_b64 s[0:1], s[10:11]
	s_cbranch_execz .LBB59_409
.LBB59_431:
	s_or_b64 s[12:13], s[12:13], exec
	s_trap 2
	s_or_b64 exec, exec, s[0:1]
	s_and_saveexec_b64 s[0:1], s[12:13]
	s_cbranch_execnz .LBB59_410
	s_branch .LBB59_411
.LBB59_432:
	v_add_u32_e32 v1, s52, v0
	v_mul_lo_u32 v1, s53, v1
	s_mov_b32 s41, 0x8000
	v_add_u32_sdwa v7, sext(v43), s41 dst_sel:DWORD dst_unused:UNUSED_PAD src0_sel:WORD_0 src1_sel:DWORD
	s_mov_b64 s[20:21], 0
	v_mov_b32_e32 v2, 0
	v_mov_b32_e32 v3, v0
                                        ; implicit-def: $sgpr22_sgpr23
                                        ; implicit-def: $vgpr9
	s_branch .LBB59_434
.LBB59_433:                             ;   in Loop: Header=BB59_434 Depth=1
	s_or_b64 exec, exec, s[24:25]
	s_xor_b64 s[4:5], s[6:7], -1
	s_and_b64 s[2:3], exec, s[2:3]
	s_or_b64 s[20:21], s[2:3], s[20:21]
	s_andn2_b64 s[2:3], s[22:23], exec
	s_and_b64 s[4:5], s[4:5], exec
	s_or_b64 s[22:23], s[2:3], s[4:5]
	v_mov_b32_e32 v4, v10
	v_mov_b32_e32 v3, v8
	s_andn2_b64 exec, exec, s[20:21]
	s_cbranch_execz .LBB59_446
.LBB59_434:                             ; =>This Inner Loop Header: Depth=1
	v_add_u32_e32 v8, s52, v3
	v_cmp_gt_u32_e64 s[4:5], s36, v8
	v_mov_b32_e32 v10, 0
	s_and_saveexec_b64 s[2:3], s[4:5]
	s_cbranch_execz .LBB59_436
; %bb.435:                              ;   in Loop: Header=BB59_434 Depth=1
	v_lshlrev_b64 v[10:11], 1, v[1:2]
	v_mov_b32_e32 v12, s48
	v_add_co_u32_e64 v10, s[4:5], s33, v10
	v_addc_co_u32_e64 v11, s[4:5], v12, v11, s[4:5]
	global_load_ushort v10, v[10:11], off
.LBB59_436:                             ;   in Loop: Header=BB59_434 Depth=1
	s_or_b64 exec, exec, s[2:3]
	s_waitcnt vmcnt(0)
	v_add_u32_sdwa v11, sext(v4), s41 dst_sel:DWORD dst_unused:UNUSED_PAD src0_sel:WORD_0 src1_sel:DWORD
	v_cmp_gt_u32_e64 s[6:7], v11, v7
	v_cndmask_b32_e64 v12, 0, 1, s[6:7]
	v_cmp_lt_u32_e64 s[6:7], v11, v7
	v_cndmask_b32_e64 v11, 0, 1, s[6:7]
	v_cndmask_b32_e64 v11, v11, v12, s[44:45]
	v_and_b32_e32 v11, 1, v11
	v_cmp_gt_u32_e64 s[4:5], s36, v3
	v_cmp_eq_u32_e64 s[6:7], 1, v11
	s_and_b64 s[24:25], s[4:5], s[6:7]
	v_cndmask_b32_e64 v11, 0, 1, s[24:25]
	v_cmp_ne_u32_e64 s[4:5], 0, v11
	s_cmp_lg_u64 s[4:5], 0
	s_cselect_b64 s[2:3], -1, 0
	s_and_b64 s[6:7], s[0:1], s[2:3]
	s_and_saveexec_b64 s[2:3], s[6:7]
	s_cbranch_execz .LBB59_440
; %bb.437:                              ;   in Loop: Header=BB59_434 Depth=1
	s_mov_b64 s[28:29], exec
	s_waitcnt lgkmcnt(0)
	v_mbcnt_lo_u32_b32 v9, s28, 0
	v_mbcnt_hi_u32_b32 v9, s29, v9
	s_bcnt1_i32_b64 s42, s[4:5]
	v_cmp_eq_u32_e64 s[6:7], 0, v9
                                        ; implicit-def: $vgpr11
	s_and_saveexec_b64 s[26:27], s[6:7]
; %bb.438:                              ;   in Loop: Header=BB59_434 Depth=1
	s_bcnt1_i32_b64 s6, s[28:29]
	s_mul_i32 s6, s42, s6
	v_mov_b32_e32 v11, s6
	ds_add_rtn_u32 v11, v2, v11 offset:4108
; %bb.439:                              ;   in Loop: Header=BB59_434 Depth=1
	s_or_b64 exec, exec, s[26:27]
	s_waitcnt lgkmcnt(0)
	v_readfirstlane_b32 s6, v11
	v_mov_b32_e32 v11, s6
	v_mad_u32_u24 v9, s42, v9, v11
.LBB59_440:                             ;   in Loop: Header=BB59_434 Depth=1
	s_or_b64 exec, exec, s[2:3]
	s_waitcnt lgkmcnt(0)
	ds_bpermute_b32 v9, v20, v9
	s_mov_b64 s[2:3], -1
	s_mov_b64 s[26:27], -1
	s_and_saveexec_b64 s[6:7], s[24:25]
	s_cbranch_execz .LBB59_444
; %bb.441:                              ;   in Loop: Header=BB59_434 Depth=1
	v_and_b32_e32 v12, s4, v22
	v_and_b32_e32 v11, s5, v21
	v_bcnt_u32_b32 v12, v12, 0
	v_bcnt_u32_b32 v11, v11, v12
	s_waitcnt lgkmcnt(0)
	v_add_u32_e32 v11, v9, v11
	v_cmp_gt_u32_e64 s[4:5], s37, v11
	s_mov_b64 s[24:25], 0
	s_and_saveexec_b64 s[26:27], s[4:5]
; %bb.442:                              ;   in Loop: Header=BB59_434 Depth=1
	v_mul_lo_u32 v12, v11, s39
	v_mov_b32_e32 v13, v2
	v_mul_lo_u32 v11, v11, s40
	v_mov_b32_e32 v14, s34
	v_lshlrev_b64 v[12:13], 1, v[12:13]
	s_mov_b64 s[24:25], exec
	v_add_co_u32_e64 v12, s[4:5], s31, v12
	v_addc_co_u32_e64 v13, s[4:5], v14, v13, s[4:5]
	global_store_short v[12:13], v4, off
	v_mov_b32_e32 v12, v2
	v_lshlrev_b64 v[11:12], 3, v[11:12]
	v_mov_b32_e32 v13, s38
	v_add_co_u32_e64 v11, s[4:5], s35, v11
	v_mov_b32_e32 v4, v2
	v_addc_co_u32_e64 v12, s[4:5], v13, v12, s[4:5]
	global_store_dwordx2 v[11:12], v[3:4], off
; %bb.443:                              ;   in Loop: Header=BB59_434 Depth=1
	s_or_b64 exec, exec, s[26:27]
	s_orn2_b64 s[26:27], s[24:25], exec
.LBB59_444:                             ;   in Loop: Header=BB59_434 Depth=1
	s_or_b64 exec, exec, s[6:7]
	s_mov_b64 s[6:7], -1
	s_and_saveexec_b64 s[24:25], s[26:27]
	s_cbranch_execz .LBB59_433
; %bb.445:                              ;   in Loop: Header=BB59_434 Depth=1
	v_cmp_le_u32_e64 s[4:5], s30, v8
	v_add_u32_e32 v1, s54, v1
	s_xor_b64 s[6:7], exec, -1
	s_orn2_b64 s[2:3], s[4:5], exec
	s_branch .LBB59_433
.LBB59_446:
	s_or_b64 exec, exec, s[20:21]
	s_mov_b64 s[4:5], exec
	s_orn2_b64 s[2:3], s[22:23], exec
	s_or_b64 exec, exec, s[18:19]
	s_and_saveexec_b64 s[6:7], s[2:3]
	s_cbranch_execz .LBB59_423
.LBB59_447:
	v_mov_b32_e32 v1, 0
	s_waitcnt vmcnt(0) lgkmcnt(0)
	s_barrier
	s_mov_b64 s[2:3], exec
	v_readlane_b32 s8, v49, 25
	v_readlane_b32 s9, v49, 26
	s_and_b64 s[8:9], s[2:3], s[8:9]
	s_mov_b64 exec, s[8:9]
	s_cbranch_execz .LBB59_449
; %bb.448:
	global_load_ushort v1, v[5:6], off
.LBB59_449:
	s_or_b64 exec, exec, s[2:3]
	s_mov_b64 s[2:3], 0
	s_and_saveexec_b64 s[8:9], vcc
	s_cbranch_execz .LBB59_469
; %bb.450:
	v_add_u32_e32 v2, s52, v0
	v_mul_lo_u32 v2, s53, v2
	s_mov_b64 s[18:19], 0
	v_mov_b32_e32 v3, 0
                                        ; implicit-def: $sgpr20_sgpr21
                                        ; implicit-def: $vgpr5
	s_branch .LBB59_453
.LBB59_451:                             ;   in Loop: Header=BB59_453 Depth=1
	s_or_b64 exec, exec, s[24:25]
	s_orn2_b64 s[26:27], s[28:29], exec
	s_orn2_b64 s[24:25], s[22:23], exec
.LBB59_452:                             ;   in Loop: Header=BB59_453 Depth=1
	s_or_b64 exec, exec, s[2:3]
	s_xor_b64 s[2:3], s[26:27], -1
	s_and_b64 s[22:23], exec, s[24:25]
	s_or_b64 s[18:19], s[22:23], s[18:19]
	s_andn2_b64 s[20:21], s[20:21], exec
	s_and_b64 s[2:3], s[2:3], exec
	s_or_b64 s[20:21], s[20:21], s[2:3]
	v_mov_b32_e32 v0, v4
	v_mov_b32_e32 v1, v6
	s_andn2_b64 exec, exec, s[18:19]
	s_cbranch_execz .LBB59_467
.LBB59_453:                             ; =>This Inner Loop Header: Depth=1
	v_add_u32_e32 v4, s52, v0
	v_cmp_gt_u32_e32 vcc, s36, v4
	v_mov_b32_e32 v6, 0
	s_and_saveexec_b64 s[2:3], vcc
	s_cbranch_execz .LBB59_455
; %bb.454:                              ;   in Loop: Header=BB59_453 Depth=1
	v_lshlrev_b64 v[6:7], 1, v[2:3]
	v_mov_b32_e32 v8, s48
	v_add_co_u32_e32 v6, vcc, s33, v6
	v_addc_co_u32_e32 v7, vcc, v8, v7, vcc
	global_load_ushort v6, v[6:7], off
.LBB59_455:                             ;   in Loop: Header=BB59_453 Depth=1
	s_or_b64 exec, exec, s[2:3]
	v_cmp_gt_u32_e32 vcc, s36, v0
	s_waitcnt vmcnt(0)
	v_cmp_eq_u16_e64 s[2:3], v1, v43
	s_and_b64 s[22:23], vcc, s[2:3]
	v_cndmask_b32_e64 v1, 0, 1, s[22:23]
	v_cmp_ne_u32_e32 vcc, 0, v1
	s_cmp_lg_u64 vcc, 0
	s_cselect_b64 s[2:3], -1, 0
	s_and_b64 s[2:3], s[0:1], s[2:3]
	s_and_saveexec_b64 s[24:25], s[2:3]
	s_cbranch_execz .LBB59_459
; %bb.456:                              ;   in Loop: Header=BB59_453 Depth=1
	s_mov_b64 s[28:29], exec
	v_mbcnt_lo_u32_b32 v1, s28, 0
	v_mbcnt_hi_u32_b32 v1, s29, v1
	s_bcnt1_i32_b64 s41, vcc
	v_cmp_eq_u32_e64 s[2:3], 0, v1
                                        ; implicit-def: $vgpr5
	s_and_saveexec_b64 s[26:27], s[2:3]
; %bb.457:                              ;   in Loop: Header=BB59_453 Depth=1
	s_bcnt1_i32_b64 s2, s[28:29]
	s_mul_i32 s2, s41, s2
	v_mov_b32_e32 v5, s2
	ds_add_rtn_u32 v5, v3, v5 offset:4108
; %bb.458:                              ;   in Loop: Header=BB59_453 Depth=1
	s_or_b64 exec, exec, s[26:27]
	s_waitcnt lgkmcnt(0)
	v_readfirstlane_b32 s2, v5
	v_mov_b32_e32 v5, s2
	v_mad_u32_u24 v5, s41, v1, v5
.LBB59_459:                             ;   in Loop: Header=BB59_453 Depth=1
	s_or_b64 exec, exec, s[24:25]
	ds_bpermute_b32 v5, v20, v5
	s_cmp_eq_u64 vcc, 0
	s_cselect_b64 s[26:27], -1, 0
	s_mov_b64 s[24:25], -1
	s_waitcnt lgkmcnt(0)
	v_cmp_gt_u32_e64 s[2:3], s37, v5
	s_or_b64 s[28:29], s[26:27], s[2:3]
	s_mov_b64 s[26:27], -1
	s_and_saveexec_b64 s[2:3], s[28:29]
	s_cbranch_execz .LBB59_452
; %bb.460:                              ;   in Loop: Header=BB59_453 Depth=1
	v_and_b32_e32 v7, vcc_lo, v22
	v_and_b32_e32 v1, vcc_hi, v21
	v_bcnt_u32_b32 v7, v7, 0
	v_bcnt_u32_b32 v1, v1, v7
	v_sub_u32_e32 v7, s37, v5
	v_cmp_gt_u32_e32 vcc, v7, v1
	s_and_b64 s[42:43], s[22:23], vcc
	s_mov_b64 s[22:23], -1
	s_mov_b64 s[28:29], -1
	s_and_saveexec_b64 s[24:25], s[42:43]
	s_cbranch_execz .LBB59_464
; %bb.461:                              ;   in Loop: Header=BB59_453 Depth=1
	v_add_u32_e32 v1, v5, v1
	v_cmp_gt_u32_e32 vcc, s37, v1
	s_mov_b64 s[26:27], 0
	s_and_saveexec_b64 s[28:29], vcc
; %bb.462:                              ;   in Loop: Header=BB59_453 Depth=1
	v_mul_lo_u32 v7, v1, s39
	v_mov_b32_e32 v8, v3
	v_mul_lo_u32 v9, v1, s40
	v_mov_b32_e32 v1, s34
	v_lshlrev_b64 v[7:8], 1, v[7:8]
	v_mov_b32_e32 v10, v3
	v_add_co_u32_e32 v7, vcc, s31, v7
	v_addc_co_u32_e32 v8, vcc, v1, v8, vcc
	global_store_short v[7:8], v43, off
	v_lshlrev_b64 v[7:8], 3, v[9:10]
	v_mov_b32_e32 v9, s38
	v_add_co_u32_e32 v7, vcc, s35, v7
	s_mov_b64 s[26:27], exec
	v_mov_b32_e32 v1, v3
	v_addc_co_u32_e32 v8, vcc, v9, v8, vcc
	global_store_dwordx2 v[7:8], v[0:1], off
; %bb.463:                              ;   in Loop: Header=BB59_453 Depth=1
	s_or_b64 exec, exec, s[28:29]
	s_xor_b64 s[28:29], exec, -1
	s_orn2_b64 s[26:27], s[26:27], exec
.LBB59_464:                             ;   in Loop: Header=BB59_453 Depth=1
	s_or_b64 exec, exec, s[24:25]
	s_and_saveexec_b64 s[24:25], s[26:27]
	s_cbranch_execz .LBB59_451
; %bb.465:                              ;   in Loop: Header=BB59_453 Depth=1
	v_cmp_le_u32_e32 vcc, s30, v4
	v_add_u32_e32 v2, s54, v2
	s_or_b64 s[28:29], s[28:29], exec
	s_orn2_b64 s[22:23], vcc, exec
	s_branch .LBB59_451
.LBB59_466:
	s_or_b64 s[14:15], s[14:15], exec
	s_trap 2
	s_branch .LBB59_430
.LBB59_467:
	s_or_b64 exec, exec, s[18:19]
	s_mov_b64 s[0:1], 0
	s_and_saveexec_b64 s[2:3], s[20:21]
	s_xor_b64 s[2:3], exec, s[2:3]
	s_cbranch_execnz .LBB59_473
.LBB59_468:
	s_or_b64 exec, exec, s[2:3]
	s_and_b64 s[2:3], s[0:1], exec
.LBB59_469:
	s_or_b64 exec, exec, s[8:9]
	s_and_b64 s[8:9], s[2:3], exec
	s_andn2_b64 s[4:5], s[4:5], exec
	s_or_b64 exec, exec, s[6:7]
	s_and_saveexec_b64 s[0:1], s[4:5]
	s_xor_b64 s[0:1], exec, s[0:1]
	s_cbranch_execz .LBB59_424
.LBB59_470:
	s_trap 2
	s_or_b64 s[8:9], s[8:9], exec
	s_branch .LBB59_424
.LBB59_471:
	s_or_b64 s[16:17], s[16:17], exec
	s_trap 2
	s_branch .LBB59_428
.LBB59_472:
	s_trap 2
	s_or_b64 s[18:19], s[18:19], exec
	s_branch .LBB59_426
.LBB59_473:
	s_mov_b64 s[0:1], exec
	s_trap 2
	s_branch .LBB59_468
	.section	.rodata,"a",@progbits
	.p2align	6, 0x0
	.amdhsa_kernel _ZN2at6native6sbtopk10gatherTopKIsjLi2ELb0EEEvNS_4cuda6detail10TensorInfoIKT_T0_EES8_S8_bS8_S8_NS5_IS6_S8_EES8_NS5_IlS8_EES8_PS6_
		.amdhsa_group_segment_fixed_size 4112
		.amdhsa_private_segment_fixed_size 0
		.amdhsa_kernarg_size 952
		.amdhsa_user_sgpr_count 6
		.amdhsa_user_sgpr_private_segment_buffer 1
		.amdhsa_user_sgpr_dispatch_ptr 0
		.amdhsa_user_sgpr_queue_ptr 0
		.amdhsa_user_sgpr_kernarg_segment_ptr 1
		.amdhsa_user_sgpr_dispatch_id 0
		.amdhsa_user_sgpr_flat_scratch_init 0
		.amdhsa_user_sgpr_private_segment_size 0
		.amdhsa_uses_dynamic_stack 0
		.amdhsa_system_sgpr_private_segment_wavefront_offset 0
		.amdhsa_system_sgpr_workgroup_id_x 1
		.amdhsa_system_sgpr_workgroup_id_y 1
		.amdhsa_system_sgpr_workgroup_id_z 1
		.amdhsa_system_sgpr_workgroup_info 0
		.amdhsa_system_vgpr_workitem_id 0
		.amdhsa_next_free_vgpr 50
		.amdhsa_next_free_sgpr 96
		.amdhsa_reserve_vcc 1
		.amdhsa_reserve_flat_scratch 0
		.amdhsa_float_round_mode_32 0
		.amdhsa_float_round_mode_16_64 0
		.amdhsa_float_denorm_mode_32 3
		.amdhsa_float_denorm_mode_16_64 3
		.amdhsa_dx10_clamp 1
		.amdhsa_ieee_mode 1
		.amdhsa_fp16_overflow 0
		.amdhsa_exception_fp_ieee_invalid_op 0
		.amdhsa_exception_fp_denorm_src 0
		.amdhsa_exception_fp_ieee_div_zero 0
		.amdhsa_exception_fp_ieee_overflow 0
		.amdhsa_exception_fp_ieee_underflow 0
		.amdhsa_exception_fp_ieee_inexact 0
		.amdhsa_exception_int_div_zero 0
	.end_amdhsa_kernel
	.section	.text._ZN2at6native6sbtopk10gatherTopKIsjLi2ELb0EEEvNS_4cuda6detail10TensorInfoIKT_T0_EES8_S8_bS8_S8_NS5_IS6_S8_EES8_NS5_IlS8_EES8_PS6_,"axG",@progbits,_ZN2at6native6sbtopk10gatherTopKIsjLi2ELb0EEEvNS_4cuda6detail10TensorInfoIKT_T0_EES8_S8_bS8_S8_NS5_IS6_S8_EES8_NS5_IlS8_EES8_PS6_,comdat
.Lfunc_end59:
	.size	_ZN2at6native6sbtopk10gatherTopKIsjLi2ELb0EEEvNS_4cuda6detail10TensorInfoIKT_T0_EES8_S8_bS8_S8_NS5_IS6_S8_EES8_NS5_IlS8_EES8_PS6_, .Lfunc_end59-_ZN2at6native6sbtopk10gatherTopKIsjLi2ELb0EEEvNS_4cuda6detail10TensorInfoIKT_T0_EES8_S8_bS8_S8_NS5_IS6_S8_EES8_NS5_IlS8_EES8_PS6_
                                        ; -- End function
	.set _ZN2at6native6sbtopk10gatherTopKIsjLi2ELb0EEEvNS_4cuda6detail10TensorInfoIKT_T0_EES8_S8_bS8_S8_NS5_IS6_S8_EES8_NS5_IlS8_EES8_PS6_.num_vgpr, 50
	.set _ZN2at6native6sbtopk10gatherTopKIsjLi2ELb0EEEvNS_4cuda6detail10TensorInfoIKT_T0_EES8_S8_bS8_S8_NS5_IS6_S8_EES8_NS5_IlS8_EES8_PS6_.num_agpr, 0
	.set _ZN2at6native6sbtopk10gatherTopKIsjLi2ELb0EEEvNS_4cuda6detail10TensorInfoIKT_T0_EES8_S8_bS8_S8_NS5_IS6_S8_EES8_NS5_IlS8_EES8_PS6_.numbered_sgpr, 96
	.set _ZN2at6native6sbtopk10gatherTopKIsjLi2ELb0EEEvNS_4cuda6detail10TensorInfoIKT_T0_EES8_S8_bS8_S8_NS5_IS6_S8_EES8_NS5_IlS8_EES8_PS6_.num_named_barrier, 0
	.set _ZN2at6native6sbtopk10gatherTopKIsjLi2ELb0EEEvNS_4cuda6detail10TensorInfoIKT_T0_EES8_S8_bS8_S8_NS5_IS6_S8_EES8_NS5_IlS8_EES8_PS6_.private_seg_size, 0
	.set _ZN2at6native6sbtopk10gatherTopKIsjLi2ELb0EEEvNS_4cuda6detail10TensorInfoIKT_T0_EES8_S8_bS8_S8_NS5_IS6_S8_EES8_NS5_IlS8_EES8_PS6_.uses_vcc, 1
	.set _ZN2at6native6sbtopk10gatherTopKIsjLi2ELb0EEEvNS_4cuda6detail10TensorInfoIKT_T0_EES8_S8_bS8_S8_NS5_IS6_S8_EES8_NS5_IlS8_EES8_PS6_.uses_flat_scratch, 0
	.set _ZN2at6native6sbtopk10gatherTopKIsjLi2ELb0EEEvNS_4cuda6detail10TensorInfoIKT_T0_EES8_S8_bS8_S8_NS5_IS6_S8_EES8_NS5_IlS8_EES8_PS6_.has_dyn_sized_stack, 0
	.set _ZN2at6native6sbtopk10gatherTopKIsjLi2ELb0EEEvNS_4cuda6detail10TensorInfoIKT_T0_EES8_S8_bS8_S8_NS5_IS6_S8_EES8_NS5_IlS8_EES8_PS6_.has_recursion, 0
	.set _ZN2at6native6sbtopk10gatherTopKIsjLi2ELb0EEEvNS_4cuda6detail10TensorInfoIKT_T0_EES8_S8_bS8_S8_NS5_IS6_S8_EES8_NS5_IlS8_EES8_PS6_.has_indirect_call, 0
	.section	.AMDGPU.csdata,"",@progbits
; Kernel info:
; codeLenInByte = 16600
; TotalNumSgprs: 100
; NumVgprs: 50
; ScratchSize: 0
; MemoryBound: 0
; FloatMode: 240
; IeeeMode: 1
; LDSByteSize: 4112 bytes/workgroup (compile time only)
; SGPRBlocks: 12
; VGPRBlocks: 12
; NumSGPRsForWavesPerEU: 100
; NumVGPRsForWavesPerEU: 50
; Occupancy: 4
; WaveLimiterHint : 1
; COMPUTE_PGM_RSRC2:SCRATCH_EN: 0
; COMPUTE_PGM_RSRC2:USER_SGPR: 6
; COMPUTE_PGM_RSRC2:TRAP_HANDLER: 0
; COMPUTE_PGM_RSRC2:TGID_X_EN: 1
; COMPUTE_PGM_RSRC2:TGID_Y_EN: 1
; COMPUTE_PGM_RSRC2:TGID_Z_EN: 1
; COMPUTE_PGM_RSRC2:TIDIG_COMP_CNT: 0
	.section	.text._ZN2at6native6mbtopk23computeBlockDigitCountsIsjjLi3EEEvNS_4cuda6detail10TensorInfoIKT_T0_EEjPjjS8_iijT1_PSB_Ps,"axG",@progbits,_ZN2at6native6mbtopk23computeBlockDigitCountsIsjjLi3EEEvNS_4cuda6detail10TensorInfoIKT_T0_EEjPjjS8_iijT1_PSB_Ps,comdat
	.protected	_ZN2at6native6mbtopk23computeBlockDigitCountsIsjjLi3EEEvNS_4cuda6detail10TensorInfoIKT_T0_EEjPjjS8_iijT1_PSB_Ps ; -- Begin function _ZN2at6native6mbtopk23computeBlockDigitCountsIsjjLi3EEEvNS_4cuda6detail10TensorInfoIKT_T0_EEjPjjS8_iijT1_PSB_Ps
	.globl	_ZN2at6native6mbtopk23computeBlockDigitCountsIsjjLi3EEEvNS_4cuda6detail10TensorInfoIKT_T0_EEjPjjS8_iijT1_PSB_Ps
	.p2align	8
	.type	_ZN2at6native6mbtopk23computeBlockDigitCountsIsjjLi3EEEvNS_4cuda6detail10TensorInfoIKT_T0_EEjPjjS8_iijT1_PSB_Ps,@function
_ZN2at6native6mbtopk23computeBlockDigitCountsIsjjLi3EEEvNS_4cuda6detail10TensorInfoIKT_T0_EEjPjjS8_iijT1_PSB_Ps: ; @_ZN2at6native6mbtopk23computeBlockDigitCountsIsjjLi3EEEvNS_4cuda6detail10TensorInfoIKT_T0_EEjPjjS8_iijT1_PSB_Ps
; %bb.0:
	s_load_dwordx2 s[10:11], s[4:5], 0xf8
	s_load_dwordx4 s[12:15], s[4:5], 0xe8
	s_load_dwordx2 s[0:1], s[4:5], 0x110
	s_waitcnt lgkmcnt(0)
	v_cvt_f32_u32_e32 v1, s10
	s_sub_i32 s2, 0, s10
	s_mul_i32 s1, s1, s8
	s_add_i32 s1, s1, s7
	v_rcp_iflag_f32_e32 v1, v1
	s_mul_i32 s18, s1, s0
	s_add_i32 s18, s18, s6
	s_mov_b32 s7, 0
	v_mul_f32_e32 v1, 0x4f7ffffe, v1
	v_cvt_u32_f32_e32 v1, v1
	v_readfirstlane_b32 s0, v1
	s_mul_i32 s2, s2, s0
	s_mul_hi_u32 s1, s0, s2
	s_add_i32 s0, s0, s1
	s_mul_hi_u32 s0, s18, s0
	s_mul_i32 s1, s0, s10
	s_sub_i32 s1, s18, s1
	s_add_i32 s2, s0, 1
	s_sub_i32 s3, s1, s10
	s_cmp_ge_u32 s1, s10
	s_cselect_b32 s0, s2, s0
	s_cselect_b32 s1, s3, s1
	s_add_i32 s2, s0, 1
	s_cmp_ge_u32 s1, s10
	s_cselect_b32 s6, s2, s0
	s_cmp_ge_u32 s6, s12
	s_cbranch_scc1 .LBB60_27
; %bb.1:
	s_load_dwordx2 s[8:9], s[4:5], 0xc
	s_load_dwordx4 s[0:3], s[4:5], 0x100
	s_lshl_b64 s[16:17], s[6:7], 2
	s_movk_i32 s7, 0x100
	v_cmp_gt_u32_e32 vcc, s7, v0
	s_waitcnt lgkmcnt(0)
	v_cvt_f32_u32_e32 v1, s9
	v_cvt_f32_u32_e32 v2, s8
	s_add_u32 s0, s0, s16
	s_addc_u32 s1, s1, s17
	v_rcp_iflag_f32_e32 v1, v1
	s_sub_i32 s12, 0, s9
	v_rcp_iflag_f32_e32 v2, v2
	v_lshlrev_b32_e32 v3, 2, v0
	v_mul_f32_e32 v1, 0x4f7ffffe, v1
	v_cvt_u32_f32_e32 v1, v1
	v_mul_f32_e32 v2, 0x4f7ffffe, v2
	v_cvt_u32_f32_e32 v2, v2
	v_readfirstlane_b32 s16, v1
	s_mul_i32 s12, s12, s16
	s_mul_hi_u32 s12, s16, s12
	s_add_i32 s16, s16, s12
	s_mul_hi_u32 s12, s6, s16
	s_mul_i32 s16, s12, s9
	s_sub_i32 s16, s6, s16
	s_add_i32 s17, s12, 1
	s_sub_i32 s19, s16, s9
	s_cmp_ge_u32 s16, s9
	s_cselect_b32 s12, s17, s12
	s_cselect_b32 s16, s19, s16
	s_add_i32 s17, s12, 1
	s_cmp_ge_u32 s16, s9
	v_readfirstlane_b32 s20, v2
	s_cselect_b32 s19, s17, s12
	s_and_saveexec_b64 s[16:17], vcc
; %bb.2:
	v_mov_b32_e32 v1, 0
	ds_write_b32 v3, v1
; %bb.3:
	s_or_b64 exec, exec, s[16:17]
	s_load_dword s12, s[4:5], 0xd8
	s_mul_i32 s7, s6, s10
	s_sub_i32 s7, s18, s7
	s_add_i32 s17, s7, 1
	s_mul_i32 s7, s15, s7
	s_lshl_b32 s16, s7, 8
	s_waitcnt lgkmcnt(0)
	s_sub_i32 s7, s12, s16
	s_add_u32 s22, s7, 0xff
	s_addc_u32 s23, 0, 0
	s_lshr_b64 s[22:23], s[22:23], 8
	s_cmp_lt_u32 s17, s10
	s_cselect_b32 s15, s15, s22
	s_cmp_lt_i32 s15, 1
	s_mov_b32 s7, 0
	s_barrier
	s_cbranch_scc1 .LBB60_25
; %bb.4:
	s_sub_i32 s10, 0, s8
	s_mul_i32 s10, s10, s20
	s_mul_hi_u32 s10, s20, s10
	s_add_i32 s10, s20, s10
	s_load_dwordx4 s[20:23], s[4:5], 0x6c
	s_load_dwordx2 s[24:25], s[4:5], 0x0
	s_mul_hi_u32 s4, s19, s10
	s_load_dword s10, s[0:1], 0x0
	s_mul_i32 s1, s4, s8
	s_mul_i32 s0, s19, s9
	s_sub_i32 s1, s19, s1
	s_sub_i32 s0, s6, s0
	s_add_i32 s5, s4, 1
	s_sub_i32 s6, s1, s8
	s_cmp_ge_u32 s1, s8
	s_cselect_b32 s4, s5, s4
	s_cselect_b32 s1, s6, s1
	s_add_i32 s5, s4, 1
	s_cmp_ge_u32 s1, s8
	s_cselect_b32 s1, s5, s4
	s_mul_i32 s4, s1, s8
	s_sub_i32 s4, s19, s4
	s_waitcnt lgkmcnt(0)
	s_mul_i32 s0, s0, s22
	s_mul_i32 s4, s4, s21
	s_add_i32 s0, s4, s0
	s_mul_i32 s1, s1, s20
	s_add_i32 s6, s0, s1
	s_lshl_b64 s[0:1], s[6:7], 1
	s_add_u32 s6, s24, s0
	s_addc_u32 s8, s25, s1
	s_and_b32 s9, s14, 0xff
	s_cmp_lt_u32 s15, 4
	s_cbranch_scc1 .LBB60_19
; %bb.5:
	v_add_u32_e32 v1, s16, v0
	v_add_u32_e32 v2, 0x200, v1
	;; [unrolled: 1-line block ×3, first 2 shown]
	v_mul_lo_u32 v6, s13, v2
	v_add_u32_e32 v2, 0x100, v1
	v_mul_lo_u32 v5, s13, v4
	v_mul_lo_u32 v7, s13, v2
	;; [unrolled: 1-line block ×3, first 2 shown]
	s_and_b32 s7, s15, 0x7ffffffc
	s_lshl_b32 s14, s13, 10
	s_mov_b32 s17, 0
	v_mov_b32_e32 v2, 0
	v_mov_b32_e32 v9, 1
	s_mov_b32 s19, 0
	s_branch .LBB60_7
.LBB60_6:                               ;   in Loop: Header=BB60_7 Depth=1
	s_or_b64 exec, exec, s[4:5]
	s_add_i32 s19, s19, 4
	s_add_i32 s17, s17, s14
	s_cmp_eq_u32 s7, s19
	v_add_u32_e32 v4, 0x400, v4
	s_cbranch_scc1 .LBB60_19
.LBB60_7:                               ; =>This Inner Loop Header: Depth=1
	v_add_u32_e32 v1, 0xfffffd00, v4
	v_cmp_gt_u32_e64 s[0:1], s12, v1
	s_and_saveexec_b64 s[4:5], s[0:1]
	s_cbranch_execz .LBB60_10
; %bb.8:                                ;   in Loop: Header=BB60_7 Depth=1
	v_add_u32_e32 v1, s17, v8
	v_lshlrev_b64 v[10:11], 1, v[1:2]
	v_mov_b32_e32 v1, s8
	v_add_co_u32_e64 v10, s[0:1], s6, v10
	v_addc_co_u32_e64 v11, s[0:1], v1, v11, s[0:1]
	global_load_sshort v1, v[10:11], off
	s_waitcnt vmcnt(0)
	v_add_u32_e32 v1, 0x8000, v1
	v_xor_b32_e32 v10, s10, v1
	v_and_b32_e32 v10, s11, v10
	v_cmp_eq_u32_e64 s[0:1], 0, v10
	s_and_b64 exec, exec, s[0:1]
; %bb.9:                                ;   in Loop: Header=BB60_7 Depth=1
	v_bfe_u32 v1, v1, s9, 8
	v_lshlrev_b32_e32 v1, 2, v1
	ds_add_u32 v1, v9
.LBB60_10:                              ;   in Loop: Header=BB60_7 Depth=1
	s_or_b64 exec, exec, s[4:5]
	v_add_u32_e32 v1, 0xfffffe00, v4
	v_cmp_gt_u32_e64 s[0:1], s12, v1
	s_and_saveexec_b64 s[4:5], s[0:1]
	s_cbranch_execz .LBB60_13
; %bb.11:                               ;   in Loop: Header=BB60_7 Depth=1
	v_add_u32_e32 v1, s17, v7
	v_lshlrev_b64 v[10:11], 1, v[1:2]
	v_mov_b32_e32 v1, s8
	v_add_co_u32_e64 v10, s[0:1], s6, v10
	v_addc_co_u32_e64 v11, s[0:1], v1, v11, s[0:1]
	global_load_sshort v1, v[10:11], off
	s_waitcnt vmcnt(0)
	v_add_u32_e32 v1, 0x8000, v1
	v_xor_b32_e32 v10, s10, v1
	v_and_b32_e32 v10, s11, v10
	v_cmp_eq_u32_e64 s[0:1], 0, v10
	s_and_b64 exec, exec, s[0:1]
; %bb.12:                               ;   in Loop: Header=BB60_7 Depth=1
	v_bfe_u32 v1, v1, s9, 8
	v_lshlrev_b32_e32 v1, 2, v1
	ds_add_u32 v1, v9
.LBB60_13:                              ;   in Loop: Header=BB60_7 Depth=1
	s_or_b64 exec, exec, s[4:5]
	v_add_u32_e32 v1, 0xffffff00, v4
	v_cmp_gt_u32_e64 s[0:1], s12, v1
	s_and_saveexec_b64 s[4:5], s[0:1]
	s_cbranch_execz .LBB60_16
; %bb.14:                               ;   in Loop: Header=BB60_7 Depth=1
	v_add_u32_e32 v1, s17, v6
	v_lshlrev_b64 v[10:11], 1, v[1:2]
	v_mov_b32_e32 v1, s8
	v_add_co_u32_e64 v10, s[0:1], s6, v10
	v_addc_co_u32_e64 v11, s[0:1], v1, v11, s[0:1]
	global_load_sshort v1, v[10:11], off
	s_waitcnt vmcnt(0)
	v_add_u32_e32 v1, 0x8000, v1
	v_xor_b32_e32 v10, s10, v1
	v_and_b32_e32 v10, s11, v10
	v_cmp_eq_u32_e64 s[0:1], 0, v10
	s_and_b64 exec, exec, s[0:1]
; %bb.15:                               ;   in Loop: Header=BB60_7 Depth=1
	v_bfe_u32 v1, v1, s9, 8
	v_lshlrev_b32_e32 v1, 2, v1
	ds_add_u32 v1, v9
.LBB60_16:                              ;   in Loop: Header=BB60_7 Depth=1
	s_or_b64 exec, exec, s[4:5]
	v_cmp_gt_u32_e64 s[0:1], s12, v4
	s_and_saveexec_b64 s[4:5], s[0:1]
	s_cbranch_execz .LBB60_6
; %bb.17:                               ;   in Loop: Header=BB60_7 Depth=1
	v_add_u32_e32 v1, s17, v5
	v_lshlrev_b64 v[10:11], 1, v[1:2]
	v_mov_b32_e32 v1, s8
	v_add_co_u32_e64 v10, s[0:1], s6, v10
	v_addc_co_u32_e64 v11, s[0:1], v1, v11, s[0:1]
	global_load_sshort v1, v[10:11], off
	s_waitcnt vmcnt(0)
	v_add_u32_e32 v1, 0x8000, v1
	v_xor_b32_e32 v10, s10, v1
	v_and_b32_e32 v10, s11, v10
	v_cmp_eq_u32_e64 s[0:1], 0, v10
	s_and_b64 exec, exec, s[0:1]
	s_cbranch_execz .LBB60_6
; %bb.18:                               ;   in Loop: Header=BB60_7 Depth=1
	v_bfe_u32 v1, v1, s9, 8
	v_lshlrev_b32_e32 v1, 2, v1
	ds_add_u32 v1, v9
	s_branch .LBB60_6
.LBB60_19:
	s_and_b32 s14, s15, 3
	s_cmp_eq_u32 s14, 0
	s_cbranch_scc1 .LBB60_25
; %bb.20:
	s_lshl_b32 s0, s7, 8
	s_add_i32 s0, s0, s16
	v_add_u32_e32 v4, s0, v0
	v_mul_lo_u32 v1, s13, v4
	s_lshl_b32 s7, s13, 8
	v_mov_b32_e32 v2, 0
	v_mov_b32_e32 v5, 1
	s_branch .LBB60_22
.LBB60_21:                              ;   in Loop: Header=BB60_22 Depth=1
	s_or_b64 exec, exec, s[4:5]
	s_add_i32 s14, s14, -1
	v_add_u32_e32 v1, s7, v1
	s_cmp_lg_u32 s14, 0
	v_add_u32_e32 v4, 0x100, v4
	s_cbranch_scc0 .LBB60_25
.LBB60_22:                              ; =>This Inner Loop Header: Depth=1
	v_cmp_gt_u32_e64 s[0:1], s12, v4
	s_and_saveexec_b64 s[4:5], s[0:1]
	s_cbranch_execz .LBB60_21
; %bb.23:                               ;   in Loop: Header=BB60_22 Depth=1
	v_lshlrev_b64 v[6:7], 1, v[1:2]
	v_mov_b32_e32 v8, s8
	v_add_co_u32_e64 v6, s[0:1], s6, v6
	v_addc_co_u32_e64 v7, s[0:1], v8, v7, s[0:1]
	global_load_sshort v6, v[6:7], off
	s_waitcnt vmcnt(0)
	v_add_u32_e32 v6, 0x8000, v6
	v_xor_b32_e32 v7, s10, v6
	v_and_b32_e32 v7, s11, v7
	v_cmp_eq_u32_e64 s[0:1], 0, v7
	s_and_b64 exec, exec, s[0:1]
	s_cbranch_execz .LBB60_21
; %bb.24:                               ;   in Loop: Header=BB60_22 Depth=1
	v_bfe_u32 v6, v6, s9, 8
	v_lshlrev_b32_e32 v6, 2, v6
	ds_add_u32 v6, v5
	s_branch .LBB60_21
.LBB60_25:
	s_waitcnt lgkmcnt(0)
	s_barrier
	s_and_saveexec_b64 s[0:1], vcc
	s_cbranch_execz .LBB60_27
; %bb.26:
	v_lshl_or_b32 v0, s18, 8, v0
	v_mov_b32_e32 v1, 0
	ds_read_b32 v3, v3
	v_lshlrev_b64 v[0:1], 1, v[0:1]
	v_mov_b32_e32 v2, s3
	v_add_co_u32_e32 v0, vcc, s2, v0
	v_addc_co_u32_e32 v1, vcc, v2, v1, vcc
	s_waitcnt lgkmcnt(0)
	global_store_short v[0:1], v3, off
.LBB60_27:
	s_endpgm
	.section	.rodata,"a",@progbits
	.p2align	6, 0x0
	.amdhsa_kernel _ZN2at6native6mbtopk23computeBlockDigitCountsIsjjLi3EEEvNS_4cuda6detail10TensorInfoIKT_T0_EEjPjjS8_iijT1_PSB_Ps
		.amdhsa_group_segment_fixed_size 1024
		.amdhsa_private_segment_fixed_size 0
		.amdhsa_kernarg_size 528
		.amdhsa_user_sgpr_count 6
		.amdhsa_user_sgpr_private_segment_buffer 1
		.amdhsa_user_sgpr_dispatch_ptr 0
		.amdhsa_user_sgpr_queue_ptr 0
		.amdhsa_user_sgpr_kernarg_segment_ptr 1
		.amdhsa_user_sgpr_dispatch_id 0
		.amdhsa_user_sgpr_flat_scratch_init 0
		.amdhsa_user_sgpr_private_segment_size 0
		.amdhsa_uses_dynamic_stack 0
		.amdhsa_system_sgpr_private_segment_wavefront_offset 0
		.amdhsa_system_sgpr_workgroup_id_x 1
		.amdhsa_system_sgpr_workgroup_id_y 1
		.amdhsa_system_sgpr_workgroup_id_z 1
		.amdhsa_system_sgpr_workgroup_info 0
		.amdhsa_system_vgpr_workitem_id 0
		.amdhsa_next_free_vgpr 12
		.amdhsa_next_free_sgpr 26
		.amdhsa_reserve_vcc 1
		.amdhsa_reserve_flat_scratch 0
		.amdhsa_float_round_mode_32 0
		.amdhsa_float_round_mode_16_64 0
		.amdhsa_float_denorm_mode_32 3
		.amdhsa_float_denorm_mode_16_64 3
		.amdhsa_dx10_clamp 1
		.amdhsa_ieee_mode 1
		.amdhsa_fp16_overflow 0
		.amdhsa_exception_fp_ieee_invalid_op 0
		.amdhsa_exception_fp_denorm_src 0
		.amdhsa_exception_fp_ieee_div_zero 0
		.amdhsa_exception_fp_ieee_overflow 0
		.amdhsa_exception_fp_ieee_underflow 0
		.amdhsa_exception_fp_ieee_inexact 0
		.amdhsa_exception_int_div_zero 0
	.end_amdhsa_kernel
	.section	.text._ZN2at6native6mbtopk23computeBlockDigitCountsIsjjLi3EEEvNS_4cuda6detail10TensorInfoIKT_T0_EEjPjjS8_iijT1_PSB_Ps,"axG",@progbits,_ZN2at6native6mbtopk23computeBlockDigitCountsIsjjLi3EEEvNS_4cuda6detail10TensorInfoIKT_T0_EEjPjjS8_iijT1_PSB_Ps,comdat
.Lfunc_end60:
	.size	_ZN2at6native6mbtopk23computeBlockDigitCountsIsjjLi3EEEvNS_4cuda6detail10TensorInfoIKT_T0_EEjPjjS8_iijT1_PSB_Ps, .Lfunc_end60-_ZN2at6native6mbtopk23computeBlockDigitCountsIsjjLi3EEEvNS_4cuda6detail10TensorInfoIKT_T0_EEjPjjS8_iijT1_PSB_Ps
                                        ; -- End function
	.set _ZN2at6native6mbtopk23computeBlockDigitCountsIsjjLi3EEEvNS_4cuda6detail10TensorInfoIKT_T0_EEjPjjS8_iijT1_PSB_Ps.num_vgpr, 12
	.set _ZN2at6native6mbtopk23computeBlockDigitCountsIsjjLi3EEEvNS_4cuda6detail10TensorInfoIKT_T0_EEjPjjS8_iijT1_PSB_Ps.num_agpr, 0
	.set _ZN2at6native6mbtopk23computeBlockDigitCountsIsjjLi3EEEvNS_4cuda6detail10TensorInfoIKT_T0_EEjPjjS8_iijT1_PSB_Ps.numbered_sgpr, 26
	.set _ZN2at6native6mbtopk23computeBlockDigitCountsIsjjLi3EEEvNS_4cuda6detail10TensorInfoIKT_T0_EEjPjjS8_iijT1_PSB_Ps.num_named_barrier, 0
	.set _ZN2at6native6mbtopk23computeBlockDigitCountsIsjjLi3EEEvNS_4cuda6detail10TensorInfoIKT_T0_EEjPjjS8_iijT1_PSB_Ps.private_seg_size, 0
	.set _ZN2at6native6mbtopk23computeBlockDigitCountsIsjjLi3EEEvNS_4cuda6detail10TensorInfoIKT_T0_EEjPjjS8_iijT1_PSB_Ps.uses_vcc, 1
	.set _ZN2at6native6mbtopk23computeBlockDigitCountsIsjjLi3EEEvNS_4cuda6detail10TensorInfoIKT_T0_EEjPjjS8_iijT1_PSB_Ps.uses_flat_scratch, 0
	.set _ZN2at6native6mbtopk23computeBlockDigitCountsIsjjLi3EEEvNS_4cuda6detail10TensorInfoIKT_T0_EEjPjjS8_iijT1_PSB_Ps.has_dyn_sized_stack, 0
	.set _ZN2at6native6mbtopk23computeBlockDigitCountsIsjjLi3EEEvNS_4cuda6detail10TensorInfoIKT_T0_EEjPjjS8_iijT1_PSB_Ps.has_recursion, 0
	.set _ZN2at6native6mbtopk23computeBlockDigitCountsIsjjLi3EEEvNS_4cuda6detail10TensorInfoIKT_T0_EEjPjjS8_iijT1_PSB_Ps.has_indirect_call, 0
	.section	.AMDGPU.csdata,"",@progbits
; Kernel info:
; codeLenInByte = 1396
; TotalNumSgprs: 30
; NumVgprs: 12
; ScratchSize: 0
; MemoryBound: 0
; FloatMode: 240
; IeeeMode: 1
; LDSByteSize: 1024 bytes/workgroup (compile time only)
; SGPRBlocks: 3
; VGPRBlocks: 2
; NumSGPRsForWavesPerEU: 30
; NumVGPRsForWavesPerEU: 12
; Occupancy: 10
; WaveLimiterHint : 1
; COMPUTE_PGM_RSRC2:SCRATCH_EN: 0
; COMPUTE_PGM_RSRC2:USER_SGPR: 6
; COMPUTE_PGM_RSRC2:TRAP_HANDLER: 0
; COMPUTE_PGM_RSRC2:TGID_X_EN: 1
; COMPUTE_PGM_RSRC2:TGID_Y_EN: 1
; COMPUTE_PGM_RSRC2:TGID_Z_EN: 1
; COMPUTE_PGM_RSRC2:TIDIG_COMP_CNT: 0
	.section	.text._ZN2at6native6mbtopk10gatherTopKIsjLi3EEEvNS_4cuda6detail10TensorInfoIKT_T0_EES8_S8_bjS8_NS5_IS6_S8_EES8_NS5_IlS8_EES8_jjPS6_PjSD_j,"axG",@progbits,_ZN2at6native6mbtopk10gatherTopKIsjLi3EEEvNS_4cuda6detail10TensorInfoIKT_T0_EES8_S8_bjS8_NS5_IS6_S8_EES8_NS5_IlS8_EES8_jjPS6_PjSD_j,comdat
	.protected	_ZN2at6native6mbtopk10gatherTopKIsjLi3EEEvNS_4cuda6detail10TensorInfoIKT_T0_EES8_S8_bjS8_NS5_IS6_S8_EES8_NS5_IlS8_EES8_jjPS6_PjSD_j ; -- Begin function _ZN2at6native6mbtopk10gatherTopKIsjLi3EEEvNS_4cuda6detail10TensorInfoIKT_T0_EES8_S8_bjS8_NS5_IS6_S8_EES8_NS5_IlS8_EES8_jjPS6_PjSD_j
	.globl	_ZN2at6native6mbtopk10gatherTopKIsjLi3EEEvNS_4cuda6detail10TensorInfoIKT_T0_EES8_S8_bjS8_NS5_IS6_S8_EES8_NS5_IlS8_EES8_jjPS6_PjSD_j
	.p2align	8
	.type	_ZN2at6native6mbtopk10gatherTopKIsjLi3EEEvNS_4cuda6detail10TensorInfoIKT_T0_EES8_S8_bjS8_NS5_IS6_S8_EES8_NS5_IlS8_EES8_jjPS6_PjSD_j,@function
_ZN2at6native6mbtopk10gatherTopKIsjLi3EEEvNS_4cuda6detail10TensorInfoIKT_T0_EES8_S8_bjS8_NS5_IS6_S8_EES8_NS5_IlS8_EES8_jjPS6_PjSD_j: ; @_ZN2at6native6mbtopk10gatherTopKIsjLi3EEEvNS_4cuda6detail10TensorInfoIKT_T0_EES8_S8_bjS8_NS5_IS6_S8_EES8_NS5_IlS8_EES8_jjPS6_PjSD_j
; %bb.0:
	s_load_dwordx2 s[0:1], s[4:5], 0x2d8
	s_load_dword s2, s[4:5], 0x2d0
	s_waitcnt lgkmcnt(0)
	s_mul_i32 s1, s1, s8
	s_add_i32 s1, s1, s7
	s_mul_i32 s0, s1, s0
	s_add_i32 s0, s0, s6
	s_cmp_ge_u32 s0, s2
	s_cbranch_scc1 .LBB61_40
; %bb.1:
	s_load_dwordx8 s[8:15], s[4:5], 0x2a8
	s_load_dwordx2 s[36:37], s[4:5], 0xc
	s_load_dwordx2 s[40:41], s[4:5], 0xfc
	;; [unrolled: 1-line block ×4, first 2 shown]
	s_mov_b32 s39, 0
	s_waitcnt lgkmcnt(0)
	v_cvt_f32_u32_e32 v1, s10
	s_sub_i32 s1, 0, s10
	v_cvt_f32_u32_e32 v2, s37
	v_rcp_iflag_f32_e32 v1, v1
	v_rcp_iflag_f32_e32 v2, v2
	v_mul_f32_e32 v1, 0x4f7ffffe, v1
	v_cvt_u32_f32_e32 v1, v1
	v_mul_f32_e32 v2, 0x4f7ffffe, v2
	v_cvt_u32_f32_e32 v2, v2
	v_readfirstlane_b32 s2, v1
	s_mul_i32 s1, s1, s2
	s_mul_hi_u32 s1, s2, s1
	s_add_i32 s2, s2, s1
	s_mul_hi_u32 s1, s0, s2
	s_mul_i32 s2, s1, s10
	s_sub_i32 s2, s0, s2
	s_add_i32 s3, s1, 1
	s_sub_i32 s11, s2, s10
	s_cmp_ge_u32 s2, s10
	s_cselect_b32 s1, s3, s1
	s_cselect_b32 s2, s11, s2
	s_add_i32 s3, s1, 1
	s_cmp_ge_u32 s2, s10
	s_cselect_b32 s38, s3, s1
	v_cvt_f32_u32_e32 v1, s36
	s_mul_i32 s28, s38, s10
	s_sub_i32 s1, 0, s37
	s_sub_i32 s11, s0, s28
	v_readfirstlane_b32 s0, v2
	s_mul_i32 s1, s1, s0
	s_mul_hi_u32 s1, s0, s1
	v_rcp_iflag_f32_e32 v1, v1
	s_add_i32 s0, s0, s1
	v_cvt_f32_u32_e32 v2, s41
	s_mul_hi_u32 s0, s38, s0
	s_mul_i32 s1, s0, s37
	s_sub_i32 s1, s38, s1
	v_mul_f32_e32 v1, 0x4f7ffffe, v1
	s_add_i32 s2, s0, 1
	s_sub_i32 s3, s1, s37
	v_cvt_u32_f32_e32 v1, v1
	v_rcp_iflag_f32_e32 v2, v2
	s_cmp_ge_u32 s1, s37
	s_cselect_b32 s0, s2, s0
	s_cselect_b32 s1, s3, s1
	s_add_i32 s2, s0, 1
	s_cmp_ge_u32 s1, s37
	v_readfirstlane_b32 s1, v1
	v_mul_f32_e32 v1, 0x4f7ffffe, v2
	v_cvt_u32_f32_e32 v1, v1
	s_cselect_b32 s33, s2, s0
	s_sub_i32 s0, 0, s36
	s_mul_i32 s0, s0, s1
	s_mul_hi_u32 s0, s1, s0
	s_add_i32 s2, s1, s0
	v_readfirstlane_b32 s1, v1
	v_cvt_f32_u32_e32 v1, s40
	s_sub_i32 s0, 0, s41
	s_mul_i32 s0, s0, s1
	s_mul_hi_u32 s0, s1, s0
	v_rcp_iflag_f32_e32 v1, v1
	s_add_i32 s1, s1, s0
	v_cvt_f32_u32_e32 v2, s35
	s_mul_hi_u32 s0, s38, s1
	s_mul_i32 s1, s0, s41
	s_sub_i32 s1, s38, s1
	v_mul_f32_e32 v1, 0x4f7ffffe, v1
	s_add_i32 s3, s0, 1
	s_sub_i32 s16, s1, s41
	v_cvt_u32_f32_e32 v1, v1
	v_rcp_iflag_f32_e32 v2, v2
	s_cmp_ge_u32 s1, s41
	s_cselect_b32 s0, s3, s0
	s_cselect_b32 s1, s16, s1
	s_add_i32 s3, s0, 1
	s_cmp_ge_u32 s1, s41
	v_readfirstlane_b32 s1, v1
	v_mul_f32_e32 v1, 0x4f7ffffe, v2
	v_cvt_u32_f32_e32 v1, v1
	s_cselect_b32 s52, s3, s0
	s_sub_i32 s0, 0, s40
	s_mul_i32 s0, s0, s1
	s_mul_hi_u32 s0, s1, s0
	s_add_i32 s3, s1, s0
	v_readfirstlane_b32 s1, v1
	v_cvt_f32_u32_e32 v1, s34
	s_sub_i32 s0, 0, s35
	s_mul_i32 s0, s0, s1
	s_mul_hi_u32 s0, s1, s0
	s_add_i32 s1, s1, s0
	v_rcp_iflag_f32_e32 v1, v1
	s_mul_hi_u32 s0, s38, s1
	s_mul_i32 s1, s0, s35
	s_sub_i32 s1, s38, s1
	s_add_i32 s16, s0, 1
	s_sub_i32 s17, s1, s35
	v_mul_f32_e32 v1, 0x4f7ffffe, v1
	s_cmp_ge_u32 s1, s35
	v_cvt_u32_f32_e32 v1, v1
	s_cselect_b32 s0, s16, s0
	s_cselect_b32 s1, s17, s1
	s_add_i32 s16, s0, 1
	s_cmp_ge_u32 s1, s35
	s_cselect_b32 s53, s16, s0
	s_sub_i32 s0, 0, s34
	v_readfirstlane_b32 s1, v1
	s_mul_i32 s0, s0, s1
	s_mul_hi_u32 s0, s1, s0
	s_add_i32 s29, s1, s0
	s_lshl_b64 s[0:1], s[38:39], 1
	s_add_u32 s0, s12, s0
	s_addc_u32 s1, s13, s1
	v_mov_b32_e32 v1, 0
	global_load_ushort v6, v1, s[0:1]
	s_load_dwordx4 s[20:23], s[4:5], 0x15c
	s_load_dwordx2 s[44:45], s[4:5], 0x0
	s_load_dwordx4 s[16:19], s[4:5], 0x23c
	s_load_dwordx2 s[42:43], s[4:5], 0xf0
	s_load_dwordx4 s[24:27], s[4:5], 0x6c
	s_waitcnt lgkmcnt(0)
	s_mul_hi_u32 s27, s33, s2
	s_mul_hi_u32 s23, s52, s3
	;; [unrolled: 1-line block ×3, first 2 shown]
	v_cmp_ne_u32_e64 s[0:1], 0, v0
	v_cmp_eq_u32_e64 s[2:3], 0, v0
	s_and_saveexec_b64 s[12:13], s[2:3]
	s_cbranch_execz .LBB61_17
; %bb.2:
	s_load_dwordx2 s[46:47], s[4:5], 0x2c8
	s_mov_b32 s29, s39
	s_lshl_b64 s[48:49], s[28:29], 2
	s_add_u32 s28, s14, s48
	s_addc_u32 s29, s15, s49
	s_waitcnt lgkmcnt(0)
	s_add_u32 s30, s46, s48
	s_addc_u32 s31, s47, s49
	s_cmp_lt_u32 s10, 4
	s_cbranch_scc1 .LBB61_14
; %bb.3:
	s_mov_b32 s54, s39
	s_mov_b32 s55, s39
	;; [unrolled: 1-line block ×3, first 2 shown]
.LBB61_4:                               ; =>This Inner Loop Header: Depth=1
	s_add_u32 s50, s14, s48
	s_addc_u32 s51, s15, s49
	s_load_dwordx4 s[28:31], s[50:51], 0x0
	s_add_u32 s50, s46, s48
	s_addc_u32 s51, s47, s49
	s_cmp_ge_u32 s56, s11
	s_cbranch_scc0 .LBB61_11
; %bb.5:                                ;   in Loop: Header=BB61_4 Depth=1
	s_add_i32 s57, s56, 1
	s_cmp_ge_u32 s57, s11
	s_cbranch_scc0 .LBB61_12
.LBB61_6:                               ;   in Loop: Header=BB61_4 Depth=1
	s_add_i32 s57, s57, 1
	s_cmp_ge_u32 s57, s11
	s_cbranch_scc0 .LBB61_13
.LBB61_7:                               ;   in Loop: Header=BB61_4 Depth=1
	s_add_i32 s57, s57, 1
	s_cmp_ge_u32 s57, s11
	s_cbranch_scc1 .LBB61_9
.LBB61_8:                               ;   in Loop: Header=BB61_4 Depth=1
	s_load_dword s50, s[50:51], 0xc
	s_waitcnt lgkmcnt(0)
	s_add_i32 s39, s39, s31
	s_add_i32 s54, s50, s54
.LBB61_9:                               ;   in Loop: Header=BB61_4 Depth=1
	s_waitcnt lgkmcnt(0)
	s_add_i32 s28, s28, s55
	s_add_i32 s28, s28, s29
	;; [unrolled: 1-line block ×4, first 2 shown]
	s_add_u32 s14, s14, 16
	s_addc_u32 s15, s15, 0
	s_add_u32 s46, s46, 16
	s_addc_u32 s47, s47, 0
	s_add_i32 s51, s57, 4
	s_add_u32 s30, s46, s48
	s_addc_u32 s31, s47, s49
	s_add_u32 s28, s14, s48
	s_addc_u32 s29, s15, s49
	s_add_i32 s50, s57, 1
	s_cmp_ge_u32 s51, s10
	s_cbranch_scc1 .LBB61_15
; %bb.10:                               ;   in Loop: Header=BB61_4 Depth=1
	s_mov_b32 s56, s50
	s_branch .LBB61_4
.LBB61_11:                              ;   in Loop: Header=BB61_4 Depth=1
	s_load_dword s57, s[50:51], 0x0
	s_waitcnt lgkmcnt(0)
	s_add_i32 s39, s28, s39
	s_add_i32 s54, s57, s54
	;; [unrolled: 1-line block ×3, first 2 shown]
	s_cmp_ge_u32 s57, s11
	s_cbranch_scc1 .LBB61_6
.LBB61_12:                              ;   in Loop: Header=BB61_4 Depth=1
	s_load_dword s58, s[50:51], 0x4
	s_waitcnt lgkmcnt(0)
	s_add_i32 s39, s39, s29
	s_add_i32 s54, s58, s54
	;; [unrolled: 1-line block ×3, first 2 shown]
	s_cmp_ge_u32 s57, s11
	s_cbranch_scc1 .LBB61_7
.LBB61_13:                              ;   in Loop: Header=BB61_4 Depth=1
	s_load_dword s58, s[50:51], 0x8
	s_waitcnt lgkmcnt(0)
	s_add_i32 s39, s39, s30
	s_add_i32 s54, s58, s54
	;; [unrolled: 1-line block ×3, first 2 shown]
	s_cmp_ge_u32 s57, s11
	s_cbranch_scc0 .LBB61_8
	s_branch .LBB61_9
.LBB61_14:
	s_mov_b32 s54, 0
	s_mov_b32 s55, 0
	;; [unrolled: 1-line block ×3, first 2 shown]
	s_cmp_ge_u32 s14, s10
	s_cbranch_scc0 .LBB61_38
	s_branch .LBB61_16
.LBB61_15:
	s_add_i32 s14, s56, 4
	s_cmp_ge_u32 s14, s10
	s_cbranch_scc0 .LBB61_38
.LBB61_16:
	v_mov_b32_e32 v1, s54
	v_mov_b32_e32 v2, s55
	;; [unrolled: 1-line block ×4, first 2 shown]
	ds_write_b96 v4, v[1:3] offset:1056
.LBB61_17:
	s_or_b64 exec, exec, s[12:13]
	s_load_dwordx4 s[12:15], s[4:5], 0xd8
	s_mul_i32 s28, s9, s11
	s_lshl_b32 s28, s28, 8
	s_waitcnt lgkmcnt(0)
	s_add_i32 s15, s11, 1
	s_mov_b32 s11, 0
	s_sub_i32 s29, s12, s28
	s_add_u32 s30, s29, 0xff
	s_addc_u32 s31, 0, 0
	s_lshr_b64 s[30:31], s[30:31], 8
	s_cmp_lt_u32 s15, s10
	s_cselect_b32 s9, s9, s30
	s_cmp_eq_u32 s9, 0
	s_waitcnt vmcnt(0)
	s_barrier
	s_cbranch_scc1 .LBB61_40
; %bb.18:
	s_mul_i32 s10, s33, s37
	s_mul_i32 s15, s27, s36
	s_sub_i32 s10, s38, s10
	s_sub_i32 s15, s33, s15
	s_mul_i32 s10, s10, s26
	s_add_i32 s26, s27, 1
	s_sub_i32 s29, s15, s36
	s_cmp_ge_u32 s15, s36
	s_cselect_b32 s26, s26, s27
	s_cselect_b32 s15, s29, s15
	s_add_i32 s27, s26, 1
	s_cmp_ge_u32 s15, s36
	s_cselect_b32 s15, s27, s26
	s_mul_i32 s26, s15, s36
	s_sub_i32 s26, s33, s26
	s_mul_i32 s25, s26, s25
	s_add_i32 s10, s25, s10
	s_mul_i32 s15, s15, s24
	s_add_i32 s10, s10, s15
	s_mul_i32 s15, s52, s41
	s_sub_i32 s15, s38, s15
	s_mul_i32 s15, s15, s22
	s_mul_i32 s22, s23, s40
	s_sub_i32 s22, s52, s22
	s_add_i32 s24, s23, 1
	s_sub_i32 s25, s22, s40
	s_cmp_ge_u32 s22, s40
	s_cselect_b32 s23, s24, s23
	s_cselect_b32 s22, s25, s22
	s_add_i32 s24, s23, 1
	s_cmp_ge_u32 s22, s40
	s_cselect_b32 s22, s24, s23
	s_mul_i32 s23, s22, s40
	s_sub_i32 s23, s52, s23
	s_mul_i32 s21, s23, s21
	s_add_i32 s15, s21, s15
	s_mul_i32 s22, s22, s20
	s_add_i32 s20, s15, s22
	s_mul_i32 s15, s53, s35
	s_sub_i32 s15, s38, s15
	s_mul_i32 s15, s15, s18
	s_mul_i32 s18, s19, s34
	s_sub_i32 s18, s53, s18
	s_add_i32 s21, s19, 1
	s_sub_i32 s22, s18, s34
	s_cmp_ge_u32 s18, s34
	s_cselect_b32 s19, s21, s19
	s_cselect_b32 s18, s22, s18
	s_add_i32 s21, s19, 1
	s_cmp_ge_u32 s18, s34
	s_cselect_b32 s18, s21, s19
	s_mul_i32 s19, s18, s34
	s_sub_i32 s19, s53, s19
	s_mul_i32 s17, s19, s17
	s_add_i32 s15, s17, s15
	s_mul_i32 s18, s18, s16
	v_mov_b32_e32 v5, 0
	s_add_i32 s22, s15, s18
	s_lshl_b64 s[16:17], s[10:11], 1
	ds_read_b96 v[1:3], v5 offset:1056
	s_add_u32 s15, s44, s16
	s_mov_b32 s21, s11
	s_addc_u32 s16, s45, s17
	s_lshl_b64 s[18:19], s[20:21], 1
	s_add_u32 s17, s42, s18
	s_mov_b32 s23, s11
	s_addc_u32 s18, s43, s19
	s_lshl_b64 s[10:11], s[22:23], 3
	s_add_u32 s19, s6, s10
	s_waitcnt lgkmcnt(0)
	v_add_u32_e32 v2, v1, v2
	v_lshrrev_b32_e32 v1, 3, v0
	s_addc_u32 s20, s7, s11
	v_and_b32_e32 v1, 28, v1
	s_bitcmp1_b32 s14, 0
	s_load_dword s10, s[4:5], 0xe8
	s_load_dword s14, s[4:5], 0x1c8
	v_lshl_add_u32 v8, v0, 2, v1
	v_lshrrev_b32_e32 v1, 1, v0
	v_and_b32_e32 v9, 0x7c, v1
	v_add_u32_e32 v1, -1, v0
	v_lshrrev_b32_e32 v4, 3, v1
	v_cmp_gt_u32_e64 s[4:5], 64, v0
	v_lshlrev_b32_e32 v10, 4, v0
	v_and_b32_e32 v4, 0x1ffffffc, v4
	v_add_u32_e32 v0, s28, v0
	v_lshl_add_u32 v11, v1, 2, v4
	s_waitcnt lgkmcnt(0)
	v_mul_lo_u32 v4, s10, v0
	s_mov_b32 s21, 0x8000
	v_mbcnt_lo_u32_b32 v1, -1, 0
	v_add_u32_sdwa v7, sext(v6), s21 dst_sel:DWORD dst_unused:UNUSED_PAD src0_sel:WORD_0 src1_sel:DWORD
	s_cselect_b64 s[6:7], -1, 0
	s_lshl_b32 s22, s10, 8
	v_mbcnt_hi_u32_b32 v12, -1, v1
                                        ; implicit-def: $vgpr13
	s_branch .LBB61_21
.LBB61_19:                              ;   in Loop: Header=BB61_21 Depth=1
	s_or_b64 exec, exec, s[10:11]
	v_add_u32_e32 v2, v16, v2
.LBB61_20:                              ;   in Loop: Header=BB61_21 Depth=1
	s_add_i32 s9, s9, -1
	v_add_u32_e32 v3, v15, v3
	v_add_u32_e32 v4, s22, v4
	s_cmp_lg_u32 s9, 0
	v_add_u32_e32 v0, 0x100, v0
	s_cbranch_scc0 .LBB61_40
.LBB61_21:                              ; =>This Inner Loop Header: Depth=1
	v_cmp_gt_u32_e32 vcc, s12, v0
	v_mov_b32_e32 v1, 0
	v_mov_b32_e32 v14, 0
	s_and_saveexec_b64 s[10:11], vcc
	s_cbranch_execz .LBB61_23
; %bb.22:                               ;   in Loop: Header=BB61_21 Depth=1
	v_lshlrev_b64 v[13:14], 1, v[4:5]
	v_mov_b32_e32 v1, s16
	v_add_co_u32_e32 v13, vcc, s15, v13
	v_addc_co_u32_e32 v14, vcc, v1, v14, vcc
	global_load_ushort v13, v[13:14], off
	s_waitcnt vmcnt(0)
	v_add_u32_sdwa v1, sext(v13), s21 dst_sel:DWORD dst_unused:UNUSED_PAD src0_sel:WORD_0 src1_sel:DWORD
	v_cmp_gt_u32_e32 vcc, v1, v7
	v_cndmask_b32_e64 v14, 0, 1, vcc
	v_cmp_lt_u32_e32 vcc, v1, v7
	v_cndmask_b32_e64 v1, 0, 1, vcc
	v_cndmask_b32_e64 v1, v1, v14, s[6:7]
	v_cmp_eq_u16_e32 vcc, v13, v6
	v_and_b32_e32 v1, 1, v1
	v_cndmask_b32_e64 v14, 0, 1, vcc
.LBB61_23:                              ;   in Loop: Header=BB61_21 Depth=1
	s_or_b64 exec, exec, s[10:11]
	ds_write_b32 v8, v1
	s_waitcnt vmcnt(0) lgkmcnt(0)
	s_barrier
	s_and_saveexec_b64 s[10:11], s[4:5]
	s_cbranch_execz .LBB61_25
; %bb.24:                               ;   in Loop: Header=BB61_21 Depth=1
	v_add_u32_e32 v19, v9, v10
	ds_read2_b32 v[15:16], v19 offset1:1
	ds_read2_b32 v[17:18], v19 offset0:2 offset1:3
	v_and_b32_e32 v20, 15, v12
	v_cmp_ne_u32_e32 vcc, 0, v20
	s_waitcnt lgkmcnt(1)
	v_add_u32_e32 v16, v16, v15
	s_waitcnt lgkmcnt(0)
	v_add3_u32 v16, v16, v17, v18
	v_bfe_i32 v18, v12, 4, 1
	; wave barrier
	s_nop 0
	v_mov_b32_dpp v17, v16 row_shr:1 row_mask:0xf bank_mask:0xf
	v_cndmask_b32_e32 v17, 0, v17, vcc
	v_add_u32_e32 v16, v17, v16
	v_cmp_lt_u32_e32 vcc, 1, v20
	s_nop 0
	v_mov_b32_dpp v17, v16 row_shr:2 row_mask:0xf bank_mask:0xf
	v_cndmask_b32_e32 v17, 0, v17, vcc
	v_add_u32_e32 v16, v16, v17
	v_cmp_lt_u32_e32 vcc, 3, v20
	;; [unrolled: 5-line block ×4, first 2 shown]
	s_nop 0
	v_mov_b32_dpp v17, v16 row_bcast:15 row_mask:0xf bank_mask:0xf
	v_and_b32_e32 v17, v18, v17
	v_add_u32_e32 v16, v16, v17
	v_and_b32_e32 v18, 64, v12
	s_nop 0
	v_mov_b32_dpp v17, v16 row_bcast:31 row_mask:0xf bank_mask:0xf
	v_cndmask_b32_e32 v17, 0, v17, vcc
	v_add_u32_e32 v16, v16, v17
	v_add_u32_e32 v17, -1, v12
	v_cmp_lt_i32_e32 vcc, v17, v18
	v_cndmask_b32_e32 v17, v17, v12, vcc
	v_lshlrev_b32_e32 v17, 2, v17
	ds_bpermute_b32 v16, v17, v16
	s_waitcnt lgkmcnt(0)
	v_add_u32_e32 v15, v16, v15
	v_cndmask_b32_e64 v17, v15, v1, s[2:3]
	ds_write_b32 v19, v17
	; wave barrier
	ds_read2_b32 v[15:16], v19 offset0:1 offset1:2
	ds_read_b32 v18, v19 offset:12
	s_waitcnt lgkmcnt(1)
	v_add_u32_e32 v15, v15, v17
	v_add_u32_e32 v16, v16, v15
	ds_write2_b32 v19, v15, v16 offset0:1 offset1:2
	s_waitcnt lgkmcnt(1)
	v_add_u32_e32 v15, v18, v16
	ds_write_b32 v19, v15 offset:12
.LBB61_25:                              ;   in Loop: Header=BB61_21 Depth=1
	s_or_b64 exec, exec, s[10:11]
	v_mov_b32_e32 v16, 0
	s_waitcnt lgkmcnt(0)
	s_barrier
	s_and_saveexec_b64 s[10:11], s[0:1]
; %bb.26:                               ;   in Loop: Header=BB61_21 Depth=1
	ds_read_b32 v16, v11
; %bb.27:                               ;   in Loop: Header=BB61_21 Depth=1
	s_or_b64 exec, exec, s[10:11]
	ds_read_b32 v15, v5 offset:1048
	v_cmp_ne_u32_e32 vcc, 0, v1
	s_waitcnt lgkmcnt(0)
	s_barrier
	s_and_saveexec_b64 s[10:11], vcc
	s_cbranch_execz .LBB61_29
; %bb.28:                               ;   in Loop: Header=BB61_21 Depth=1
	v_add_u32_e32 v1, v16, v3
	v_mul_lo_u32 v16, v1, s14
	v_mov_b32_e32 v17, v5
	v_mov_b32_e32 v18, s18
	;; [unrolled: 1-line block ×3, first 2 shown]
	v_lshlrev_b64 v[16:17], 1, v[16:17]
	v_add_co_u32_e32 v16, vcc, s17, v16
	v_addc_co_u32_e32 v17, vcc, v18, v17, vcc
	v_mul_lo_u32 v18, v1, s8
	global_store_short v[16:17], v13, off
	v_mov_b32_e32 v1, v5
	v_lshlrev_b64 v[16:17], 3, v[18:19]
	v_mov_b32_e32 v18, s20
	v_add_co_u32_e32 v16, vcc, s19, v16
	v_addc_co_u32_e32 v17, vcc, v18, v17, vcc
	global_store_dwordx2 v[16:17], v[0:1], off
.LBB61_29:                              ;   in Loop: Header=BB61_21 Depth=1
	s_or_b64 exec, exec, s[10:11]
	v_cmp_le_u32_e32 vcc, s13, v2
	s_cbranch_vccnz .LBB61_20
; %bb.30:                               ;   in Loop: Header=BB61_21 Depth=1
	ds_write_b32 v8, v14
	s_waitcnt vmcnt(0) lgkmcnt(0)
	s_barrier
	s_and_saveexec_b64 s[10:11], s[4:5]
	s_cbranch_execz .LBB61_32
; %bb.31:                               ;   in Loop: Header=BB61_21 Depth=1
	v_add_u32_e32 v1, v9, v10
	ds_read2_b32 v[16:17], v1 offset1:1
	ds_read2_b32 v[18:19], v1 offset0:2 offset1:3
	v_and_b32_e32 v20, 15, v12
	v_cmp_ne_u32_e32 vcc, 0, v20
	s_waitcnt lgkmcnt(1)
	v_add_u32_e32 v17, v17, v16
	s_waitcnt lgkmcnt(0)
	v_add3_u32 v17, v17, v18, v19
	v_bfe_i32 v19, v12, 4, 1
	; wave barrier
	s_nop 0
	v_mov_b32_dpp v18, v17 row_shr:1 row_mask:0xf bank_mask:0xf
	v_cndmask_b32_e32 v18, 0, v18, vcc
	v_add_u32_e32 v17, v18, v17
	v_cmp_lt_u32_e32 vcc, 1, v20
	s_nop 0
	v_mov_b32_dpp v18, v17 row_shr:2 row_mask:0xf bank_mask:0xf
	v_cndmask_b32_e32 v18, 0, v18, vcc
	v_add_u32_e32 v17, v17, v18
	v_cmp_lt_u32_e32 vcc, 3, v20
	;; [unrolled: 5-line block ×4, first 2 shown]
	s_nop 0
	v_mov_b32_dpp v18, v17 row_bcast:15 row_mask:0xf bank_mask:0xf
	v_and_b32_e32 v18, v19, v18
	v_add_u32_e32 v17, v17, v18
	v_and_b32_e32 v19, 64, v12
	s_nop 0
	v_mov_b32_dpp v18, v17 row_bcast:31 row_mask:0xf bank_mask:0xf
	v_cndmask_b32_e32 v18, 0, v18, vcc
	v_add_u32_e32 v17, v17, v18
	v_add_u32_e32 v18, -1, v12
	v_cmp_lt_i32_e32 vcc, v18, v19
	v_cndmask_b32_e32 v18, v18, v12, vcc
	v_lshlrev_b32_e32 v18, 2, v18
	ds_bpermute_b32 v17, v18, v17
	s_waitcnt lgkmcnt(0)
	v_add_u32_e32 v16, v17, v16
	v_cndmask_b32_e64 v18, v16, v14, s[2:3]
	ds_write_b32 v1, v18
	; wave barrier
	ds_read2_b32 v[16:17], v1 offset0:1 offset1:2
	ds_read_b32 v19, v1 offset:12
	s_waitcnt lgkmcnt(1)
	v_add_u32_e32 v16, v16, v18
	v_add_u32_e32 v17, v17, v16
	ds_write2_b32 v1, v16, v17 offset0:1 offset1:2
	s_waitcnt lgkmcnt(1)
	v_add_u32_e32 v16, v19, v17
	ds_write_b32 v1, v16 offset:12
.LBB61_32:                              ;   in Loop: Header=BB61_21 Depth=1
	s_or_b64 exec, exec, s[10:11]
	v_mov_b32_e32 v1, 0
	s_waitcnt lgkmcnt(0)
	s_barrier
	s_and_saveexec_b64 s[10:11], s[0:1]
; %bb.33:                               ;   in Loop: Header=BB61_21 Depth=1
	ds_read_b32 v1, v11
; %bb.34:                               ;   in Loop: Header=BB61_21 Depth=1
	s_or_b64 exec, exec, s[10:11]
	ds_read_b32 v16, v5 offset:1048
	v_cmp_ne_u32_e32 vcc, 0, v14
	s_waitcnt lgkmcnt(0)
	s_barrier
	s_and_saveexec_b64 s[10:11], vcc
	s_cbranch_execz .LBB61_19
; %bb.35:                               ;   in Loop: Header=BB61_21 Depth=1
	v_add_u32_e32 v1, v1, v2
	v_cmp_gt_u32_e32 vcc, s13, v1
	s_and_b64 exec, exec, vcc
	s_cbranch_execz .LBB61_19
; %bb.36:                               ;   in Loop: Header=BB61_21 Depth=1
	v_mul_lo_u32 v17, v1, s14
	v_mov_b32_e32 v18, v5
	v_mul_lo_u32 v19, v1, s8
	v_mov_b32_e32 v14, s18
	v_lshlrev_b64 v[17:18], 1, v[17:18]
	v_mov_b32_e32 v20, v5
	v_add_co_u32_e32 v17, vcc, s17, v17
	v_addc_co_u32_e32 v18, vcc, v14, v18, vcc
	global_store_short v[17:18], v13, off
	v_lshlrev_b64 v[17:18], 3, v[19:20]
	v_mov_b32_e32 v14, s20
	v_add_co_u32_e32 v17, vcc, s19, v17
	v_mov_b32_e32 v1, v5
	v_addc_co_u32_e32 v18, vcc, v14, v18, vcc
	global_store_dwordx2 v[17:18], v[0:1], off
	s_branch .LBB61_19
.LBB61_37:                              ;   in Loop: Header=BB61_38 Depth=1
	s_add_u32 s28, s28, 4
	s_addc_u32 s29, s29, 0
	s_waitcnt lgkmcnt(0)
	s_add_i32 s55, s15, s55
	s_add_u32 s30, s30, 4
	s_addc_u32 s31, s31, 0
	s_add_i32 s14, s14, 1
	s_cmp_lt_u32 s14, s10
	s_cbranch_scc0 .LBB61_16
.LBB61_38:                              ; =>This Inner Loop Header: Depth=1
	s_load_dword s15, s[28:29], 0x0
	s_cmp_ge_u32 s14, s11
	s_cbranch_scc1 .LBB61_37
; %bb.39:                               ;   in Loop: Header=BB61_38 Depth=1
	s_load_dword s46, s[30:31], 0x0
	s_waitcnt lgkmcnt(0)
	s_add_i32 s39, s15, s39
	s_add_i32 s54, s46, s54
	s_branch .LBB61_37
.LBB61_40:
	s_endpgm
	.section	.rodata,"a",@progbits
	.p2align	6, 0x0
	.amdhsa_kernel _ZN2at6native6mbtopk10gatherTopKIsjLi3EEEvNS_4cuda6detail10TensorInfoIKT_T0_EES8_S8_bjS8_NS5_IS6_S8_EES8_NS5_IlS8_EES8_jjPS6_PjSD_j
		.amdhsa_group_segment_fixed_size 1068
		.amdhsa_private_segment_fixed_size 0
		.amdhsa_kernarg_size 984
		.amdhsa_user_sgpr_count 6
		.amdhsa_user_sgpr_private_segment_buffer 1
		.amdhsa_user_sgpr_dispatch_ptr 0
		.amdhsa_user_sgpr_queue_ptr 0
		.amdhsa_user_sgpr_kernarg_segment_ptr 1
		.amdhsa_user_sgpr_dispatch_id 0
		.amdhsa_user_sgpr_flat_scratch_init 0
		.amdhsa_user_sgpr_private_segment_size 0
		.amdhsa_uses_dynamic_stack 0
		.amdhsa_system_sgpr_private_segment_wavefront_offset 0
		.amdhsa_system_sgpr_workgroup_id_x 1
		.amdhsa_system_sgpr_workgroup_id_y 1
		.amdhsa_system_sgpr_workgroup_id_z 1
		.amdhsa_system_sgpr_workgroup_info 0
		.amdhsa_system_vgpr_workitem_id 0
		.amdhsa_next_free_vgpr 21
		.amdhsa_next_free_sgpr 59
		.amdhsa_reserve_vcc 1
		.amdhsa_reserve_flat_scratch 0
		.amdhsa_float_round_mode_32 0
		.amdhsa_float_round_mode_16_64 0
		.amdhsa_float_denorm_mode_32 3
		.amdhsa_float_denorm_mode_16_64 3
		.amdhsa_dx10_clamp 1
		.amdhsa_ieee_mode 1
		.amdhsa_fp16_overflow 0
		.amdhsa_exception_fp_ieee_invalid_op 0
		.amdhsa_exception_fp_denorm_src 0
		.amdhsa_exception_fp_ieee_div_zero 0
		.amdhsa_exception_fp_ieee_overflow 0
		.amdhsa_exception_fp_ieee_underflow 0
		.amdhsa_exception_fp_ieee_inexact 0
		.amdhsa_exception_int_div_zero 0
	.end_amdhsa_kernel
	.section	.text._ZN2at6native6mbtopk10gatherTopKIsjLi3EEEvNS_4cuda6detail10TensorInfoIKT_T0_EES8_S8_bjS8_NS5_IS6_S8_EES8_NS5_IlS8_EES8_jjPS6_PjSD_j,"axG",@progbits,_ZN2at6native6mbtopk10gatherTopKIsjLi3EEEvNS_4cuda6detail10TensorInfoIKT_T0_EES8_S8_bjS8_NS5_IS6_S8_EES8_NS5_IlS8_EES8_jjPS6_PjSD_j,comdat
.Lfunc_end61:
	.size	_ZN2at6native6mbtopk10gatherTopKIsjLi3EEEvNS_4cuda6detail10TensorInfoIKT_T0_EES8_S8_bjS8_NS5_IS6_S8_EES8_NS5_IlS8_EES8_jjPS6_PjSD_j, .Lfunc_end61-_ZN2at6native6mbtopk10gatherTopKIsjLi3EEEvNS_4cuda6detail10TensorInfoIKT_T0_EES8_S8_bjS8_NS5_IS6_S8_EES8_NS5_IlS8_EES8_jjPS6_PjSD_j
                                        ; -- End function
	.set _ZN2at6native6mbtopk10gatherTopKIsjLi3EEEvNS_4cuda6detail10TensorInfoIKT_T0_EES8_S8_bjS8_NS5_IS6_S8_EES8_NS5_IlS8_EES8_jjPS6_PjSD_j.num_vgpr, 21
	.set _ZN2at6native6mbtopk10gatherTopKIsjLi3EEEvNS_4cuda6detail10TensorInfoIKT_T0_EES8_S8_bjS8_NS5_IS6_S8_EES8_NS5_IlS8_EES8_jjPS6_PjSD_j.num_agpr, 0
	.set _ZN2at6native6mbtopk10gatherTopKIsjLi3EEEvNS_4cuda6detail10TensorInfoIKT_T0_EES8_S8_bjS8_NS5_IS6_S8_EES8_NS5_IlS8_EES8_jjPS6_PjSD_j.numbered_sgpr, 59
	.set _ZN2at6native6mbtopk10gatherTopKIsjLi3EEEvNS_4cuda6detail10TensorInfoIKT_T0_EES8_S8_bjS8_NS5_IS6_S8_EES8_NS5_IlS8_EES8_jjPS6_PjSD_j.num_named_barrier, 0
	.set _ZN2at6native6mbtopk10gatherTopKIsjLi3EEEvNS_4cuda6detail10TensorInfoIKT_T0_EES8_S8_bjS8_NS5_IS6_S8_EES8_NS5_IlS8_EES8_jjPS6_PjSD_j.private_seg_size, 0
	.set _ZN2at6native6mbtopk10gatherTopKIsjLi3EEEvNS_4cuda6detail10TensorInfoIKT_T0_EES8_S8_bjS8_NS5_IS6_S8_EES8_NS5_IlS8_EES8_jjPS6_PjSD_j.uses_vcc, 1
	.set _ZN2at6native6mbtopk10gatherTopKIsjLi3EEEvNS_4cuda6detail10TensorInfoIKT_T0_EES8_S8_bjS8_NS5_IS6_S8_EES8_NS5_IlS8_EES8_jjPS6_PjSD_j.uses_flat_scratch, 0
	.set _ZN2at6native6mbtopk10gatherTopKIsjLi3EEEvNS_4cuda6detail10TensorInfoIKT_T0_EES8_S8_bjS8_NS5_IS6_S8_EES8_NS5_IlS8_EES8_jjPS6_PjSD_j.has_dyn_sized_stack, 0
	.set _ZN2at6native6mbtopk10gatherTopKIsjLi3EEEvNS_4cuda6detail10TensorInfoIKT_T0_EES8_S8_bjS8_NS5_IS6_S8_EES8_NS5_IlS8_EES8_jjPS6_PjSD_j.has_recursion, 0
	.set _ZN2at6native6mbtopk10gatherTopKIsjLi3EEEvNS_4cuda6detail10TensorInfoIKT_T0_EES8_S8_bjS8_NS5_IS6_S8_EES8_NS5_IlS8_EES8_jjPS6_PjSD_j.has_indirect_call, 0
	.section	.AMDGPU.csdata,"",@progbits
; Kernel info:
; codeLenInByte = 2744
; TotalNumSgprs: 63
; NumVgprs: 21
; ScratchSize: 0
; MemoryBound: 0
; FloatMode: 240
; IeeeMode: 1
; LDSByteSize: 1068 bytes/workgroup (compile time only)
; SGPRBlocks: 7
; VGPRBlocks: 5
; NumSGPRsForWavesPerEU: 63
; NumVGPRsForWavesPerEU: 21
; Occupancy: 10
; WaveLimiterHint : 1
; COMPUTE_PGM_RSRC2:SCRATCH_EN: 0
; COMPUTE_PGM_RSRC2:USER_SGPR: 6
; COMPUTE_PGM_RSRC2:TRAP_HANDLER: 0
; COMPUTE_PGM_RSRC2:TGID_X_EN: 1
; COMPUTE_PGM_RSRC2:TGID_Y_EN: 1
; COMPUTE_PGM_RSRC2:TGID_Z_EN: 1
; COMPUTE_PGM_RSRC2:TIDIG_COMP_CNT: 0
	.section	.text._ZN2at6native6sbtopk10gatherTopKIsjLi3ELb0EEEvNS_4cuda6detail10TensorInfoIKT_T0_EES8_S8_bS8_S8_NS5_IS6_S8_EES8_NS5_IlS8_EES8_PS6_,"axG",@progbits,_ZN2at6native6sbtopk10gatherTopKIsjLi3ELb0EEEvNS_4cuda6detail10TensorInfoIKT_T0_EES8_S8_bS8_S8_NS5_IS6_S8_EES8_NS5_IlS8_EES8_PS6_,comdat
	.protected	_ZN2at6native6sbtopk10gatherTopKIsjLi3ELb0EEEvNS_4cuda6detail10TensorInfoIKT_T0_EES8_S8_bS8_S8_NS5_IS6_S8_EES8_NS5_IlS8_EES8_PS6_ ; -- Begin function _ZN2at6native6sbtopk10gatherTopKIsjLi3ELb0EEEvNS_4cuda6detail10TensorInfoIKT_T0_EES8_S8_bS8_S8_NS5_IS6_S8_EES8_NS5_IlS8_EES8_PS6_
	.globl	_ZN2at6native6sbtopk10gatherTopKIsjLi3ELb0EEEvNS_4cuda6detail10TensorInfoIKT_T0_EES8_S8_bS8_S8_NS5_IS6_S8_EES8_NS5_IlS8_EES8_PS6_
	.p2align	8
	.type	_ZN2at6native6sbtopk10gatherTopKIsjLi3ELb0EEEvNS_4cuda6detail10TensorInfoIKT_T0_EES8_S8_bS8_S8_NS5_IS6_S8_EES8_NS5_IlS8_EES8_PS6_,@function
_ZN2at6native6sbtopk10gatherTopKIsjLi3ELb0EEEvNS_4cuda6detail10TensorInfoIKT_T0_EES8_S8_bS8_S8_NS5_IS6_S8_EES8_NS5_IlS8_EES8_PS6_: ; @_ZN2at6native6sbtopk10gatherTopKIsjLi3ELb0EEEvNS_4cuda6detail10TensorInfoIKT_T0_EES8_S8_bS8_S8_NS5_IS6_S8_EES8_NS5_IlS8_EES8_PS6_
; %bb.0:
	s_load_dwordx2 s[14:15], s[4:5], 0x2b8
	s_load_dwordx4 s[36:39], s[4:5], 0xd8
	s_add_u32 s12, s4, 0x2b8
	s_addc_u32 s13, s5, 0
	s_waitcnt lgkmcnt(0)
	s_mul_i32 s0, s15, s8
	s_add_i32 s0, s0, s7
	s_mul_i32 s0, s0, s14
	s_add_i32 s15, s0, s6
	s_cmp_ge_u32 s15, s39
	s_cbranch_scc1 .LBB62_411
; %bb.1:
	s_load_dwordx4 s[0:3], s[4:5], 0x23c
                                        ; implicit-def: $vgpr50 : SGPR spill to VGPR lane
	s_load_dwordx2 s[16:17], s[4:5], 0xc
	s_load_dwordx2 s[10:11], s[4:5], 0x0
	s_load_dword s61, s[4:5], 0xe8
	s_waitcnt lgkmcnt(0)
	v_writelane_b32 v50, s0, 0
	v_writelane_b32 v50, s1, 1
	;; [unrolled: 1-line block ×4, first 2 shown]
	s_load_dwordx2 s[18:19], s[4:5], 0x1dc
	s_load_dwordx2 s[0:1], s[4:5], 0x1d0
	v_cvt_f32_u32_e32 v1, s17
	v_cvt_f32_u32_e32 v2, s16
	s_waitcnt lgkmcnt(0)
	v_writelane_b32 v50, s0, 4
	v_writelane_b32 v50, s1, 5
	s_load_dwordx4 s[0:3], s[4:5], 0x15c
	v_rcp_iflag_f32_e32 v1, v1
	v_mul_f32_e32 v1, 0x4f7ffffe, v1
	s_waitcnt lgkmcnt(0)
	v_writelane_b32 v50, s0, 6
	v_writelane_b32 v50, s1, 7
	;; [unrolled: 1-line block ×4, first 2 shown]
	s_load_dwordx2 s[20:21], s[4:5], 0xfc
	s_load_dwordx2 s[0:1], s[4:5], 0xf0
	v_cvt_u32_f32_e32 v1, v1
	s_waitcnt lgkmcnt(0)
	v_writelane_b32 v50, s0, 10
	v_writelane_b32 v50, s1, 11
	;; [unrolled: 1-line block ×3, first 2 shown]
	s_load_dwordx4 s[0:3], s[4:5], 0x6c
	v_writelane_b32 v50, s5, 13
	s_waitcnt lgkmcnt(0)
	s_sub_i32 s3, 0, s17
	v_readfirstlane_b32 s4, v1
	s_mul_i32 s3, s3, s4
	s_mul_hi_u32 s3, s4, s3
	s_add_i32 s4, s4, s3
	v_rcp_iflag_f32_e32 v1, v2
	s_mul_hi_u32 s3, s15, s4
	v_cvt_f32_u32_e32 v2, s21
	s_mul_i32 s4, s3, s17
	s_sub_i32 s4, s15, s4
	s_add_i32 s5, s3, 1
	s_sub_i32 s7, s4, s17
	v_mul_f32_e32 v1, 0x4f7ffffe, v1
	s_cmp_ge_u32 s4, s17
	v_cvt_u32_f32_e32 v1, v1
	v_rcp_iflag_f32_e32 v2, v2
	s_cselect_b32 s3, s5, s3
	s_cselect_b32 s4, s7, s4
	s_add_i32 s5, s3, 1
	s_cmp_ge_u32 s4, s17
	s_cselect_b32 s3, s5, s3
	v_readfirstlane_b32 s5, v1
	v_mul_f32_e32 v1, 0x4f7ffffe, v2
	v_cvt_u32_f32_e32 v1, v1
	s_sub_i32 s4, 0, s16
	s_mul_i32 s4, s4, s5
	s_mul_hi_u32 s4, s5, s4
	v_readfirstlane_b32 s7, v1
	v_cvt_f32_u32_e32 v1, s20
	s_add_i32 s5, s5, s4
	s_mul_hi_u32 s4, s3, s5
	s_sub_i32 s5, 0, s21
	s_mul_i32 s5, s5, s7
	s_mul_hi_u32 s5, s7, s5
	v_rcp_iflag_f32_e32 v1, v1
	s_add_i32 s7, s7, s5
	v_cvt_f32_u32_e32 v2, s19
	s_mul_hi_u32 s5, s15, s7
	s_mul_i32 s7, s5, s21
	s_sub_i32 s7, s15, s7
	v_mul_f32_e32 v1, 0x4f7ffffe, v1
	s_add_i32 s8, s5, 1
	s_sub_i32 s9, s7, s21
	v_cvt_u32_f32_e32 v1, v1
	v_rcp_iflag_f32_e32 v2, v2
	s_cmp_ge_u32 s7, s21
	s_cselect_b32 s5, s8, s5
	s_cselect_b32 s7, s9, s7
	s_add_i32 s8, s5, 1
	s_cmp_ge_u32 s7, s21
	v_readfirstlane_b32 s7, v1
	v_mul_f32_e32 v1, 0x4f7ffffe, v2
	s_cselect_b32 s8, s8, s5
	v_writelane_b32 v50, s20, 14
	s_sub_i32 s5, 0, s20
	v_cvt_u32_f32_e32 v1, v1
	s_mul_i32 s5, s5, s7
	s_mul_hi_u32 s5, s7, s5
	v_writelane_b32 v50, s21, 15
	s_add_i32 s7, s7, s5
	v_writelane_b32 v50, s8, 16
	s_mul_hi_u32 s5, s8, s7
	v_readfirstlane_b32 s7, v1
	v_cvt_f32_u32_e32 v1, s18
	v_writelane_b32 v50, s5, 17
	s_sub_i32 s5, 0, s19
	s_mul_i32 s5, s5, s7
	s_mul_hi_u32 s5, s7, s5
	s_add_i32 s7, s7, s5
	v_rcp_iflag_f32_e32 v1, v1
	s_mul_hi_u32 s5, s15, s7
	s_mul_i32 s7, s5, s19
	s_sub_i32 s7, s15, s7
	s_add_i32 s8, s5, 1
	s_sub_i32 s9, s7, s19
	v_mul_f32_e32 v1, 0x4f7ffffe, v1
	s_cmp_ge_u32 s7, s19
	v_cvt_u32_f32_e32 v1, v1
	s_cselect_b32 s5, s8, s5
	s_cselect_b32 s7, s9, s7
	s_add_i32 s8, s5, 1
	s_cmp_ge_u32 s7, s19
	s_cselect_b32 s8, s8, s5
	v_writelane_b32 v50, s18, 18
	s_sub_i32 s5, 0, s18
	v_readfirstlane_b32 s7, v1
	s_mul_i32 s5, s5, s7
	s_mul_hi_u32 s5, s7, s5
	v_writelane_b32 v50, s19, 19
	s_add_i32 s7, s7, s5
	v_writelane_b32 v50, s8, 20
	s_mul_hi_u32 s5, s8, s7
	v_writelane_b32 v50, s5, 21
	v_cmp_eq_u32_e64 s[18:19], 0, v0
	s_mov_b64 s[8:9], exec
	v_writelane_b32 v50, s18, 22
	v_writelane_b32 v50, s19, 23
	s_and_b64 s[18:19], s[8:9], s[18:19]
	s_mov_b64 exec, s[18:19]
; %bb.2:
	v_mov_b32_e32 v1, 0
	v_mov_b32_e32 v2, s36
	;; [unrolled: 1-line block ×3, first 2 shown]
	ds_write_b96 v1, v[1:3] offset:4096
; %bb.3:
	s_or_b64 exec, exec, s[8:9]
	s_mul_i32 s5, s3, s17
	s_sub_i32 s5, s15, s5
	s_mul_i32 s5, s5, s2
	s_mul_i32 s2, s4, s16
	s_sub_i32 s2, s3, s2
	s_add_i32 s7, s4, 1
	s_sub_i32 s8, s2, s16
	s_cmp_ge_u32 s2, s16
	s_cselect_b32 s4, s7, s4
	s_cselect_b32 s2, s8, s2
	s_add_i32 s7, s4, 1
	s_cmp_ge_u32 s2, s16
	s_cselect_b32 s2, s7, s4
	s_mul_i32 s4, s2, s16
	s_sub_i32 s3, s3, s4
	s_mul_i32 s1, s3, s1
	s_add_i32 s1, s1, s5
	s_mul_i32 s2, s2, s0
	s_mov_b32 s3, 0
	v_writelane_b32 v50, s15, 24
	s_add_i32 s2, s1, s2
	s_mov_b32 s1, s3
	v_writelane_b32 v50, s0, 25
	v_writelane_b32 v50, s1, 26
	s_lshl_b64 s[0:1], s[2:3], 1
	s_add_u32 s33, s10, s0
	s_addc_u32 s56, s11, s1
	s_waitcnt lgkmcnt(0)
	s_barrier
	s_load_dword s0, s[12:13], 0xc
	s_bitcmp1_b32 s38, 0
	s_cselect_b64 s[2:3], -1, 0
	v_writelane_b32 v50, s2, 27
	v_writelane_b32 v50, s3, 28
	s_xor_b64 s[2:3], s[2:3], -1
	v_mbcnt_lo_u32_b32 v1, -1, 0
	v_writelane_b32 v50, s2, 29
	v_mbcnt_hi_u32_b32 v24, -1, v1
	v_writelane_b32 v50, s3, 30
	s_waitcnt lgkmcnt(0)
	s_and_b32 s60, s0, 0xffff
	v_cmp_gt_u32_e32 vcc, 64, v0
	v_cmp_gt_i32_e64 s[2:3], 4, v24
	s_lshl_b32 s63, s60, 2
	s_bfe_u32 s4, s0, 0xa0006
	s_and_b64 s[2:3], vcc, s[2:3]
	v_writelane_b32 v50, s2, 31
	s_cmpk_gt_u32 s36, 0x600
	v_writelane_b32 v50, s3, 32
	s_cselect_b64 s[2:3], -1, 0
	v_writelane_b32 v50, s2, 33
	v_writelane_b32 v50, s3, 34
	v_cmp_gt_u32_e64 s[2:3], s36, v0
	v_writelane_b32 v50, s2, 35
	s_cmp_gt_u32 s60, 63
	v_mul_lo_u32 v7, s61, v0
	v_writelane_b32 v50, s3, 36
	s_cselect_b64 s[2:3], -1, 0
	v_writelane_b32 v50, s2, 37
	v_mov_b32_e32 v9, 0
	v_writelane_b32 v50, s3, 38
	v_cmp_gt_u32_e64 s[2:3], 2, v0
	v_mov_b32_e32 v8, v9
	v_writelane_b32 v50, s2, 39
	v_lshlrev_b64 v[1:2], 1, v[7:8]
	v_writelane_b32 v50, s3, 40
	s_add_i32 s2, s60, -1
	v_writelane_b32 v50, s2, 41
	s_add_i32 s2, s2, s36
	v_add_co_u32_e32 v5, vcc, s33, v1
	v_lshrrev_b32_e32 v1, 2, v0
	s_cmp_lt_u32 s6, s14
	v_and_b32_e32 v1, 0xf0, v1
	s_cselect_b32 s3, 12, 18
	v_or_b32_e32 v27, 0xc00, v1
	s_add_u32 s6, s12, s3
	v_add_u32_e32 v1, 2, v0
	v_mov_b32_e32 v3, s56
	s_addc_u32 s7, s13, 0
	v_max_u32_e32 v1, s36, v1
	v_addc_co_u32_e32 v6, vcc, v3, v2, vcc
	v_lshlrev_b64 v[3:4], v24, -1
	v_writelane_b32 v50, s6, 42
	v_xad_u32 v1, v0, -1, v1
	v_writelane_b32 v50, s7, 43
	v_cmp_lt_u32_e64 s[6:7], 31, v1
	v_not_b32_e32 v22, v3
	v_add_u32_e32 v3, -2, v1
	v_writelane_b32 v50, s6, 44
	v_not_b32_e32 v21, v4
	v_lshrrev_b32_e32 v4, 1, v3
	v_writelane_b32 v50, s7, 45
	v_cmp_lt_u32_e64 s[6:7], 13, v3
	v_cvt_f32_u32_e32 v3, s63
	v_add_u32_e32 v4, 1, v4
	v_writelane_b32 v50, s61, 46
	v_and_b32_e32 v12, 7, v4
	v_rcp_iflag_f32_e32 v3, v3
	v_writelane_b32 v50, s6, 47
	s_add_i32 s3, s4, -1
	v_writelane_b32 v50, s7, 48
	v_cmp_ne_u32_e64 s[6:7], 0, v12
	s_bfe_u32 s5, s60, 0x30006
	s_and_b32 s3, s3, 0xffff
	v_writelane_b32 v50, s6, 49
	s_cmp_gt_u32 s3, 6
	v_writelane_b32 v50, s7, 50
	s_cselect_b64 s[6:7], -1, 0
	v_mul_f32_e32 v3, 0x4f7ffffe, v3
	v_writelane_b32 v50, s6, 51
	s_and_b32 s19, s4, 0x3f8
	v_cvt_u32_f32_e32 v3, v3
	v_writelane_b32 v50, s7, 52
	s_cmp_lg_u32 s5, 0
	v_writelane_b32 v50, s5, 53
	s_cselect_b64 s[4:5], -1, 0
	v_writelane_b32 v50, s4, 54
	v_writelane_b32 v50, s5, 55
	s_sub_i32 s3, 0, s63
	v_readfirstlane_b32 s4, v3
	s_mul_i32 s3, s3, s4
	s_mul_hi_u32 s3, s4, s3
	s_add_i32 s3, s4, s3
	v_writelane_b32 v50, s3, 56
	s_mul_hi_u32 s3, s36, s3
	s_mul_i32 s3, s3, s63
	v_cvt_f32_u32_e32 v3, s60
	s_sub_i32 s3, s36, s3
	s_sub_i32 s4, s3, s63
	s_cmp_ge_u32 s3, s63
	s_cselect_b32 s3, s4, s3
	v_rcp_iflag_f32_e32 v10, v3
	s_sub_i32 s4, s3, s63
	s_cmp_ge_u32 s3, s63
	s_cselect_b32 s3, s4, s3
	v_lshlrev_b32_e32 v23, 2, v0
	s_sub_i32 s21, s36, s3
	v_mul_f32_e32 v10, 0x4f7ffffe, v10
	v_cmp_gt_u32_e64 s[4:5], s21, v23
	v_cvt_u32_f32_e32 v13, v10
	v_add_u32_e32 v30, s21, v0
	v_writelane_b32 v50, s4, 57
	v_writelane_b32 v50, s5, 58
	v_cmp_gt_u32_e64 s[4:5], s36, v30
	v_writelane_b32 v50, s4, 59
	v_writelane_b32 v50, s5, 60
	s_sub_i32 s4, 0, s60
	v_readfirstlane_b32 s5, v13
	s_mul_i32 s4, s4, s5
	s_mul_hi_u32 s4, s5, s4
	v_mul_lo_u32 v8, v30, s61
	s_add_i32 s4, s5, s4
	v_writelane_b32 v50, s4, 61
	s_mul_hi_u32 s4, s2, s4
	s_mul_i32 s4, s4, s60
	s_sub_i32 s4, s2, s4
	v_and_b32_e32 v29, -8, v4
	v_lshlrev_b64 v[3:4], 1, v[8:9]
	s_sub_i32 s5, s4, s60
	s_cmp_ge_u32 s4, s60
	v_add_co_u32_e32 v10, vcc, s33, v3
	s_cselect_b32 s4, s5, s4
	v_mul_lo_u32 v3, s61, v23
	s_sub_i32 s5, s4, s60
	s_cmp_ge_u32 s4, s60
	s_cselect_b32 s4, s5, s4
	s_sub_i32 s2, s2, s4
	v_add_u32_e32 v32, s61, v3
	v_or_b32_e32 v3, 2, v23
	v_writelane_b32 v50, s2, 62
	v_cmp_gt_u32_e64 s[4:5], s2, v0
	v_mul_lo_u32 v33, s61, v3
	v_or_b32_e32 v3, 3, v23
	s_add_i32 s2, s60, s36
	v_mul_lo_u32 v34, s61, v3
	v_add_u32_e32 v3, s2, v0
	v_subrev_u32_e32 v3, s3, v3
	v_mul_lo_u32 v35, s61, v3
	v_and_b32_e32 v28, -2, v1
                                        ; implicit-def: $vgpr49 : SGPR spill to VGPR lane
	v_lshlrev_b32_e32 v25, 1, v0
	v_lshlrev_b32_e32 v2, 2, v24
	v_mov_b32_e32 v8, s56
	v_writelane_b32 v50, s4, 63
	v_writelane_b32 v49, s5, 0
	s_mul_i32 s62, s61, s60
	v_cmp_ne_u32_e64 s[2:3], v1, v28
	v_cmp_eq_u32_e64 s[0:1], 0, v24
	v_add_u32_e32 v26, 0xc00, v25
	v_and_b32_e32 v20, 0x100, v2
	v_addc_co_u32_e32 v11, vcc, v8, v4, vcc
	v_lshlrev_b32_e32 v31, 2, v12
	s_lshl_b32 s10, s62, 2
	s_lshl_b32 s11, s60, 3
	;; [unrolled: 1-line block ×3, first 2 shown]
	v_or_b32_e32 v36, 0xc00, v2
	s_mov_b32 s38, 14
	s_mov_b64 s[70:71], 0
	s_mov_b32 s5, 0x8000
	s_mov_b32 s20, 0x5040100
	v_add_u32_e32 v38, v0, v28
	v_lshlrev_b32_e32 v39, 2, v7
	v_lshlrev_b32_e32 v40, 3, v0
	v_mov_b32_e32 v44, s37
	v_writelane_b32 v49, s2, 1
	v_mov_b32_e32 v41, 0x5040100
	v_mov_b32_e32 v43, 0
	;; [unrolled: 1-line block ×4, first 2 shown]
                                        ; implicit-def: $sgpr72_sgpr73
                                        ; implicit-def: $sgpr74_sgpr75
                                        ; implicit-def: $sgpr78_sgpr79
                                        ; implicit-def: $sgpr80_sgpr81
                                        ; implicit-def: $sgpr76_sgpr77
                                        ; implicit-def: $sgpr82_sgpr83
                                        ; implicit-def: $sgpr84_sgpr85
                                        ; implicit-def: $sgpr86_sgpr87
	v_writelane_b32 v49, s3, 2
                                        ; implicit-def: $sgpr88_sgpr89
                                        ; implicit-def: $sgpr90_sgpr91
	s_branch .LBB62_6
.LBB62_4:                               ;   in Loop: Header=BB62_6 Depth=1
	s_or_b64 exec, exec, s[14:15]
	s_andn2_b64 s[8:9], s[90:91], exec
	s_and_b64 s[12:13], s[12:13], exec
	s_or_b64 s[90:91], s[8:9], s[12:13]
	s_andn2_b64 s[88:89], s[88:89], exec
	s_andn2_b64 s[86:87], s[86:87], exec
	;; [unrolled: 1-line block ×4, first 2 shown]
	s_orn2_b64 s[6:7], s[6:7], exec
	v_mov_b32_e32 v44, v4
.LBB62_5:                               ;   in Loop: Header=BB62_6 Depth=1
	s_or_b64 exec, exec, s[2:3]
	s_and_b64 s[2:3], exec, s[6:7]
	s_or_b64 s[70:71], s[2:3], s[70:71]
	s_andn2_b64 s[2:3], s[76:77], exec
	s_and_b64 s[6:7], s[90:91], exec
	s_or_b64 s[76:77], s[2:3], s[6:7]
	s_andn2_b64 s[2:3], s[80:81], exec
	s_and_b64 s[6:7], s[88:89], exec
	;; [unrolled: 3-line block ×5, first 2 shown]
	s_or_b64 s[72:73], s[2:3], s[6:7]
	s_andn2_b64 exec, exec, s[70:71]
	s_cbranch_execz .LBB62_407
.LBB62_6:                               ; =>This Loop Header: Depth=1
                                        ;     Child Loop BB62_11 Depth 2
                                        ;     Child Loop BB62_32 Depth 2
	;; [unrolled: 1-line block ×26, first 2 shown]
	ds_read_b64 v[1:2], v9 offset:4096
	s_waitcnt lgkmcnt(0)
	v_readfirstlane_b32 s8, v1
	s_cmp_lg_u32 s8, 0
	s_cbranch_scc1 .LBB62_51
; %bb.7:                                ;   in Loop: Header=BB62_6 Depth=1
	v_readlane_b32 s2, v50, 33
	v_readlane_b32 s3, v50, 34
	s_and_b64 vcc, exec, s[2:3]
	s_cbranch_vccz .LBB62_19
; %bb.8:                                ;   in Loop: Header=BB62_6 Depth=1
	s_movk_i32 s6, 0x601
	v_cmp_gt_u32_e32 vcc, s6, v2
	s_mov_b64 s[2:3], 0
	s_mov_b64 s[6:7], 0
	s_cbranch_vccz .LBB62_20
; %bb.9:                                ;   in Loop: Header=BB62_6 Depth=1
	v_readlane_b32 s6, v50, 42
	v_readlane_b32 s7, v50, 43
	s_nop 4
	global_load_ushort v1, v9, s[6:7]
	global_load_ushort v3, v[5:6], off
	s_mov_b64 s[12:13], 0
	v_mov_b32_e32 v4, v0
	s_waitcnt vmcnt(1)
	v_add_u32_e32 v2, v0, v1
	v_mul_lo_u32 v8, s61, v2
	v_mul_lo_u32 v2, s61, v1
	s_branch .LBB62_11
.LBB62_10:                              ;   in Loop: Header=BB62_11 Depth=2
	s_or_b64 exec, exec, s[6:7]
	v_add_u32_e32 v8, v8, v2
	v_mov_b32_e32 v3, v12
	s_andn2_b64 exec, exec, s[12:13]
	s_cbranch_execz .LBB62_26
.LBB62_11:                              ;   Parent Loop BB62_6 Depth=1
                                        ; =>  This Inner Loop Header: Depth=2
	v_add_u32_e32 v4, v4, v1
	v_cmp_gt_u32_e64 s[6:7], s36, v4
	v_cmp_le_u32_e32 vcc, s36, v4
	s_waitcnt lgkmcnt(0)
	v_mov_b32_e32 v13, 0
	v_mov_b32_e32 v12, 0
	s_and_saveexec_b64 s[14:15], s[6:7]
	s_cbranch_execz .LBB62_13
; %bb.12:                               ;   in Loop: Header=BB62_11 Depth=2
	v_lshlrev_b64 v[14:15], 1, v[8:9]
	v_mov_b32_e32 v12, s56
	v_add_co_u32_e64 v14, s[6:7], s33, v14
	v_addc_co_u32_e64 v15, s[6:7], v12, v15, s[6:7]
	global_load_ushort v12, v[14:15], off
.LBB62_13:                              ;   in Loop: Header=BB62_11 Depth=2
	s_or_b64 exec, exec, s[14:15]
	s_waitcnt vmcnt(0)
	v_add_u32_sdwa v14, sext(v3), s5 dst_sel:DWORD dst_unused:UNUSED_PAD src0_sel:WORD_0 src1_sel:DWORD
	v_and_b32_e32 v14, v14, v42
	v_cmp_eq_u32_e64 s[26:27], v14, v37
	s_cmp_lg_u64 s[26:27], 0
	s_cselect_b64 s[6:7], -1, 0
	s_and_b64 s[6:7], s[0:1], s[6:7]
	s_and_saveexec_b64 s[14:15], s[6:7]
	s_cbranch_execz .LBB62_17
; %bb.14:                               ;   in Loop: Header=BB62_11 Depth=2
	s_mov_b64 s[16:17], exec
	v_mbcnt_lo_u32_b32 v13, s16, 0
	v_mbcnt_hi_u32_b32 v13, s17, v13
	s_bcnt1_i32_b64 s18, s[26:27]
	v_cmp_eq_u32_e64 s[6:7], 0, v13
                                        ; implicit-def: $vgpr14
	s_and_saveexec_b64 s[8:9], s[6:7]
; %bb.15:                               ;   in Loop: Header=BB62_11 Depth=2
	s_bcnt1_i32_b64 s6, s[16:17]
	s_mul_i32 s6, s18, s6
	v_mov_b32_e32 v14, s6
	ds_add_rtn_u32 v14, v9, v14 offset:4104
; %bb.16:                               ;   in Loop: Header=BB62_11 Depth=2
	s_or_b64 exec, exec, s[8:9]
	s_waitcnt lgkmcnt(0)
	v_readfirstlane_b32 s6, v14
	v_mov_b32_e32 v14, s6
	v_mad_u32_u24 v13, s18, v13, v14
.LBB62_17:                              ;   in Loop: Header=BB62_11 Depth=2
	s_or_b64 exec, exec, s[14:15]
	ds_bpermute_b32 v13, v20, v13
	s_and_b64 s[6:7], exec, vcc
	s_or_b64 s[12:13], s[6:7], s[12:13]
	s_and_saveexec_b64 s[6:7], s[26:27]
	s_cbranch_execz .LBB62_10
; %bb.18:                               ;   in Loop: Header=BB62_11 Depth=2
	v_and_b32_e32 v15, s26, v22
	v_and_b32_e32 v14, s27, v21
	v_bcnt_u32_b32 v15, v15, 0
	v_bcnt_u32_b32 v14, v14, v15
	v_lshlrev_b32_e32 v14, 1, v14
	s_waitcnt lgkmcnt(0)
	v_lshl_add_u32 v13, v13, 1, v14
	ds_write_b16 v13, v3
	s_branch .LBB62_10
.LBB62_19:                              ;   in Loop: Header=BB62_6 Depth=1
	s_mov_b64 s[2:3], -1
	s_mov_b64 s[6:7], 0
.LBB62_20:                              ;   in Loop: Header=BB62_6 Depth=1
	s_and_b64 vcc, exec, s[2:3]
	s_cbranch_vccz .LBB62_49
.LBB62_21:                              ;   in Loop: Header=BB62_6 Depth=1
	s_mov_b64 s[26:27], exec
	v_readlane_b32 s2, v50, 35
	v_readlane_b32 s3, v50, 36
	s_and_b64 s[2:3], s[26:27], s[2:3]
	s_mov_b64 exec, s[2:3]
	s_cbranch_execz .LBB62_46
; %bb.22:                               ;   in Loop: Header=BB62_6 Depth=1
	v_readlane_b32 s2, v50, 42
	v_readlane_b32 s3, v50, 43
	s_nop 4
	global_load_ushort v1, v9, s[2:3]
	global_load_ushort v16, v[5:6], off
	s_waitcnt vmcnt(1)
	v_add_u32_e32 v12, v0, v1
	v_readfirstlane_b32 s8, v1
	v_cmp_gt_u32_e32 vcc, s36, v12
	v_mov_b32_e32 v1, v0
	s_and_saveexec_b64 s[30:31], vcc
	s_cbranch_execz .LBB62_45
; %bb.23:                               ;   in Loop: Header=BB62_6 Depth=1
	s_mov_b64 s[2:3], 0
	s_mul_i32 s9, s61, s8
                                        ; implicit-def: $vgpr1
                                        ; implicit-def: $vgpr4
                                        ; implicit-def: $vgpr2
                                        ; implicit-def: $vgpr3
	s_mov_b64 s[6:7], exec
	v_readlane_b32 s12, v50, 44
	v_readlane_b32 s13, v50, 45
	s_and_b64 s[12:13], s[6:7], s[12:13]
	s_xor_b64 s[34:35], s[12:13], s[6:7]
	s_mov_b64 exec, s[12:13]
	s_cbranch_execnz .LBB62_29
; %bb.24:                               ;   in Loop: Header=BB62_6 Depth=1
	s_andn2_saveexec_b64 s[6:7], s[34:35]
	s_cbranch_execnz .LBB62_40
.LBB62_25:                              ;   in Loop: Header=BB62_6 Depth=1
	s_or_b64 exec, exec, s[6:7]
	s_and_saveexec_b64 s[6:7], s[2:3]
	s_cbranch_execnz .LBB62_41
	s_branch .LBB62_44
.LBB62_26:                              ;   in Loop: Header=BB62_6 Depth=1
	s_or_b64 exec, exec, s[12:13]
	s_waitcnt lgkmcnt(0)
	s_barrier
	s_mov_b64 s[6:7], exec
	v_readlane_b32 s8, v50, 22
	v_readlane_b32 s9, v50, 23
	s_and_b64 s[8:9], s[6:7], s[8:9]
	s_mov_b64 exec, s[8:9]
	s_cbranch_execz .LBB62_28
; %bb.27:                               ;   in Loop: Header=BB62_6 Depth=1
	ds_read_b32 v1, v9 offset:4104
	s_waitcnt lgkmcnt(0)
	ds_write_b32 v9, v1 offset:4096
.LBB62_28:                              ;   in Loop: Header=BB62_6 Depth=1
	s_or_b64 exec, exec, s[6:7]
	s_waitcnt lgkmcnt(0)
	s_barrier
	s_mov_b64 s[6:7], -1
	s_and_b64 vcc, exec, s[2:3]
	s_cbranch_vccnz .LBB62_21
	s_branch .LBB62_49
.LBB62_29:                              ;   in Loop: Header=BB62_6 Depth=1
	v_cvt_f32_u32_e32 v1, s8
	s_sub_i32 s3, 0, s8
	v_add_u32_e32 v2, s8, v12
	v_max_u32_e32 v2, s36, v2
	v_rcp_iflag_f32_e32 v1, v1
	s_lshl_b32 s2, s8, 1
	v_sub_u32_e32 v2, v2, v0
	v_cmp_ne_u32_e32 vcc, s2, v2
	v_mul_f32_e32 v1, 0x4f7ffffe, v1
	v_cvt_u32_f32_e32 v1, v1
	v_cndmask_b32_e64 v8, 0, 1, vcc
	v_or_b32_e32 v8, s2, v8
	v_sub_u32_e32 v2, v2, v8
	v_mul_lo_u32 v3, s3, v1
	s_not_b32 s6, s9
	s_ashr_i32 s14, s6, 31
	s_abs_i32 s12, s9
	v_mul_hi_u32 v3, v1, v3
	v_mul_lo_u32 v4, s61, v12
	s_cmp_eq_u32 s8, 1
	s_mov_b64 s[2:3], -1
	v_add_u32_e32 v1, v1, v3
	v_mul_hi_u32 v3, v2, v1
	v_xor_b32_e32 v4, s14, v4
                                        ; implicit-def: $vgpr1
	v_mul_lo_u32 v8, v3, s8
	v_add_u32_e32 v13, 1, v3
	v_sub_u32_e32 v2, v2, v8
	v_subrev_u32_e32 v8, s8, v2
	v_cmp_le_u32_e64 s[6:7], s8, v2
	v_cndmask_b32_e64 v3, v3, v13, s[6:7]
	v_cndmask_b32_e64 v2, v2, v8, s[6:7]
	v_add_u32_e32 v8, 1, v3
	v_cmp_le_u32_e64 s[6:7], s8, v2
	v_cndmask_b32_e64 v2, v3, v8, s[6:7]
	v_addc_co_u32_e32 v2, vcc, 0, v2, vcc
	v_mul_hi_u32 v3, s12, v2
	v_mul_lo_u32 v2, s12, v2
	s_cselect_b64 s[12:13], -1, 0
	v_cmp_eq_u32_e32 vcc, 0, v3
	v_cmp_le_u32_e64 s[6:7], v2, v4
	s_and_b64 s[12:13], vcc, s[12:13]
	s_and_b64 s[12:13], s[12:13], s[6:7]
	v_mov_b32_e32 v2, v0
	s_and_saveexec_b64 s[6:7], s[12:13]
	s_cbranch_execz .LBB62_39
; %bb.30:                               ;   in Loop: Header=BB62_6 Depth=1
	v_add_u32_e32 v13, 1, v12
	v_mov_b32_e32 v15, v13
	s_waitcnt vmcnt(0)
	v_lshlrev_b32_e32 v17, 16, v16
	v_mov_b32_e32 v1, 0
	v_mov_b32_e32 v14, v12
                                        ; implicit-def: $vgpr16
	s_mov_b64 s[40:41], exec
	v_readlane_b32 s2, v50, 47
	v_readlane_b32 s3, v50, 48
	s_and_b64 s[2:3], s[40:41], s[2:3]
	s_mov_b64 exec, s[2:3]
	s_cbranch_execz .LBB62_34
; %bb.31:                               ;   in Loop: Header=BB62_6 Depth=1
	v_mov_b32_e32 v15, v13
	s_mov_b32 s2, 0
	s_mov_b64 s[42:43], 0
	v_mov_b32_e32 v45, v29
	v_mov_b32_e32 v46, v25
	;; [unrolled: 1-line block ×3, first 2 shown]
	v_readlane_b32 s3, v50, 46
.LBB62_32:                              ;   Parent Loop BB62_6 Depth=1
                                        ; =>  This Inner Loop Header: Depth=2
	v_mul_lo_u32 v8, v14, s61
	v_mul_lo_u32 v1, v15, s3
	v_mov_b32_e32 v13, s56
	v_add_u32_e32 v45, -8, v45
	v_lshlrev_b64 v[2:3], 1, v[8:9]
	s_add_i32 s2, s2, 16
	v_add_co_u32_e32 v18, vcc, s33, v2
	v_mov_b32_e32 v2, v9
	v_lshlrev_b64 v[1:2], 1, v[1:2]
	v_addc_co_u32_e32 v19, vcc, v13, v3, vcc
	v_add_co_u32_e32 v1, vcc, s33, v1
	v_addc_co_u32_e32 v2, vcc, v13, v2, vcc
	global_load_ushort v3, v[18:19], off
	s_nop 0
	global_load_ushort v18, v[1:2], off
	v_add_u32_e32 v2, 2, v15
	v_mul_lo_u32 v2, v2, s3
	s_waitcnt vmcnt(1)
	v_alignbit_b32 v1, v3, v17, 16
	v_add_u32_e32 v3, 2, v14
	v_mul_lo_u32 v8, v3, s61
	v_lshlrev_b64 v[3:4], 1, v[8:9]
	v_add_co_u32_e32 v16, vcc, s33, v3
	v_mov_b32_e32 v3, v9
	v_lshlrev_b64 v[2:3], 1, v[2:3]
	v_addc_co_u32_e32 v17, vcc, v13, v4, vcc
	v_add_co_u32_e32 v2, vcc, s33, v2
	v_addc_co_u32_e32 v3, vcc, v13, v3, vcc
	global_load_ushort v4, v[16:17], off
	global_load_ushort v19, v[2:3], off
	v_add_u32_e32 v3, 4, v15
	v_mul_lo_u32 v3, v3, s3
	s_waitcnt vmcnt(1)
	v_perm_b32 v2, v4, v18, s20
	v_add_u32_e32 v4, 4, v14
	v_mul_lo_u32 v8, v4, s61
	v_mov_b32_e32 v4, v9
	v_lshlrev_b64 v[3:4], 1, v[3:4]
	v_lshlrev_b64 v[16:17], 1, v[8:9]
	v_add_co_u32_e32 v16, vcc, s33, v16
	v_addc_co_u32_e32 v17, vcc, v13, v17, vcc
	v_add_co_u32_e32 v3, vcc, s33, v3
	v_addc_co_u32_e32 v4, vcc, v13, v4, vcc
	global_load_ushort v8, v[16:17], off
	s_nop 0
	global_load_ushort v4, v[3:4], off
	v_add_u32_e32 v16, 6, v15
	v_mul_lo_u32 v16, v16, s3
	s_waitcnt vmcnt(1)
	v_perm_b32 v3, v8, v19, s20
	v_add_u32_e32 v8, 6, v14
	v_mul_lo_u32 v8, v8, s61
	v_lshlrev_b64 v[17:18], 1, v[8:9]
	v_add_co_u32_e32 v47, vcc, s33, v17
	v_mov_b32_e32 v17, v9
	v_lshlrev_b64 v[16:17], 1, v[16:17]
	v_addc_co_u32_e32 v48, vcc, v13, v18, vcc
	v_add_co_u32_e32 v16, vcc, s33, v16
	v_addc_co_u32_e32 v17, vcc, v13, v17, vcc
	global_load_ushort v8, v[47:48], off
	global_load_ushort v18, v[16:17], off
	s_waitcnt vmcnt(1)
	v_perm_b32 v4, v8, v4, s20
	ds_write_b128 v46, v[1:4]
	v_add_u32_e32 v2, 8, v14
	v_mul_lo_u32 v8, v2, s61
	v_add_u32_e32 v1, 8, v15
	v_mul_lo_u32 v1, v1, s3
	v_lshlrev_b64 v[2:3], 1, v[8:9]
	v_add_co_u32_e32 v16, vcc, s33, v2
	v_mov_b32_e32 v2, v9
	v_lshlrev_b64 v[1:2], 1, v[1:2]
	v_addc_co_u32_e32 v17, vcc, v13, v3, vcc
	v_add_co_u32_e32 v1, vcc, s33, v1
	v_addc_co_u32_e32 v2, vcc, v13, v2, vcc
	global_load_ushort v3, v[16:17], off
	global_load_ushort v19, v[1:2], off
	v_add_u32_e32 v2, 10, v15
	v_mul_lo_u32 v2, v2, s3
	s_waitcnt vmcnt(1)
	v_perm_b32 v1, v3, v18, s20
	v_add_u32_e32 v3, 10, v14
	v_mul_lo_u32 v8, v3, s61
	v_lshlrev_b64 v[3:4], 1, v[8:9]
	v_add_co_u32_e32 v16, vcc, s33, v3
	v_mov_b32_e32 v3, v9
	v_lshlrev_b64 v[2:3], 1, v[2:3]
	v_addc_co_u32_e32 v17, vcc, v13, v4, vcc
	v_add_co_u32_e32 v2, vcc, s33, v2
	v_addc_co_u32_e32 v3, vcc, v13, v3, vcc
	global_load_ushort v4, v[16:17], off
	global_load_ushort v18, v[2:3], off
	v_add_u32_e32 v3, 12, v15
	v_mul_lo_u32 v3, v3, s3
	s_waitcnt vmcnt(1)
	v_perm_b32 v2, v4, v19, s20
	v_add_u32_e32 v4, 12, v14
	v_mul_lo_u32 v8, v4, s61
	v_mov_b32_e32 v4, v9
	v_lshlrev_b64 v[3:4], 1, v[3:4]
	v_mov_b32_e32 v19, v9
	v_lshlrev_b64 v[16:17], 1, v[8:9]
	v_add_co_u32_e32 v16, vcc, s33, v16
	v_addc_co_u32_e32 v17, vcc, v13, v17, vcc
	v_add_co_u32_e32 v3, vcc, s33, v3
	v_addc_co_u32_e32 v4, vcc, v13, v4, vcc
	global_load_ushort v8, v[16:17], off
	s_nop 0
	global_load_ushort v4, v[3:4], off
	v_add_u32_e32 v16, 14, v15
	v_add_u32_e32 v15, 16, v15
	s_waitcnt vmcnt(1)
	v_perm_b32 v3, v8, v18, s20
	v_add_u32_e32 v8, 14, v14
	v_mul_lo_u32 v8, v8, s61
	v_mul_lo_u32 v18, v16, s3
	v_add_u32_e32 v14, 16, v14
	v_lshlrev_b64 v[16:17], 1, v[8:9]
	v_lshlrev_b64 v[18:19], 1, v[18:19]
	v_add_co_u32_e32 v16, vcc, s33, v16
	v_addc_co_u32_e32 v17, vcc, v13, v17, vcc
	v_add_co_u32_e32 v18, vcc, s33, v18
	v_addc_co_u32_e32 v19, vcc, v13, v19, vcc
	global_load_ushort v8, v[16:17], off
	s_nop 0
	global_load_ushort v16, v[18:19], off
	v_cmp_eq_u32_e32 vcc, 0, v45
	s_or_b64 s[42:43], vcc, s[42:43]
	s_waitcnt vmcnt(1)
	v_perm_b32 v4, v8, v4, s20
	s_waitcnt vmcnt(0)
	v_perm_b32 v17, v16, v8, s20
	ds_write_b128 v46, v[1:4] offset:16
	v_add_u32_e32 v46, 32, v46
	v_mov_b32_e32 v1, s2
	s_andn2_b64 exec, exec, s[42:43]
	s_cbranch_execnz .LBB62_32
; %bb.33:                               ;   in Loop: Header=BB62_6 Depth=1
	s_or_b64 exec, exec, s[42:43]
.LBB62_34:                              ;   in Loop: Header=BB62_6 Depth=1
	s_or_b64 exec, exec, s[40:41]
	s_mov_b64 s[2:3], exec
	v_readlane_b32 s12, v50, 49
	v_readlane_b32 s13, v50, 50
	s_and_b64 s[12:13], s[2:3], s[12:13]
	s_mov_b64 exec, s[12:13]
	s_cbranch_execz .LBB62_38
; %bb.35:                               ;   in Loop: Header=BB62_6 Depth=1
	v_lshl_add_u32 v1, v1, 1, v25
	s_mov_b64 s[12:13], 0
	v_mov_b32_e32 v2, v31
	v_readlane_b32 s14, v50, 46
.LBB62_36:                              ;   Parent Loop BB62_6 Depth=1
                                        ; =>  This Inner Loop Header: Depth=2
	v_mul_lo_u32 v8, v14, s61
	v_mul_lo_u32 v3, v15, s14
	v_mov_b32_e32 v4, v9
	v_mov_b32_e32 v13, s56
	v_lshlrev_b64 v[18:19], 1, v[8:9]
	v_lshlrev_b64 v[3:4], 1, v[3:4]
	v_add_co_u32_e32 v18, vcc, s33, v18
	v_addc_co_u32_e32 v19, vcc, v13, v19, vcc
	v_add_co_u32_e32 v3, vcc, s33, v3
	v_addc_co_u32_e32 v4, vcc, v13, v4, vcc
	global_load_ushort v8, v[18:19], off
	global_load_ushort v16, v[3:4], off
	v_add_u32_e32 v2, -4, v2
	v_cmp_eq_u32_e32 vcc, 0, v2
	v_add_u32_e32 v15, 2, v15
	v_add_u32_e32 v14, 2, v14
	s_or_b64 s[12:13], vcc, s[12:13]
	s_waitcnt vmcnt(1)
	v_alignbit_b32 v4, v8, v17, 16
	s_waitcnt vmcnt(0)
	v_perm_b32 v3, v16, v8, s20
	ds_write_b32 v1, v4
	v_add_u32_e32 v1, 4, v1
	v_mov_b32_e32 v17, v3
	s_andn2_b64 exec, exec, s[12:13]
	s_cbranch_execnz .LBB62_36
; %bb.37:                               ;   in Loop: Header=BB62_6 Depth=1
	s_or_b64 exec, exec, s[12:13]
.LBB62_38:                              ;   in Loop: Header=BB62_6 Depth=1
	s_or_b64 exec, exec, s[2:3]
	v_readlane_b32 s2, v49, 1
	v_add_u32_e32 v12, v12, v28
	v_readlane_b32 s3, v49, 2
	v_add_u32_e32 v1, -1, v12
	s_orn2_b64 s[2:3], s[2:3], exec
	v_mov_b32_e32 v2, v38
.LBB62_39:                              ;   in Loop: Header=BB62_6 Depth=1
	s_or_b64 exec, exec, s[6:7]
	v_mov_b32_e32 v3, s9
	s_and_b64 s[2:3], s[2:3], exec
	s_waitcnt vmcnt(0)
	v_mov_b32_e32 v4, v16
	s_andn2_saveexec_b64 s[6:7], s[34:35]
	s_cbranch_execz .LBB62_25
.LBB62_40:                              ;   in Loop: Header=BB62_6 Depth=1
	v_mov_b32_e32 v3, s9
	s_or_b64 s[2:3], s[2:3], exec
	s_waitcnt vmcnt(0)
	v_mov_b32_e32 v4, v16
	v_mov_b32_e32 v2, v0
	s_or_b64 exec, exec, s[6:7]
	s_and_saveexec_b64 s[6:7], s[2:3]
	s_cbranch_execz .LBB62_44
.LBB62_41:                              ;   in Loop: Header=BB62_6 Depth=1
	v_mul_lo_u32 v8, s61, v12
	s_sub_i32 s9, 0, s8
	s_mov_b64 s[2:3], 0
.LBB62_42:                              ;   Parent Loop BB62_6 Depth=1
                                        ; =>  This Inner Loop Header: Depth=2
	v_lshlrev_b64 v[13:14], 1, v[8:9]
	v_mov_b32_e32 v1, s56
	v_add_co_u32_e32 v13, vcc, s33, v13
	v_addc_co_u32_e32 v14, vcc, v1, v14, vcc
	global_load_ushort v16, v[13:14], off
	v_mov_b32_e32 v1, v12
	v_add_u32_e32 v12, s8, v1
	v_lshlrev_b32_e32 v2, 1, v2
	v_cmp_le_u32_e32 vcc, s36, v12
	v_add_u32_e32 v8, v8, v3
	ds_write_b16 v2, v4
	v_mov_b32_e32 v2, v1
	s_or_b64 s[2:3], vcc, s[2:3]
	s_waitcnt vmcnt(0)
	v_mov_b32_e32 v4, v16
	s_andn2_b64 exec, exec, s[2:3]
	s_cbranch_execnz .LBB62_42
; %bb.43:                               ;   in Loop: Header=BB62_6 Depth=1
	s_or_b64 exec, exec, s[2:3]
	v_add_u32_e32 v1, s9, v12
.LBB62_44:                              ;   in Loop: Header=BB62_6 Depth=1
	s_or_b64 exec, exec, s[6:7]
.LBB62_45:                              ;   in Loop: Header=BB62_6 Depth=1
	s_or_b64 exec, exec, s[30:31]
	v_lshlrev_b32_e32 v1, 1, v1
	s_waitcnt vmcnt(0)
	ds_write_b16 v1, v16
.LBB62_46:                              ;   in Loop: Header=BB62_6 Depth=1
	s_or_b64 exec, exec, s[26:27]
	s_waitcnt lgkmcnt(0)
	s_barrier
	s_mov_b64 s[2:3], exec
	v_readlane_b32 s6, v50, 22
	v_readlane_b32 s7, v50, 23
	s_and_b64 s[6:7], s[2:3], s[6:7]
	s_mov_b64 exec, s[6:7]
; %bb.47:                               ;   in Loop: Header=BB62_6 Depth=1
	v_mov_b32_e32 v1, s36
	ds_write_b32 v9, v1 offset:4096
; %bb.48:                               ;   in Loop: Header=BB62_6 Depth=1
	s_or_b64 exec, exec, s[2:3]
	s_mov_b64 s[6:7], -1
	s_waitcnt lgkmcnt(0)
	s_barrier
.LBB62_49:                              ;   in Loop: Header=BB62_6 Depth=1
	s_mov_b32 s8, 0
	s_and_b64 vcc, exec, s[6:7]
	s_cbranch_vccz .LBB62_51
; %bb.50:                               ;   in Loop: Header=BB62_6 Depth=1
	ds_read_b32 v1, v9 offset:4096
	s_waitcnt lgkmcnt(0)
	v_readfirstlane_b32 s8, v1
.LBB62_51:                              ;   in Loop: Header=BB62_6 Depth=1
	s_cmp_lt_i32 s8, 1
	s_mov_b64 s[2:3], -1
                                        ; implicit-def: $vgpr1
	s_cbranch_scc0 .LBB62_63
; %bb.52:                               ;   in Loop: Header=BB62_6 Depth=1
	v_mov_b32_e32 v1, 0
	v_mov_b32_e32 v2, 0
	;; [unrolled: 1-line block ×4, first 2 shown]
	s_mov_b64 s[40:41], exec
	v_readlane_b32 s2, v50, 57
	v_readlane_b32 s3, v50, 58
	s_and_b64 s[2:3], s[40:41], s[2:3]
	s_mov_b64 exec, s[2:3]
	s_cbranch_execz .LBB62_56
; %bb.53:                               ;   in Loop: Header=BB62_6 Depth=1
	s_mov_b32 s2, 0
	s_mov_b64 s[42:43], 0
	s_mov_b32 s3, 0
	s_mov_b32 s9, 0
	;; [unrolled: 1-line block ×4, first 2 shown]
	v_mov_b32_e32 v12, v23
.LBB62_54:                              ;   Parent Loop BB62_6 Depth=1
                                        ; =>  This Inner Loop Header: Depth=2
	v_add_u32_e32 v8, s2, v39
	v_lshlrev_b64 v[1:2], 1, v[8:9]
	v_mov_b32_e32 v3, s56
	v_add_co_u32_e32 v1, vcc, s33, v1
	v_addc_co_u32_e32 v2, vcc, v3, v2, vcc
	v_add_u32_e32 v8, s2, v32
	global_load_sshort v4, v[1:2], off
	v_lshlrev_b64 v[1:2], 1, v[8:9]
	v_add_u32_e32 v8, s2, v33
	v_add_co_u32_e32 v1, vcc, s33, v1
	v_addc_co_u32_e32 v2, vcc, v3, v2, vcc
	global_load_sshort v13, v[1:2], off
	v_lshlrev_b64 v[1:2], 1, v[8:9]
	v_add_u32_e32 v8, s2, v34
	v_add_co_u32_e32 v1, vcc, s33, v1
	v_addc_co_u32_e32 v2, vcc, v3, v2, vcc
	;; [unrolled: 5-line block ×3, first 2 shown]
	global_load_sshort v1, v[1:2], off
	s_add_i32 s2, s2, s10
	s_waitcnt vmcnt(3)
	v_add_u32_e32 v2, 0x8000, v4
	v_and_b32_e32 v8, v2, v42
	v_bfe_u32 v2, v2, s38, 2
	v_cmp_eq_u32_e32 vcc, v8, v37
	v_cmp_eq_u32_e64 s[34:35], 0, v2
	s_and_b64 s[14:15], vcc, s[34:35]
	s_waitcnt vmcnt(2)
	v_add_u32_e32 v3, 0x8000, v13
	v_and_b32_e32 v8, v3, v42
	v_bfe_u32 v3, v3, s38, 2
	v_cmp_eq_u32_e64 s[6:7], v8, v37
	v_cmp_eq_u32_e64 s[34:35], 0, v3
	s_and_b64 s[16:17], s[6:7], s[34:35]
	s_waitcnt vmcnt(1)
	v_add_u32_e32 v4, 0x8000, v14
	v_and_b32_e32 v8, v4, v42
	v_bfe_u32 v4, v4, s38, 2
	v_cmp_eq_u32_e64 s[26:27], v8, v37
	v_cmp_eq_u32_e64 s[34:35], 0, v4
	s_and_b64 s[22:23], s[26:27], s[34:35]
	s_waitcnt vmcnt(0)
	v_add_u32_e32 v1, 0x8000, v1
	v_and_b32_e32 v8, v1, v42
	v_bfe_u32 v1, v1, s38, 2
	v_cmp_eq_u32_e64 s[30:31], v8, v37
	v_cmp_eq_u32_e64 s[34:35], 0, v1
	v_cndmask_b32_e64 v8, 0, 1, s[14:15]
	s_and_b64 s[24:25], s[30:31], s[34:35]
	v_cmp_ne_u32_e64 s[34:35], 0, v8
	v_cndmask_b32_e64 v8, 0, 1, s[16:17]
	s_bcnt1_i32_b64 s14, s[34:35]
	v_cmp_ne_u32_e64 s[34:35], 0, v8
	v_cndmask_b32_e64 v8, 0, 1, s[22:23]
	s_bcnt1_i32_b64 s15, s[34:35]
	;; [unrolled: 3-line block ×3, first 2 shown]
	v_cmp_ne_u32_e64 s[34:35], 0, v8
	s_add_i32 s13, s13, s14
	s_bcnt1_i32_b64 s17, s[34:35]
	s_add_i32 s13, s13, s15
	v_cmp_eq_u32_e64 s[34:35], 1, v2
	s_add_i32 s13, s13, s16
	s_and_b64 s[14:15], vcc, s[34:35]
	v_cmp_eq_u32_e64 s[34:35], 1, v3
	s_add_i32 s13, s13, s17
	s_and_b64 s[16:17], s[6:7], s[34:35]
	v_cmp_eq_u32_e64 s[34:35], 1, v4
	s_and_b64 s[22:23], s[26:27], s[34:35]
	v_cmp_eq_u32_e64 s[34:35], 1, v1
	v_cndmask_b32_e64 v8, 0, 1, s[14:15]
	s_and_b64 s[24:25], s[30:31], s[34:35]
	v_cmp_ne_u32_e64 s[34:35], 0, v8
	v_cndmask_b32_e64 v8, 0, 1, s[16:17]
	s_bcnt1_i32_b64 s14, s[34:35]
	v_cmp_ne_u32_e64 s[34:35], 0, v8
	v_cndmask_b32_e64 v8, 0, 1, s[22:23]
	s_bcnt1_i32_b64 s15, s[34:35]
	;; [unrolled: 3-line block ×3, first 2 shown]
	v_cmp_ne_u32_e64 s[34:35], 0, v8
	s_add_i32 s12, s12, s14
	s_bcnt1_i32_b64 s17, s[34:35]
	s_add_i32 s12, s12, s15
	v_cmp_eq_u32_e64 s[34:35], 2, v2
	s_add_i32 s12, s12, s16
	s_and_b64 s[14:15], vcc, s[34:35]
	v_cmp_eq_u32_e64 s[34:35], 2, v3
	s_add_i32 s12, s12, s17
	s_and_b64 s[16:17], s[6:7], s[34:35]
	v_cmp_eq_u32_e64 s[34:35], 2, v4
	s_and_b64 s[22:23], s[26:27], s[34:35]
	v_cmp_eq_u32_e64 s[34:35], 2, v1
	v_cndmask_b32_e64 v8, 0, 1, s[14:15]
	s_and_b64 s[24:25], s[30:31], s[34:35]
	v_cmp_ne_u32_e64 s[34:35], 0, v8
	v_cndmask_b32_e64 v8, 0, 1, s[16:17]
	s_bcnt1_i32_b64 s14, s[34:35]
	v_cmp_ne_u32_e64 s[34:35], 0, v8
	v_cndmask_b32_e64 v8, 0, 1, s[22:23]
	s_bcnt1_i32_b64 s15, s[34:35]
	;; [unrolled: 3-line block ×3, first 2 shown]
	v_cmp_ne_u32_e64 s[34:35], 0, v8
	s_bcnt1_i32_b64 s17, s[34:35]
	s_add_i32 s9, s9, s14
	v_cmp_eq_u32_e64 s[34:35], 3, v2
	s_add_i32 s9, s9, s15
	s_and_b64 s[14:15], vcc, s[34:35]
	v_cmp_eq_u32_e32 vcc, 3, v3
	s_add_i32 s9, s9, s16
	s_and_b64 s[6:7], s[6:7], vcc
	v_cmp_eq_u32_e32 vcc, 3, v4
	s_add_i32 s9, s9, s17
	s_and_b64 s[16:17], s[26:27], vcc
	v_cmp_eq_u32_e32 vcc, 3, v1
	v_cndmask_b32_e64 v1, 0, 1, s[14:15]
	s_and_b64 s[22:23], s[30:31], vcc
	v_cmp_ne_u32_e32 vcc, 0, v1
	v_cndmask_b32_e64 v1, 0, 1, s[6:7]
	s_bcnt1_i32_b64 s14, vcc
	v_cmp_ne_u32_e32 vcc, 0, v1
	v_cndmask_b32_e64 v1, 0, 1, s[16:17]
	s_bcnt1_i32_b64 s6, vcc
	v_cmp_ne_u32_e32 vcc, 0, v1
	v_cndmask_b32_e64 v1, 0, 1, s[22:23]
	s_add_i32 s3, s3, s14
	s_bcnt1_i32_b64 s7, vcc
	v_cmp_ne_u32_e32 vcc, 0, v1
	s_add_i32 s3, s3, s6
	s_bcnt1_i32_b64 s15, vcc
	s_add_i32 s3, s3, s7
	s_add_i32 s3, s3, s15
	v_cmp_le_u32_e32 vcc, s21, v12
	s_or_b64 s[42:43], vcc, s[42:43]
	v_mov_b32_e32 v1, s13
	v_mov_b32_e32 v2, s12
	;; [unrolled: 1-line block ×4, first 2 shown]
	s_andn2_b64 exec, exec, s[42:43]
	s_cbranch_execnz .LBB62_54
; %bb.55:                               ;   in Loop: Header=BB62_6 Depth=1
	s_or_b64 exec, exec, s[42:43]
.LBB62_56:                              ;   in Loop: Header=BB62_6 Depth=1
	s_or_b64 exec, exec, s[40:41]
	s_mov_b64 s[2:3], exec
	v_readlane_b32 s6, v50, 59
	v_readlane_b32 s7, v50, 60
	s_and_b64 s[6:7], s[2:3], s[6:7]
	s_mov_b64 exec, s[6:7]
	s_cbranch_execz .LBB62_62
; %bb.57:                               ;   in Loop: Header=BB62_6 Depth=1
	global_load_ushort v13, v[10:11], off
	s_mov_b64 s[12:13], 0
	v_mov_b32_e32 v8, v35
	v_mov_b32_e32 v12, v30
	s_branch .LBB62_59
.LBB62_58:                              ;   in Loop: Header=BB62_59 Depth=2
	s_or_b64 exec, exec, s[14:15]
	s_waitcnt vmcnt(0)
	v_add_u32_sdwa v13, sext(v13), s5 dst_sel:DWORD dst_unused:UNUSED_PAD src0_sel:WORD_0 src1_sel:DWORD
	s_and_b64 s[6:7], exec, vcc
	v_and_b32_e32 v15, v13, v42
	v_bfe_u32 v13, v13, s38, 2
	s_or_b64 s[12:13], s[6:7], s[12:13]
	v_cmp_eq_u32_e32 vcc, v15, v37
	v_cmp_eq_u32_e64 s[6:7], 0, v13
	s_and_b64 s[6:7], vcc, s[6:7]
	v_cndmask_b32_e64 v15, 0, 1, s[6:7]
	v_cmp_ne_u32_e64 s[6:7], 0, v15
	s_bcnt1_i32_b64 s6, s[6:7]
	v_add_u32_e32 v1, s6, v1
	v_cmp_eq_u32_e64 s[6:7], 1, v13
	s_and_b64 s[6:7], vcc, s[6:7]
	v_cndmask_b32_e64 v15, 0, 1, s[6:7]
	v_cmp_ne_u32_e64 s[6:7], 0, v15
	s_bcnt1_i32_b64 s6, s[6:7]
	v_add_u32_e32 v2, s6, v2
	;; [unrolled: 6-line block ×3, first 2 shown]
	v_cmp_eq_u32_e64 s[6:7], 3, v13
	s_and_b64 s[6:7], vcc, s[6:7]
	v_cndmask_b32_e64 v13, 0, 1, s[6:7]
	v_cmp_ne_u32_e32 vcc, 0, v13
	s_bcnt1_i32_b64 s6, vcc
	v_add_u32_e32 v4, s6, v4
	v_add_u32_e32 v8, s62, v8
	v_mov_b32_e32 v13, v14
	s_andn2_b64 exec, exec, s[12:13]
	s_cbranch_execz .LBB62_61
.LBB62_59:                              ;   Parent Loop BB62_6 Depth=1
                                        ; =>  This Inner Loop Header: Depth=2
	v_add_u32_e32 v12, s60, v12
	v_cmp_gt_u32_e64 s[6:7], s36, v12
	v_cmp_le_u32_e32 vcc, s36, v12
	v_mov_b32_e32 v14, 0
	s_and_saveexec_b64 s[14:15], s[6:7]
	s_cbranch_execz .LBB62_58
; %bb.60:                               ;   in Loop: Header=BB62_59 Depth=2
	v_lshlrev_b64 v[14:15], 1, v[8:9]
	v_mov_b32_e32 v16, s56
	v_add_co_u32_e64 v14, s[6:7], s33, v14
	v_addc_co_u32_e64 v15, s[6:7], v16, v15, s[6:7]
	global_load_ushort v14, v[14:15], off
	s_branch .LBB62_58
.LBB62_61:                              ;   in Loop: Header=BB62_6 Depth=1
	s_or_b64 exec, exec, s[12:13]
.LBB62_62:                              ;   in Loop: Header=BB62_6 Depth=1
	s_or_b64 exec, exec, s[2:3]
	s_mov_b64 s[2:3], 0
.LBB62_63:                              ;   in Loop: Header=BB62_6 Depth=1
	s_and_b64 vcc, exec, s[2:3]
	s_cbranch_vccz .LBB62_73
; %bb.64:                               ;   in Loop: Header=BB62_6 Depth=1
	v_readlane_b32 s2, v50, 56
	s_mul_hi_u32 s2, s8, s2
	s_mul_i32 s2, s2, s63
	s_sub_i32 s2, s8, s2
	s_sub_i32 s3, s2, s63
	s_cmp_ge_u32 s2, s63
	s_cselect_b32 s2, s3, s2
	s_sub_i32 s3, s2, s63
	s_cmp_ge_u32 s2, s63
	s_cselect_b32 s2, s3, s2
	s_sub_i32 s2, s8, s2
	v_cmp_gt_u32_e32 vcc, s2, v23
	v_mov_b32_e32 v1, 0
	v_mov_b32_e32 v2, 0
	;; [unrolled: 1-line block ×4, first 2 shown]
	s_and_saveexec_b64 s[40:41], vcc
	s_cbranch_execz .LBB62_68
; %bb.65:                               ;   in Loop: Header=BB62_6 Depth=1
	s_mov_b32 s3, 0
	s_mov_b64 s[42:43], 0
	v_mov_b32_e32 v8, v40
	s_mov_b32 s9, 0
	s_mov_b32 s12, 0
	;; [unrolled: 1-line block ×3, first 2 shown]
	v_mov_b32_e32 v12, v23
.LBB62_66:                              ;   Parent Loop BB62_6 Depth=1
                                        ; =>  This Inner Loop Header: Depth=2
	ds_read_b64 v[1:2], v8
	v_add_u32_e32 v12, s63, v12
	v_add_u32_e32 v8, s11, v8
	s_waitcnt lgkmcnt(0)
	v_add_u32_sdwa v3, sext(v1), s5 dst_sel:DWORD dst_unused:UNUSED_PAD src0_sel:WORD_0 src1_sel:DWORD
	v_add_u32_sdwa v1, sext(v1), s5 dst_sel:DWORD dst_unused:UNUSED_PAD src0_sel:WORD_1 src1_sel:DWORD
	v_and_b32_e32 v13, v3, v42
	v_bfe_u32 v3, v3, s38, 2
	v_add_u32_sdwa v4, sext(v2), s5 dst_sel:DWORD dst_unused:UNUSED_PAD src0_sel:WORD_0 src1_sel:DWORD
	v_cmp_eq_u32_e32 vcc, v13, v37
	v_and_b32_e32 v13, v1, v42
	v_bfe_u32 v1, v1, s38, 2
	v_cmp_eq_u32_e64 s[34:35], 0, v3
	v_add_u32_sdwa v2, sext(v2), s5 dst_sel:DWORD dst_unused:UNUSED_PAD src0_sel:WORD_1 src1_sel:DWORD
	v_cmp_eq_u32_e64 s[6:7], v13, v37
	v_and_b32_e32 v13, v4, v42
	v_bfe_u32 v4, v4, s38, 2
	s_and_b64 s[14:15], vcc, s[34:35]
	v_cmp_eq_u32_e64 s[34:35], 0, v1
	v_cmp_eq_u32_e64 s[26:27], v13, v37
	v_and_b32_e32 v13, v2, v42
	v_bfe_u32 v2, v2, s38, 2
	s_and_b64 s[16:17], s[6:7], s[34:35]
	v_cmp_eq_u32_e64 s[34:35], 0, v4
	v_cmp_eq_u32_e64 s[30:31], v13, v37
	s_and_b64 s[22:23], s[26:27], s[34:35]
	v_cmp_eq_u32_e64 s[34:35], 0, v2
	v_cndmask_b32_e64 v13, 0, 1, s[14:15]
	s_and_b64 s[24:25], s[30:31], s[34:35]
	v_cmp_ne_u32_e64 s[34:35], 0, v13
	v_cndmask_b32_e64 v13, 0, 1, s[16:17]
	s_bcnt1_i32_b64 s14, s[34:35]
	v_cmp_ne_u32_e64 s[34:35], 0, v13
	v_cndmask_b32_e64 v13, 0, 1, s[22:23]
	s_bcnt1_i32_b64 s15, s[34:35]
	;; [unrolled: 3-line block ×3, first 2 shown]
	v_cmp_ne_u32_e64 s[34:35], 0, v13
	s_add_i32 s13, s13, s14
	s_bcnt1_i32_b64 s17, s[34:35]
	s_add_i32 s13, s13, s15
	v_cmp_eq_u32_e64 s[34:35], 1, v3
	s_add_i32 s13, s13, s16
	s_and_b64 s[14:15], vcc, s[34:35]
	v_cmp_eq_u32_e64 s[34:35], 1, v1
	s_add_i32 s13, s13, s17
	s_and_b64 s[16:17], s[6:7], s[34:35]
	v_cmp_eq_u32_e64 s[34:35], 1, v4
	s_and_b64 s[22:23], s[26:27], s[34:35]
	v_cmp_eq_u32_e64 s[34:35], 1, v2
	v_cndmask_b32_e64 v13, 0, 1, s[14:15]
	s_and_b64 s[24:25], s[30:31], s[34:35]
	v_cmp_ne_u32_e64 s[34:35], 0, v13
	v_cndmask_b32_e64 v13, 0, 1, s[16:17]
	s_bcnt1_i32_b64 s14, s[34:35]
	v_cmp_ne_u32_e64 s[34:35], 0, v13
	v_cndmask_b32_e64 v13, 0, 1, s[22:23]
	s_bcnt1_i32_b64 s15, s[34:35]
	;; [unrolled: 3-line block ×3, first 2 shown]
	v_cmp_ne_u32_e64 s[34:35], 0, v13
	s_add_i32 s12, s12, s14
	s_bcnt1_i32_b64 s17, s[34:35]
	s_add_i32 s12, s12, s15
	v_cmp_eq_u32_e64 s[34:35], 2, v3
	s_add_i32 s12, s12, s16
	s_and_b64 s[14:15], vcc, s[34:35]
	v_cmp_eq_u32_e64 s[34:35], 2, v1
	s_add_i32 s12, s12, s17
	s_and_b64 s[16:17], s[6:7], s[34:35]
	v_cmp_eq_u32_e64 s[34:35], 2, v4
	s_and_b64 s[22:23], s[26:27], s[34:35]
	v_cmp_eq_u32_e64 s[34:35], 2, v2
	v_cndmask_b32_e64 v13, 0, 1, s[14:15]
	s_and_b64 s[24:25], s[30:31], s[34:35]
	v_cmp_ne_u32_e64 s[34:35], 0, v13
	v_cndmask_b32_e64 v13, 0, 1, s[16:17]
	s_bcnt1_i32_b64 s14, s[34:35]
	v_cmp_ne_u32_e64 s[34:35], 0, v13
	v_cndmask_b32_e64 v13, 0, 1, s[22:23]
	s_bcnt1_i32_b64 s15, s[34:35]
	;; [unrolled: 3-line block ×3, first 2 shown]
	v_cmp_ne_u32_e64 s[34:35], 0, v13
	s_bcnt1_i32_b64 s17, s[34:35]
	s_add_i32 s9, s9, s14
	v_cmp_eq_u32_e64 s[34:35], 3, v3
	s_add_i32 s9, s9, s15
	s_and_b64 s[14:15], vcc, s[34:35]
	v_cmp_eq_u32_e32 vcc, 3, v1
	s_add_i32 s9, s9, s16
	s_and_b64 s[6:7], s[6:7], vcc
	v_cmp_eq_u32_e32 vcc, 3, v4
	s_add_i32 s9, s9, s17
	s_and_b64 s[16:17], s[26:27], vcc
	v_cmp_eq_u32_e32 vcc, 3, v2
	v_cndmask_b32_e64 v1, 0, 1, s[14:15]
	s_and_b64 s[22:23], s[30:31], vcc
	v_cmp_ne_u32_e32 vcc, 0, v1
	v_cndmask_b32_e64 v1, 0, 1, s[6:7]
	s_bcnt1_i32_b64 s14, vcc
	v_cmp_ne_u32_e32 vcc, 0, v1
	v_cndmask_b32_e64 v1, 0, 1, s[16:17]
	s_bcnt1_i32_b64 s6, vcc
	v_cmp_ne_u32_e32 vcc, 0, v1
	v_cndmask_b32_e64 v1, 0, 1, s[22:23]
	s_add_i32 s3, s3, s14
	s_bcnt1_i32_b64 s7, vcc
	v_cmp_ne_u32_e32 vcc, 0, v1
	s_add_i32 s3, s3, s6
	s_bcnt1_i32_b64 s15, vcc
	s_add_i32 s3, s3, s7
	s_add_i32 s3, s3, s15
	v_cmp_le_u32_e32 vcc, s2, v12
	s_or_b64 s[42:43], vcc, s[42:43]
	v_mov_b32_e32 v1, s13
	v_mov_b32_e32 v2, s12
	;; [unrolled: 1-line block ×4, first 2 shown]
	s_andn2_b64 exec, exec, s[42:43]
	s_cbranch_execnz .LBB62_66
; %bb.67:                               ;   in Loop: Header=BB62_6 Depth=1
	s_or_b64 exec, exec, s[42:43]
.LBB62_68:                              ;   in Loop: Header=BB62_6 Depth=1
	s_or_b64 exec, exec, s[40:41]
	v_add_u32_e32 v8, s2, v0
	v_cmp_gt_u32_e32 vcc, s8, v8
	s_and_saveexec_b64 s[12:13], vcc
	s_cbranch_execz .LBB62_72
; %bb.69:                               ;   in Loop: Header=BB62_6 Depth=1
	v_lshlrev_b32_e32 v12, 1, v8
	s_mov_b64 s[14:15], 0
.LBB62_70:                              ;   Parent Loop BB62_6 Depth=1
                                        ; =>  This Inner Loop Header: Depth=2
	ds_read_i16 v13, v12
	v_add_u32_e32 v8, s60, v8
	v_add_u32_e32 v12, s4, v12
	s_waitcnt lgkmcnt(0)
	v_add_u32_e32 v13, 0x8000, v13
	v_and_b32_e32 v14, v13, v42
	v_bfe_u32 v13, v13, s38, 2
	v_cmp_eq_u32_e32 vcc, v14, v37
	v_cmp_eq_u32_e64 s[6:7], 0, v13
	s_and_b64 s[2:3], vcc, s[6:7]
	v_cndmask_b32_e64 v14, 0, 1, s[2:3]
	v_cmp_ne_u32_e64 s[6:7], 0, v14
	s_bcnt1_i32_b64 s2, s[6:7]
	v_cmp_eq_u32_e64 s[6:7], 1, v13
	v_add_u32_e32 v1, s2, v1
	s_and_b64 s[2:3], vcc, s[6:7]
	v_cndmask_b32_e64 v14, 0, 1, s[2:3]
	v_cmp_ne_u32_e64 s[6:7], 0, v14
	s_bcnt1_i32_b64 s2, s[6:7]
	v_cmp_eq_u32_e64 s[6:7], 2, v13
	v_add_u32_e32 v2, s2, v2
	s_and_b64 s[2:3], vcc, s[6:7]
	v_cndmask_b32_e64 v14, 0, 1, s[2:3]
	v_cmp_ne_u32_e64 s[6:7], 0, v14
	s_bcnt1_i32_b64 s2, s[6:7]
	v_cmp_eq_u32_e64 s[6:7], 3, v13
	v_add_u32_e32 v3, s2, v3
	s_and_b64 s[2:3], vcc, s[6:7]
	v_cndmask_b32_e64 v13, 0, 1, s[2:3]
	v_cmp_ne_u32_e32 vcc, 0, v13
	s_bcnt1_i32_b64 s2, vcc
	v_cmp_le_u32_e32 vcc, s8, v8
	v_add_u32_e32 v4, s2, v4
	s_or_b64 s[14:15], vcc, s[14:15]
	s_andn2_b64 exec, exec, s[14:15]
	s_cbranch_execnz .LBB62_70
; %bb.71:                               ;   in Loop: Header=BB62_6 Depth=1
	s_or_b64 exec, exec, s[14:15]
.LBB62_72:                              ;   in Loop: Header=BB62_6 Depth=1
	s_or_b64 exec, exec, s[12:13]
.LBB62_73:                              ;   in Loop: Header=BB62_6 Depth=1
	v_readlane_b32 s2, v50, 25
	v_readlane_b32 s3, v50, 26
	s_lshl_b32 s6, s3, 6
	s_and_saveexec_b64 s[2:3], s[0:1]
; %bb.74:                               ;   in Loop: Header=BB62_6 Depth=1
	v_lshl_add_u32 v8, s6, 2, v27
	ds_write_b128 v8, v[1:4]
; %bb.75:                               ;   in Loop: Header=BB62_6 Depth=1
	s_or_b64 exec, exec, s[2:3]
	s_waitcnt lgkmcnt(0)
	s_barrier
	s_mov_b64 s[2:3], exec
	v_readlane_b32 s8, v50, 31
	v_readlane_b32 s9, v50, 32
	s_and_b64 s[8:9], s[2:3], s[8:9]
	s_mov_b64 exec, s[8:9]
	s_cbranch_execz .LBB62_86
; %bb.76:                               ;   in Loop: Header=BB62_6 Depth=1
	v_readlane_b32 s8, v50, 37
	v_readlane_b32 s9, v50, 38
	s_andn2_b64 vcc, exec, s[8:9]
	v_mov_b32_e32 v1, 0
	s_cbranch_vccnz .LBB62_85
; %bb.77:                               ;   in Loop: Header=BB62_6 Depth=1
	v_readlane_b32 s8, v50, 51
	v_readlane_b32 s9, v50, 52
	s_andn2_b64 vcc, exec, s[8:9]
	s_cbranch_vccnz .LBB62_81
; %bb.78:                               ;   in Loop: Header=BB62_6 Depth=1
	v_readlane_b32 s8, v50, 25
	v_readlane_b32 s9, v50, 26
	v_lshl_add_u32 v2, s9, 8, v36
	s_mov_b32 s7, 0
	v_mov_b32_e32 v1, 0
.LBB62_79:                              ;   Parent Loop BB62_6 Depth=1
                                        ; =>  This Inner Loop Header: Depth=2
	ds_read2_b32 v[3:4], v2 offset1:4
	ds_read2_b32 v[12:13], v2 offset0:8 offset1:12
	s_add_i32 s7, s7, 8
	s_cmp_eq_u32 s19, s7
	s_waitcnt lgkmcnt(1)
	v_add3_u32 v1, v3, v1, v4
	ds_read2_b32 v[3:4], v2 offset0:16 offset1:20
	s_waitcnt lgkmcnt(1)
	v_add3_u32 v1, v12, v1, v13
	s_waitcnt lgkmcnt(0)
	v_add3_u32 v1, v3, v1, v4
	ds_read2_b32 v[3:4], v2 offset0:24 offset1:28
	v_add_u32_e32 v2, 0x80, v2
	s_waitcnt lgkmcnt(0)
	v_add3_u32 v1, v3, v1, v4
	s_cbranch_scc0 .LBB62_79
; %bb.80:                               ;   in Loop: Header=BB62_6 Depth=1
	s_mov_b32 s7, s19
	s_branch .LBB62_82
.LBB62_81:                              ;   in Loop: Header=BB62_6 Depth=1
	v_mov_b32_e32 v1, 0
	s_mov_b32 s7, 0
.LBB62_82:                              ;   in Loop: Header=BB62_6 Depth=1
	v_readlane_b32 s8, v50, 54
	v_readlane_b32 s9, v50, 55
	s_andn2_b64 vcc, exec, s[8:9]
	s_cbranch_vccnz .LBB62_85
; %bb.83:                               ;   in Loop: Header=BB62_6 Depth=1
	v_readlane_b32 s8, v50, 25
	v_readlane_b32 s9, v50, 26
	s_lshl_b32 s8, s9, 8
	s_lshl_b32 s7, s7, 4
	s_add_i32 s8, s8, s7
	v_add_u32_e32 v2, s8, v36
	v_readlane_b32 s7, v50, 53
.LBB62_84:                              ;   Parent Loop BB62_6 Depth=1
                                        ; =>  This Inner Loop Header: Depth=2
	ds_read_b32 v3, v2
	s_add_i32 s7, s7, -1
	v_add_u32_e32 v2, 16, v2
	s_cmp_lg_u32 s7, 0
	s_waitcnt lgkmcnt(0)
	v_add_u32_e32 v1, v3, v1
	s_cbranch_scc1 .LBB62_84
.LBB62_85:                              ;   in Loop: Header=BB62_6 Depth=1
	v_add_lshl_u32 v2, s6, v24, 2
	ds_write_b32 v2, v1 offset:3072
.LBB62_86:                              ;   in Loop: Header=BB62_6 Depth=1
	s_or_b64 exec, exec, s[2:3]
	s_lshl_b32 s2, s6, 2
	v_mov_b32_e32 v1, s2
	s_waitcnt lgkmcnt(0)
	s_barrier
	ds_read_b128 v[1:4], v1 offset:3072
	v_readlane_b32 s2, v50, 29
	s_lshl_b32 s58, 3, s38
	v_readlane_b32 s3, v50, 30
	s_not_b32 s59, s58
	s_waitcnt lgkmcnt(0)
	v_readfirstlane_b32 s39, v1
	v_readfirstlane_b32 s18, v2
	;; [unrolled: 1-line block ×4, first 2 shown]
	v_cmp_eq_u32_e64 s[26:27], 1, v44
	s_mov_b64 s[50:51], -1
	s_mov_b64 s[30:31], 0
	s_andn2_b64 vcc, exec, s[2:3]
	s_mov_b64 s[92:93], 0
	s_mov_b64 s[34:35], 0
                                        ; implicit-def: $sgpr94_sgpr95
                                        ; implicit-def: $sgpr48_sgpr49
                                        ; implicit-def: $vgpr4
                                        ; implicit-def: $vgpr1
                                        ; implicit-def: $vgpr3
                                        ; implicit-def: $vgpr2
                                        ; implicit-def: $vgpr8
	s_cbranch_vccnz .LBB62_244
; %bb.87:                               ;   in Loop: Header=BB62_6 Depth=1
	s_cmp_eq_u32 s39, 1
	s_cselect_b64 s[2:3], -1, 0
	s_and_b64 s[6:7], s[2:3], s[26:27]
	s_mov_b64 s[2:3], -1
	v_mov_b32_e32 v3, v37
	v_mov_b32_e32 v2, v42
	;; [unrolled: 1-line block ×3, first 2 shown]
                                        ; implicit-def: $sgpr48_sgpr49
                                        ; implicit-def: $sgpr94_sgpr95
	s_and_saveexec_b64 s[12:13], s[6:7]
	s_cbranch_execz .LBB62_113
; %bb.88:                               ;   in Loop: Header=BB62_6 Depth=1
	ds_read_b32 v1, v9 offset:4096
	s_waitcnt lgkmcnt(0)
	s_barrier
	v_readfirstlane_b32 s8, v1
	s_mov_b64 s[2:3], exec
	v_readlane_b32 s14, v50, 39
	v_readlane_b32 s15, v50, 40
	s_and_b64 s[14:15], s[2:3], s[14:15]
	s_mov_b64 exec, s[14:15]
; %bb.89:                               ;   in Loop: Header=BB62_6 Depth=1
	ds_write_b16 v26, v9
; %bb.90:                               ;   in Loop: Header=BB62_6 Depth=1
	s_or_b64 exec, exec, s[2:3]
	v_and_b32_e32 v3, s59, v37
	v_or_b32_e32 v2, s58, v42
	s_mov_b64 s[94:95], -1
	s_mov_b64 s[48:49], 0
	s_cmp_eq_u32 s8, 0
	s_mov_b64 s[2:3], 0
	s_mov_b64 s[14:15], -1
	s_waitcnt lgkmcnt(0)
	s_barrier
                                        ; implicit-def: $vgpr8
	s_cbranch_scc1 .LBB62_101
; %bb.91:                               ;   in Loop: Header=BB62_6 Depth=1
	v_readlane_b32 s2, v50, 41
	s_add_i32 s2, s8, s2
	v_readlane_b32 s3, v50, 61
	s_mul_hi_u32 s3, s2, s3
	s_mul_i32 s3, s3, s60
	s_sub_i32 s3, s2, s3
	s_sub_i32 s9, s3, s60
	s_cmp_ge_u32 s3, s60
	s_cselect_b32 s3, s9, s3
	s_sub_i32 s9, s3, s60
	s_cmp_ge_u32 s3, s60
	s_cselect_b32 s3, s9, s3
	s_sub_i32 s9, s2, s3
	v_cmp_gt_u32_e32 vcc, s9, v0
	s_mov_b64 s[14:15], 0
	s_mov_b64 s[2:3], 0
                                        ; implicit-def: $vgpr8
	s_and_saveexec_b64 s[16:17], vcc
	s_cbranch_execz .LBB62_100
; %bb.92:                               ;   in Loop: Header=BB62_6 Depth=1
	v_mov_b32_e32 v1, v25
	v_mov_b32_e32 v4, v0
                                        ; implicit-def: $sgpr24_sgpr25
	s_branch .LBB62_95
.LBB62_93:                              ;   in Loop: Header=BB62_95 Depth=2
	s_or_b64 exec, exec, s[22:23]
	s_waitcnt lgkmcnt(0)
	s_barrier
	ds_read_b32 v8, v9 offset:3072
	s_mov_b64 s[22:23], -1
	s_waitcnt lgkmcnt(0)
	s_barrier
	v_cmp_ne_u32_sdwa s[28:29], v8, v9 src0_sel:WORD_0 src1_sel:DWORD
	s_and_b64 vcc, exec, s[28:29]
	s_mov_b64 s[28:29], -1
	s_cbranch_vccz .LBB62_98
.LBB62_94:                              ;   in Loop: Header=BB62_95 Depth=2
	s_and_b64 s[22:23], exec, s[22:23]
	s_or_b64 s[2:3], s[22:23], s[2:3]
	s_andn2_b64 s[22:23], s[24:25], exec
	s_and_b64 s[24:25], s[28:29], exec
	s_or_b64 s[24:25], s[22:23], s[24:25]
	s_andn2_b64 exec, exec, s[2:3]
	s_cbranch_execz .LBB62_99
.LBB62_95:                              ;   Parent Loop BB62_6 Depth=1
                                        ; =>  This Inner Loop Header: Depth=2
	v_cmp_gt_u32_e32 vcc, s8, v4
	s_and_saveexec_b64 s[22:23], vcc
	s_cbranch_execz .LBB62_93
; %bb.96:                               ;   in Loop: Header=BB62_95 Depth=2
	ds_read_u16 v8, v1
	s_waitcnt lgkmcnt(0)
	v_add_u32_sdwa v12, sext(v8), s5 dst_sel:DWORD dst_unused:UNUSED_PAD src0_sel:WORD_0 src1_sel:DWORD
	v_and_b32_e32 v12, v12, v2
	v_cmp_eq_u32_e32 vcc, v12, v3
	s_and_b64 exec, exec, vcc
	s_cbranch_execz .LBB62_93
; %bb.97:                               ;   in Loop: Header=BB62_95 Depth=2
	v_perm_b32 v8, v8, 1, v41
	ds_write_b32 v9, v8 offset:3072
	s_branch .LBB62_93
.LBB62_98:                              ;   in Loop: Header=BB62_95 Depth=2
	v_add_u32_e32 v4, s60, v4
	v_cmp_le_u32_e32 vcc, s9, v4
	v_add_u32_e32 v1, s4, v1
	s_mov_b64 s[28:29], 0
	s_orn2_b64 s[22:23], vcc, exec
	s_branch .LBB62_94
.LBB62_99:                              ;   in Loop: Header=BB62_6 Depth=1
	s_or_b64 exec, exec, s[2:3]
	v_lshrrev_b32_e32 v8, 16, v8
	s_and_b64 s[2:3], s[24:25], exec
.LBB62_100:                             ;   in Loop: Header=BB62_6 Depth=1
	s_or_b64 exec, exec, s[16:17]
.LBB62_101:                             ;   in Loop: Header=BB62_6 Depth=1
	s_and_b64 vcc, exec, s[14:15]
	s_cbranch_vccz .LBB62_112
; %bb.102:                              ;   in Loop: Header=BB62_6 Depth=1
                                        ; implicit-def: $vgpr8
	s_mov_b64 s[14:15], exec
	v_readlane_b32 s8, v50, 63
	v_readlane_b32 s9, v49, 0
	s_and_b64 s[8:9], s[14:15], s[8:9]
	s_mov_b64 exec, s[8:9]
	s_cbranch_execz .LBB62_111
; %bb.103:                              ;   in Loop: Header=BB62_6 Depth=1
	s_mov_b64 s[16:17], 0
	v_mov_b32_e32 v8, v7
	v_mov_b32_e32 v1, v0
                                        ; implicit-def: $sgpr24_sgpr25
	s_branch .LBB62_106
.LBB62_104:                             ;   in Loop: Header=BB62_106 Depth=2
	s_or_b64 exec, exec, s[28:29]
	s_waitcnt lgkmcnt(0)
	s_barrier
	ds_read_b32 v4, v9 offset:3072
	s_mov_b64 s[22:23], -1
	s_mov_b64 s[28:29], -1
	s_waitcnt lgkmcnt(0)
	s_barrier
	v_cmp_ne_u32_sdwa s[8:9], v4, v9 src0_sel:WORD_0 src1_sel:DWORD
	s_and_b64 vcc, exec, s[8:9]
	s_cbranch_vccz .LBB62_109
.LBB62_105:                             ;   in Loop: Header=BB62_106 Depth=2
	s_and_b64 s[8:9], exec, s[22:23]
	s_or_b64 s[16:17], s[8:9], s[16:17]
	s_andn2_b64 s[8:9], s[24:25], exec
	s_and_b64 s[22:23], s[28:29], exec
	s_or_b64 s[24:25], s[8:9], s[22:23]
	s_andn2_b64 exec, exec, s[16:17]
	s_cbranch_execz .LBB62_110
.LBB62_106:                             ;   Parent Loop BB62_6 Depth=1
                                        ; =>  This Inner Loop Header: Depth=2
	v_cmp_gt_u32_e32 vcc, s36, v1
	s_and_saveexec_b64 s[28:29], vcc
	s_cbranch_execz .LBB62_104
; %bb.107:                              ;   in Loop: Header=BB62_106 Depth=2
	v_lshlrev_b64 v[12:13], 1, v[8:9]
	v_mov_b32_e32 v4, s56
	v_add_co_u32_e32 v12, vcc, s33, v12
	v_addc_co_u32_e32 v13, vcc, v4, v13, vcc
	global_load_ushort v4, v[12:13], off
	s_waitcnt vmcnt(0)
	v_add_u32_sdwa v12, sext(v4), s5 dst_sel:DWORD dst_unused:UNUSED_PAD src0_sel:WORD_0 src1_sel:DWORD
	v_and_b32_e32 v12, v12, v2
	v_cmp_eq_u32_e32 vcc, v12, v3
	s_and_b64 exec, exec, vcc
	s_cbranch_execz .LBB62_104
; %bb.108:                              ;   in Loop: Header=BB62_106 Depth=2
	v_perm_b32 v4, v4, 1, v41
	ds_write_b32 v9, v4 offset:3072
	s_branch .LBB62_104
.LBB62_109:                             ;   in Loop: Header=BB62_106 Depth=2
	v_add_u32_e32 v1, s60, v1
	v_readlane_b32 s8, v50, 62
	v_cmp_le_u32_e32 vcc, s8, v1
	v_add_u32_e32 v8, s62, v8
	s_mov_b64 s[28:29], 0
	s_orn2_b64 s[22:23], vcc, exec
	s_branch .LBB62_105
.LBB62_110:                             ;   in Loop: Header=BB62_6 Depth=1
	s_or_b64 exec, exec, s[16:17]
	s_andn2_b64 s[2:3], s[2:3], exec
	s_and_b64 s[8:9], s[24:25], exec
	v_lshrrev_b32_e32 v8, 16, v4
	s_or_b64 s[2:3], s[2:3], s[8:9]
.LBB62_111:                             ;   in Loop: Header=BB62_6 Depth=1
	s_or_b64 exec, exec, s[14:15]
	s_mov_b64 s[94:95], 0
	s_mov_b64 s[48:49], -1
.LBB62_112:                             ;   in Loop: Header=BB62_6 Depth=1
	s_orn2_b64 s[2:3], s[2:3], exec
.LBB62_113:                             ;   in Loop: Header=BB62_6 Depth=1
	s_or_b64 exec, exec, s[12:13]
	s_mov_b64 s[50:51], 0
	s_mov_b64 s[92:93], 0
	;; [unrolled: 1-line block ×3, first 2 shown]
                                        ; implicit-def: $vgpr4
                                        ; implicit-def: $vgpr1
	s_and_saveexec_b64 s[40:41], s[2:3]
	s_cbranch_execz .LBB62_243
; %bb.114:                              ;   in Loop: Header=BB62_6 Depth=1
	s_xor_b64 s[8:9], s[6:7], -1
	s_mov_b64 s[6:7], 0
	v_mov_b32_e32 v4, 1
	v_mov_b32_e32 v1, 1
	s_and_saveexec_b64 s[2:3], s[8:9]
	s_cbranch_execz .LBB62_123
; %bb.115:                              ;   in Loop: Header=BB62_6 Depth=1
	v_cmp_ge_u32_e32 vcc, s39, v44
	s_and_saveexec_b64 s[6:7], vcc
	s_xor_b64 s[6:7], exec, s[6:7]
	s_cbranch_execz .LBB62_120
; %bb.116:                              ;   in Loop: Header=BB62_6 Depth=1
	ds_read_b32 v1, v9 offset:4096
	v_and_b32_e32 v3, s59, v3
	v_or_b32_e32 v2, s58, v2
	s_waitcnt lgkmcnt(0)
	v_cmp_ne_u32_e32 vcc, 0, v1
	s_cbranch_vccnz .LBB62_120
; %bb.117:                              ;   in Loop: Header=BB62_6 Depth=1
	s_mov_b64 s[8:9], exec
	v_readlane_b32 s12, v50, 22
	v_readlane_b32 s13, v50, 23
	s_and_b64 s[12:13], s[8:9], s[12:13]
	s_mov_b64 exec, s[12:13]
; %bb.118:                              ;   in Loop: Header=BB62_6 Depth=1
	v_mov_b32_e32 v1, s39
	ds_write_b32 v9, v1 offset:4100
; %bb.119:                              ;   in Loop: Header=BB62_6 Depth=1
	s_or_b64 exec, exec, s[8:9]
	s_waitcnt lgkmcnt(0)
	s_barrier
.LBB62_120:                             ;   in Loop: Header=BB62_6 Depth=1
	s_or_saveexec_b64 s[6:7], s[6:7]
	s_mov_b64 s[12:13], 0
	v_mov_b32_e32 v1, 8
	v_mov_b32_e32 v4, v44
	s_xor_b64 exec, exec, s[6:7]
; %bb.121:                              ;   in Loop: Header=BB62_6 Depth=1
	s_mov_b64 s[12:13], exec
	v_subrev_u32_e32 v4, s39, v44
	v_mov_b32_e32 v1, 0
; %bb.122:                              ;   in Loop: Header=BB62_6 Depth=1
	s_or_b64 exec, exec, s[6:7]
	s_and_b64 s[6:7], s[12:13], exec
.LBB62_123:                             ;   in Loop: Header=BB62_6 Depth=1
	s_or_b64 exec, exec, s[2:3]
	s_mov_b64 s[2:3], -1
                                        ; implicit-def: $sgpr34_sgpr35
                                        ; implicit-def: $sgpr42_sgpr43
	s_and_saveexec_b64 s[8:9], s[6:7]
	s_xor_b64 s[6:7], exec, s[8:9]
	s_cbranch_execz .LBB62_240
; %bb.124:                              ;   in Loop: Header=BB62_6 Depth=1
	s_cmp_eq_u32 s18, 1
	s_cselect_b64 s[2:3], -1, 0
	v_cmp_eq_u32_e32 vcc, 1, v4
	s_and_b64 s[12:13], s[2:3], vcc
	s_mov_b64 s[2:3], -1
                                        ; implicit-def: $sgpr42_sgpr43
                                        ; implicit-def: $sgpr34_sgpr35
	s_and_saveexec_b64 s[14:15], s[12:13]
	s_cbranch_execz .LBB62_150
; %bb.125:                              ;   in Loop: Header=BB62_6 Depth=1
	ds_read_b32 v8, v9 offset:4096
	s_waitcnt lgkmcnt(0)
	s_barrier
	v_readfirstlane_b32 s8, v8
	s_mov_b64 s[2:3], exec
	v_readlane_b32 s16, v50, 39
	v_readlane_b32 s17, v50, 40
	s_and_b64 s[16:17], s[2:3], s[16:17]
	s_mov_b64 exec, s[16:17]
; %bb.126:                              ;   in Loop: Header=BB62_6 Depth=1
	ds_write_b16 v26, v9
; %bb.127:                              ;   in Loop: Header=BB62_6 Depth=1
	s_or_b64 exec, exec, s[2:3]
	v_and_b32_e32 v3, s59, v3
	v_lshl_or_b32 v3, 1, s38, v3
	v_or_b32_e32 v2, s58, v2
	s_mov_b64 s[34:35], -1
	s_mov_b64 s[42:43], 0
	s_cmp_eq_u32 s8, 0
	s_mov_b64 s[16:17], 0
	s_mov_b64 s[2:3], -1
	s_waitcnt lgkmcnt(0)
	s_barrier
                                        ; implicit-def: $vgpr8
	s_cbranch_scc1 .LBB62_138
; %bb.128:                              ;   in Loop: Header=BB62_6 Depth=1
	v_readlane_b32 s2, v50, 41
	s_add_i32 s2, s8, s2
	v_readlane_b32 s3, v50, 61
	s_mul_hi_u32 s3, s2, s3
	s_mul_i32 s3, s3, s60
	s_sub_i32 s3, s2, s3
	s_sub_i32 s9, s3, s60
	s_cmp_ge_u32 s3, s60
	s_cselect_b32 s3, s9, s3
	s_sub_i32 s9, s3, s60
	s_cmp_ge_u32 s3, s60
	s_cselect_b32 s3, s9, s3
	s_sub_i32 s9, s2, s3
	v_cmp_gt_u32_e32 vcc, s9, v0
	s_mov_b64 s[2:3], 0
                                        ; implicit-def: $vgpr8
	s_and_saveexec_b64 s[24:25], vcc
	s_cbranch_execz .LBB62_137
; %bb.129:                              ;   in Loop: Header=BB62_6 Depth=1
	v_mov_b32_e32 v8, v25
	v_mov_b32_e32 v12, v0
                                        ; implicit-def: $sgpr28_sgpr29
	s_branch .LBB62_132
.LBB62_130:                             ;   in Loop: Header=BB62_132 Depth=2
	s_or_b64 exec, exec, s[44:45]
	s_waitcnt lgkmcnt(0)
	s_barrier
	ds_read_b32 v13, v9 offset:3072
	s_mov_b64 s[22:23], -1
	s_waitcnt lgkmcnt(0)
	s_barrier
	v_cmp_ne_u32_sdwa s[44:45], v13, v9 src0_sel:WORD_0 src1_sel:DWORD
	s_and_b64 vcc, exec, s[44:45]
	s_mov_b64 s[44:45], -1
	s_cbranch_vccz .LBB62_135
.LBB62_131:                             ;   in Loop: Header=BB62_132 Depth=2
	s_and_b64 s[22:23], exec, s[22:23]
	s_or_b64 s[16:17], s[22:23], s[16:17]
	s_andn2_b64 s[22:23], s[28:29], exec
	s_and_b64 s[28:29], s[44:45], exec
	s_or_b64 s[28:29], s[22:23], s[28:29]
	s_andn2_b64 exec, exec, s[16:17]
	s_cbranch_execz .LBB62_136
.LBB62_132:                             ;   Parent Loop BB62_6 Depth=1
                                        ; =>  This Inner Loop Header: Depth=2
	v_cmp_gt_u32_e32 vcc, s8, v12
	s_and_saveexec_b64 s[44:45], vcc
	s_cbranch_execz .LBB62_130
; %bb.133:                              ;   in Loop: Header=BB62_132 Depth=2
	ds_read_u16 v13, v8
	s_waitcnt lgkmcnt(0)
	v_add_u32_sdwa v14, sext(v13), s5 dst_sel:DWORD dst_unused:UNUSED_PAD src0_sel:WORD_0 src1_sel:DWORD
	v_and_b32_e32 v14, v14, v2
	v_cmp_eq_u32_e32 vcc, v14, v3
	s_and_b64 exec, exec, vcc
	s_cbranch_execz .LBB62_130
; %bb.134:                              ;   in Loop: Header=BB62_132 Depth=2
	v_perm_b32 v13, v13, 1, v41
	ds_write_b32 v9, v13 offset:3072
	s_branch .LBB62_130
.LBB62_135:                             ;   in Loop: Header=BB62_132 Depth=2
	v_add_u32_e32 v12, s60, v12
	v_cmp_le_u32_e32 vcc, s9, v12
	v_add_u32_e32 v8, s4, v8
	s_mov_b64 s[44:45], 0
	s_orn2_b64 s[22:23], vcc, exec
	s_branch .LBB62_131
.LBB62_136:                             ;   in Loop: Header=BB62_6 Depth=1
	s_or_b64 exec, exec, s[16:17]
	v_lshrrev_b32_e32 v8, 16, v13
	s_and_b64 s[16:17], s[28:29], exec
.LBB62_137:                             ;   in Loop: Header=BB62_6 Depth=1
	s_or_b64 exec, exec, s[24:25]
.LBB62_138:                             ;   in Loop: Header=BB62_6 Depth=1
	s_and_b64 vcc, exec, s[2:3]
	s_cbranch_vccz .LBB62_149
; %bb.139:                              ;   in Loop: Header=BB62_6 Depth=1
                                        ; implicit-def: $vgpr8
	s_mov_b64 s[2:3], exec
	v_readlane_b32 s8, v50, 63
	v_readlane_b32 s9, v49, 0
	s_and_b64 s[8:9], s[2:3], s[8:9]
	s_mov_b64 exec, s[8:9]
	s_cbranch_execz .LBB62_148
; %bb.140:                              ;   in Loop: Header=BB62_6 Depth=1
	s_mov_b64 s[24:25], 0
	v_mov_b32_e32 v8, v7
	v_mov_b32_e32 v12, v0
                                        ; implicit-def: $sgpr28_sgpr29
	s_branch .LBB62_143
.LBB62_141:                             ;   in Loop: Header=BB62_143 Depth=2
	s_or_b64 exec, exec, s[34:35]
	s_waitcnt lgkmcnt(0)
	s_barrier
	ds_read_b32 v13, v9 offset:3072
	s_mov_b64 s[22:23], -1
	s_mov_b64 s[34:35], -1
	s_waitcnt lgkmcnt(0)
	s_barrier
	v_cmp_eq_u32_sdwa s[8:9], v13, v9 src0_sel:WORD_0 src1_sel:DWORD
	s_and_b64 vcc, exec, s[8:9]
	s_cbranch_vccnz .LBB62_146
.LBB62_142:                             ;   in Loop: Header=BB62_143 Depth=2
	s_and_b64 s[8:9], exec, s[22:23]
	s_or_b64 s[24:25], s[8:9], s[24:25]
	s_andn2_b64 s[8:9], s[28:29], exec
	s_and_b64 s[22:23], s[34:35], exec
	s_or_b64 s[28:29], s[8:9], s[22:23]
	s_andn2_b64 exec, exec, s[24:25]
	s_cbranch_execz .LBB62_147
.LBB62_143:                             ;   Parent Loop BB62_6 Depth=1
                                        ; =>  This Inner Loop Header: Depth=2
	v_cmp_gt_u32_e32 vcc, s36, v12
	s_and_saveexec_b64 s[34:35], vcc
	s_cbranch_execz .LBB62_141
; %bb.144:                              ;   in Loop: Header=BB62_143 Depth=2
	v_lshlrev_b64 v[13:14], 1, v[8:9]
	v_mov_b32_e32 v15, s56
	v_add_co_u32_e32 v13, vcc, s33, v13
	v_addc_co_u32_e32 v14, vcc, v15, v14, vcc
	global_load_ushort v13, v[13:14], off
	s_waitcnt vmcnt(0)
	v_add_u32_sdwa v14, sext(v13), s5 dst_sel:DWORD dst_unused:UNUSED_PAD src0_sel:WORD_0 src1_sel:DWORD
	v_and_b32_e32 v14, v14, v2
	v_cmp_eq_u32_e32 vcc, v14, v3
	s_and_b64 exec, exec, vcc
	s_cbranch_execz .LBB62_141
; %bb.145:                              ;   in Loop: Header=BB62_143 Depth=2
	v_perm_b32 v13, v13, 1, v41
	ds_write_b32 v9, v13 offset:3072
	s_branch .LBB62_141
.LBB62_146:                             ;   in Loop: Header=BB62_143 Depth=2
	v_add_u32_e32 v12, s60, v12
	v_readlane_b32 s8, v50, 62
	v_cmp_le_u32_e32 vcc, s8, v12
	v_add_u32_e32 v8, s62, v8
	s_mov_b64 s[34:35], 0
	s_orn2_b64 s[22:23], vcc, exec
	s_branch .LBB62_142
.LBB62_147:                             ;   in Loop: Header=BB62_6 Depth=1
	s_or_b64 exec, exec, s[24:25]
	s_andn2_b64 s[8:9], s[16:17], exec
	s_and_b64 s[16:17], s[28:29], exec
	v_lshrrev_b32_e32 v8, 16, v13
	s_or_b64 s[16:17], s[8:9], s[16:17]
.LBB62_148:                             ;   in Loop: Header=BB62_6 Depth=1
	s_or_b64 exec, exec, s[2:3]
	s_mov_b64 s[34:35], 0
	s_mov_b64 s[42:43], -1
.LBB62_149:                             ;   in Loop: Header=BB62_6 Depth=1
	s_orn2_b64 s[2:3], s[16:17], exec
.LBB62_150:                             ;   in Loop: Header=BB62_6 Depth=1
	s_or_b64 exec, exec, s[14:15]
	s_mov_b64 s[14:15], 0
	s_and_saveexec_b64 s[92:93], s[2:3]
	s_cbranch_execz .LBB62_239
; %bb.151:                              ;   in Loop: Header=BB62_6 Depth=1
	s_xor_b64 s[8:9], s[12:13], -1
	s_mov_b64 s[12:13], 0
	v_mov_b32_e32 v12, 1
	v_mov_b32_e32 v1, 1
	s_and_saveexec_b64 s[2:3], s[8:9]
	s_cbranch_execz .LBB62_160
; %bb.152:                              ;   in Loop: Header=BB62_6 Depth=1
	v_cmp_ge_u32_e32 vcc, s18, v4
	s_and_saveexec_b64 s[8:9], vcc
	s_xor_b64 s[12:13], exec, s[8:9]
	s_cbranch_execz .LBB62_157
; %bb.153:                              ;   in Loop: Header=BB62_6 Depth=1
	v_and_b32_e32 v1, s59, v3
	v_lshl_or_b32 v3, 1, s38, v1
	ds_read_b32 v1, v9 offset:4096
	v_or_b32_e32 v2, s58, v2
	s_waitcnt lgkmcnt(0)
	v_cmp_ne_u32_e32 vcc, 0, v1
	s_cbranch_vccnz .LBB62_157
; %bb.154:                              ;   in Loop: Header=BB62_6 Depth=1
	s_mov_b64 s[8:9], exec
	v_readlane_b32 s14, v50, 22
	v_readlane_b32 s15, v50, 23
	s_and_b64 s[14:15], s[8:9], s[14:15]
	s_mov_b64 exec, s[14:15]
; %bb.155:                              ;   in Loop: Header=BB62_6 Depth=1
	v_mov_b32_e32 v1, s18
	ds_write_b32 v9, v1 offset:4100
; %bb.156:                              ;   in Loop: Header=BB62_6 Depth=1
	s_or_b64 exec, exec, s[8:9]
	s_waitcnt lgkmcnt(0)
	s_barrier
.LBB62_157:                             ;   in Loop: Header=BB62_6 Depth=1
	s_or_saveexec_b64 s[12:13], s[12:13]
	s_mov_b64 s[14:15], 0
	v_mov_b32_e32 v1, 8
	s_xor_b64 exec, exec, s[12:13]
; %bb.158:                              ;   in Loop: Header=BB62_6 Depth=1
	s_mov_b64 s[14:15], exec
	v_subrev_u32_e32 v4, s18, v4
	v_mov_b32_e32 v1, 0
; %bb.159:                              ;   in Loop: Header=BB62_6 Depth=1
	s_or_b64 exec, exec, s[12:13]
	s_and_b64 s[12:13], s[14:15], exec
	v_mov_b32_e32 v12, v4
.LBB62_160:                             ;   in Loop: Header=BB62_6 Depth=1
	s_or_b64 exec, exec, s[2:3]
	s_mov_b64 s[2:3], -1
                                        ; implicit-def: $sgpr46_sgpr47
                                        ; implicit-def: $sgpr14_sgpr15
	s_and_saveexec_b64 s[44:45], s[12:13]
	s_cbranch_execz .LBB62_238
; %bb.161:                              ;   in Loop: Header=BB62_6 Depth=1
	s_cmp_eq_u32 s57, 1
	s_cselect_b64 s[2:3], -1, 0
	v_cmp_eq_u32_e32 vcc, 1, v12
	s_and_b64 s[12:13], s[2:3], vcc
	s_mov_b64 s[2:3], -1
                                        ; implicit-def: $sgpr14_sgpr15
                                        ; implicit-def: $sgpr46_sgpr47
	s_and_saveexec_b64 s[16:17], s[12:13]
	s_cbranch_execz .LBB62_187
; %bb.162:                              ;   in Loop: Header=BB62_6 Depth=1
	ds_read_b32 v4, v9 offset:4096
	s_waitcnt lgkmcnt(0)
	s_barrier
	v_readfirstlane_b32 s8, v4
	s_mov_b64 s[2:3], exec
	v_readlane_b32 s14, v50, 39
	v_readlane_b32 s15, v50, 40
	s_and_b64 s[14:15], s[2:3], s[14:15]
	s_mov_b64 exec, s[14:15]
; %bb.163:                              ;   in Loop: Header=BB62_6 Depth=1
	ds_write_b16 v26, v9
; %bb.164:                              ;   in Loop: Header=BB62_6 Depth=1
	s_or_b64 exec, exec, s[2:3]
	v_and_b32_e32 v3, s59, v3
	v_lshl_or_b32 v3, 2, s38, v3
	v_or_b32_e32 v2, s58, v2
	s_mov_b64 s[46:47], -1
	s_mov_b64 s[14:15], 0
	s_cmp_eq_u32 s8, 0
	s_mov_b64 s[24:25], 0
	s_mov_b64 s[2:3], -1
	s_waitcnt lgkmcnt(0)
	s_barrier
                                        ; implicit-def: $vgpr8
	s_cbranch_scc1 .LBB62_175
; %bb.165:                              ;   in Loop: Header=BB62_6 Depth=1
	v_readlane_b32 s2, v50, 41
	s_add_i32 s2, s8, s2
	v_readlane_b32 s3, v50, 61
	s_mul_hi_u32 s3, s2, s3
	s_mul_i32 s3, s3, s60
	s_sub_i32 s3, s2, s3
	s_sub_i32 s9, s3, s60
	s_cmp_ge_u32 s3, s60
	s_cselect_b32 s3, s9, s3
	s_sub_i32 s9, s3, s60
	s_cmp_ge_u32 s3, s60
	s_cselect_b32 s3, s9, s3
	s_sub_i32 s9, s2, s3
	v_cmp_gt_u32_e32 vcc, s9, v0
	s_mov_b64 s[2:3], 0
                                        ; implicit-def: $vgpr8
	s_and_saveexec_b64 s[28:29], vcc
	s_cbranch_execz .LBB62_174
; %bb.166:                              ;   in Loop: Header=BB62_6 Depth=1
	v_mov_b32_e32 v4, v25
	v_mov_b32_e32 v8, v0
                                        ; implicit-def: $sgpr52_sgpr53
	s_branch .LBB62_169
.LBB62_167:                             ;   in Loop: Header=BB62_169 Depth=2
	s_or_b64 exec, exec, s[54:55]
	s_waitcnt lgkmcnt(0)
	s_barrier
	ds_read_b32 v13, v9 offset:3072
	s_mov_b64 s[22:23], -1
	s_waitcnt lgkmcnt(0)
	s_barrier
	v_cmp_ne_u32_sdwa s[54:55], v13, v9 src0_sel:WORD_0 src1_sel:DWORD
	s_and_b64 vcc, exec, s[54:55]
	s_mov_b64 s[54:55], -1
	s_cbranch_vccz .LBB62_172
.LBB62_168:                             ;   in Loop: Header=BB62_169 Depth=2
	s_and_b64 s[22:23], exec, s[22:23]
	s_or_b64 s[24:25], s[22:23], s[24:25]
	s_andn2_b64 s[22:23], s[52:53], exec
	s_and_b64 s[52:53], s[54:55], exec
	s_or_b64 s[52:53], s[22:23], s[52:53]
	s_andn2_b64 exec, exec, s[24:25]
	s_cbranch_execz .LBB62_173
.LBB62_169:                             ;   Parent Loop BB62_6 Depth=1
                                        ; =>  This Inner Loop Header: Depth=2
	v_cmp_gt_u32_e32 vcc, s8, v8
	s_and_saveexec_b64 s[54:55], vcc
	s_cbranch_execz .LBB62_167
; %bb.170:                              ;   in Loop: Header=BB62_169 Depth=2
	ds_read_u16 v13, v4
	s_waitcnt lgkmcnt(0)
	v_add_u32_sdwa v14, sext(v13), s5 dst_sel:DWORD dst_unused:UNUSED_PAD src0_sel:WORD_0 src1_sel:DWORD
	v_and_b32_e32 v14, v14, v2
	v_cmp_eq_u32_e32 vcc, v14, v3
	s_and_b64 exec, exec, vcc
	s_cbranch_execz .LBB62_167
; %bb.171:                              ;   in Loop: Header=BB62_169 Depth=2
	v_perm_b32 v13, v13, 1, v41
	ds_write_b32 v9, v13 offset:3072
	s_branch .LBB62_167
.LBB62_172:                             ;   in Loop: Header=BB62_169 Depth=2
	v_add_u32_e32 v8, s60, v8
	v_cmp_le_u32_e32 vcc, s9, v8
	v_add_u32_e32 v4, s4, v4
	s_mov_b64 s[54:55], 0
	s_orn2_b64 s[22:23], vcc, exec
	s_branch .LBB62_168
.LBB62_173:                             ;   in Loop: Header=BB62_6 Depth=1
	s_or_b64 exec, exec, s[24:25]
	v_lshrrev_b32_e32 v8, 16, v13
	s_and_b64 s[24:25], s[52:53], exec
.LBB62_174:                             ;   in Loop: Header=BB62_6 Depth=1
	s_or_b64 exec, exec, s[28:29]
.LBB62_175:                             ;   in Loop: Header=BB62_6 Depth=1
	s_and_b64 vcc, exec, s[2:3]
	s_cbranch_vccz .LBB62_186
; %bb.176:                              ;   in Loop: Header=BB62_6 Depth=1
                                        ; implicit-def: $vgpr8
	s_mov_b64 s[2:3], exec
	v_readlane_b32 s8, v50, 63
	v_readlane_b32 s9, v49, 0
	s_and_b64 s[8:9], s[2:3], s[8:9]
	s_mov_b64 exec, s[8:9]
	s_cbranch_execz .LBB62_185
; %bb.177:                              ;   in Loop: Header=BB62_6 Depth=1
	s_mov_b64 s[14:15], 0
	v_mov_b32_e32 v8, v7
	v_mov_b32_e32 v4, v0
                                        ; implicit-def: $sgpr28_sgpr29
	s_branch .LBB62_180
.LBB62_178:                             ;   in Loop: Header=BB62_180 Depth=2
	s_or_b64 exec, exec, s[46:47]
	s_waitcnt lgkmcnt(0)
	s_barrier
	ds_read_b32 v13, v9 offset:3072
	s_mov_b64 s[22:23], -1
	s_mov_b64 s[46:47], -1
	s_waitcnt lgkmcnt(0)
	s_barrier
	v_cmp_eq_u32_sdwa s[8:9], v13, v9 src0_sel:WORD_0 src1_sel:DWORD
	s_and_b64 vcc, exec, s[8:9]
	s_cbranch_vccnz .LBB62_183
.LBB62_179:                             ;   in Loop: Header=BB62_180 Depth=2
	s_and_b64 s[8:9], exec, s[22:23]
	s_or_b64 s[14:15], s[8:9], s[14:15]
	s_andn2_b64 s[8:9], s[28:29], exec
	s_and_b64 s[22:23], s[46:47], exec
	s_or_b64 s[28:29], s[8:9], s[22:23]
	s_andn2_b64 exec, exec, s[14:15]
	s_cbranch_execz .LBB62_184
.LBB62_180:                             ;   Parent Loop BB62_6 Depth=1
                                        ; =>  This Inner Loop Header: Depth=2
	v_cmp_gt_u32_e32 vcc, s36, v4
	s_and_saveexec_b64 s[46:47], vcc
	s_cbranch_execz .LBB62_178
; %bb.181:                              ;   in Loop: Header=BB62_180 Depth=2
	v_lshlrev_b64 v[13:14], 1, v[8:9]
	v_mov_b32_e32 v15, s56
	v_add_co_u32_e32 v13, vcc, s33, v13
	v_addc_co_u32_e32 v14, vcc, v15, v14, vcc
	global_load_ushort v13, v[13:14], off
	s_waitcnt vmcnt(0)
	v_add_u32_sdwa v14, sext(v13), s5 dst_sel:DWORD dst_unused:UNUSED_PAD src0_sel:WORD_0 src1_sel:DWORD
	v_and_b32_e32 v14, v14, v2
	v_cmp_eq_u32_e32 vcc, v14, v3
	s_and_b64 exec, exec, vcc
	s_cbranch_execz .LBB62_178
; %bb.182:                              ;   in Loop: Header=BB62_180 Depth=2
	v_perm_b32 v13, v13, 1, v41
	ds_write_b32 v9, v13 offset:3072
	s_branch .LBB62_178
.LBB62_183:                             ;   in Loop: Header=BB62_180 Depth=2
	v_add_u32_e32 v4, s60, v4
	v_readlane_b32 s8, v50, 62
	v_cmp_le_u32_e32 vcc, s8, v4
	v_add_u32_e32 v8, s62, v8
	s_mov_b64 s[46:47], 0
	s_orn2_b64 s[22:23], vcc, exec
	s_branch .LBB62_179
.LBB62_184:                             ;   in Loop: Header=BB62_6 Depth=1
	s_or_b64 exec, exec, s[14:15]
	s_andn2_b64 s[8:9], s[24:25], exec
	s_and_b64 s[14:15], s[28:29], exec
	v_lshrrev_b32_e32 v8, 16, v13
	s_or_b64 s[24:25], s[8:9], s[14:15]
.LBB62_185:                             ;   in Loop: Header=BB62_6 Depth=1
	s_or_b64 exec, exec, s[2:3]
	s_mov_b64 s[46:47], 0
	s_mov_b64 s[14:15], -1
.LBB62_186:                             ;   in Loop: Header=BB62_6 Depth=1
	s_orn2_b64 s[2:3], s[24:25], exec
.LBB62_187:                             ;   in Loop: Header=BB62_6 Depth=1
	s_or_b64 exec, exec, s[16:17]
	s_mov_b64 s[24:25], 0
	s_and_saveexec_b64 s[16:17], s[2:3]
	s_cbranch_execz .LBB62_237
; %bb.188:                              ;   in Loop: Header=BB62_6 Depth=1
	s_xor_b64 s[8:9], s[12:13], -1
	s_mov_b64 s[52:53], 0
	v_mov_b32_e32 v4, 1
	v_mov_b32_e32 v1, 1
	s_and_saveexec_b64 s[2:3], s[8:9]
	s_cbranch_execz .LBB62_197
; %bb.189:                              ;   in Loop: Header=BB62_6 Depth=1
	v_cmp_ge_u32_e32 vcc, s57, v12
	s_and_saveexec_b64 s[8:9], vcc
	s_xor_b64 s[12:13], exec, s[8:9]
	s_cbranch_execz .LBB62_194
; %bb.190:                              ;   in Loop: Header=BB62_6 Depth=1
	v_and_b32_e32 v1, s59, v3
	v_lshl_or_b32 v3, 2, s38, v1
	ds_read_b32 v1, v9 offset:4096
	v_or_b32_e32 v2, s58, v2
	s_waitcnt lgkmcnt(0)
	v_cmp_ne_u32_e32 vcc, 0, v1
	s_cbranch_vccnz .LBB62_194
; %bb.191:                              ;   in Loop: Header=BB62_6 Depth=1
	s_mov_b64 s[8:9], exec
	v_readlane_b32 s22, v50, 22
	v_readlane_b32 s23, v50, 23
	s_and_b64 s[22:23], s[8:9], s[22:23]
	s_mov_b64 exec, s[22:23]
; %bb.192:                              ;   in Loop: Header=BB62_6 Depth=1
	v_mov_b32_e32 v1, s57
	ds_write_b32 v9, v1 offset:4100
; %bb.193:                              ;   in Loop: Header=BB62_6 Depth=1
	s_or_b64 exec, exec, s[8:9]
	s_waitcnt lgkmcnt(0)
	s_barrier
.LBB62_194:                             ;   in Loop: Header=BB62_6 Depth=1
	s_or_saveexec_b64 s[12:13], s[12:13]
	v_mov_b32_e32 v1, 8
	s_xor_b64 exec, exec, s[12:13]
; %bb.195:                              ;   in Loop: Header=BB62_6 Depth=1
	s_mov_b64 s[24:25], exec
	v_subrev_u32_e32 v12, s57, v12
	v_mov_b32_e32 v1, 0
; %bb.196:                              ;   in Loop: Header=BB62_6 Depth=1
	s_or_b64 exec, exec, s[12:13]
	s_and_b64 s[52:53], s[24:25], exec
	v_mov_b32_e32 v4, v12
.LBB62_197:                             ;   in Loop: Header=BB62_6 Depth=1
	s_or_b64 exec, exec, s[2:3]
	s_mov_b64 s[2:3], -1
                                        ; implicit-def: $sgpr28_sgpr29
                                        ; implicit-def: $sgpr12_sgpr13
	s_and_saveexec_b64 s[24:25], s[52:53]
	s_cbranch_execz .LBB62_236
; %bb.198:                              ;   in Loop: Header=BB62_6 Depth=1
	s_cmp_eq_u32 s20, 1
	s_cselect_b64 s[2:3], -1, 0
	v_cmp_eq_u32_e32 vcc, 1, v4
	s_mov_b64 s[64:65], -1
	s_and_b64 s[2:3], s[2:3], vcc
                                        ; implicit-def: $sgpr28_sgpr29
                                        ; implicit-def: $sgpr12_sgpr13
	s_mov_b64 s[54:55], exec
	v_writelane_b32 v49, s2, 3
	v_writelane_b32 v49, s3, 4
	s_and_b64 s[2:3], s[54:55], s[2:3]
	s_mov_b64 exec, s[2:3]
	s_cbranch_execz .LBB62_224
; %bb.199:                              ;   in Loop: Header=BB62_6 Depth=1
	ds_read_b32 v8, v9 offset:4096
	s_waitcnt lgkmcnt(0)
	s_barrier
	v_readfirstlane_b32 s52, v8
	s_mov_b64 s[2:3], exec
	v_readlane_b32 s8, v50, 39
	v_readlane_b32 s9, v50, 40
	s_and_b64 s[8:9], s[2:3], s[8:9]
	s_mov_b64 exec, s[8:9]
; %bb.200:                              ;   in Loop: Header=BB62_6 Depth=1
	ds_write_b16 v26, v9
; %bb.201:                              ;   in Loop: Header=BB62_6 Depth=1
	s_or_b64 exec, exec, s[2:3]
	v_or_b32_e32 v3, s58, v3
	v_or_b32_e32 v2, s58, v2
	s_mov_b64 s[12:13], -1
	s_mov_b64 s[28:29], 0
	s_cmp_eq_u32 s52, 0
	s_mov_b64 s[2:3], 0
	s_waitcnt lgkmcnt(0)
	s_barrier
                                        ; implicit-def: $vgpr8
	s_cbranch_scc1 .LBB62_212
; %bb.202:                              ;   in Loop: Header=BB62_6 Depth=1
	v_readlane_b32 s2, v50, 41
	s_add_i32 s2, s52, s2
	v_readlane_b32 s3, v50, 61
	s_mul_hi_u32 s3, s2, s3
	s_mul_i32 s3, s3, s60
	s_sub_i32 s3, s2, s3
	s_sub_i32 s8, s3, s60
	s_cmp_ge_u32 s3, s60
	s_cselect_b32 s3, s8, s3
	s_sub_i32 s8, s3, s60
	s_cmp_ge_u32 s3, s60
	s_cselect_b32 s3, s8, s3
	s_sub_i32 s53, s2, s3
	v_cmp_gt_u32_e32 vcc, s53, v0
	s_mov_b64 s[64:65], 0
	s_mov_b64 s[2:3], 0
                                        ; implicit-def: $vgpr8
	s_and_saveexec_b64 s[66:67], vcc
	s_cbranch_execz .LBB62_211
; %bb.203:                              ;   in Loop: Header=BB62_6 Depth=1
	v_mov_b32_e32 v8, v25
	v_mov_b32_e32 v12, v0
                                        ; implicit-def: $sgpr68_sgpr69
	s_branch .LBB62_206
.LBB62_204:                             ;   in Loop: Header=BB62_206 Depth=2
	s_or_b64 exec, exec, s[22:23]
	s_waitcnt lgkmcnt(0)
	s_barrier
	ds_read_b32 v13, v9 offset:3072
	s_mov_b64 s[22:23], -1
	s_waitcnt lgkmcnt(0)
	s_barrier
	v_cmp_ne_u32_sdwa s[8:9], v13, v9 src0_sel:WORD_0 src1_sel:DWORD
	s_and_b64 vcc, exec, s[8:9]
	s_mov_b64 s[8:9], -1
	s_cbranch_vccz .LBB62_209
.LBB62_205:                             ;   in Loop: Header=BB62_206 Depth=2
	s_and_b64 s[22:23], exec, s[22:23]
	s_or_b64 s[2:3], s[22:23], s[2:3]
	s_andn2_b64 s[22:23], s[68:69], exec
	s_and_b64 s[8:9], s[8:9], exec
	s_or_b64 s[68:69], s[22:23], s[8:9]
	s_andn2_b64 exec, exec, s[2:3]
	s_cbranch_execz .LBB62_210
.LBB62_206:                             ;   Parent Loop BB62_6 Depth=1
                                        ; =>  This Inner Loop Header: Depth=2
	v_cmp_gt_u32_e32 vcc, s52, v12
	s_and_saveexec_b64 s[22:23], vcc
	s_cbranch_execz .LBB62_204
; %bb.207:                              ;   in Loop: Header=BB62_206 Depth=2
	ds_read_u16 v13, v8
	s_waitcnt lgkmcnt(0)
	v_add_u32_sdwa v14, sext(v13), s5 dst_sel:DWORD dst_unused:UNUSED_PAD src0_sel:WORD_0 src1_sel:DWORD
	v_and_b32_e32 v14, v14, v2
	v_cmp_eq_u32_e32 vcc, v14, v3
	s_and_b64 exec, exec, vcc
	s_cbranch_execz .LBB62_204
; %bb.208:                              ;   in Loop: Header=BB62_206 Depth=2
	v_perm_b32 v13, v13, 1, v41
	ds_write_b32 v9, v13 offset:3072
	s_branch .LBB62_204
.LBB62_209:                             ;   in Loop: Header=BB62_206 Depth=2
	v_add_u32_e32 v12, s60, v12
	v_cmp_le_u32_e32 vcc, s53, v12
	v_add_u32_e32 v8, s4, v8
	s_mov_b64 s[8:9], 0
	s_orn2_b64 s[22:23], vcc, exec
	s_branch .LBB62_205
.LBB62_210:                             ;   in Loop: Header=BB62_6 Depth=1
	s_or_b64 exec, exec, s[2:3]
	v_lshrrev_b32_e32 v8, 16, v13
	s_and_b64 s[2:3], s[68:69], exec
.LBB62_211:                             ;   in Loop: Header=BB62_6 Depth=1
	s_or_b64 exec, exec, s[66:67]
.LBB62_212:                             ;   in Loop: Header=BB62_6 Depth=1
	s_and_b64 vcc, exec, s[64:65]
	s_cbranch_vccz .LBB62_223
; %bb.213:                              ;   in Loop: Header=BB62_6 Depth=1
                                        ; implicit-def: $vgpr8
	s_mov_b64 s[12:13], exec
	v_readlane_b32 s8, v50, 63
	v_readlane_b32 s9, v49, 0
	s_and_b64 s[8:9], s[12:13], s[8:9]
	s_mov_b64 exec, s[8:9]
	s_cbranch_execz .LBB62_222
; %bb.214:                              ;   in Loop: Header=BB62_6 Depth=1
	s_mov_b64 s[28:29], 0
	v_mov_b32_e32 v8, v7
	v_mov_b32_e32 v12, v0
                                        ; implicit-def: $sgpr64_sgpr65
	s_branch .LBB62_217
.LBB62_215:                             ;   in Loop: Header=BB62_217 Depth=2
	s_or_b64 exec, exec, s[66:67]
	s_waitcnt lgkmcnt(0)
	s_barrier
	ds_read_b32 v13, v9 offset:3072
	s_mov_b64 s[22:23], -1
	s_waitcnt lgkmcnt(0)
	s_barrier
	v_cmp_eq_u32_sdwa s[8:9], v13, v9 src0_sel:WORD_0 src1_sel:DWORD
	s_and_b64 vcc, exec, s[8:9]
	s_mov_b64 s[8:9], -1
	s_cbranch_vccnz .LBB62_220
.LBB62_216:                             ;   in Loop: Header=BB62_217 Depth=2
	s_and_b64 s[22:23], exec, s[22:23]
	s_or_b64 s[28:29], s[22:23], s[28:29]
	s_andn2_b64 s[22:23], s[64:65], exec
	s_and_b64 s[8:9], s[8:9], exec
	s_or_b64 s[64:65], s[22:23], s[8:9]
	s_andn2_b64 exec, exec, s[28:29]
	s_cbranch_execz .LBB62_221
.LBB62_217:                             ;   Parent Loop BB62_6 Depth=1
                                        ; =>  This Inner Loop Header: Depth=2
	v_cmp_gt_u32_e32 vcc, s36, v12
	s_and_saveexec_b64 s[66:67], vcc
	s_cbranch_execz .LBB62_215
; %bb.218:                              ;   in Loop: Header=BB62_217 Depth=2
	v_lshlrev_b64 v[13:14], 1, v[8:9]
	v_mov_b32_e32 v15, s56
	v_add_co_u32_e32 v13, vcc, s33, v13
	v_addc_co_u32_e32 v14, vcc, v15, v14, vcc
	global_load_ushort v13, v[13:14], off
	s_waitcnt vmcnt(0)
	v_add_u32_sdwa v14, sext(v13), s5 dst_sel:DWORD dst_unused:UNUSED_PAD src0_sel:WORD_0 src1_sel:DWORD
	v_and_b32_e32 v14, v14, v2
	v_cmp_eq_u32_e32 vcc, v14, v3
	s_and_b64 exec, exec, vcc
	s_cbranch_execz .LBB62_215
; %bb.219:                              ;   in Loop: Header=BB62_217 Depth=2
	v_perm_b32 v13, v13, 1, v41
	ds_write_b32 v9, v13 offset:3072
	s_branch .LBB62_215
.LBB62_220:                             ;   in Loop: Header=BB62_217 Depth=2
	v_add_u32_e32 v12, s60, v12
	v_readlane_b32 s8, v50, 62
	v_cmp_le_u32_e32 vcc, s8, v12
	v_add_u32_e32 v8, s62, v8
	s_mov_b64 s[8:9], 0
	s_orn2_b64 s[22:23], vcc, exec
	s_branch .LBB62_216
.LBB62_221:                             ;   in Loop: Header=BB62_6 Depth=1
	s_or_b64 exec, exec, s[28:29]
	s_andn2_b64 s[2:3], s[2:3], exec
	s_and_b64 s[8:9], s[64:65], exec
	v_lshrrev_b32_e32 v8, 16, v13
	s_or_b64 s[2:3], s[2:3], s[8:9]
.LBB62_222:                             ;   in Loop: Header=BB62_6 Depth=1
	s_or_b64 exec, exec, s[12:13]
	s_mov_b64 s[12:13], 0
	s_mov_b64 s[28:29], -1
.LBB62_223:                             ;   in Loop: Header=BB62_6 Depth=1
	s_orn2_b64 s[64:65], s[2:3], exec
.LBB62_224:                             ;   in Loop: Header=BB62_6 Depth=1
	s_or_b64 exec, exec, s[54:55]
	s_mov_b64 s[54:55], 0
	s_and_saveexec_b64 s[2:3], s[64:65]
	s_cbranch_execz .LBB62_235
; %bb.225:                              ;   in Loop: Header=BB62_6 Depth=1
	v_readlane_b32 s8, v49, 3
	v_readlane_b32 s9, v49, 4
	s_xor_b64 s[8:9], s[8:9], -1
	v_mov_b32_e32 v1, 1
	v_mov_b32_e32 v12, 1
	s_and_saveexec_b64 s[52:53], s[8:9]
	s_cbranch_execz .LBB62_234
; %bb.226:                              ;   in Loop: Header=BB62_6 Depth=1
	v_cmp_ge_u32_e32 vcc, s20, v4
	s_and_saveexec_b64 s[8:9], vcc
	s_xor_b64 s[54:55], exec, s[8:9]
	s_cbranch_execz .LBB62_231
; %bb.227:                              ;   in Loop: Header=BB62_6 Depth=1
	ds_read_b32 v1, v9 offset:4096
	v_or_b32_e32 v3, s58, v3
	v_or_b32_e32 v2, s58, v2
	s_waitcnt lgkmcnt(0)
	v_cmp_ne_u32_e32 vcc, 0, v1
	s_cbranch_vccnz .LBB62_231
; %bb.228:                              ;   in Loop: Header=BB62_6 Depth=1
	s_mov_b64 s[8:9], exec
	v_readlane_b32 s22, v50, 22
	v_readlane_b32 s23, v50, 23
	s_and_b64 s[22:23], s[8:9], s[22:23]
	s_mov_b64 exec, s[22:23]
; %bb.229:                              ;   in Loop: Header=BB62_6 Depth=1
	v_mov_b32_e32 v1, s20
	ds_write_b32 v9, v1 offset:4100
; %bb.230:                              ;   in Loop: Header=BB62_6 Depth=1
	s_or_b64 exec, exec, s[8:9]
	s_waitcnt lgkmcnt(0)
	s_barrier
.LBB62_231:                             ;   in Loop: Header=BB62_6 Depth=1
	s_andn2_saveexec_b64 s[22:23], s[54:55]
; %bb.232:                              ;   in Loop: Header=BB62_6 Depth=1
	v_subrev_u32_e32 v4, s20, v4
; %bb.233:                              ;   in Loop: Header=BB62_6 Depth=1
	s_or_b64 exec, exec, s[22:23]
	v_mov_b32_e32 v1, 8
	v_mov_b32_e32 v12, v4
.LBB62_234:                             ;   in Loop: Header=BB62_6 Depth=1
	s_or_b64 exec, exec, s[52:53]
	s_mov_b64 s[54:55], exec
	v_mov_b32_e32 v4, v12
.LBB62_235:                             ;   in Loop: Header=BB62_6 Depth=1
	s_or_b64 exec, exec, s[2:3]
	s_orn2_b64 s[2:3], s[54:55], exec
.LBB62_236:                             ;   in Loop: Header=BB62_6 Depth=1
	s_or_b64 exec, exec, s[24:25]
	s_andn2_b64 s[8:9], s[14:15], exec
	s_and_b64 s[14:15], s[28:29], exec
	s_or_b64 s[14:15], s[8:9], s[14:15]
	s_andn2_b64 s[8:9], s[46:47], exec
	s_and_b64 s[12:13], s[12:13], exec
	s_or_b64 s[46:47], s[8:9], s[12:13]
	s_and_b64 s[24:25], s[2:3], exec
	v_mov_b32_e32 v12, v4
.LBB62_237:                             ;   in Loop: Header=BB62_6 Depth=1
	s_or_b64 exec, exec, s[16:17]
	s_orn2_b64 s[2:3], s[24:25], exec
.LBB62_238:                             ;   in Loop: Header=BB62_6 Depth=1
	s_or_b64 exec, exec, s[44:45]
	s_andn2_b64 s[8:9], s[42:43], exec
	s_and_b64 s[12:13], s[14:15], exec
	s_or_b64 s[42:43], s[8:9], s[12:13]
	s_andn2_b64 s[8:9], s[34:35], exec
	s_and_b64 s[12:13], s[46:47], exec
	s_or_b64 s[34:35], s[8:9], s[12:13]
	s_and_b64 s[14:15], s[2:3], exec
	v_mov_b32_e32 v4, v12
.LBB62_239:                             ;   in Loop: Header=BB62_6 Depth=1
	s_or_b64 exec, exec, s[92:93]
	s_orn2_b64 s[2:3], s[14:15], exec
.LBB62_240:                             ;   in Loop: Header=BB62_6 Depth=1
	s_or_b64 exec, exec, s[6:7]
	s_mov_b64 s[6:7], 0
	s_mov_b64 s[12:13], 0
	s_and_saveexec_b64 s[8:9], s[2:3]
	s_xor_b64 s[2:3], exec, s[8:9]
; %bb.241:                              ;   in Loop: Header=BB62_6 Depth=1
	v_cmp_eq_u32_e32 vcc, 8, v1
	v_cmp_ne_u32_e64 s[6:7], 8, v1
	s_and_b64 s[12:13], s[6:7], exec
	s_and_b64 s[6:7], vcc, exec
; %bb.242:                              ;   in Loop: Header=BB62_6 Depth=1
	s_or_b64 exec, exec, s[2:3]
	s_andn2_b64 s[2:3], s[48:49], exec
	s_and_b64 s[8:9], s[42:43], exec
	s_or_b64 s[48:49], s[2:3], s[8:9]
	s_andn2_b64 s[2:3], s[94:95], exec
	s_and_b64 s[8:9], s[34:35], exec
	s_or_b64 s[94:95], s[2:3], s[8:9]
	s_and_b64 s[34:35], s[12:13], exec
	s_and_b64 s[92:93], s[6:7], exec
.LBB62_243:                             ;   in Loop: Header=BB62_6 Depth=1
	s_or_b64 exec, exec, s[40:41]
.LBB62_244:                             ;   in Loop: Header=BB62_6 Depth=1
	s_and_b64 vcc, exec, s[50:51]
	s_cbranch_vccz .LBB62_257
; %bb.245:                              ;   in Loop: Header=BB62_6 Depth=1
	s_cmp_eq_u32 s20, 1
	s_cselect_b64 s[2:3], -1, 0
	s_and_b64 s[6:7], s[2:3], s[26:27]
	s_mov_b64 s[2:3], -1
                                        ; implicit-def: $sgpr26_sgpr27
                                        ; implicit-def: $sgpr30_sgpr31
	s_and_saveexec_b64 s[12:13], s[6:7]
	s_cbranch_execz .LBB62_272
; %bb.246:                              ;   in Loop: Header=BB62_6 Depth=1
	ds_read_b32 v1, v9 offset:4096
	s_waitcnt lgkmcnt(0)
	s_barrier
	v_readfirstlane_b32 s40, v1
	s_mov_b64 s[2:3], exec
	v_readlane_b32 s8, v50, 39
	v_readlane_b32 s9, v50, 40
	s_and_b64 s[8:9], s[2:3], s[8:9]
	s_mov_b64 exec, s[8:9]
; %bb.247:                              ;   in Loop: Header=BB62_6 Depth=1
	ds_write_b16 v26, v9
; %bb.248:                              ;   in Loop: Header=BB62_6 Depth=1
	s_or_b64 exec, exec, s[2:3]
	v_or_b32_e32 v37, s58, v37
	v_or_b32_e32 v42, s58, v42
	s_mov_b64 s[30:31], -1
	s_mov_b64 s[26:27], 0
	s_cmp_eq_u32 s40, 0
	s_mov_b64 s[14:15], 0
	s_mov_b64 s[2:3], -1
	s_waitcnt lgkmcnt(0)
	s_barrier
                                        ; implicit-def: $vgpr43
	s_cbranch_scc1 .LBB62_260
; %bb.249:                              ;   in Loop: Header=BB62_6 Depth=1
	v_readlane_b32 s2, v50, 41
	s_add_i32 s2, s40, s2
	v_readlane_b32 s3, v50, 61
	s_mul_hi_u32 s3, s2, s3
	s_mul_i32 s3, s3, s60
	s_sub_i32 s3, s2, s3
	s_sub_i32 s8, s3, s60
	s_cmp_ge_u32 s3, s60
	s_cselect_b32 s3, s8, s3
	s_sub_i32 s8, s3, s60
	s_cmp_ge_u32 s3, s60
	s_cselect_b32 s3, s8, s3
	s_sub_i32 s41, s2, s3
	v_cmp_gt_u32_e32 vcc, s41, v0
	s_mov_b64 s[2:3], 0
                                        ; implicit-def: $vgpr43
	s_and_saveexec_b64 s[16:17], vcc
	s_cbranch_execz .LBB62_259
; %bb.250:                              ;   in Loop: Header=BB62_6 Depth=1
	v_mov_b32_e32 v1, v25
	v_mov_b32_e32 v2, v0
                                        ; implicit-def: $sgpr24_sgpr25
	s_branch .LBB62_253
.LBB62_251:                             ;   in Loop: Header=BB62_253 Depth=2
	s_or_b64 exec, exec, s[28:29]
	s_waitcnt lgkmcnt(0)
	s_barrier
	ds_read_b32 v3, v9 offset:3072
	s_mov_b64 s[22:23], -1
	s_waitcnt lgkmcnt(0)
	s_barrier
	v_cmp_ne_u32_sdwa s[8:9], v3, v9 src0_sel:WORD_0 src1_sel:DWORD
	s_and_b64 vcc, exec, s[8:9]
	s_mov_b64 s[8:9], -1
	s_cbranch_vccz .LBB62_256
.LBB62_252:                             ;   in Loop: Header=BB62_253 Depth=2
	s_and_b64 s[22:23], exec, s[22:23]
	s_or_b64 s[14:15], s[22:23], s[14:15]
	s_andn2_b64 s[22:23], s[24:25], exec
	s_and_b64 s[8:9], s[8:9], exec
	s_or_b64 s[24:25], s[22:23], s[8:9]
	s_andn2_b64 exec, exec, s[14:15]
	s_cbranch_execz .LBB62_258
.LBB62_253:                             ;   Parent Loop BB62_6 Depth=1
                                        ; =>  This Inner Loop Header: Depth=2
	v_cmp_gt_u32_e32 vcc, s40, v2
	s_and_saveexec_b64 s[28:29], vcc
	s_cbranch_execz .LBB62_251
; %bb.254:                              ;   in Loop: Header=BB62_253 Depth=2
	ds_read_u16 v3, v1
	s_waitcnt lgkmcnt(0)
	v_add_u32_sdwa v4, sext(v3), s5 dst_sel:DWORD dst_unused:UNUSED_PAD src0_sel:WORD_0 src1_sel:DWORD
	v_and_b32_e32 v4, v4, v42
	v_cmp_eq_u32_e32 vcc, v4, v37
	s_and_b64 exec, exec, vcc
	s_cbranch_execz .LBB62_251
; %bb.255:                              ;   in Loop: Header=BB62_253 Depth=2
	v_perm_b32 v3, v3, 1, v41
	ds_write_b32 v9, v3 offset:3072
	s_branch .LBB62_251
.LBB62_256:                             ;   in Loop: Header=BB62_253 Depth=2
	v_add_u32_e32 v2, s60, v2
	v_cmp_le_u32_e32 vcc, s41, v2
	v_add_u32_e32 v1, s4, v1
	s_mov_b64 s[8:9], 0
	s_orn2_b64 s[22:23], vcc, exec
	s_branch .LBB62_252
.LBB62_257:                             ;   in Loop: Header=BB62_6 Depth=1
	s_mov_b64 s[26:27], 0
	v_mov_b32_e32 v37, v3
	v_mov_b32_e32 v42, v2
	;; [unrolled: 1-line block ×3, first 2 shown]
	s_and_saveexec_b64 s[2:3], s[92:93]
	s_cbranch_execnz .LBB62_403
	s_branch .LBB62_404
.LBB62_258:                             ;   in Loop: Header=BB62_6 Depth=1
	s_or_b64 exec, exec, s[14:15]
	v_lshrrev_b32_e32 v43, 16, v3
	s_and_b64 s[14:15], s[24:25], exec
.LBB62_259:                             ;   in Loop: Header=BB62_6 Depth=1
	s_or_b64 exec, exec, s[16:17]
.LBB62_260:                             ;   in Loop: Header=BB62_6 Depth=1
	s_and_b64 vcc, exec, s[2:3]
	s_cbranch_vccz .LBB62_271
; %bb.261:                              ;   in Loop: Header=BB62_6 Depth=1
                                        ; implicit-def: $vgpr43
	s_mov_b64 s[2:3], exec
	v_readlane_b32 s8, v50, 63
	v_readlane_b32 s9, v49, 0
	s_and_b64 s[8:9], s[2:3], s[8:9]
	s_mov_b64 exec, s[8:9]
	s_cbranch_execz .LBB62_270
; %bb.262:                              ;   in Loop: Header=BB62_6 Depth=1
	s_mov_b64 s[16:17], 0
	v_mov_b32_e32 v8, v7
	v_mov_b32_e32 v1, v0
                                        ; implicit-def: $sgpr24_sgpr25
	s_branch .LBB62_265
.LBB62_263:                             ;   in Loop: Header=BB62_265 Depth=2
	s_or_b64 exec, exec, s[26:27]
	s_waitcnt lgkmcnt(0)
	s_barrier
	ds_read_b32 v2, v9 offset:3072
	s_mov_b64 s[22:23], -1
	s_waitcnt lgkmcnt(0)
	s_barrier
	v_cmp_ne_u32_sdwa s[8:9], v2, v9 src0_sel:WORD_0 src1_sel:DWORD
	s_and_b64 vcc, exec, s[8:9]
	s_mov_b64 s[8:9], -1
	s_cbranch_vccz .LBB62_268
.LBB62_264:                             ;   in Loop: Header=BB62_265 Depth=2
	s_and_b64 s[22:23], exec, s[22:23]
	s_or_b64 s[16:17], s[22:23], s[16:17]
	s_andn2_b64 s[22:23], s[24:25], exec
	s_and_b64 s[8:9], s[8:9], exec
	s_or_b64 s[24:25], s[22:23], s[8:9]
	s_andn2_b64 exec, exec, s[16:17]
	s_cbranch_execz .LBB62_269
.LBB62_265:                             ;   Parent Loop BB62_6 Depth=1
                                        ; =>  This Inner Loop Header: Depth=2
	v_cmp_gt_u32_e32 vcc, s36, v1
	s_and_saveexec_b64 s[26:27], vcc
	s_cbranch_execz .LBB62_263
; %bb.266:                              ;   in Loop: Header=BB62_265 Depth=2
	v_lshlrev_b64 v[2:3], 1, v[8:9]
	v_mov_b32_e32 v4, s56
	v_add_co_u32_e32 v2, vcc, s33, v2
	v_addc_co_u32_e32 v3, vcc, v4, v3, vcc
	global_load_ushort v2, v[2:3], off
	s_waitcnt vmcnt(0)
	v_add_u32_sdwa v3, sext(v2), s5 dst_sel:DWORD dst_unused:UNUSED_PAD src0_sel:WORD_0 src1_sel:DWORD
	v_and_b32_e32 v3, v3, v42
	v_cmp_eq_u32_e32 vcc, v3, v37
	s_and_b64 exec, exec, vcc
	s_cbranch_execz .LBB62_263
; %bb.267:                              ;   in Loop: Header=BB62_265 Depth=2
	v_perm_b32 v2, v2, 1, v41
	ds_write_b32 v9, v2 offset:3072
	s_branch .LBB62_263
.LBB62_268:                             ;   in Loop: Header=BB62_265 Depth=2
	v_add_u32_e32 v1, s60, v1
	v_readlane_b32 s8, v50, 62
	v_cmp_le_u32_e32 vcc, s8, v1
	v_add_u32_e32 v8, s62, v8
	s_mov_b64 s[8:9], 0
	s_orn2_b64 s[22:23], vcc, exec
	s_branch .LBB62_264
.LBB62_269:                             ;   in Loop: Header=BB62_6 Depth=1
	s_or_b64 exec, exec, s[16:17]
	s_andn2_b64 s[8:9], s[14:15], exec
	s_and_b64 s[14:15], s[24:25], exec
	v_lshrrev_b32_e32 v43, 16, v2
	s_or_b64 s[14:15], s[8:9], s[14:15]
.LBB62_270:                             ;   in Loop: Header=BB62_6 Depth=1
	s_or_b64 exec, exec, s[2:3]
	s_mov_b64 s[30:31], 0
	s_mov_b64 s[26:27], -1
.LBB62_271:                             ;   in Loop: Header=BB62_6 Depth=1
	s_orn2_b64 s[2:3], s[14:15], exec
.LBB62_272:                             ;   in Loop: Header=BB62_6 Depth=1
	s_or_b64 exec, exec, s[12:13]
                                        ; implicit-def: $vgpr4
                                        ; implicit-def: $vgpr1
	s_and_saveexec_b64 s[48:49], s[2:3]
	s_cbranch_execz .LBB62_402
; %bb.273:                              ;   in Loop: Header=BB62_6 Depth=1
	s_xor_b64 s[8:9], s[6:7], -1
	s_mov_b64 s[6:7], 0
	v_mov_b32_e32 v4, 1
	v_mov_b32_e32 v1, 1
	s_and_saveexec_b64 s[2:3], s[8:9]
	s_cbranch_execz .LBB62_282
; %bb.274:                              ;   in Loop: Header=BB62_6 Depth=1
	v_cmp_ge_u32_e32 vcc, s20, v44
	s_and_saveexec_b64 s[6:7], vcc
	s_xor_b64 s[6:7], exec, s[6:7]
	s_cbranch_execz .LBB62_279
; %bb.275:                              ;   in Loop: Header=BB62_6 Depth=1
	ds_read_b32 v1, v9 offset:4096
	v_or_b32_e32 v37, s58, v37
	v_or_b32_e32 v42, s58, v42
	s_waitcnt lgkmcnt(0)
	v_cmp_ne_u32_e32 vcc, 0, v1
	s_cbranch_vccnz .LBB62_279
; %bb.276:                              ;   in Loop: Header=BB62_6 Depth=1
	s_mov_b64 s[8:9], exec
	v_readlane_b32 s12, v50, 22
	v_readlane_b32 s13, v50, 23
	s_and_b64 s[12:13], s[8:9], s[12:13]
	s_mov_b64 exec, s[12:13]
; %bb.277:                              ;   in Loop: Header=BB62_6 Depth=1
	v_mov_b32_e32 v1, s20
	ds_write_b32 v9, v1 offset:4100
; %bb.278:                              ;   in Loop: Header=BB62_6 Depth=1
	s_or_b64 exec, exec, s[8:9]
	s_waitcnt lgkmcnt(0)
	s_barrier
.LBB62_279:                             ;   in Loop: Header=BB62_6 Depth=1
	s_or_saveexec_b64 s[6:7], s[6:7]
	s_mov_b64 s[12:13], 0
	v_mov_b32_e32 v1, 5
	s_xor_b64 exec, exec, s[6:7]
; %bb.280:                              ;   in Loop: Header=BB62_6 Depth=1
	v_subrev_u32_e32 v44, s20, v44
	v_mov_b32_e32 v1, 0
	s_mov_b64 s[12:13], exec
; %bb.281:                              ;   in Loop: Header=BB62_6 Depth=1
	s_or_b64 exec, exec, s[6:7]
	s_and_b64 s[6:7], s[12:13], exec
	v_mov_b32_e32 v4, v44
.LBB62_282:                             ;   in Loop: Header=BB62_6 Depth=1
	s_or_b64 exec, exec, s[2:3]
	s_mov_b64 s[2:3], -1
                                        ; implicit-def: $sgpr40_sgpr41
                                        ; implicit-def: $sgpr42_sgpr43
	s_and_saveexec_b64 s[8:9], s[6:7]
	s_xor_b64 s[6:7], exec, s[8:9]
	s_cbranch_execz .LBB62_399
; %bb.283:                              ;   in Loop: Header=BB62_6 Depth=1
	s_cmp_eq_u32 s57, 1
	s_cselect_b64 s[2:3], -1, 0
	v_cmp_eq_u32_e32 vcc, 1, v4
	s_and_b64 s[12:13], s[2:3], vcc
	s_mov_b64 s[2:3], -1
                                        ; implicit-def: $sgpr42_sgpr43
                                        ; implicit-def: $sgpr40_sgpr41
	s_and_saveexec_b64 s[14:15], s[12:13]
	s_cbranch_execz .LBB62_309
; %bb.284:                              ;   in Loop: Header=BB62_6 Depth=1
	ds_read_b32 v2, v9 offset:4096
	s_waitcnt lgkmcnt(0)
	s_barrier
	v_readfirstlane_b32 s20, v2
	s_mov_b64 s[2:3], exec
	v_readlane_b32 s8, v50, 39
	v_readlane_b32 s9, v50, 40
	s_and_b64 s[8:9], s[2:3], s[8:9]
	s_mov_b64 exec, s[8:9]
; %bb.285:                              ;   in Loop: Header=BB62_6 Depth=1
	ds_write_b16 v26, v9
; %bb.286:                              ;   in Loop: Header=BB62_6 Depth=1
	s_or_b64 exec, exec, s[2:3]
	v_and_b32_e32 v2, s59, v37
	v_lshl_or_b32 v37, 2, s38, v2
	v_or_b32_e32 v42, s58, v42
	s_mov_b64 s[40:41], -1
	s_mov_b64 s[42:43], 0
	s_cmp_eq_u32 s20, 0
	s_mov_b64 s[16:17], 0
	s_mov_b64 s[2:3], -1
	s_waitcnt lgkmcnt(0)
	s_barrier
                                        ; implicit-def: $vgpr43
	s_cbranch_scc1 .LBB62_297
; %bb.287:                              ;   in Loop: Header=BB62_6 Depth=1
	v_readlane_b32 s2, v50, 41
	s_add_i32 s2, s20, s2
	v_readlane_b32 s3, v50, 61
	s_mul_hi_u32 s3, s2, s3
	s_mul_i32 s3, s3, s60
	s_sub_i32 s3, s2, s3
	s_sub_i32 s8, s3, s60
	s_cmp_ge_u32 s3, s60
	s_cselect_b32 s3, s8, s3
	s_sub_i32 s8, s3, s60
	s_cmp_ge_u32 s3, s60
	s_cselect_b32 s3, s8, s3
	s_sub_i32 s46, s2, s3
	v_cmp_gt_u32_e32 vcc, s46, v0
	s_mov_b64 s[2:3], 0
                                        ; implicit-def: $vgpr43
	s_and_saveexec_b64 s[24:25], vcc
	s_cbranch_execz .LBB62_296
; %bb.288:                              ;   in Loop: Header=BB62_6 Depth=1
	v_mov_b32_e32 v2, v25
	v_mov_b32_e32 v3, v0
                                        ; implicit-def: $sgpr28_sgpr29
	s_branch .LBB62_291
.LBB62_289:                             ;   in Loop: Header=BB62_291 Depth=2
	s_or_b64 exec, exec, s[44:45]
	s_waitcnt lgkmcnt(0)
	s_barrier
	ds_read_b32 v8, v9 offset:3072
	s_mov_b64 s[22:23], -1
	s_waitcnt lgkmcnt(0)
	s_barrier
	v_cmp_ne_u32_sdwa s[8:9], v8, v9 src0_sel:WORD_0 src1_sel:DWORD
	s_and_b64 vcc, exec, s[8:9]
	s_mov_b64 s[8:9], -1
	s_cbranch_vccz .LBB62_294
.LBB62_290:                             ;   in Loop: Header=BB62_291 Depth=2
	s_and_b64 s[22:23], exec, s[22:23]
	s_or_b64 s[16:17], s[22:23], s[16:17]
	s_andn2_b64 s[22:23], s[28:29], exec
	s_and_b64 s[8:9], s[8:9], exec
	s_or_b64 s[28:29], s[22:23], s[8:9]
	s_andn2_b64 exec, exec, s[16:17]
	s_cbranch_execz .LBB62_295
.LBB62_291:                             ;   Parent Loop BB62_6 Depth=1
                                        ; =>  This Inner Loop Header: Depth=2
	v_cmp_gt_u32_e32 vcc, s20, v3
	s_and_saveexec_b64 s[44:45], vcc
	s_cbranch_execz .LBB62_289
; %bb.292:                              ;   in Loop: Header=BB62_291 Depth=2
	ds_read_u16 v8, v2
	s_waitcnt lgkmcnt(0)
	v_add_u32_sdwa v12, sext(v8), s5 dst_sel:DWORD dst_unused:UNUSED_PAD src0_sel:WORD_0 src1_sel:DWORD
	v_and_b32_e32 v12, v12, v42
	v_cmp_eq_u32_e32 vcc, v12, v37
	s_and_b64 exec, exec, vcc
	s_cbranch_execz .LBB62_289
; %bb.293:                              ;   in Loop: Header=BB62_291 Depth=2
	v_perm_b32 v8, v8, 1, v41
	ds_write_b32 v9, v8 offset:3072
	s_branch .LBB62_289
.LBB62_294:                             ;   in Loop: Header=BB62_291 Depth=2
	v_add_u32_e32 v3, s60, v3
	v_cmp_le_u32_e32 vcc, s46, v3
	v_add_u32_e32 v2, s4, v2
	s_mov_b64 s[8:9], 0
	s_orn2_b64 s[22:23], vcc, exec
	s_branch .LBB62_290
.LBB62_295:                             ;   in Loop: Header=BB62_6 Depth=1
	s_or_b64 exec, exec, s[16:17]
	v_lshrrev_b32_e32 v43, 16, v8
	s_and_b64 s[16:17], s[28:29], exec
.LBB62_296:                             ;   in Loop: Header=BB62_6 Depth=1
	s_or_b64 exec, exec, s[24:25]
.LBB62_297:                             ;   in Loop: Header=BB62_6 Depth=1
	s_and_b64 vcc, exec, s[2:3]
	s_cbranch_vccz .LBB62_308
; %bb.298:                              ;   in Loop: Header=BB62_6 Depth=1
                                        ; implicit-def: $vgpr43
	s_mov_b64 s[2:3], exec
	v_readlane_b32 s8, v50, 63
	v_readlane_b32 s9, v49, 0
	s_and_b64 s[8:9], s[2:3], s[8:9]
	s_mov_b64 exec, s[8:9]
	s_cbranch_execz .LBB62_307
; %bb.299:                              ;   in Loop: Header=BB62_6 Depth=1
	s_mov_b64 s[24:25], 0
	v_mov_b32_e32 v8, v7
	v_mov_b32_e32 v2, v0
                                        ; implicit-def: $sgpr28_sgpr29
	s_branch .LBB62_302
.LBB62_300:                             ;   in Loop: Header=BB62_302 Depth=2
	s_or_b64 exec, exec, s[40:41]
	s_waitcnt lgkmcnt(0)
	s_barrier
	ds_read_b32 v3, v9 offset:3072
	s_mov_b64 s[22:23], -1
	s_waitcnt lgkmcnt(0)
	s_barrier
	v_cmp_eq_u32_sdwa s[8:9], v3, v9 src0_sel:WORD_0 src1_sel:DWORD
	s_and_b64 vcc, exec, s[8:9]
	s_mov_b64 s[8:9], -1
	s_cbranch_vccnz .LBB62_305
.LBB62_301:                             ;   in Loop: Header=BB62_302 Depth=2
	s_and_b64 s[22:23], exec, s[22:23]
	s_or_b64 s[24:25], s[22:23], s[24:25]
	s_andn2_b64 s[22:23], s[28:29], exec
	s_and_b64 s[8:9], s[8:9], exec
	s_or_b64 s[28:29], s[22:23], s[8:9]
	s_andn2_b64 exec, exec, s[24:25]
	s_cbranch_execz .LBB62_306
.LBB62_302:                             ;   Parent Loop BB62_6 Depth=1
                                        ; =>  This Inner Loop Header: Depth=2
	v_cmp_gt_u32_e32 vcc, s36, v2
	s_and_saveexec_b64 s[40:41], vcc
	s_cbranch_execz .LBB62_300
; %bb.303:                              ;   in Loop: Header=BB62_302 Depth=2
	v_lshlrev_b64 v[12:13], 1, v[8:9]
	v_mov_b32_e32 v3, s56
	v_add_co_u32_e32 v12, vcc, s33, v12
	v_addc_co_u32_e32 v13, vcc, v3, v13, vcc
	global_load_ushort v3, v[12:13], off
	s_waitcnt vmcnt(0)
	v_add_u32_sdwa v12, sext(v3), s5 dst_sel:DWORD dst_unused:UNUSED_PAD src0_sel:WORD_0 src1_sel:DWORD
	v_and_b32_e32 v12, v12, v42
	v_cmp_eq_u32_e32 vcc, v12, v37
	s_and_b64 exec, exec, vcc
	s_cbranch_execz .LBB62_300
; %bb.304:                              ;   in Loop: Header=BB62_302 Depth=2
	v_perm_b32 v3, v3, 1, v41
	ds_write_b32 v9, v3 offset:3072
	s_branch .LBB62_300
.LBB62_305:                             ;   in Loop: Header=BB62_302 Depth=2
	v_add_u32_e32 v2, s60, v2
	v_readlane_b32 s8, v50, 62
	v_cmp_le_u32_e32 vcc, s8, v2
	v_add_u32_e32 v8, s62, v8
	s_mov_b64 s[8:9], 0
	s_orn2_b64 s[22:23], vcc, exec
	s_branch .LBB62_301
.LBB62_306:                             ;   in Loop: Header=BB62_6 Depth=1
	s_or_b64 exec, exec, s[24:25]
	s_andn2_b64 s[8:9], s[16:17], exec
	s_and_b64 s[16:17], s[28:29], exec
	v_lshrrev_b32_e32 v43, 16, v3
	s_or_b64 s[16:17], s[8:9], s[16:17]
.LBB62_307:                             ;   in Loop: Header=BB62_6 Depth=1
	s_or_b64 exec, exec, s[2:3]
	s_mov_b64 s[40:41], 0
	s_mov_b64 s[42:43], -1
.LBB62_308:                             ;   in Loop: Header=BB62_6 Depth=1
	s_orn2_b64 s[2:3], s[16:17], exec
.LBB62_309:                             ;   in Loop: Header=BB62_6 Depth=1
	s_or_b64 exec, exec, s[14:15]
	s_mov_b64 s[14:15], 0
	s_and_saveexec_b64 s[50:51], s[2:3]
	s_cbranch_execz .LBB62_398
; %bb.310:                              ;   in Loop: Header=BB62_6 Depth=1
	s_xor_b64 s[8:9], s[12:13], -1
	s_mov_b64 s[12:13], 0
	v_mov_b32_e32 v2, 1
	v_mov_b32_e32 v1, 1
	s_and_saveexec_b64 s[2:3], s[8:9]
	s_cbranch_execz .LBB62_319
; %bb.311:                              ;   in Loop: Header=BB62_6 Depth=1
	v_cmp_ge_u32_e32 vcc, s57, v4
	s_and_saveexec_b64 s[8:9], vcc
	s_xor_b64 s[12:13], exec, s[8:9]
	s_cbranch_execz .LBB62_316
; %bb.312:                              ;   in Loop: Header=BB62_6 Depth=1
	v_and_b32_e32 v1, s59, v37
	v_lshl_or_b32 v37, 2, s38, v1
	ds_read_b32 v1, v9 offset:4096
	v_or_b32_e32 v42, s58, v42
	s_waitcnt lgkmcnt(0)
	v_cmp_ne_u32_e32 vcc, 0, v1
	s_cbranch_vccnz .LBB62_316
; %bb.313:                              ;   in Loop: Header=BB62_6 Depth=1
	s_mov_b64 s[8:9], exec
	v_readlane_b32 s14, v50, 22
	v_readlane_b32 s15, v50, 23
	s_and_b64 s[14:15], s[8:9], s[14:15]
	s_mov_b64 exec, s[14:15]
; %bb.314:                              ;   in Loop: Header=BB62_6 Depth=1
	v_mov_b32_e32 v1, s57
	ds_write_b32 v9, v1 offset:4100
; %bb.315:                              ;   in Loop: Header=BB62_6 Depth=1
	s_or_b64 exec, exec, s[8:9]
	s_waitcnt lgkmcnt(0)
	s_barrier
.LBB62_316:                             ;   in Loop: Header=BB62_6 Depth=1
	s_or_saveexec_b64 s[12:13], s[12:13]
	s_mov_b64 s[14:15], 0
	v_mov_b32_e32 v1, 5
	s_xor_b64 exec, exec, s[12:13]
; %bb.317:                              ;   in Loop: Header=BB62_6 Depth=1
	v_subrev_u32_e32 v4, s57, v4
	v_mov_b32_e32 v1, 0
	s_mov_b64 s[14:15], exec
; %bb.318:                              ;   in Loop: Header=BB62_6 Depth=1
	s_or_b64 exec, exec, s[12:13]
	s_and_b64 s[12:13], s[14:15], exec
	v_mov_b32_e32 v2, v4
.LBB62_319:                             ;   in Loop: Header=BB62_6 Depth=1
	s_or_b64 exec, exec, s[2:3]
	s_mov_b64 s[2:3], -1
                                        ; implicit-def: $sgpr44_sgpr45
                                        ; implicit-def: $sgpr46_sgpr47
	s_and_saveexec_b64 s[94:95], s[12:13]
	s_cbranch_execz .LBB62_397
; %bb.320:                              ;   in Loop: Header=BB62_6 Depth=1
	s_cmp_eq_u32 s18, 1
	s_cselect_b64 s[2:3], -1, 0
	v_cmp_eq_u32_e32 vcc, 1, v2
	s_and_b64 s[12:13], s[2:3], vcc
	s_mov_b64 s[2:3], -1
                                        ; implicit-def: $sgpr46_sgpr47
                                        ; implicit-def: $sgpr44_sgpr45
	s_and_saveexec_b64 s[14:15], s[12:13]
	s_cbranch_execz .LBB62_346
; %bb.321:                              ;   in Loop: Header=BB62_6 Depth=1
	ds_read_b32 v3, v9 offset:4096
	s_waitcnt lgkmcnt(0)
	s_barrier
	v_readfirstlane_b32 s20, v3
	s_mov_b64 s[2:3], exec
	v_readlane_b32 s8, v50, 39
	v_readlane_b32 s9, v50, 40
	s_and_b64 s[8:9], s[2:3], s[8:9]
	s_mov_b64 exec, s[8:9]
; %bb.322:                              ;   in Loop: Header=BB62_6 Depth=1
	ds_write_b16 v26, v9
; %bb.323:                              ;   in Loop: Header=BB62_6 Depth=1
	s_or_b64 exec, exec, s[2:3]
	v_and_b32_e32 v3, s59, v37
	v_lshl_or_b32 v37, 1, s38, v3
	v_or_b32_e32 v42, s58, v42
	s_mov_b64 s[44:45], -1
	s_mov_b64 s[46:47], 0
	s_cmp_eq_u32 s20, 0
	s_mov_b64 s[16:17], 0
	s_mov_b64 s[2:3], -1
	s_waitcnt lgkmcnt(0)
	s_barrier
                                        ; implicit-def: $vgpr43
	s_cbranch_scc1 .LBB62_334
; %bb.324:                              ;   in Loop: Header=BB62_6 Depth=1
	v_readlane_b32 s2, v50, 41
	s_add_i32 s2, s20, s2
	v_readlane_b32 s3, v50, 61
	s_mul_hi_u32 s3, s2, s3
	s_mul_i32 s3, s3, s60
	s_sub_i32 s3, s2, s3
	s_sub_i32 s8, s3, s60
	s_cmp_ge_u32 s3, s60
	s_cselect_b32 s3, s8, s3
	s_sub_i32 s8, s3, s60
	s_cmp_ge_u32 s3, s60
	s_cselect_b32 s3, s8, s3
	s_sub_i32 s54, s2, s3
	v_cmp_gt_u32_e32 vcc, s54, v0
	s_mov_b64 s[2:3], 0
                                        ; implicit-def: $vgpr43
	s_and_saveexec_b64 s[24:25], vcc
	s_cbranch_execz .LBB62_333
; %bb.325:                              ;   in Loop: Header=BB62_6 Depth=1
	v_mov_b32_e32 v3, v25
	v_mov_b32_e32 v4, v0
                                        ; implicit-def: $sgpr28_sgpr29
	s_branch .LBB62_328
.LBB62_326:                             ;   in Loop: Header=BB62_328 Depth=2
	s_or_b64 exec, exec, s[52:53]
	s_waitcnt lgkmcnt(0)
	s_barrier
	ds_read_b32 v8, v9 offset:3072
	s_mov_b64 s[22:23], -1
	s_waitcnt lgkmcnt(0)
	s_barrier
	v_cmp_ne_u32_sdwa s[8:9], v8, v9 src0_sel:WORD_0 src1_sel:DWORD
	s_and_b64 vcc, exec, s[8:9]
	s_mov_b64 s[8:9], -1
	s_cbranch_vccz .LBB62_331
.LBB62_327:                             ;   in Loop: Header=BB62_328 Depth=2
	s_and_b64 s[22:23], exec, s[22:23]
	s_or_b64 s[16:17], s[22:23], s[16:17]
	s_andn2_b64 s[22:23], s[28:29], exec
	s_and_b64 s[8:9], s[8:9], exec
	s_or_b64 s[28:29], s[22:23], s[8:9]
	s_andn2_b64 exec, exec, s[16:17]
	s_cbranch_execz .LBB62_332
.LBB62_328:                             ;   Parent Loop BB62_6 Depth=1
                                        ; =>  This Inner Loop Header: Depth=2
	v_cmp_gt_u32_e32 vcc, s20, v4
	s_and_saveexec_b64 s[52:53], vcc
	s_cbranch_execz .LBB62_326
; %bb.329:                              ;   in Loop: Header=BB62_328 Depth=2
	ds_read_u16 v8, v3
	s_waitcnt lgkmcnt(0)
	v_add_u32_sdwa v12, sext(v8), s5 dst_sel:DWORD dst_unused:UNUSED_PAD src0_sel:WORD_0 src1_sel:DWORD
	v_and_b32_e32 v12, v12, v42
	v_cmp_eq_u32_e32 vcc, v12, v37
	s_and_b64 exec, exec, vcc
	s_cbranch_execz .LBB62_326
; %bb.330:                              ;   in Loop: Header=BB62_328 Depth=2
	v_perm_b32 v8, v8, 1, v41
	ds_write_b32 v9, v8 offset:3072
	s_branch .LBB62_326
.LBB62_331:                             ;   in Loop: Header=BB62_328 Depth=2
	v_add_u32_e32 v4, s60, v4
	v_cmp_le_u32_e32 vcc, s54, v4
	v_add_u32_e32 v3, s4, v3
	s_mov_b64 s[8:9], 0
	s_orn2_b64 s[22:23], vcc, exec
	s_branch .LBB62_327
.LBB62_332:                             ;   in Loop: Header=BB62_6 Depth=1
	s_or_b64 exec, exec, s[16:17]
	v_lshrrev_b32_e32 v43, 16, v8
	s_and_b64 s[16:17], s[28:29], exec
.LBB62_333:                             ;   in Loop: Header=BB62_6 Depth=1
	s_or_b64 exec, exec, s[24:25]
.LBB62_334:                             ;   in Loop: Header=BB62_6 Depth=1
	s_and_b64 vcc, exec, s[2:3]
	s_cbranch_vccz .LBB62_345
; %bb.335:                              ;   in Loop: Header=BB62_6 Depth=1
                                        ; implicit-def: $vgpr43
	s_mov_b64 s[2:3], exec
	v_readlane_b32 s8, v50, 63
	v_readlane_b32 s9, v49, 0
	s_and_b64 s[8:9], s[2:3], s[8:9]
	s_mov_b64 exec, s[8:9]
	s_cbranch_execz .LBB62_344
; %bb.336:                              ;   in Loop: Header=BB62_6 Depth=1
	s_mov_b64 s[24:25], 0
	v_mov_b32_e32 v8, v7
	v_mov_b32_e32 v3, v0
                                        ; implicit-def: $sgpr28_sgpr29
	s_branch .LBB62_339
.LBB62_337:                             ;   in Loop: Header=BB62_339 Depth=2
	s_or_b64 exec, exec, s[44:45]
	s_waitcnt lgkmcnt(0)
	s_barrier
	ds_read_b32 v4, v9 offset:3072
	s_mov_b64 s[22:23], -1
	s_waitcnt lgkmcnt(0)
	s_barrier
	v_cmp_eq_u32_sdwa s[8:9], v4, v9 src0_sel:WORD_0 src1_sel:DWORD
	s_and_b64 vcc, exec, s[8:9]
	s_mov_b64 s[8:9], -1
	s_cbranch_vccnz .LBB62_342
.LBB62_338:                             ;   in Loop: Header=BB62_339 Depth=2
	s_and_b64 s[22:23], exec, s[22:23]
	s_or_b64 s[24:25], s[22:23], s[24:25]
	s_andn2_b64 s[22:23], s[28:29], exec
	s_and_b64 s[8:9], s[8:9], exec
	s_or_b64 s[28:29], s[22:23], s[8:9]
	s_andn2_b64 exec, exec, s[24:25]
	s_cbranch_execz .LBB62_343
.LBB62_339:                             ;   Parent Loop BB62_6 Depth=1
                                        ; =>  This Inner Loop Header: Depth=2
	v_cmp_gt_u32_e32 vcc, s36, v3
	s_and_saveexec_b64 s[44:45], vcc
	s_cbranch_execz .LBB62_337
; %bb.340:                              ;   in Loop: Header=BB62_339 Depth=2
	v_lshlrev_b64 v[12:13], 1, v[8:9]
	v_mov_b32_e32 v4, s56
	v_add_co_u32_e32 v12, vcc, s33, v12
	v_addc_co_u32_e32 v13, vcc, v4, v13, vcc
	global_load_ushort v4, v[12:13], off
	s_waitcnt vmcnt(0)
	v_add_u32_sdwa v12, sext(v4), s5 dst_sel:DWORD dst_unused:UNUSED_PAD src0_sel:WORD_0 src1_sel:DWORD
	v_and_b32_e32 v12, v12, v42
	v_cmp_eq_u32_e32 vcc, v12, v37
	s_and_b64 exec, exec, vcc
	s_cbranch_execz .LBB62_337
; %bb.341:                              ;   in Loop: Header=BB62_339 Depth=2
	v_perm_b32 v4, v4, 1, v41
	ds_write_b32 v9, v4 offset:3072
	s_branch .LBB62_337
.LBB62_342:                             ;   in Loop: Header=BB62_339 Depth=2
	v_add_u32_e32 v3, s60, v3
	v_readlane_b32 s8, v50, 62
	v_cmp_le_u32_e32 vcc, s8, v3
	v_add_u32_e32 v8, s62, v8
	s_mov_b64 s[8:9], 0
	s_orn2_b64 s[22:23], vcc, exec
	s_branch .LBB62_338
.LBB62_343:                             ;   in Loop: Header=BB62_6 Depth=1
	s_or_b64 exec, exec, s[24:25]
	s_andn2_b64 s[8:9], s[16:17], exec
	s_and_b64 s[16:17], s[28:29], exec
	v_lshrrev_b32_e32 v43, 16, v4
	s_or_b64 s[16:17], s[8:9], s[16:17]
.LBB62_344:                             ;   in Loop: Header=BB62_6 Depth=1
	s_or_b64 exec, exec, s[2:3]
	s_mov_b64 s[44:45], 0
	s_mov_b64 s[46:47], -1
.LBB62_345:                             ;   in Loop: Header=BB62_6 Depth=1
	s_orn2_b64 s[2:3], s[16:17], exec
.LBB62_346:                             ;   in Loop: Header=BB62_6 Depth=1
	s_or_b64 exec, exec, s[14:15]
	s_mov_b64 s[16:17], 0
	s_and_saveexec_b64 s[14:15], s[2:3]
	s_cbranch_execz .LBB62_396
; %bb.347:                              ;   in Loop: Header=BB62_6 Depth=1
	s_xor_b64 s[8:9], s[12:13], -1
	s_mov_b64 s[28:29], 0
	v_mov_b32_e32 v3, 1
	v_mov_b32_e32 v1, 1
	s_and_saveexec_b64 s[2:3], s[8:9]
	s_cbranch_execz .LBB62_356
; %bb.348:                              ;   in Loop: Header=BB62_6 Depth=1
	v_cmp_ge_u32_e32 vcc, s18, v2
	s_and_saveexec_b64 s[8:9], vcc
	s_xor_b64 s[12:13], exec, s[8:9]
	s_cbranch_execz .LBB62_353
; %bb.349:                              ;   in Loop: Header=BB62_6 Depth=1
	v_and_b32_e32 v1, s59, v37
	v_lshl_or_b32 v37, 1, s38, v1
	ds_read_b32 v1, v9 offset:4096
	v_or_b32_e32 v42, s58, v42
	s_waitcnt lgkmcnt(0)
	v_cmp_ne_u32_e32 vcc, 0, v1
	s_cbranch_vccnz .LBB62_353
; %bb.350:                              ;   in Loop: Header=BB62_6 Depth=1
	s_mov_b64 s[8:9], exec
	v_readlane_b32 s16, v50, 22
	v_readlane_b32 s17, v50, 23
	s_and_b64 s[16:17], s[8:9], s[16:17]
	s_mov_b64 exec, s[16:17]
; %bb.351:                              ;   in Loop: Header=BB62_6 Depth=1
	v_mov_b32_e32 v1, s18
	ds_write_b32 v9, v1 offset:4100
; %bb.352:                              ;   in Loop: Header=BB62_6 Depth=1
	s_or_b64 exec, exec, s[8:9]
	s_waitcnt lgkmcnt(0)
	s_barrier
.LBB62_353:                             ;   in Loop: Header=BB62_6 Depth=1
	s_or_saveexec_b64 s[12:13], s[12:13]
	s_mov_b64 s[16:17], 0
	v_mov_b32_e32 v1, 5
	s_xor_b64 exec, exec, s[12:13]
; %bb.354:                              ;   in Loop: Header=BB62_6 Depth=1
	v_subrev_u32_e32 v2, s18, v2
	v_mov_b32_e32 v1, 0
	s_mov_b64 s[16:17], exec
; %bb.355:                              ;   in Loop: Header=BB62_6 Depth=1
	s_or_b64 exec, exec, s[12:13]
	s_and_b64 s[28:29], s[16:17], exec
	v_mov_b32_e32 v3, v2
.LBB62_356:                             ;   in Loop: Header=BB62_6 Depth=1
	s_or_b64 exec, exec, s[2:3]
	s_mov_b64 s[2:3], -1
                                        ; implicit-def: $sgpr12_sgpr13
                                        ; implicit-def: $sgpr24_sgpr25
	s_and_saveexec_b64 s[16:17], s[28:29]
	s_cbranch_execz .LBB62_395
; %bb.357:                              ;   in Loop: Header=BB62_6 Depth=1
	s_cmp_eq_u32 s39, 1
	s_cselect_b64 s[2:3], -1, 0
	v_cmp_eq_u32_e32 vcc, 1, v3
	s_and_b64 s[28:29], s[2:3], vcc
	s_mov_b64 s[54:55], -1
                                        ; implicit-def: $sgpr12_sgpr13
                                        ; implicit-def: $sgpr24_sgpr25
	s_and_saveexec_b64 s[52:53], s[28:29]
	s_cbranch_execz .LBB62_383
; %bb.358:                              ;   in Loop: Header=BB62_6 Depth=1
	ds_read_b32 v2, v9 offset:4096
	s_waitcnt lgkmcnt(0)
	s_barrier
	v_readfirstlane_b32 s18, v2
	s_mov_b64 s[2:3], exec
	v_readlane_b32 s8, v50, 39
	v_readlane_b32 s9, v50, 40
	s_and_b64 s[8:9], s[2:3], s[8:9]
	s_mov_b64 exec, s[8:9]
; %bb.359:                              ;   in Loop: Header=BB62_6 Depth=1
	ds_write_b16 v26, v9
; %bb.360:                              ;   in Loop: Header=BB62_6 Depth=1
	s_or_b64 exec, exec, s[2:3]
	v_and_b32_e32 v37, s59, v37
	v_or_b32_e32 v42, s58, v42
	s_mov_b64 s[24:25], -1
	s_mov_b64 s[12:13], 0
	s_cmp_eq_u32 s18, 0
	s_mov_b64 s[54:55], 0
	s_mov_b64 s[2:3], -1
	s_waitcnt lgkmcnt(0)
	s_barrier
                                        ; implicit-def: $vgpr43
	s_cbranch_scc1 .LBB62_371
; %bb.361:                              ;   in Loop: Header=BB62_6 Depth=1
	v_readlane_b32 s2, v50, 41
	s_add_i32 s2, s18, s2
	v_readlane_b32 s3, v50, 61
	s_mul_hi_u32 s3, s2, s3
	s_mul_i32 s3, s3, s60
	s_sub_i32 s3, s2, s3
	s_sub_i32 s8, s3, s60
	s_cmp_ge_u32 s3, s60
	s_cselect_b32 s3, s8, s3
	s_sub_i32 s8, s3, s60
	s_cmp_ge_u32 s3, s60
	s_cselect_b32 s3, s8, s3
	s_sub_i32 s20, s2, s3
	v_cmp_gt_u32_e32 vcc, s20, v0
	s_mov_b64 s[2:3], 0
                                        ; implicit-def: $vgpr43
	s_and_saveexec_b64 s[64:65], vcc
	s_cbranch_execz .LBB62_370
; %bb.362:                              ;   in Loop: Header=BB62_6 Depth=1
	v_mov_b32_e32 v2, v25
	v_mov_b32_e32 v4, v0
                                        ; implicit-def: $sgpr66_sgpr67
	s_branch .LBB62_365
.LBB62_363:                             ;   in Loop: Header=BB62_365 Depth=2
	s_or_b64 exec, exec, s[68:69]
	s_waitcnt lgkmcnt(0)
	s_barrier
	ds_read_b32 v8, v9 offset:3072
	s_mov_b64 s[22:23], -1
	s_waitcnt lgkmcnt(0)
	s_barrier
	v_cmp_ne_u32_sdwa s[8:9], v8, v9 src0_sel:WORD_0 src1_sel:DWORD
	s_and_b64 vcc, exec, s[8:9]
	s_mov_b64 s[8:9], -1
	s_cbranch_vccz .LBB62_368
.LBB62_364:                             ;   in Loop: Header=BB62_365 Depth=2
	s_and_b64 s[22:23], exec, s[22:23]
	s_or_b64 s[54:55], s[22:23], s[54:55]
	s_andn2_b64 s[22:23], s[66:67], exec
	s_and_b64 s[8:9], s[8:9], exec
	s_or_b64 s[66:67], s[22:23], s[8:9]
	s_andn2_b64 exec, exec, s[54:55]
	s_cbranch_execz .LBB62_369
.LBB62_365:                             ;   Parent Loop BB62_6 Depth=1
                                        ; =>  This Inner Loop Header: Depth=2
	v_cmp_gt_u32_e32 vcc, s18, v4
	s_and_saveexec_b64 s[68:69], vcc
	s_cbranch_execz .LBB62_363
; %bb.366:                              ;   in Loop: Header=BB62_365 Depth=2
	ds_read_u16 v8, v2
	s_waitcnt lgkmcnt(0)
	v_add_u32_sdwa v12, sext(v8), s5 dst_sel:DWORD dst_unused:UNUSED_PAD src0_sel:WORD_0 src1_sel:DWORD
	v_and_b32_e32 v12, v12, v42
	v_cmp_eq_u32_e32 vcc, v12, v37
	s_and_b64 exec, exec, vcc
	s_cbranch_execz .LBB62_363
; %bb.367:                              ;   in Loop: Header=BB62_365 Depth=2
	v_perm_b32 v8, v8, 1, v41
	ds_write_b32 v9, v8 offset:3072
	s_branch .LBB62_363
.LBB62_368:                             ;   in Loop: Header=BB62_365 Depth=2
	v_add_u32_e32 v4, s60, v4
	v_cmp_le_u32_e32 vcc, s20, v4
	v_add_u32_e32 v2, s4, v2
	s_mov_b64 s[8:9], 0
	s_orn2_b64 s[22:23], vcc, exec
	s_branch .LBB62_364
.LBB62_369:                             ;   in Loop: Header=BB62_6 Depth=1
	s_or_b64 exec, exec, s[54:55]
	v_lshrrev_b32_e32 v43, 16, v8
	s_and_b64 s[54:55], s[66:67], exec
.LBB62_370:                             ;   in Loop: Header=BB62_6 Depth=1
	s_or_b64 exec, exec, s[64:65]
.LBB62_371:                             ;   in Loop: Header=BB62_6 Depth=1
	s_and_b64 vcc, exec, s[2:3]
	s_cbranch_vccz .LBB62_382
; %bb.372:                              ;   in Loop: Header=BB62_6 Depth=1
                                        ; implicit-def: $vgpr43
	s_mov_b64 s[2:3], exec
	v_readlane_b32 s8, v50, 63
	v_readlane_b32 s9, v49, 0
	s_and_b64 s[8:9], s[2:3], s[8:9]
	s_mov_b64 exec, s[8:9]
	s_cbranch_execz .LBB62_381
; %bb.373:                              ;   in Loop: Header=BB62_6 Depth=1
	s_mov_b64 s[12:13], 0
	v_mov_b32_e32 v8, v7
	v_mov_b32_e32 v2, v0
                                        ; implicit-def: $sgpr24_sgpr25
	s_branch .LBB62_376
.LBB62_374:                             ;   in Loop: Header=BB62_376 Depth=2
	s_or_b64 exec, exec, s[64:65]
	s_waitcnt lgkmcnt(0)
	s_barrier
	ds_read_b32 v4, v9 offset:3072
	s_mov_b64 s[22:23], -1
	s_waitcnt lgkmcnt(0)
	s_barrier
	v_cmp_eq_u32_sdwa s[8:9], v4, v9 src0_sel:WORD_0 src1_sel:DWORD
	s_and_b64 vcc, exec, s[8:9]
	s_mov_b64 s[8:9], -1
	s_cbranch_vccnz .LBB62_379
.LBB62_375:                             ;   in Loop: Header=BB62_376 Depth=2
	s_and_b64 s[22:23], exec, s[22:23]
	s_or_b64 s[12:13], s[22:23], s[12:13]
	s_andn2_b64 s[22:23], s[24:25], exec
	s_and_b64 s[8:9], s[8:9], exec
	s_or_b64 s[24:25], s[22:23], s[8:9]
	s_andn2_b64 exec, exec, s[12:13]
	s_cbranch_execz .LBB62_380
.LBB62_376:                             ;   Parent Loop BB62_6 Depth=1
                                        ; =>  This Inner Loop Header: Depth=2
	v_cmp_gt_u32_e32 vcc, s36, v2
	s_and_saveexec_b64 s[64:65], vcc
	s_cbranch_execz .LBB62_374
; %bb.377:                              ;   in Loop: Header=BB62_376 Depth=2
	v_lshlrev_b64 v[12:13], 1, v[8:9]
	v_mov_b32_e32 v4, s56
	v_add_co_u32_e32 v12, vcc, s33, v12
	v_addc_co_u32_e32 v13, vcc, v4, v13, vcc
	global_load_ushort v4, v[12:13], off
	s_waitcnt vmcnt(0)
	v_add_u32_sdwa v12, sext(v4), s5 dst_sel:DWORD dst_unused:UNUSED_PAD src0_sel:WORD_0 src1_sel:DWORD
	v_and_b32_e32 v12, v12, v42
	v_cmp_eq_u32_e32 vcc, v12, v37
	s_and_b64 exec, exec, vcc
	s_cbranch_execz .LBB62_374
; %bb.378:                              ;   in Loop: Header=BB62_376 Depth=2
	v_perm_b32 v4, v4, 1, v41
	ds_write_b32 v9, v4 offset:3072
	s_branch .LBB62_374
.LBB62_379:                             ;   in Loop: Header=BB62_376 Depth=2
	v_add_u32_e32 v2, s60, v2
	v_readlane_b32 s8, v50, 62
	v_cmp_le_u32_e32 vcc, s8, v2
	v_add_u32_e32 v8, s62, v8
	s_mov_b64 s[8:9], 0
	s_orn2_b64 s[22:23], vcc, exec
	s_branch .LBB62_375
.LBB62_380:                             ;   in Loop: Header=BB62_6 Depth=1
	s_or_b64 exec, exec, s[12:13]
	s_andn2_b64 s[8:9], s[54:55], exec
	s_and_b64 s[12:13], s[24:25], exec
	v_lshrrev_b32_e32 v43, 16, v4
	s_or_b64 s[54:55], s[8:9], s[12:13]
.LBB62_381:                             ;   in Loop: Header=BB62_6 Depth=1
	s_or_b64 exec, exec, s[2:3]
	s_mov_b64 s[24:25], 0
	s_mov_b64 s[12:13], -1
.LBB62_382:                             ;   in Loop: Header=BB62_6 Depth=1
	s_orn2_b64 s[54:55], s[54:55], exec
.LBB62_383:                             ;   in Loop: Header=BB62_6 Depth=1
	s_or_b64 exec, exec, s[52:53]
	s_mov_b64 s[52:53], 0
	s_and_saveexec_b64 s[2:3], s[54:55]
	s_cbranch_execz .LBB62_394
; %bb.384:                              ;   in Loop: Header=BB62_6 Depth=1
	s_xor_b64 s[8:9], s[28:29], -1
	v_mov_b32_e32 v1, 1
	v_mov_b32_e32 v2, 1
	s_and_saveexec_b64 s[28:29], s[8:9]
	s_cbranch_execz .LBB62_393
; %bb.385:                              ;   in Loop: Header=BB62_6 Depth=1
	v_cmp_ge_u32_e32 vcc, s39, v3
	s_and_saveexec_b64 s[8:9], vcc
	s_xor_b64 s[52:53], exec, s[8:9]
	s_cbranch_execz .LBB62_390
; %bb.386:                              ;   in Loop: Header=BB62_6 Depth=1
	ds_read_b32 v1, v9 offset:4096
	v_and_b32_e32 v37, s59, v37
	v_or_b32_e32 v42, s58, v42
	s_waitcnt lgkmcnt(0)
	v_cmp_ne_u32_e32 vcc, 0, v1
	s_cbranch_vccnz .LBB62_390
; %bb.387:                              ;   in Loop: Header=BB62_6 Depth=1
	s_mov_b64 s[8:9], exec
	v_readlane_b32 s22, v50, 22
	v_readlane_b32 s23, v50, 23
	s_and_b64 s[22:23], s[8:9], s[22:23]
	s_mov_b64 exec, s[22:23]
; %bb.388:                              ;   in Loop: Header=BB62_6 Depth=1
	v_mov_b32_e32 v1, s39
	ds_write_b32 v9, v1 offset:4100
; %bb.389:                              ;   in Loop: Header=BB62_6 Depth=1
	s_or_b64 exec, exec, s[8:9]
	s_waitcnt lgkmcnt(0)
	s_barrier
.LBB62_390:                             ;   in Loop: Header=BB62_6 Depth=1
	s_andn2_saveexec_b64 s[52:53], s[52:53]
; %bb.391:                              ;   in Loop: Header=BB62_6 Depth=1
	v_subrev_u32_e32 v3, s39, v3
; %bb.392:                              ;   in Loop: Header=BB62_6 Depth=1
	s_or_b64 exec, exec, s[52:53]
	v_mov_b32_e32 v1, 5
	v_mov_b32_e32 v2, v3
.LBB62_393:                             ;   in Loop: Header=BB62_6 Depth=1
	s_or_b64 exec, exec, s[28:29]
	s_mov_b64 s[52:53], exec
	v_mov_b32_e32 v3, v2
.LBB62_394:                             ;   in Loop: Header=BB62_6 Depth=1
	s_or_b64 exec, exec, s[2:3]
	s_orn2_b64 s[2:3], s[52:53], exec
.LBB62_395:                             ;   in Loop: Header=BB62_6 Depth=1
	s_or_b64 exec, exec, s[16:17]
	s_andn2_b64 s[8:9], s[46:47], exec
	s_and_b64 s[12:13], s[12:13], exec
	s_or_b64 s[46:47], s[8:9], s[12:13]
	s_andn2_b64 s[8:9], s[44:45], exec
	s_and_b64 s[12:13], s[24:25], exec
	s_or_b64 s[44:45], s[8:9], s[12:13]
	s_and_b64 s[16:17], s[2:3], exec
	v_mov_b32_e32 v2, v3
.LBB62_396:                             ;   in Loop: Header=BB62_6 Depth=1
	s_or_b64 exec, exec, s[14:15]
	s_orn2_b64 s[2:3], s[16:17], exec
.LBB62_397:                             ;   in Loop: Header=BB62_6 Depth=1
	s_or_b64 exec, exec, s[94:95]
	s_andn2_b64 s[8:9], s[42:43], exec
	s_and_b64 s[12:13], s[46:47], exec
	s_or_b64 s[42:43], s[8:9], s[12:13]
	s_andn2_b64 s[8:9], s[40:41], exec
	s_and_b64 s[12:13], s[44:45], exec
	s_or_b64 s[40:41], s[8:9], s[12:13]
	s_and_b64 s[14:15], s[2:3], exec
	v_mov_b32_e32 v4, v2
.LBB62_398:                             ;   in Loop: Header=BB62_6 Depth=1
	s_or_b64 exec, exec, s[50:51]
	s_orn2_b64 s[2:3], s[14:15], exec
.LBB62_399:                             ;   in Loop: Header=BB62_6 Depth=1
	s_or_b64 exec, exec, s[6:7]
	s_mov_b64 s[6:7], s[92:93]
	s_mov_b64 s[12:13], s[34:35]
	s_and_saveexec_b64 s[14:15], s[2:3]
; %bb.400:                              ;   in Loop: Header=BB62_6 Depth=1
	v_cmp_ne_u32_e64 s[6:7], 5, v1
	v_cmp_eq_u32_e32 vcc, 5, v1
	s_andn2_b64 s[2:3], s[34:35], exec
	s_and_b64 s[6:7], s[6:7], exec
	s_or_b64 s[12:13], s[2:3], s[6:7]
	s_andn2_b64 s[2:3], s[92:93], exec
	s_and_b64 s[6:7], vcc, exec
	s_or_b64 s[6:7], s[2:3], s[6:7]
; %bb.401:                              ;   in Loop: Header=BB62_6 Depth=1
	s_or_b64 exec, exec, s[14:15]
	s_andn2_b64 s[2:3], s[26:27], exec
	s_and_b64 s[8:9], s[42:43], exec
	s_or_b64 s[26:27], s[2:3], s[8:9]
	s_andn2_b64 s[2:3], s[30:31], exec
	s_and_b64 s[8:9], s[40:41], exec
	s_or_b64 s[30:31], s[2:3], s[8:9]
	;; [unrolled: 3-line block ×4, first 2 shown]
.LBB62_402:                             ;   in Loop: Header=BB62_6 Depth=1
	s_or_b64 exec, exec, s[48:49]
	s_mov_b64 s[94:95], 0
	s_mov_b64 s[48:49], 0
	s_and_saveexec_b64 s[2:3], s[92:93]
.LBB62_403:                             ;   in Loop: Header=BB62_6 Depth=1
	v_mov_b32_e32 v1, 0
	s_or_b64 s[34:35], s[34:35], exec
.LBB62_404:                             ;   in Loop: Header=BB62_6 Depth=1
	s_or_b64 exec, exec, s[2:3]
	s_andn2_b64 s[2:3], s[88:89], exec
	s_and_b64 s[8:9], s[26:27], exec
	s_or_b64 s[88:89], s[2:3], s[8:9]
	s_andn2_b64 s[2:3], s[86:87], exec
	s_and_b64 s[8:9], s[30:31], exec
	s_or_b64 s[86:87], s[2:3], s[8:9]
	;; [unrolled: 3-line block ×3, first 2 shown]
	s_andn2_b64 s[2:3], s[82:83], exec
	s_and_b64 s[8:9], s[94:95], exec
	s_mov_b64 s[6:7], -1
	s_andn2_b64 s[90:91], s[90:91], exec
	s_or_b64 s[82:83], s[2:3], s[8:9]
	v_mov_b32_e32 v44, v4
	s_and_saveexec_b64 s[2:3], s[34:35]
	s_xor_b64 s[2:3], exec, s[2:3]
	s_mov_b32 s20, 0x5040100
	s_cbranch_execz .LBB62_5
; %bb.405:                              ;   in Loop: Header=BB62_6 Depth=1
	v_cmp_eq_u32_e32 vcc, 0, v1
	s_mov_b64 s[12:13], -1
	s_and_saveexec_b64 s[14:15], vcc
	s_cbranch_execz .LBB62_4
; %bb.406:                              ;   in Loop: Header=BB62_6 Depth=1
	v_readlane_b32 s6, v50, 25
	v_readlane_b32 s7, v50, 26
	s_xor_b32 s7, s7, 1
	s_add_i32 s8, s38, -2
	v_writelane_b32 v50, s6, 25
	s_cmp_eq_u32 s38, 0
	v_writelane_b32 v50, s7, 26
	s_cselect_b64 s[6:7], -1, 0
	s_xor_b64 s[12:13], exec, -1
	s_orn2_b64 s[6:7], s[6:7], exec
	s_mov_b32 s38, s8
	s_branch .LBB62_4
.LBB62_407:
	s_or_b64 exec, exec, s[70:71]
	s_xor_b64 s[6:7], s[80:81], -1
	s_xor_b64 s[18:19], s[78:79], -1
	;; [unrolled: 1-line block ×5, first 2 shown]
	s_mov_b64 s[12:13], 0
	s_and_saveexec_b64 s[10:11], s[4:5]
	s_xor_b64 s[10:11], exec, s[10:11]
	s_cbranch_execnz .LBB62_412
; %bb.408:
	s_andn2_saveexec_b64 s[0:1], s[10:11]
	s_cbranch_execnz .LBB62_431
.LBB62_409:
	s_or_b64 exec, exec, s[0:1]
	s_and_saveexec_b64 s[0:1], s[12:13]
.LBB62_410:
	; divergent unreachable
.LBB62_411:
	s_endpgm
.LBB62_412:
	s_mov_b64 s[14:15], 0
	s_and_saveexec_b64 s[4:5], s[8:9]
	s_xor_b64 s[12:13], exec, s[4:5]
	s_cbranch_execz .LBB62_429
; %bb.413:
	s_mov_b64 s[16:17], 0
	s_and_saveexec_b64 s[4:5], s[18:19]
	s_xor_b64 s[14:15], exec, s[4:5]
	s_cbranch_execz .LBB62_427
; %bb.414:
	;; [unrolled: 5-line block ×3, first 2 shown]
	s_and_saveexec_b64 s[4:5], s[2:3]
	s_xor_b64 s[2:3], exec, s[4:5]
; %bb.416:
	v_xor_b32_e32 v43, 0xffff8000, v37
; %bb.417:
	s_or_b64 exec, exec, s[2:3]
	s_mov_b64 s[2:3], exec
	v_readlane_b32 s4, v50, 22
	v_readlane_b32 s5, v50, 23
	;; [unrolled: 1-line block ×3, first 2 shown]
	s_and_b64 s[4:5], s[2:3], s[4:5]
	v_readlane_b32 s45, v50, 28
	v_readlane_b32 s6, v50, 24
	s_mov_b64 exec, s[4:5]
; %bb.418:
	v_mov_b32_e32 v1, 0
	ds_write_b32 v1, v1 offset:4108
; %bb.419:
	s_or_b64 exec, exec, s[2:3]
	v_mov_b32_e32 v4, 0
	s_waitcnt lgkmcnt(0)
	s_barrier
	s_mov_b64 s[2:3], exec
	v_readlane_b32 s4, v50, 35
	v_readlane_b32 s5, v50, 36
	s_and_b64 s[4:5], s[2:3], s[4:5]
	s_mov_b64 exec, s[4:5]
	s_cbranch_execz .LBB62_421
; %bb.420:
	global_load_ushort v4, v[5:6], off
.LBB62_421:
	s_or_b64 exec, exec, s[2:3]
	v_readlane_b32 s8, v50, 14
	v_readlane_b32 s9, v50, 15
	;; [unrolled: 1-line block ×3, first 2 shown]
	s_mul_i32 s2, s7, s9
	v_readlane_b32 s9, v50, 17
	s_mul_i32 s3, s9, s8
	s_add_i32 s30, s36, 63
	s_sub_i32 s3, s7, s3
	s_andn2_b32 s30, s30, 63
	s_sub_i32 s2, s6, s2
	s_add_i32 s4, s9, 1
	s_sub_i32 s5, s3, s8
	s_cmp_ge_u32 s3, s8
	s_cselect_b32 s4, s4, s9
	s_cselect_b32 s3, s5, s3
	s_add_i32 s5, s4, 1
	s_cmp_ge_u32 s3, s8
	s_cselect_b32 s3, s5, s4
	v_readlane_b32 s20, v50, 6
	s_mul_i32 s4, s3, s8
	v_readlane_b32 s21, v50, 7
	v_readlane_b32 s22, v50, 8
	s_sub_i32 s4, s7, s4
	s_mul_i32 s2, s2, s22
	s_mul_i32 s4, s4, s21
	v_readlane_b32 s8, v50, 18
	s_add_i32 s2, s4, s2
	s_mul_i32 s3, s3, s20
	v_readlane_b32 s9, v50, 19
	v_readlane_b32 s18, v50, 20
	s_add_i32 s2, s2, s3
	s_mul_i32 s3, s18, s9
	s_sub_i32 s3, s6, s3
	v_readlane_b32 s4, v50, 0
	v_readlane_b32 s6, v50, 2
	;; [unrolled: 1-line block ×4, first 2 shown]
	s_mov_b32 s22, s6
	v_readlane_b32 s7, v50, 21
	s_mov_b64 s[20:21], s[4:5]
	s_mul_i32 s4, s7, s8
	s_sub_i32 s4, s18, s4
	s_add_i32 s5, s7, 1
	s_sub_i32 s6, s4, s8
	s_cmp_ge_u32 s4, s8
	s_cselect_b32 s5, s5, s7
	s_cselect_b32 s4, s6, s4
	s_add_i32 s6, s5, 1
	s_cmp_ge_u32 s4, s8
	s_cselect_b32 s4, s6, s5
	s_mul_i32 s5, s4, s8
	s_sub_i32 s5, s18, s5
	s_mul_i32 s3, s3, s22
	s_mul_i32 s5, s5, s21
	s_add_i32 s3, s5, s3
	s_mul_i32 s4, s4, s20
	s_add_i32 s4, s3, s4
	s_mov_b32 s3, 0
	s_lshl_b64 s[6:7], s[2:3], 1
	v_readlane_b32 s8, v50, 10
	v_readlane_b32 s9, v50, 11
	s_add_u32 s31, s8, s6
	s_mov_b32 s5, s3
	s_addc_u32 s34, s9, s7
	s_lshl_b64 s[2:3], s[4:5], 3
	v_readlane_b32 s4, v50, 4
	v_readlane_b32 s5, v50, 5
	s_add_u32 s35, s4, s2
	s_addc_u32 s38, s5, s3
	v_readlane_b32 s2, v50, 12
	v_readlane_b32 s3, v50, 13
	s_load_dword s39, s[2:3], 0x1c8
	s_load_dword s40, s[2:3], 0x2a8
	v_cmp_gt_u32_e32 vcc, s30, v0
	s_mov_b64 s[2:3], -1
	s_mov_b64 s[8:9], 0
	s_mov_b64 s[4:5], 0
	v_readlane_b32 s23, v50, 9
	s_and_saveexec_b64 s[18:19], vcc
	s_cbranch_execnz .LBB62_432
; %bb.422:
	s_or_b64 exec, exec, s[18:19]
	s_and_saveexec_b64 s[6:7], s[2:3]
	s_cbranch_execnz .LBB62_447
.LBB62_423:
	s_or_b64 exec, exec, s[6:7]
	s_and_saveexec_b64 s[0:1], s[4:5]
	s_xor_b64 s[0:1], exec, s[0:1]
	s_cbranch_execnz .LBB62_470
.LBB62_424:
	s_or_b64 exec, exec, s[0:1]
	s_and_b64 s[18:19], s[8:9], exec
.LBB62_425:
	s_andn2_saveexec_b64 s[0:1], s[16:17]
	s_cbranch_execnz .LBB62_472
.LBB62_426:
	s_or_b64 exec, exec, s[0:1]
	s_and_b64 s[16:17], s[18:19], exec
.LBB62_427:
	s_andn2_saveexec_b64 s[0:1], s[14:15]
	s_cbranch_execnz .LBB62_471
.LBB62_428:
	s_or_b64 exec, exec, s[0:1]
	s_and_b64 s[14:15], s[16:17], exec
.LBB62_429:
	s_andn2_saveexec_b64 s[0:1], s[12:13]
	s_cbranch_execnz .LBB62_466
.LBB62_430:
	s_or_b64 exec, exec, s[0:1]
	s_and_b64 s[12:13], s[14:15], exec
	s_andn2_saveexec_b64 s[0:1], s[10:11]
	s_cbranch_execz .LBB62_409
.LBB62_431:
	s_or_b64 s[12:13], s[12:13], exec
	s_trap 2
	s_or_b64 exec, exec, s[0:1]
	s_and_saveexec_b64 s[0:1], s[12:13]
	s_cbranch_execnz .LBB62_410
	s_branch .LBB62_411
.LBB62_432:
	v_add_u32_e32 v1, s60, v0
	v_mul_lo_u32 v1, s61, v1
	s_mov_b32 s41, 0x8000
	v_add_u32_sdwa v7, sext(v43), s41 dst_sel:DWORD dst_unused:UNUSED_PAD src0_sel:WORD_0 src1_sel:DWORD
	s_mov_b64 s[20:21], 0
	v_mov_b32_e32 v2, 0
	v_mov_b32_e32 v3, v0
                                        ; implicit-def: $sgpr22_sgpr23
                                        ; implicit-def: $vgpr9
	s_branch .LBB62_434
.LBB62_433:                             ;   in Loop: Header=BB62_434 Depth=1
	s_or_b64 exec, exec, s[24:25]
	s_xor_b64 s[4:5], s[6:7], -1
	s_and_b64 s[2:3], exec, s[2:3]
	s_or_b64 s[20:21], s[2:3], s[20:21]
	s_andn2_b64 s[2:3], s[22:23], exec
	s_and_b64 s[4:5], s[4:5], exec
	s_or_b64 s[22:23], s[2:3], s[4:5]
	v_mov_b32_e32 v4, v10
	v_mov_b32_e32 v3, v8
	s_andn2_b64 exec, exec, s[20:21]
	s_cbranch_execz .LBB62_446
.LBB62_434:                             ; =>This Inner Loop Header: Depth=1
	v_add_u32_e32 v8, s60, v3
	v_cmp_gt_u32_e64 s[4:5], s36, v8
	v_mov_b32_e32 v10, 0
	s_and_saveexec_b64 s[2:3], s[4:5]
	s_cbranch_execz .LBB62_436
; %bb.435:                              ;   in Loop: Header=BB62_434 Depth=1
	v_lshlrev_b64 v[10:11], 1, v[1:2]
	v_mov_b32_e32 v12, s56
	v_add_co_u32_e64 v10, s[4:5], s33, v10
	v_addc_co_u32_e64 v11, s[4:5], v12, v11, s[4:5]
	global_load_ushort v10, v[10:11], off
.LBB62_436:                             ;   in Loop: Header=BB62_434 Depth=1
	s_or_b64 exec, exec, s[2:3]
	s_waitcnt vmcnt(0)
	v_add_u32_sdwa v11, sext(v4), s41 dst_sel:DWORD dst_unused:UNUSED_PAD src0_sel:WORD_0 src1_sel:DWORD
	v_cmp_gt_u32_e64 s[6:7], v11, v7
	v_cndmask_b32_e64 v12, 0, 1, s[6:7]
	v_cmp_lt_u32_e64 s[6:7], v11, v7
	v_cndmask_b32_e64 v11, 0, 1, s[6:7]
	v_cndmask_b32_e64 v11, v11, v12, s[44:45]
	v_and_b32_e32 v11, 1, v11
	v_cmp_gt_u32_e64 s[4:5], s36, v3
	v_cmp_eq_u32_e64 s[6:7], 1, v11
	s_and_b64 s[24:25], s[4:5], s[6:7]
	v_cndmask_b32_e64 v11, 0, 1, s[24:25]
	v_cmp_ne_u32_e64 s[4:5], 0, v11
	s_cmp_lg_u64 s[4:5], 0
	s_cselect_b64 s[2:3], -1, 0
	s_and_b64 s[6:7], s[0:1], s[2:3]
	s_and_saveexec_b64 s[2:3], s[6:7]
	s_cbranch_execz .LBB62_440
; %bb.437:                              ;   in Loop: Header=BB62_434 Depth=1
	s_mov_b64 s[28:29], exec
	s_waitcnt lgkmcnt(0)
	v_mbcnt_lo_u32_b32 v9, s28, 0
	v_mbcnt_hi_u32_b32 v9, s29, v9
	s_bcnt1_i32_b64 s42, s[4:5]
	v_cmp_eq_u32_e64 s[6:7], 0, v9
                                        ; implicit-def: $vgpr11
	s_and_saveexec_b64 s[26:27], s[6:7]
; %bb.438:                              ;   in Loop: Header=BB62_434 Depth=1
	s_bcnt1_i32_b64 s6, s[28:29]
	s_mul_i32 s6, s42, s6
	v_mov_b32_e32 v11, s6
	ds_add_rtn_u32 v11, v2, v11 offset:4108
; %bb.439:                              ;   in Loop: Header=BB62_434 Depth=1
	s_or_b64 exec, exec, s[26:27]
	s_waitcnt lgkmcnt(0)
	v_readfirstlane_b32 s6, v11
	v_mov_b32_e32 v11, s6
	v_mad_u32_u24 v9, s42, v9, v11
.LBB62_440:                             ;   in Loop: Header=BB62_434 Depth=1
	s_or_b64 exec, exec, s[2:3]
	s_waitcnt lgkmcnt(0)
	ds_bpermute_b32 v9, v20, v9
	s_mov_b64 s[2:3], -1
	s_mov_b64 s[26:27], -1
	s_and_saveexec_b64 s[6:7], s[24:25]
	s_cbranch_execz .LBB62_444
; %bb.441:                              ;   in Loop: Header=BB62_434 Depth=1
	v_and_b32_e32 v12, s4, v22
	v_and_b32_e32 v11, s5, v21
	v_bcnt_u32_b32 v12, v12, 0
	v_bcnt_u32_b32 v11, v11, v12
	s_waitcnt lgkmcnt(0)
	v_add_u32_e32 v11, v9, v11
	v_cmp_gt_u32_e64 s[4:5], s37, v11
	s_mov_b64 s[24:25], 0
	s_and_saveexec_b64 s[26:27], s[4:5]
; %bb.442:                              ;   in Loop: Header=BB62_434 Depth=1
	v_mul_lo_u32 v12, v11, s39
	v_mov_b32_e32 v13, v2
	v_mul_lo_u32 v11, v11, s40
	v_mov_b32_e32 v14, s34
	v_lshlrev_b64 v[12:13], 1, v[12:13]
	s_mov_b64 s[24:25], exec
	v_add_co_u32_e64 v12, s[4:5], s31, v12
	v_addc_co_u32_e64 v13, s[4:5], v14, v13, s[4:5]
	global_store_short v[12:13], v4, off
	v_mov_b32_e32 v12, v2
	v_lshlrev_b64 v[11:12], 3, v[11:12]
	v_mov_b32_e32 v13, s38
	v_add_co_u32_e64 v11, s[4:5], s35, v11
	v_mov_b32_e32 v4, v2
	v_addc_co_u32_e64 v12, s[4:5], v13, v12, s[4:5]
	global_store_dwordx2 v[11:12], v[3:4], off
; %bb.443:                              ;   in Loop: Header=BB62_434 Depth=1
	s_or_b64 exec, exec, s[26:27]
	s_orn2_b64 s[26:27], s[24:25], exec
.LBB62_444:                             ;   in Loop: Header=BB62_434 Depth=1
	s_or_b64 exec, exec, s[6:7]
	s_mov_b64 s[6:7], -1
	s_and_saveexec_b64 s[24:25], s[26:27]
	s_cbranch_execz .LBB62_433
; %bb.445:                              ;   in Loop: Header=BB62_434 Depth=1
	v_cmp_le_u32_e64 s[4:5], s30, v8
	v_add_u32_e32 v1, s62, v1
	s_xor_b64 s[6:7], exec, -1
	s_orn2_b64 s[2:3], s[4:5], exec
	s_branch .LBB62_433
.LBB62_446:
	s_or_b64 exec, exec, s[20:21]
	s_mov_b64 s[4:5], exec
	s_orn2_b64 s[2:3], s[22:23], exec
	s_or_b64 exec, exec, s[18:19]
	s_and_saveexec_b64 s[6:7], s[2:3]
	s_cbranch_execz .LBB62_423
.LBB62_447:
	v_mov_b32_e32 v1, 0
	s_waitcnt vmcnt(0) lgkmcnt(0)
	s_barrier
	s_mov_b64 s[2:3], exec
	v_readlane_b32 s8, v50, 35
	v_readlane_b32 s9, v50, 36
	s_and_b64 s[8:9], s[2:3], s[8:9]
	s_mov_b64 exec, s[8:9]
	s_cbranch_execz .LBB62_449
; %bb.448:
	global_load_ushort v1, v[5:6], off
.LBB62_449:
	s_or_b64 exec, exec, s[2:3]
	s_mov_b64 s[2:3], 0
	s_and_saveexec_b64 s[8:9], vcc
	s_cbranch_execz .LBB62_469
; %bb.450:
	v_add_u32_e32 v2, s60, v0
	v_mul_lo_u32 v2, s61, v2
	s_mov_b64 s[18:19], 0
	v_mov_b32_e32 v3, 0
                                        ; implicit-def: $sgpr20_sgpr21
                                        ; implicit-def: $vgpr5
	s_branch .LBB62_453
.LBB62_451:                             ;   in Loop: Header=BB62_453 Depth=1
	s_or_b64 exec, exec, s[24:25]
	s_orn2_b64 s[26:27], s[28:29], exec
	s_orn2_b64 s[24:25], s[22:23], exec
.LBB62_452:                             ;   in Loop: Header=BB62_453 Depth=1
	s_or_b64 exec, exec, s[2:3]
	s_xor_b64 s[2:3], s[26:27], -1
	s_and_b64 s[22:23], exec, s[24:25]
	s_or_b64 s[18:19], s[22:23], s[18:19]
	s_andn2_b64 s[20:21], s[20:21], exec
	s_and_b64 s[2:3], s[2:3], exec
	s_or_b64 s[20:21], s[20:21], s[2:3]
	v_mov_b32_e32 v0, v4
	v_mov_b32_e32 v1, v6
	s_andn2_b64 exec, exec, s[18:19]
	s_cbranch_execz .LBB62_467
.LBB62_453:                             ; =>This Inner Loop Header: Depth=1
	v_add_u32_e32 v4, s60, v0
	v_cmp_gt_u32_e32 vcc, s36, v4
	v_mov_b32_e32 v6, 0
	s_and_saveexec_b64 s[2:3], vcc
	s_cbranch_execz .LBB62_455
; %bb.454:                              ;   in Loop: Header=BB62_453 Depth=1
	v_lshlrev_b64 v[6:7], 1, v[2:3]
	v_mov_b32_e32 v8, s56
	v_add_co_u32_e32 v6, vcc, s33, v6
	v_addc_co_u32_e32 v7, vcc, v8, v7, vcc
	global_load_ushort v6, v[6:7], off
.LBB62_455:                             ;   in Loop: Header=BB62_453 Depth=1
	s_or_b64 exec, exec, s[2:3]
	v_cmp_gt_u32_e32 vcc, s36, v0
	s_waitcnt vmcnt(0)
	v_cmp_eq_u16_e64 s[2:3], v1, v43
	s_and_b64 s[22:23], vcc, s[2:3]
	v_cndmask_b32_e64 v1, 0, 1, s[22:23]
	v_cmp_ne_u32_e32 vcc, 0, v1
	s_cmp_lg_u64 vcc, 0
	s_cselect_b64 s[2:3], -1, 0
	s_and_b64 s[2:3], s[0:1], s[2:3]
	s_and_saveexec_b64 s[24:25], s[2:3]
	s_cbranch_execz .LBB62_459
; %bb.456:                              ;   in Loop: Header=BB62_453 Depth=1
	s_mov_b64 s[28:29], exec
	v_mbcnt_lo_u32_b32 v1, s28, 0
	v_mbcnt_hi_u32_b32 v1, s29, v1
	s_bcnt1_i32_b64 s41, vcc
	v_cmp_eq_u32_e64 s[2:3], 0, v1
                                        ; implicit-def: $vgpr5
	s_and_saveexec_b64 s[26:27], s[2:3]
; %bb.457:                              ;   in Loop: Header=BB62_453 Depth=1
	s_bcnt1_i32_b64 s2, s[28:29]
	s_mul_i32 s2, s41, s2
	v_mov_b32_e32 v5, s2
	ds_add_rtn_u32 v5, v3, v5 offset:4108
; %bb.458:                              ;   in Loop: Header=BB62_453 Depth=1
	s_or_b64 exec, exec, s[26:27]
	s_waitcnt lgkmcnt(0)
	v_readfirstlane_b32 s2, v5
	v_mov_b32_e32 v5, s2
	v_mad_u32_u24 v5, s41, v1, v5
.LBB62_459:                             ;   in Loop: Header=BB62_453 Depth=1
	s_or_b64 exec, exec, s[24:25]
	ds_bpermute_b32 v5, v20, v5
	s_cmp_eq_u64 vcc, 0
	s_cselect_b64 s[26:27], -1, 0
	s_mov_b64 s[24:25], -1
	s_waitcnt lgkmcnt(0)
	v_cmp_gt_u32_e64 s[2:3], s37, v5
	s_or_b64 s[28:29], s[26:27], s[2:3]
	s_mov_b64 s[26:27], -1
	s_and_saveexec_b64 s[2:3], s[28:29]
	s_cbranch_execz .LBB62_452
; %bb.460:                              ;   in Loop: Header=BB62_453 Depth=1
	v_and_b32_e32 v7, vcc_lo, v22
	v_and_b32_e32 v1, vcc_hi, v21
	v_bcnt_u32_b32 v7, v7, 0
	v_bcnt_u32_b32 v1, v1, v7
	v_sub_u32_e32 v7, s37, v5
	v_cmp_gt_u32_e32 vcc, v7, v1
	s_and_b64 s[42:43], s[22:23], vcc
	s_mov_b64 s[22:23], -1
	s_mov_b64 s[28:29], -1
	s_and_saveexec_b64 s[24:25], s[42:43]
	s_cbranch_execz .LBB62_464
; %bb.461:                              ;   in Loop: Header=BB62_453 Depth=1
	v_add_u32_e32 v1, v5, v1
	v_cmp_gt_u32_e32 vcc, s37, v1
	s_mov_b64 s[26:27], 0
	s_and_saveexec_b64 s[28:29], vcc
; %bb.462:                              ;   in Loop: Header=BB62_453 Depth=1
	v_mul_lo_u32 v7, v1, s39
	v_mov_b32_e32 v8, v3
	v_mul_lo_u32 v9, v1, s40
	v_mov_b32_e32 v1, s34
	v_lshlrev_b64 v[7:8], 1, v[7:8]
	v_mov_b32_e32 v10, v3
	v_add_co_u32_e32 v7, vcc, s31, v7
	v_addc_co_u32_e32 v8, vcc, v1, v8, vcc
	global_store_short v[7:8], v43, off
	v_lshlrev_b64 v[7:8], 3, v[9:10]
	v_mov_b32_e32 v9, s38
	v_add_co_u32_e32 v7, vcc, s35, v7
	s_mov_b64 s[26:27], exec
	v_mov_b32_e32 v1, v3
	v_addc_co_u32_e32 v8, vcc, v9, v8, vcc
	global_store_dwordx2 v[7:8], v[0:1], off
; %bb.463:                              ;   in Loop: Header=BB62_453 Depth=1
	s_or_b64 exec, exec, s[28:29]
	s_xor_b64 s[28:29], exec, -1
	s_orn2_b64 s[26:27], s[26:27], exec
.LBB62_464:                             ;   in Loop: Header=BB62_453 Depth=1
	s_or_b64 exec, exec, s[24:25]
	s_and_saveexec_b64 s[24:25], s[26:27]
	s_cbranch_execz .LBB62_451
; %bb.465:                              ;   in Loop: Header=BB62_453 Depth=1
	v_cmp_le_u32_e32 vcc, s30, v4
	v_add_u32_e32 v2, s62, v2
	s_or_b64 s[28:29], s[28:29], exec
	s_orn2_b64 s[22:23], vcc, exec
	s_branch .LBB62_451
.LBB62_466:
	s_or_b64 s[14:15], s[14:15], exec
	s_trap 2
	s_branch .LBB62_430
.LBB62_467:
	s_or_b64 exec, exec, s[18:19]
	s_mov_b64 s[0:1], 0
	s_and_saveexec_b64 s[2:3], s[20:21]
	s_xor_b64 s[2:3], exec, s[2:3]
	s_cbranch_execnz .LBB62_473
.LBB62_468:
	s_or_b64 exec, exec, s[2:3]
	s_and_b64 s[2:3], s[0:1], exec
.LBB62_469:
	s_or_b64 exec, exec, s[8:9]
	s_and_b64 s[8:9], s[2:3], exec
	s_andn2_b64 s[4:5], s[4:5], exec
	s_or_b64 exec, exec, s[6:7]
	s_and_saveexec_b64 s[0:1], s[4:5]
	s_xor_b64 s[0:1], exec, s[0:1]
	s_cbranch_execz .LBB62_424
.LBB62_470:
	s_trap 2
	s_or_b64 s[8:9], s[8:9], exec
	s_branch .LBB62_424
.LBB62_471:
	s_or_b64 s[16:17], s[16:17], exec
	s_trap 2
	s_branch .LBB62_428
.LBB62_472:
	s_trap 2
	s_or_b64 s[18:19], s[18:19], exec
	s_branch .LBB62_426
.LBB62_473:
	s_mov_b64 s[0:1], exec
	s_trap 2
	s_branch .LBB62_468
	.section	.rodata,"a",@progbits
	.p2align	6, 0x0
	.amdhsa_kernel _ZN2at6native6sbtopk10gatherTopKIsjLi3ELb0EEEvNS_4cuda6detail10TensorInfoIKT_T0_EES8_S8_bS8_S8_NS5_IS6_S8_EES8_NS5_IlS8_EES8_PS6_
		.amdhsa_group_segment_fixed_size 4112
		.amdhsa_private_segment_fixed_size 0
		.amdhsa_kernarg_size 952
		.amdhsa_user_sgpr_count 6
		.amdhsa_user_sgpr_private_segment_buffer 1
		.amdhsa_user_sgpr_dispatch_ptr 0
		.amdhsa_user_sgpr_queue_ptr 0
		.amdhsa_user_sgpr_kernarg_segment_ptr 1
		.amdhsa_user_sgpr_dispatch_id 0
		.amdhsa_user_sgpr_flat_scratch_init 0
		.amdhsa_user_sgpr_private_segment_size 0
		.amdhsa_uses_dynamic_stack 0
		.amdhsa_system_sgpr_private_segment_wavefront_offset 0
		.amdhsa_system_sgpr_workgroup_id_x 1
		.amdhsa_system_sgpr_workgroup_id_y 1
		.amdhsa_system_sgpr_workgroup_id_z 1
		.amdhsa_system_sgpr_workgroup_info 0
		.amdhsa_system_vgpr_workitem_id 0
		.amdhsa_next_free_vgpr 51
		.amdhsa_next_free_sgpr 96
		.amdhsa_reserve_vcc 1
		.amdhsa_reserve_flat_scratch 0
		.amdhsa_float_round_mode_32 0
		.amdhsa_float_round_mode_16_64 0
		.amdhsa_float_denorm_mode_32 3
		.amdhsa_float_denorm_mode_16_64 3
		.amdhsa_dx10_clamp 1
		.amdhsa_ieee_mode 1
		.amdhsa_fp16_overflow 0
		.amdhsa_exception_fp_ieee_invalid_op 0
		.amdhsa_exception_fp_denorm_src 0
		.amdhsa_exception_fp_ieee_div_zero 0
		.amdhsa_exception_fp_ieee_overflow 0
		.amdhsa_exception_fp_ieee_underflow 0
		.amdhsa_exception_fp_ieee_inexact 0
		.amdhsa_exception_int_div_zero 0
	.end_amdhsa_kernel
	.section	.text._ZN2at6native6sbtopk10gatherTopKIsjLi3ELb0EEEvNS_4cuda6detail10TensorInfoIKT_T0_EES8_S8_bS8_S8_NS5_IS6_S8_EES8_NS5_IlS8_EES8_PS6_,"axG",@progbits,_ZN2at6native6sbtopk10gatherTopKIsjLi3ELb0EEEvNS_4cuda6detail10TensorInfoIKT_T0_EES8_S8_bS8_S8_NS5_IS6_S8_EES8_NS5_IlS8_EES8_PS6_,comdat
.Lfunc_end62:
	.size	_ZN2at6native6sbtopk10gatherTopKIsjLi3ELb0EEEvNS_4cuda6detail10TensorInfoIKT_T0_EES8_S8_bS8_S8_NS5_IS6_S8_EES8_NS5_IlS8_EES8_PS6_, .Lfunc_end62-_ZN2at6native6sbtopk10gatherTopKIsjLi3ELb0EEEvNS_4cuda6detail10TensorInfoIKT_T0_EES8_S8_bS8_S8_NS5_IS6_S8_EES8_NS5_IlS8_EES8_PS6_
                                        ; -- End function
	.set _ZN2at6native6sbtopk10gatherTopKIsjLi3ELb0EEEvNS_4cuda6detail10TensorInfoIKT_T0_EES8_S8_bS8_S8_NS5_IS6_S8_EES8_NS5_IlS8_EES8_PS6_.num_vgpr, 51
	.set _ZN2at6native6sbtopk10gatherTopKIsjLi3ELb0EEEvNS_4cuda6detail10TensorInfoIKT_T0_EES8_S8_bS8_S8_NS5_IS6_S8_EES8_NS5_IlS8_EES8_PS6_.num_agpr, 0
	.set _ZN2at6native6sbtopk10gatherTopKIsjLi3ELb0EEEvNS_4cuda6detail10TensorInfoIKT_T0_EES8_S8_bS8_S8_NS5_IS6_S8_EES8_NS5_IlS8_EES8_PS6_.numbered_sgpr, 96
	.set _ZN2at6native6sbtopk10gatherTopKIsjLi3ELb0EEEvNS_4cuda6detail10TensorInfoIKT_T0_EES8_S8_bS8_S8_NS5_IS6_S8_EES8_NS5_IlS8_EES8_PS6_.num_named_barrier, 0
	.set _ZN2at6native6sbtopk10gatherTopKIsjLi3ELb0EEEvNS_4cuda6detail10TensorInfoIKT_T0_EES8_S8_bS8_S8_NS5_IS6_S8_EES8_NS5_IlS8_EES8_PS6_.private_seg_size, 0
	.set _ZN2at6native6sbtopk10gatherTopKIsjLi3ELb0EEEvNS_4cuda6detail10TensorInfoIKT_T0_EES8_S8_bS8_S8_NS5_IS6_S8_EES8_NS5_IlS8_EES8_PS6_.uses_vcc, 1
	.set _ZN2at6native6sbtopk10gatherTopKIsjLi3ELb0EEEvNS_4cuda6detail10TensorInfoIKT_T0_EES8_S8_bS8_S8_NS5_IS6_S8_EES8_NS5_IlS8_EES8_PS6_.uses_flat_scratch, 0
	.set _ZN2at6native6sbtopk10gatherTopKIsjLi3ELb0EEEvNS_4cuda6detail10TensorInfoIKT_T0_EES8_S8_bS8_S8_NS5_IS6_S8_EES8_NS5_IlS8_EES8_PS6_.has_dyn_sized_stack, 0
	.set _ZN2at6native6sbtopk10gatherTopKIsjLi3ELb0EEEvNS_4cuda6detail10TensorInfoIKT_T0_EES8_S8_bS8_S8_NS5_IS6_S8_EES8_NS5_IlS8_EES8_PS6_.has_recursion, 0
	.set _ZN2at6native6sbtopk10gatherTopKIsjLi3ELb0EEEvNS_4cuda6detail10TensorInfoIKT_T0_EES8_S8_bS8_S8_NS5_IS6_S8_EES8_NS5_IlS8_EES8_PS6_.has_indirect_call, 0
	.section	.AMDGPU.csdata,"",@progbits
; Kernel info:
; codeLenInByte = 17088
; TotalNumSgprs: 100
; NumVgprs: 51
; ScratchSize: 0
; MemoryBound: 0
; FloatMode: 240
; IeeeMode: 1
; LDSByteSize: 4112 bytes/workgroup (compile time only)
; SGPRBlocks: 12
; VGPRBlocks: 12
; NumSGPRsForWavesPerEU: 100
; NumVGPRsForWavesPerEU: 51
; Occupancy: 4
; WaveLimiterHint : 1
; COMPUTE_PGM_RSRC2:SCRATCH_EN: 0
; COMPUTE_PGM_RSRC2:USER_SGPR: 6
; COMPUTE_PGM_RSRC2:TRAP_HANDLER: 0
; COMPUTE_PGM_RSRC2:TGID_X_EN: 1
; COMPUTE_PGM_RSRC2:TGID_Y_EN: 1
; COMPUTE_PGM_RSRC2:TGID_Z_EN: 1
; COMPUTE_PGM_RSRC2:TIDIG_COMP_CNT: 0
	.section	.text._ZN2at6native6mbtopk23computeBlockDigitCountsIsjjLin1EEEvNS_4cuda6detail10TensorInfoIKT_T0_EEjPjjS8_iijT1_PSB_Ps,"axG",@progbits,_ZN2at6native6mbtopk23computeBlockDigitCountsIsjjLin1EEEvNS_4cuda6detail10TensorInfoIKT_T0_EEjPjjS8_iijT1_PSB_Ps,comdat
	.protected	_ZN2at6native6mbtopk23computeBlockDigitCountsIsjjLin1EEEvNS_4cuda6detail10TensorInfoIKT_T0_EEjPjjS8_iijT1_PSB_Ps ; -- Begin function _ZN2at6native6mbtopk23computeBlockDigitCountsIsjjLin1EEEvNS_4cuda6detail10TensorInfoIKT_T0_EEjPjjS8_iijT1_PSB_Ps
	.globl	_ZN2at6native6mbtopk23computeBlockDigitCountsIsjjLin1EEEvNS_4cuda6detail10TensorInfoIKT_T0_EEjPjjS8_iijT1_PSB_Ps
	.p2align	8
	.type	_ZN2at6native6mbtopk23computeBlockDigitCountsIsjjLin1EEEvNS_4cuda6detail10TensorInfoIKT_T0_EEjPjjS8_iijT1_PSB_Ps,@function
_ZN2at6native6mbtopk23computeBlockDigitCountsIsjjLin1EEEvNS_4cuda6detail10TensorInfoIKT_T0_EEjPjjS8_iijT1_PSB_Ps: ; @_ZN2at6native6mbtopk23computeBlockDigitCountsIsjjLin1EEEvNS_4cuda6detail10TensorInfoIKT_T0_EEjPjjS8_iijT1_PSB_Ps
; %bb.0:
	s_load_dwordx2 s[10:11], s[4:5], 0xf8
	s_load_dwordx4 s[12:15], s[4:5], 0xe8
	s_load_dwordx2 s[0:1], s[4:5], 0x110
	s_mov_b32 s9, 0
	s_waitcnt lgkmcnt(0)
	v_cvt_f32_u32_e32 v1, s10
	s_sub_i32 s2, 0, s10
	s_mul_i32 s1, s1, s8
	s_add_i32 s1, s1, s7
	v_rcp_iflag_f32_e32 v1, v1
	s_mul_i32 s16, s1, s0
	s_add_i32 s16, s16, s6
	v_mul_f32_e32 v1, 0x4f7ffffe, v1
	v_cvt_u32_f32_e32 v1, v1
	v_readfirstlane_b32 s0, v1
	s_mul_i32 s2, s2, s0
	s_mul_hi_u32 s1, s0, s2
	s_add_i32 s0, s0, s1
	s_mul_hi_u32 s0, s16, s0
	s_mul_i32 s1, s0, s10
	s_sub_i32 s1, s16, s1
	s_add_i32 s2, s0, 1
	s_sub_i32 s3, s1, s10
	s_cmp_ge_u32 s1, s10
	s_cselect_b32 s0, s2, s0
	s_cselect_b32 s1, s3, s1
	s_add_i32 s2, s0, 1
	s_cmp_ge_u32 s1, s10
	s_cselect_b32 s8, s2, s0
	s_cmp_ge_u32 s8, s12
	s_cbranch_scc1 .LBB63_30
; %bb.1:
	s_load_dwordx4 s[0:3], s[4:5], 0x100
	s_load_dword s6, s[4:5], 0xd0
	s_lshl_b64 s[18:19], s[8:9], 2
	s_waitcnt lgkmcnt(0)
	s_add_u32 s0, s0, s18
	s_addc_u32 s1, s1, s19
	s_cmp_lt_i32 s6, 2
	s_mov_b32 s19, s8
	s_cbranch_scc1 .LBB63_4
; %bb.2:
	s_add_i32 s20, s6, -1
	s_mov_b32 s21, 0
	s_add_i32 s12, s6, 1
	s_lshl_b64 s[6:7], s[20:21], 2
	s_add_u32 s6, s4, s6
	s_addc_u32 s7, s5, s7
	s_add_u32 s6, s6, 8
	s_addc_u32 s7, s7, 0
	s_mov_b32 s19, s8
	s_mov_b32 s9, s21
.LBB63_3:                               ; =>This Inner Loop Header: Depth=1
	s_load_dword s17, s[6:7], 0x0
	s_load_dword s20, s[6:7], 0x64
	s_mov_b32 s18, s19
	s_waitcnt lgkmcnt(0)
	v_cvt_f32_u32_e32 v1, s17
	s_sub_i32 s19, 0, s17
	v_rcp_iflag_f32_e32 v1, v1
	v_mul_f32_e32 v1, 0x4f7ffffe, v1
	v_cvt_u32_f32_e32 v1, v1
	v_readfirstlane_b32 s21, v1
	s_mul_i32 s19, s19, s21
	s_mul_hi_u32 s19, s21, s19
	s_add_i32 s21, s21, s19
	s_mul_hi_u32 s19, s18, s21
	s_mul_i32 s21, s19, s17
	s_sub_i32 s21, s18, s21
	s_add_i32 s22, s19, 1
	s_sub_i32 s23, s21, s17
	s_cmp_ge_u32 s21, s17
	s_cselect_b32 s19, s22, s19
	s_cselect_b32 s21, s23, s21
	s_add_i32 s22, s19, 1
	s_cmp_ge_u32 s21, s17
	s_cselect_b32 s19, s22, s19
	s_mul_i32 s17, s19, s17
	s_sub_i32 s17, s18, s17
	s_mul_i32 s17, s20, s17
	s_add_i32 s12, s12, -1
	s_add_i32 s9, s17, s9
	s_add_u32 s6, s6, -4
	s_addc_u32 s7, s7, -1
	s_cmp_gt_u32 s12, 2
	s_cbranch_scc1 .LBB63_3
.LBB63_4:
	s_load_dword s12, s[0:1], 0x0
	s_movk_i32 s0, 0x100
	v_cmp_gt_u32_e32 vcc, s0, v0
	v_lshlrev_b32_e32 v3, 2, v0
	s_and_saveexec_b64 s[0:1], vcc
; %bb.5:
	v_mov_b32_e32 v1, 0
	ds_write_b32 v3, v1
; %bb.6:
	s_or_b64 exec, exec, s[0:1]
	s_load_dword s17, s[4:5], 0xd8
	s_mul_i32 s0, s8, s10
	s_sub_i32 s0, s16, s0
	s_add_i32 s6, s0, 1
	s_mul_i32 s0, s15, s0
	s_lshl_b32 s18, s0, 8
	s_waitcnt lgkmcnt(0)
	s_sub_i32 s0, s17, s18
	s_add_u32 s0, s0, 0xff
	s_addc_u32 s1, 0, 0
	s_lshr_b64 s[0:1], s[0:1], 8
	s_cmp_lt_u32 s6, s10
	s_cselect_b32 s10, s15, s0
	s_cmp_lt_i32 s10, 1
	s_mov_b32 s7, 0
	s_barrier
	s_cbranch_scc1 .LBB63_28
; %bb.7:
	s_load_dword s6, s[4:5], 0x6c
	s_load_dwordx2 s[0:1], s[4:5], 0x0
	s_waitcnt lgkmcnt(0)
	s_mul_i32 s4, s6, s19
	s_add_i32 s6, s4, s9
	s_lshl_b64 s[4:5], s[6:7], 1
	s_add_u32 s6, s0, s4
	s_addc_u32 s8, s1, s5
	s_and_b32 s9, s14, 0xff
	s_cmp_lt_u32 s10, 4
	s_cbranch_scc1 .LBB63_22
; %bb.8:
	v_add_u32_e32 v1, s18, v0
	v_add_u32_e32 v2, 0x200, v1
	;; [unrolled: 1-line block ×3, first 2 shown]
	v_mul_lo_u32 v6, s13, v2
	v_add_u32_e32 v2, 0x100, v1
	v_mul_lo_u32 v5, s13, v4
	v_mul_lo_u32 v7, s13, v2
	v_mul_lo_u32 v8, s13, v1
	s_and_b32 s7, s10, 0x7ffffffc
	s_lshl_b32 s14, s13, 10
	s_mov_b32 s15, 0
	v_mov_b32_e32 v2, 0
	v_mov_b32_e32 v9, 1
	s_mov_b32 s19, 0
	s_branch .LBB63_10
.LBB63_9:                               ;   in Loop: Header=BB63_10 Depth=1
	s_or_b64 exec, exec, s[4:5]
	s_add_i32 s19, s19, 4
	s_add_i32 s15, s15, s14
	s_cmp_eq_u32 s7, s19
	v_add_u32_e32 v4, 0x400, v4
	s_cbranch_scc1 .LBB63_22
.LBB63_10:                              ; =>This Inner Loop Header: Depth=1
	v_add_u32_e32 v1, 0xfffffd00, v4
	v_cmp_gt_u32_e64 s[0:1], s17, v1
	s_and_saveexec_b64 s[4:5], s[0:1]
	s_cbranch_execz .LBB63_13
; %bb.11:                               ;   in Loop: Header=BB63_10 Depth=1
	v_add_u32_e32 v1, s15, v8
	v_lshlrev_b64 v[10:11], 1, v[1:2]
	v_mov_b32_e32 v1, s8
	v_add_co_u32_e64 v10, s[0:1], s6, v10
	v_addc_co_u32_e64 v11, s[0:1], v1, v11, s[0:1]
	global_load_sshort v1, v[10:11], off
	s_waitcnt vmcnt(0)
	v_add_u32_e32 v1, 0x8000, v1
	v_xor_b32_e32 v10, s12, v1
	v_and_b32_e32 v10, s11, v10
	v_cmp_eq_u32_e64 s[0:1], 0, v10
	s_and_b64 exec, exec, s[0:1]
; %bb.12:                               ;   in Loop: Header=BB63_10 Depth=1
	v_bfe_u32 v1, v1, s9, 8
	v_lshlrev_b32_e32 v1, 2, v1
	ds_add_u32 v1, v9
.LBB63_13:                              ;   in Loop: Header=BB63_10 Depth=1
	s_or_b64 exec, exec, s[4:5]
	v_add_u32_e32 v1, 0xfffffe00, v4
	v_cmp_gt_u32_e64 s[0:1], s17, v1
	s_and_saveexec_b64 s[4:5], s[0:1]
	s_cbranch_execz .LBB63_16
; %bb.14:                               ;   in Loop: Header=BB63_10 Depth=1
	v_add_u32_e32 v1, s15, v7
	v_lshlrev_b64 v[10:11], 1, v[1:2]
	v_mov_b32_e32 v1, s8
	v_add_co_u32_e64 v10, s[0:1], s6, v10
	v_addc_co_u32_e64 v11, s[0:1], v1, v11, s[0:1]
	global_load_sshort v1, v[10:11], off
	s_waitcnt vmcnt(0)
	v_add_u32_e32 v1, 0x8000, v1
	v_xor_b32_e32 v10, s12, v1
	v_and_b32_e32 v10, s11, v10
	v_cmp_eq_u32_e64 s[0:1], 0, v10
	s_and_b64 exec, exec, s[0:1]
; %bb.15:                               ;   in Loop: Header=BB63_10 Depth=1
	v_bfe_u32 v1, v1, s9, 8
	v_lshlrev_b32_e32 v1, 2, v1
	ds_add_u32 v1, v9
.LBB63_16:                              ;   in Loop: Header=BB63_10 Depth=1
	s_or_b64 exec, exec, s[4:5]
	;; [unrolled: 23-line block ×3, first 2 shown]
	v_cmp_gt_u32_e64 s[0:1], s17, v4
	s_and_saveexec_b64 s[4:5], s[0:1]
	s_cbranch_execz .LBB63_9
; %bb.20:                               ;   in Loop: Header=BB63_10 Depth=1
	v_add_u32_e32 v1, s15, v5
	v_lshlrev_b64 v[10:11], 1, v[1:2]
	v_mov_b32_e32 v1, s8
	v_add_co_u32_e64 v10, s[0:1], s6, v10
	v_addc_co_u32_e64 v11, s[0:1], v1, v11, s[0:1]
	global_load_sshort v1, v[10:11], off
	s_waitcnt vmcnt(0)
	v_add_u32_e32 v1, 0x8000, v1
	v_xor_b32_e32 v10, s12, v1
	v_and_b32_e32 v10, s11, v10
	v_cmp_eq_u32_e64 s[0:1], 0, v10
	s_and_b64 exec, exec, s[0:1]
	s_cbranch_execz .LBB63_9
; %bb.21:                               ;   in Loop: Header=BB63_10 Depth=1
	v_bfe_u32 v1, v1, s9, 8
	v_lshlrev_b32_e32 v1, 2, v1
	ds_add_u32 v1, v9
	s_branch .LBB63_9
.LBB63_22:
	s_and_b32 s10, s10, 3
	s_cmp_eq_u32 s10, 0
	s_cbranch_scc1 .LBB63_28
; %bb.23:
	s_lshl_b32 s0, s7, 8
	s_add_i32 s0, s0, s18
	v_add_u32_e32 v4, s0, v0
	v_mul_lo_u32 v1, s13, v4
	s_lshl_b32 s7, s13, 8
	v_mov_b32_e32 v2, 0
	v_mov_b32_e32 v5, 1
	s_branch .LBB63_25
.LBB63_24:                              ;   in Loop: Header=BB63_25 Depth=1
	s_or_b64 exec, exec, s[4:5]
	s_add_i32 s10, s10, -1
	v_add_u32_e32 v1, s7, v1
	s_cmp_lg_u32 s10, 0
	v_add_u32_e32 v4, 0x100, v4
	s_cbranch_scc0 .LBB63_28
.LBB63_25:                              ; =>This Inner Loop Header: Depth=1
	v_cmp_gt_u32_e64 s[0:1], s17, v4
	s_and_saveexec_b64 s[4:5], s[0:1]
	s_cbranch_execz .LBB63_24
; %bb.26:                               ;   in Loop: Header=BB63_25 Depth=1
	v_lshlrev_b64 v[6:7], 1, v[1:2]
	v_mov_b32_e32 v8, s8
	v_add_co_u32_e64 v6, s[0:1], s6, v6
	v_addc_co_u32_e64 v7, s[0:1], v8, v7, s[0:1]
	global_load_sshort v6, v[6:7], off
	s_waitcnt vmcnt(0)
	v_add_u32_e32 v6, 0x8000, v6
	v_xor_b32_e32 v7, s12, v6
	v_and_b32_e32 v7, s11, v7
	v_cmp_eq_u32_e64 s[0:1], 0, v7
	s_and_b64 exec, exec, s[0:1]
	s_cbranch_execz .LBB63_24
; %bb.27:                               ;   in Loop: Header=BB63_25 Depth=1
	v_bfe_u32 v6, v6, s9, 8
	v_lshlrev_b32_e32 v6, 2, v6
	ds_add_u32 v6, v5
	s_branch .LBB63_24
.LBB63_28:
	s_waitcnt lgkmcnt(0)
	s_barrier
	s_and_saveexec_b64 s[0:1], vcc
	s_cbranch_execz .LBB63_30
; %bb.29:
	v_lshl_or_b32 v0, s16, 8, v0
	v_mov_b32_e32 v1, 0
	ds_read_b32 v3, v3
	v_lshlrev_b64 v[0:1], 1, v[0:1]
	v_mov_b32_e32 v2, s3
	v_add_co_u32_e32 v0, vcc, s2, v0
	v_addc_co_u32_e32 v1, vcc, v2, v1, vcc
	s_waitcnt lgkmcnt(0)
	global_store_short v[0:1], v3, off
.LBB63_30:
	s_endpgm
	.section	.rodata,"a",@progbits
	.p2align	6, 0x0
	.amdhsa_kernel _ZN2at6native6mbtopk23computeBlockDigitCountsIsjjLin1EEEvNS_4cuda6detail10TensorInfoIKT_T0_EEjPjjS8_iijT1_PSB_Ps
		.amdhsa_group_segment_fixed_size 1024
		.amdhsa_private_segment_fixed_size 0
		.amdhsa_kernarg_size 528
		.amdhsa_user_sgpr_count 6
		.amdhsa_user_sgpr_private_segment_buffer 1
		.amdhsa_user_sgpr_dispatch_ptr 0
		.amdhsa_user_sgpr_queue_ptr 0
		.amdhsa_user_sgpr_kernarg_segment_ptr 1
		.amdhsa_user_sgpr_dispatch_id 0
		.amdhsa_user_sgpr_flat_scratch_init 0
		.amdhsa_user_sgpr_private_segment_size 0
		.amdhsa_uses_dynamic_stack 0
		.amdhsa_system_sgpr_private_segment_wavefront_offset 0
		.amdhsa_system_sgpr_workgroup_id_x 1
		.amdhsa_system_sgpr_workgroup_id_y 1
		.amdhsa_system_sgpr_workgroup_id_z 1
		.amdhsa_system_sgpr_workgroup_info 0
		.amdhsa_system_vgpr_workitem_id 0
		.amdhsa_next_free_vgpr 12
		.amdhsa_next_free_sgpr 24
		.amdhsa_reserve_vcc 1
		.amdhsa_reserve_flat_scratch 0
		.amdhsa_float_round_mode_32 0
		.amdhsa_float_round_mode_16_64 0
		.amdhsa_float_denorm_mode_32 3
		.amdhsa_float_denorm_mode_16_64 3
		.amdhsa_dx10_clamp 1
		.amdhsa_ieee_mode 1
		.amdhsa_fp16_overflow 0
		.amdhsa_exception_fp_ieee_invalid_op 0
		.amdhsa_exception_fp_denorm_src 0
		.amdhsa_exception_fp_ieee_div_zero 0
		.amdhsa_exception_fp_ieee_overflow 0
		.amdhsa_exception_fp_ieee_underflow 0
		.amdhsa_exception_fp_ieee_inexact 0
		.amdhsa_exception_int_div_zero 0
	.end_amdhsa_kernel
	.section	.text._ZN2at6native6mbtopk23computeBlockDigitCountsIsjjLin1EEEvNS_4cuda6detail10TensorInfoIKT_T0_EEjPjjS8_iijT1_PSB_Ps,"axG",@progbits,_ZN2at6native6mbtopk23computeBlockDigitCountsIsjjLin1EEEvNS_4cuda6detail10TensorInfoIKT_T0_EEjPjjS8_iijT1_PSB_Ps,comdat
.Lfunc_end63:
	.size	_ZN2at6native6mbtopk23computeBlockDigitCountsIsjjLin1EEEvNS_4cuda6detail10TensorInfoIKT_T0_EEjPjjS8_iijT1_PSB_Ps, .Lfunc_end63-_ZN2at6native6mbtopk23computeBlockDigitCountsIsjjLin1EEEvNS_4cuda6detail10TensorInfoIKT_T0_EEjPjjS8_iijT1_PSB_Ps
                                        ; -- End function
	.set _ZN2at6native6mbtopk23computeBlockDigitCountsIsjjLin1EEEvNS_4cuda6detail10TensorInfoIKT_T0_EEjPjjS8_iijT1_PSB_Ps.num_vgpr, 12
	.set _ZN2at6native6mbtopk23computeBlockDigitCountsIsjjLin1EEEvNS_4cuda6detail10TensorInfoIKT_T0_EEjPjjS8_iijT1_PSB_Ps.num_agpr, 0
	.set _ZN2at6native6mbtopk23computeBlockDigitCountsIsjjLin1EEEvNS_4cuda6detail10TensorInfoIKT_T0_EEjPjjS8_iijT1_PSB_Ps.numbered_sgpr, 24
	.set _ZN2at6native6mbtopk23computeBlockDigitCountsIsjjLin1EEEvNS_4cuda6detail10TensorInfoIKT_T0_EEjPjjS8_iijT1_PSB_Ps.num_named_barrier, 0
	.set _ZN2at6native6mbtopk23computeBlockDigitCountsIsjjLin1EEEvNS_4cuda6detail10TensorInfoIKT_T0_EEjPjjS8_iijT1_PSB_Ps.private_seg_size, 0
	.set _ZN2at6native6mbtopk23computeBlockDigitCountsIsjjLin1EEEvNS_4cuda6detail10TensorInfoIKT_T0_EEjPjjS8_iijT1_PSB_Ps.uses_vcc, 1
	.set _ZN2at6native6mbtopk23computeBlockDigitCountsIsjjLin1EEEvNS_4cuda6detail10TensorInfoIKT_T0_EEjPjjS8_iijT1_PSB_Ps.uses_flat_scratch, 0
	.set _ZN2at6native6mbtopk23computeBlockDigitCountsIsjjLin1EEEvNS_4cuda6detail10TensorInfoIKT_T0_EEjPjjS8_iijT1_PSB_Ps.has_dyn_sized_stack, 0
	.set _ZN2at6native6mbtopk23computeBlockDigitCountsIsjjLin1EEEvNS_4cuda6detail10TensorInfoIKT_T0_EEjPjjS8_iijT1_PSB_Ps.has_recursion, 0
	.set _ZN2at6native6mbtopk23computeBlockDigitCountsIsjjLin1EEEvNS_4cuda6detail10TensorInfoIKT_T0_EEjPjjS8_iijT1_PSB_Ps.has_indirect_call, 0
	.section	.AMDGPU.csdata,"",@progbits
; Kernel info:
; codeLenInByte = 1396
; TotalNumSgprs: 28
; NumVgprs: 12
; ScratchSize: 0
; MemoryBound: 0
; FloatMode: 240
; IeeeMode: 1
; LDSByteSize: 1024 bytes/workgroup (compile time only)
; SGPRBlocks: 3
; VGPRBlocks: 2
; NumSGPRsForWavesPerEU: 28
; NumVGPRsForWavesPerEU: 12
; Occupancy: 10
; WaveLimiterHint : 1
; COMPUTE_PGM_RSRC2:SCRATCH_EN: 0
; COMPUTE_PGM_RSRC2:USER_SGPR: 6
; COMPUTE_PGM_RSRC2:TRAP_HANDLER: 0
; COMPUTE_PGM_RSRC2:TGID_X_EN: 1
; COMPUTE_PGM_RSRC2:TGID_Y_EN: 1
; COMPUTE_PGM_RSRC2:TGID_Z_EN: 1
; COMPUTE_PGM_RSRC2:TIDIG_COMP_CNT: 0
	.section	.text._ZN2at6native6mbtopk10gatherTopKIsjLin1EEEvNS_4cuda6detail10TensorInfoIKT_T0_EES8_S8_bjS8_NS5_IS6_S8_EES8_NS5_IlS8_EES8_jjPS6_PjSD_j,"axG",@progbits,_ZN2at6native6mbtopk10gatherTopKIsjLin1EEEvNS_4cuda6detail10TensorInfoIKT_T0_EES8_S8_bjS8_NS5_IS6_S8_EES8_NS5_IlS8_EES8_jjPS6_PjSD_j,comdat
	.protected	_ZN2at6native6mbtopk10gatherTopKIsjLin1EEEvNS_4cuda6detail10TensorInfoIKT_T0_EES8_S8_bjS8_NS5_IS6_S8_EES8_NS5_IlS8_EES8_jjPS6_PjSD_j ; -- Begin function _ZN2at6native6mbtopk10gatherTopKIsjLin1EEEvNS_4cuda6detail10TensorInfoIKT_T0_EES8_S8_bjS8_NS5_IS6_S8_EES8_NS5_IlS8_EES8_jjPS6_PjSD_j
	.globl	_ZN2at6native6mbtopk10gatherTopKIsjLin1EEEvNS_4cuda6detail10TensorInfoIKT_T0_EES8_S8_bjS8_NS5_IS6_S8_EES8_NS5_IlS8_EES8_jjPS6_PjSD_j
	.p2align	8
	.type	_ZN2at6native6mbtopk10gatherTopKIsjLin1EEEvNS_4cuda6detail10TensorInfoIKT_T0_EES8_S8_bjS8_NS5_IS6_S8_EES8_NS5_IlS8_EES8_jjPS6_PjSD_j,@function
_ZN2at6native6mbtopk10gatherTopKIsjLin1EEEvNS_4cuda6detail10TensorInfoIKT_T0_EES8_S8_bjS8_NS5_IS6_S8_EES8_NS5_IlS8_EES8_jjPS6_PjSD_j: ; @_ZN2at6native6mbtopk10gatherTopKIsjLin1EEEvNS_4cuda6detail10TensorInfoIKT_T0_EES8_S8_bjS8_NS5_IS6_S8_EES8_NS5_IlS8_EES8_jjPS6_PjSD_j
; %bb.0:
	s_load_dwordx2 s[0:1], s[4:5], 0x2d8
	s_load_dword s2, s[4:5], 0x2d0
	s_waitcnt lgkmcnt(0)
	s_mul_i32 s1, s1, s8
	s_add_i32 s1, s1, s7
	s_mul_i32 s17, s1, s0
	s_add_i32 s17, s17, s6
	s_cmp_ge_u32 s17, s2
	s_cbranch_scc1 .LBB64_49
; %bb.1:
	s_load_dwordx4 s[8:11], s[4:5], 0x2a8
	s_load_dword s0, s[4:5], 0xd0
	s_mov_b32 s7, 0
	s_waitcnt lgkmcnt(0)
	v_cvt_f32_u32_e32 v1, s10
	s_sub_i32 s1, 0, s10
	v_rcp_iflag_f32_e32 v1, v1
	v_mul_f32_e32 v1, 0x4f7ffffe, v1
	v_cvt_u32_f32_e32 v1, v1
	v_readfirstlane_b32 s2, v1
	s_mul_i32 s1, s1, s2
	s_mul_hi_u32 s1, s2, s1
	s_add_i32 s2, s2, s1
	s_mul_hi_u32 s1, s17, s2
	s_mul_i32 s2, s1, s10
	s_sub_i32 s2, s17, s2
	s_add_i32 s3, s1, 1
	s_sub_i32 s6, s2, s10
	s_cmp_ge_u32 s2, s10
	s_cselect_b32 s1, s3, s1
	s_cselect_b32 s2, s6, s2
	s_add_i32 s3, s1, 1
	s_cmp_ge_u32 s2, s10
	s_cselect_b32 s20, s3, s1
	s_cmp_lt_i32 s0, 2
	s_mov_b32 s6, s20
	s_cbranch_scc1 .LBB64_4
; %bb.2:
	s_add_i32 s6, s0, -1
	s_add_i32 s2, s0, 1
	s_lshl_b64 s[0:1], s[6:7], 2
	s_add_u32 s0, s4, s0
	s_addc_u32 s1, s5, s1
	s_add_u32 s0, s0, 8
	s_addc_u32 s1, s1, 0
	s_mov_b32 s6, s20
.LBB64_3:                               ; =>This Inner Loop Header: Depth=1
	s_load_dword s3, s[0:1], 0x0
	s_load_dword s12, s[0:1], 0x64
	s_mov_b32 s11, s6
	s_waitcnt lgkmcnt(0)
	v_cvt_f32_u32_e32 v1, s3
	s_sub_i32 s6, 0, s3
	v_rcp_iflag_f32_e32 v1, v1
	v_mul_f32_e32 v1, 0x4f7ffffe, v1
	v_cvt_u32_f32_e32 v1, v1
	v_readfirstlane_b32 s13, v1
	s_mul_i32 s6, s6, s13
	s_mul_hi_u32 s6, s13, s6
	s_add_i32 s13, s13, s6
	s_mul_hi_u32 s6, s11, s13
	s_mul_i32 s13, s6, s3
	s_sub_i32 s13, s11, s13
	s_add_i32 s14, s6, 1
	s_sub_i32 s15, s13, s3
	s_cmp_ge_u32 s13, s3
	s_cselect_b32 s6, s14, s6
	s_cselect_b32 s13, s15, s13
	s_add_i32 s14, s6, 1
	s_cmp_ge_u32 s13, s3
	s_cselect_b32 s6, s14, s6
	s_mul_i32 s3, s6, s3
	s_sub_i32 s3, s11, s3
	s_mul_i32 s3, s12, s3
	s_add_i32 s2, s2, -1
	s_add_i32 s7, s3, s7
	s_add_u32 s0, s0, -4
	s_addc_u32 s1, s1, -1
	s_cmp_gt_u32 s2, 2
	s_cbranch_scc1 .LBB64_3
.LBB64_4:
	s_load_dword s2, s[4:5], 0x1c0
	s_add_u32 s0, s4, 0xf0
	s_addc_u32 s1, s5, 0
	s_mov_b32 s23, 0
	s_mov_b32 s22, s20
	s_waitcnt lgkmcnt(0)
	s_cmp_lt_i32 s2, 2
	s_cbranch_scc1 .LBB64_7
; %bb.5:
	s_add_i32 s22, s2, -1
	s_add_i32 s11, s2, 1
	s_lshl_b64 s[2:3], s[22:23], 2
	s_add_u32 s2, s0, s2
	s_addc_u32 s3, s1, s3
	s_add_u32 s2, s2, 8
	s_addc_u32 s3, s3, 0
	s_mov_b32 s22, s20
.LBB64_6:                               ; =>This Inner Loop Header: Depth=1
	s_load_dword s12, s[2:3], 0x0
	s_load_dword s14, s[2:3], 0x64
	s_mov_b32 s13, s22
	s_waitcnt lgkmcnt(0)
	v_cvt_f32_u32_e32 v1, s12
	s_sub_i32 s15, 0, s12
	v_rcp_iflag_f32_e32 v1, v1
	v_mul_f32_e32 v1, 0x4f7ffffe, v1
	v_cvt_u32_f32_e32 v1, v1
	v_readfirstlane_b32 s16, v1
	s_mul_i32 s15, s15, s16
	s_mul_hi_u32 s15, s16, s15
	s_add_i32 s16, s16, s15
	s_mul_hi_u32 s15, s22, s16
	s_mul_i32 s16, s15, s12
	s_sub_i32 s16, s22, s16
	s_add_i32 s18, s15, 1
	s_sub_i32 s19, s16, s12
	s_cmp_ge_u32 s16, s12
	s_cselect_b32 s15, s18, s15
	s_cselect_b32 s16, s19, s16
	s_add_i32 s18, s15, 1
	s_cmp_ge_u32 s16, s12
	s_cselect_b32 s22, s18, s15
	s_mul_i32 s12, s22, s12
	s_sub_i32 s12, s13, s12
	s_mul_i32 s12, s14, s12
	s_add_i32 s11, s11, -1
	s_add_i32 s23, s12, s23
	s_add_u32 s2, s2, -4
	s_addc_u32 s3, s3, -1
	s_cmp_gt_u32 s11, 2
	s_cbranch_scc1 .LBB64_6
.LBB64_7:
	s_load_dword s33, s[4:5], 0x6c
	s_load_dword s12, s[4:5], 0x2a0
	s_add_u32 s2, s4, 0x1d0
	s_addc_u32 s3, s5, 0
	s_mov_b32 s25, 0
	s_mov_b32 s24, s20
	s_waitcnt lgkmcnt(0)
	s_cmp_lt_i32 s12, 2
	s_cbranch_scc1 .LBB64_10
; %bb.8:
	s_add_i32 s24, s12, -1
	s_add_i32 s11, s12, 1
	s_lshl_b64 s[12:13], s[24:25], 2
	s_add_u32 s2, s2, s12
	s_addc_u32 s3, s3, s13
	s_add_u32 s2, s2, 8
	s_addc_u32 s3, s3, 0
	s_mov_b32 s24, s20
.LBB64_9:                               ; =>This Inner Loop Header: Depth=1
	s_load_dword s12, s[2:3], 0x0
	s_load_dword s14, s[2:3], 0x64
	s_mov_b32 s13, s24
	s_waitcnt lgkmcnt(0)
	v_cvt_f32_u32_e32 v1, s12
	s_sub_i32 s15, 0, s12
	v_rcp_iflag_f32_e32 v1, v1
	v_mul_f32_e32 v1, 0x4f7ffffe, v1
	v_cvt_u32_f32_e32 v1, v1
	v_readfirstlane_b32 s16, v1
	s_mul_i32 s15, s15, s16
	s_mul_hi_u32 s15, s16, s15
	s_add_i32 s16, s16, s15
	s_mul_hi_u32 s15, s24, s16
	s_mul_i32 s16, s15, s12
	s_sub_i32 s16, s24, s16
	s_add_i32 s18, s15, 1
	s_sub_i32 s19, s16, s12
	s_cmp_ge_u32 s16, s12
	s_cselect_b32 s15, s18, s15
	s_cselect_b32 s16, s19, s16
	s_add_i32 s18, s15, 1
	s_cmp_ge_u32 s16, s12
	s_cselect_b32 s24, s18, s15
	s_mul_i32 s12, s24, s12
	s_sub_i32 s12, s13, s12
	s_mul_i32 s12, s14, s12
	s_add_i32 s11, s11, -1
	s_add_i32 s25, s12, s25
	s_add_u32 s2, s2, -4
	s_addc_u32 s3, s3, -1
	s_cmp_gt_u32 s11, 2
	s_cbranch_scc1 .LBB64_9
.LBB64_10:
	s_load_dword s40, s[0:1], 0x6c
	s_load_dwordx4 s[12:15], s[4:5], 0x2b8
	s_mul_i32 s16, s20, s10
	s_mov_b32 s21, 0
	s_sub_i32 s11, s17, s16
	s_lshl_b64 s[0:1], s[20:21], 1
	s_waitcnt lgkmcnt(0)
	s_add_u32 s0, s12, s0
	s_addc_u32 s1, s13, s1
	v_mov_b32_e32 v1, 0
	global_load_ushort v6, v1, s[0:1]
	s_load_dwordx2 s[30:31], s[4:5], 0x0
	s_load_dwordx2 s[28:29], s[4:5], 0xf0
	;; [unrolled: 1-line block ×3, first 2 shown]
	v_cmp_ne_u32_e64 s[0:1], 0, v0
	v_cmp_eq_u32_e64 s[2:3], 0, v0
	s_and_saveexec_b64 s[12:13], s[2:3]
	s_cbranch_execz .LBB64_26
; %bb.11:
	s_load_dwordx2 s[34:35], s[4:5], 0x2c8
	s_mov_b32 s17, s21
	s_lshl_b64 s[36:37], s[16:17], 2
	s_add_u32 s16, s14, s36
	s_addc_u32 s17, s15, s37
	s_waitcnt lgkmcnt(0)
	s_add_u32 s18, s34, s36
	s_addc_u32 s19, s35, s37
	s_mov_b32 s20, 0
	s_mov_b32 s41, 0
	s_cmp_lt_u32 s10, 4
	s_cbranch_scc1 .LBB64_23
; %bb.12:
	s_mov_b32 s42, 0
.LBB64_13:                              ; =>This Inner Loop Header: Depth=1
	s_add_u32 s38, s14, s36
	s_addc_u32 s39, s15, s37
	s_load_dwordx4 s[16:19], s[38:39], 0x0
	s_add_u32 s38, s34, s36
	s_addc_u32 s39, s35, s37
	s_cmp_ge_u32 s42, s11
	s_cbranch_scc0 .LBB64_20
; %bb.14:                               ;   in Loop: Header=BB64_13 Depth=1
	s_add_i32 s43, s42, 1
	s_cmp_ge_u32 s43, s11
	s_cbranch_scc0 .LBB64_21
.LBB64_15:                              ;   in Loop: Header=BB64_13 Depth=1
	s_add_i32 s43, s43, 1
	s_cmp_ge_u32 s43, s11
	s_cbranch_scc0 .LBB64_22
.LBB64_16:                              ;   in Loop: Header=BB64_13 Depth=1
	s_add_i32 s43, s43, 1
	s_cmp_ge_u32 s43, s11
	s_cbranch_scc1 .LBB64_18
.LBB64_17:                              ;   in Loop: Header=BB64_13 Depth=1
	s_load_dword s38, s[38:39], 0xc
	s_waitcnt lgkmcnt(0)
	s_add_i32 s21, s21, s19
	s_add_i32 s20, s38, s20
.LBB64_18:                              ;   in Loop: Header=BB64_13 Depth=1
	s_waitcnt lgkmcnt(0)
	s_add_i32 s16, s16, s41
	s_add_i32 s16, s16, s17
	;; [unrolled: 1-line block ×4, first 2 shown]
	s_add_u32 s14, s14, 16
	s_addc_u32 s15, s15, 0
	s_add_u32 s34, s34, 16
	s_addc_u32 s35, s35, 0
	s_add_i32 s39, s43, 4
	s_add_u32 s18, s34, s36
	s_addc_u32 s19, s35, s37
	s_add_u32 s16, s14, s36
	s_addc_u32 s17, s15, s37
	s_add_i32 s38, s43, 1
	s_cmp_ge_u32 s39, s10
	s_cbranch_scc1 .LBB64_24
; %bb.19:                               ;   in Loop: Header=BB64_13 Depth=1
	s_mov_b32 s42, s38
	s_branch .LBB64_13
.LBB64_20:                              ;   in Loop: Header=BB64_13 Depth=1
	s_load_dword s43, s[38:39], 0x0
	s_waitcnt lgkmcnt(0)
	s_add_i32 s21, s16, s21
	s_add_i32 s20, s43, s20
	;; [unrolled: 1-line block ×3, first 2 shown]
	s_cmp_ge_u32 s43, s11
	s_cbranch_scc1 .LBB64_15
.LBB64_21:                              ;   in Loop: Header=BB64_13 Depth=1
	s_load_dword s44, s[38:39], 0x4
	s_waitcnt lgkmcnt(0)
	s_add_i32 s21, s21, s17
	s_add_i32 s20, s44, s20
	;; [unrolled: 1-line block ×3, first 2 shown]
	s_cmp_ge_u32 s43, s11
	s_cbranch_scc1 .LBB64_16
.LBB64_22:                              ;   in Loop: Header=BB64_13 Depth=1
	s_load_dword s44, s[38:39], 0x8
	s_waitcnt lgkmcnt(0)
	s_add_i32 s21, s21, s18
	s_add_i32 s20, s44, s20
	;; [unrolled: 1-line block ×3, first 2 shown]
	s_cmp_ge_u32 s43, s11
	s_cbranch_scc0 .LBB64_17
	s_branch .LBB64_18
.LBB64_23:
	s_mov_b32 s14, 0
	s_cmp_ge_u32 s14, s10
	s_cbranch_scc0 .LBB64_47
	s_branch .LBB64_25
.LBB64_24:
	s_add_i32 s14, s42, 4
	s_cmp_ge_u32 s14, s10
	s_cbranch_scc0 .LBB64_47
.LBB64_25:
	v_mov_b32_e32 v1, s20
	v_mov_b32_e32 v2, s41
	;; [unrolled: 1-line block ×4, first 2 shown]
	ds_write_b96 v4, v[1:3] offset:1056
.LBB64_26:
	s_or_b64 exec, exec, s[12:13]
	s_load_dword s16, s[4:5], 0x23c
	s_load_dwordx4 s[12:15], s[4:5], 0xd8
	s_mul_i32 s17, s9, s11
	s_lshl_b32 s34, s17, 8
	s_waitcnt lgkmcnt(0)
	s_add_i32 s15, s11, 1
	s_mov_b32 s11, 0
	s_sub_i32 s17, s12, s34
	s_add_u32 s18, s17, 0xff
	s_addc_u32 s19, 0, 0
	s_lshr_b64 s[18:19], s[18:19], 8
	s_cmp_lt_u32 s15, s10
	s_cselect_b32 s9, s9, s18
	s_cmp_eq_u32 s9, 0
	s_waitcnt vmcnt(0)
	s_barrier
	s_cbranch_scc1 .LBB64_49
; %bb.27:
	s_mul_i32 s10, s40, s22
	s_mul_i32 s6, s33, s6
	s_add_i32 s18, s10, s23
	s_add_i32 s10, s6, s7
	s_mul_i32 s6, s16, s24
	v_mov_b32_e32 v5, 0
	s_add_i32 s6, s6, s25
	s_lshl_b64 s[16:17], s[10:11], 1
	ds_read_b96 v[1:3], v5 offset:1056
	s_add_u32 s15, s30, s16
	s_mov_b32 s19, s11
	s_addc_u32 s16, s31, s17
	s_lshl_b64 s[18:19], s[18:19], 1
	s_add_u32 s17, s28, s18
	s_mov_b32 s7, s11
	s_addc_u32 s18, s29, s19
	s_lshl_b64 s[6:7], s[6:7], 3
	s_add_u32 s19, s26, s6
	s_waitcnt lgkmcnt(0)
	v_add_u32_e32 v2, v1, v2
	v_lshrrev_b32_e32 v1, 3, v0
	s_addc_u32 s20, s27, s7
	v_and_b32_e32 v1, 28, v1
	s_bitcmp1_b32 s14, 0
	s_load_dword s10, s[4:5], 0xe8
	s_load_dword s14, s[4:5], 0x1c8
	v_lshl_add_u32 v8, v0, 2, v1
	v_lshrrev_b32_e32 v1, 1, v0
	v_and_b32_e32 v9, 0x7c, v1
	v_add_u32_e32 v1, -1, v0
	v_lshrrev_b32_e32 v4, 3, v1
	v_cmp_gt_u32_e64 s[4:5], 64, v0
	v_lshlrev_b32_e32 v10, 4, v0
	v_and_b32_e32 v4, 0x1ffffffc, v4
	v_add_u32_e32 v0, s34, v0
	v_lshl_add_u32 v11, v1, 2, v4
	s_waitcnt lgkmcnt(0)
	v_mul_lo_u32 v4, s10, v0
	s_mov_b32 s21, 0x8000
	v_mbcnt_lo_u32_b32 v1, -1, 0
	v_add_u32_sdwa v7, sext(v6), s21 dst_sel:DWORD dst_unused:UNUSED_PAD src0_sel:WORD_0 src1_sel:DWORD
	s_cselect_b64 s[6:7], -1, 0
	s_lshl_b32 s22, s10, 8
	v_mbcnt_hi_u32_b32 v12, -1, v1
                                        ; implicit-def: $vgpr13
	s_branch .LBB64_30
.LBB64_28:                              ;   in Loop: Header=BB64_30 Depth=1
	s_or_b64 exec, exec, s[10:11]
	v_add_u32_e32 v2, v16, v2
.LBB64_29:                              ;   in Loop: Header=BB64_30 Depth=1
	s_add_i32 s9, s9, -1
	v_add_u32_e32 v3, v15, v3
	v_add_u32_e32 v4, s22, v4
	s_cmp_lg_u32 s9, 0
	v_add_u32_e32 v0, 0x100, v0
	s_cbranch_scc0 .LBB64_49
.LBB64_30:                              ; =>This Inner Loop Header: Depth=1
	v_cmp_gt_u32_e32 vcc, s12, v0
	v_mov_b32_e32 v1, 0
	v_mov_b32_e32 v14, 0
	s_and_saveexec_b64 s[10:11], vcc
	s_cbranch_execz .LBB64_32
; %bb.31:                               ;   in Loop: Header=BB64_30 Depth=1
	v_lshlrev_b64 v[13:14], 1, v[4:5]
	v_mov_b32_e32 v1, s16
	v_add_co_u32_e32 v13, vcc, s15, v13
	v_addc_co_u32_e32 v14, vcc, v1, v14, vcc
	global_load_ushort v13, v[13:14], off
	s_waitcnt vmcnt(0)
	v_add_u32_sdwa v1, sext(v13), s21 dst_sel:DWORD dst_unused:UNUSED_PAD src0_sel:WORD_0 src1_sel:DWORD
	v_cmp_gt_u32_e32 vcc, v1, v7
	v_cndmask_b32_e64 v14, 0, 1, vcc
	v_cmp_lt_u32_e32 vcc, v1, v7
	v_cndmask_b32_e64 v1, 0, 1, vcc
	v_cndmask_b32_e64 v1, v1, v14, s[6:7]
	v_cmp_eq_u16_e32 vcc, v13, v6
	v_and_b32_e32 v1, 1, v1
	v_cndmask_b32_e64 v14, 0, 1, vcc
.LBB64_32:                              ;   in Loop: Header=BB64_30 Depth=1
	s_or_b64 exec, exec, s[10:11]
	ds_write_b32 v8, v1
	s_waitcnt vmcnt(0) lgkmcnt(0)
	s_barrier
	s_and_saveexec_b64 s[10:11], s[4:5]
	s_cbranch_execz .LBB64_34
; %bb.33:                               ;   in Loop: Header=BB64_30 Depth=1
	v_add_u32_e32 v19, v9, v10
	ds_read2_b32 v[15:16], v19 offset1:1
	ds_read2_b32 v[17:18], v19 offset0:2 offset1:3
	v_and_b32_e32 v20, 15, v12
	v_cmp_ne_u32_e32 vcc, 0, v20
	s_waitcnt lgkmcnt(1)
	v_add_u32_e32 v16, v16, v15
	s_waitcnt lgkmcnt(0)
	v_add3_u32 v16, v16, v17, v18
	v_bfe_i32 v18, v12, 4, 1
	; wave barrier
	s_nop 0
	v_mov_b32_dpp v17, v16 row_shr:1 row_mask:0xf bank_mask:0xf
	v_cndmask_b32_e32 v17, 0, v17, vcc
	v_add_u32_e32 v16, v17, v16
	v_cmp_lt_u32_e32 vcc, 1, v20
	s_nop 0
	v_mov_b32_dpp v17, v16 row_shr:2 row_mask:0xf bank_mask:0xf
	v_cndmask_b32_e32 v17, 0, v17, vcc
	v_add_u32_e32 v16, v16, v17
	v_cmp_lt_u32_e32 vcc, 3, v20
	;; [unrolled: 5-line block ×4, first 2 shown]
	s_nop 0
	v_mov_b32_dpp v17, v16 row_bcast:15 row_mask:0xf bank_mask:0xf
	v_and_b32_e32 v17, v18, v17
	v_add_u32_e32 v16, v16, v17
	v_and_b32_e32 v18, 64, v12
	s_nop 0
	v_mov_b32_dpp v17, v16 row_bcast:31 row_mask:0xf bank_mask:0xf
	v_cndmask_b32_e32 v17, 0, v17, vcc
	v_add_u32_e32 v16, v16, v17
	v_add_u32_e32 v17, -1, v12
	v_cmp_lt_i32_e32 vcc, v17, v18
	v_cndmask_b32_e32 v17, v17, v12, vcc
	v_lshlrev_b32_e32 v17, 2, v17
	ds_bpermute_b32 v16, v17, v16
	s_waitcnt lgkmcnt(0)
	v_add_u32_e32 v15, v16, v15
	v_cndmask_b32_e64 v17, v15, v1, s[2:3]
	ds_write_b32 v19, v17
	; wave barrier
	ds_read2_b32 v[15:16], v19 offset0:1 offset1:2
	ds_read_b32 v18, v19 offset:12
	s_waitcnt lgkmcnt(1)
	v_add_u32_e32 v15, v15, v17
	v_add_u32_e32 v16, v16, v15
	ds_write2_b32 v19, v15, v16 offset0:1 offset1:2
	s_waitcnt lgkmcnt(1)
	v_add_u32_e32 v15, v18, v16
	ds_write_b32 v19, v15 offset:12
.LBB64_34:                              ;   in Loop: Header=BB64_30 Depth=1
	s_or_b64 exec, exec, s[10:11]
	v_mov_b32_e32 v16, 0
	s_waitcnt lgkmcnt(0)
	s_barrier
	s_and_saveexec_b64 s[10:11], s[0:1]
; %bb.35:                               ;   in Loop: Header=BB64_30 Depth=1
	ds_read_b32 v16, v11
; %bb.36:                               ;   in Loop: Header=BB64_30 Depth=1
	s_or_b64 exec, exec, s[10:11]
	ds_read_b32 v15, v5 offset:1048
	v_cmp_ne_u32_e32 vcc, 0, v1
	s_waitcnt lgkmcnt(0)
	s_barrier
	s_and_saveexec_b64 s[10:11], vcc
	s_cbranch_execz .LBB64_38
; %bb.37:                               ;   in Loop: Header=BB64_30 Depth=1
	v_add_u32_e32 v1, v16, v3
	v_mul_lo_u32 v16, v1, s14
	v_mov_b32_e32 v17, v5
	v_mov_b32_e32 v18, s18
	;; [unrolled: 1-line block ×3, first 2 shown]
	v_lshlrev_b64 v[16:17], 1, v[16:17]
	v_add_co_u32_e32 v16, vcc, s17, v16
	v_addc_co_u32_e32 v17, vcc, v18, v17, vcc
	v_mul_lo_u32 v18, v1, s8
	global_store_short v[16:17], v13, off
	v_mov_b32_e32 v1, v5
	v_lshlrev_b64 v[16:17], 3, v[18:19]
	v_mov_b32_e32 v18, s20
	v_add_co_u32_e32 v16, vcc, s19, v16
	v_addc_co_u32_e32 v17, vcc, v18, v17, vcc
	global_store_dwordx2 v[16:17], v[0:1], off
.LBB64_38:                              ;   in Loop: Header=BB64_30 Depth=1
	s_or_b64 exec, exec, s[10:11]
	v_cmp_le_u32_e32 vcc, s13, v2
	s_cbranch_vccnz .LBB64_29
; %bb.39:                               ;   in Loop: Header=BB64_30 Depth=1
	ds_write_b32 v8, v14
	s_waitcnt vmcnt(0) lgkmcnt(0)
	s_barrier
	s_and_saveexec_b64 s[10:11], s[4:5]
	s_cbranch_execz .LBB64_41
; %bb.40:                               ;   in Loop: Header=BB64_30 Depth=1
	v_add_u32_e32 v1, v9, v10
	ds_read2_b32 v[16:17], v1 offset1:1
	ds_read2_b32 v[18:19], v1 offset0:2 offset1:3
	v_and_b32_e32 v20, 15, v12
	v_cmp_ne_u32_e32 vcc, 0, v20
	s_waitcnt lgkmcnt(1)
	v_add_u32_e32 v17, v17, v16
	s_waitcnt lgkmcnt(0)
	v_add3_u32 v17, v17, v18, v19
	v_bfe_i32 v19, v12, 4, 1
	; wave barrier
	s_nop 0
	v_mov_b32_dpp v18, v17 row_shr:1 row_mask:0xf bank_mask:0xf
	v_cndmask_b32_e32 v18, 0, v18, vcc
	v_add_u32_e32 v17, v18, v17
	v_cmp_lt_u32_e32 vcc, 1, v20
	s_nop 0
	v_mov_b32_dpp v18, v17 row_shr:2 row_mask:0xf bank_mask:0xf
	v_cndmask_b32_e32 v18, 0, v18, vcc
	v_add_u32_e32 v17, v17, v18
	v_cmp_lt_u32_e32 vcc, 3, v20
	;; [unrolled: 5-line block ×4, first 2 shown]
	s_nop 0
	v_mov_b32_dpp v18, v17 row_bcast:15 row_mask:0xf bank_mask:0xf
	v_and_b32_e32 v18, v19, v18
	v_add_u32_e32 v17, v17, v18
	v_and_b32_e32 v19, 64, v12
	s_nop 0
	v_mov_b32_dpp v18, v17 row_bcast:31 row_mask:0xf bank_mask:0xf
	v_cndmask_b32_e32 v18, 0, v18, vcc
	v_add_u32_e32 v17, v17, v18
	v_add_u32_e32 v18, -1, v12
	v_cmp_lt_i32_e32 vcc, v18, v19
	v_cndmask_b32_e32 v18, v18, v12, vcc
	v_lshlrev_b32_e32 v18, 2, v18
	ds_bpermute_b32 v17, v18, v17
	s_waitcnt lgkmcnt(0)
	v_add_u32_e32 v16, v17, v16
	v_cndmask_b32_e64 v18, v16, v14, s[2:3]
	ds_write_b32 v1, v18
	; wave barrier
	ds_read2_b32 v[16:17], v1 offset0:1 offset1:2
	ds_read_b32 v19, v1 offset:12
	s_waitcnt lgkmcnt(1)
	v_add_u32_e32 v16, v16, v18
	v_add_u32_e32 v17, v17, v16
	ds_write2_b32 v1, v16, v17 offset0:1 offset1:2
	s_waitcnt lgkmcnt(1)
	v_add_u32_e32 v16, v19, v17
	ds_write_b32 v1, v16 offset:12
.LBB64_41:                              ;   in Loop: Header=BB64_30 Depth=1
	s_or_b64 exec, exec, s[10:11]
	v_mov_b32_e32 v1, 0
	s_waitcnt lgkmcnt(0)
	s_barrier
	s_and_saveexec_b64 s[10:11], s[0:1]
; %bb.42:                               ;   in Loop: Header=BB64_30 Depth=1
	ds_read_b32 v1, v11
; %bb.43:                               ;   in Loop: Header=BB64_30 Depth=1
	s_or_b64 exec, exec, s[10:11]
	ds_read_b32 v16, v5 offset:1048
	v_cmp_ne_u32_e32 vcc, 0, v14
	s_waitcnt lgkmcnt(0)
	s_barrier
	s_and_saveexec_b64 s[10:11], vcc
	s_cbranch_execz .LBB64_28
; %bb.44:                               ;   in Loop: Header=BB64_30 Depth=1
	v_add_u32_e32 v1, v1, v2
	v_cmp_gt_u32_e32 vcc, s13, v1
	s_and_b64 exec, exec, vcc
	s_cbranch_execz .LBB64_28
; %bb.45:                               ;   in Loop: Header=BB64_30 Depth=1
	v_mul_lo_u32 v17, v1, s14
	v_mov_b32_e32 v18, v5
	v_mul_lo_u32 v19, v1, s8
	v_mov_b32_e32 v14, s18
	v_lshlrev_b64 v[17:18], 1, v[17:18]
	v_mov_b32_e32 v20, v5
	v_add_co_u32_e32 v17, vcc, s17, v17
	v_addc_co_u32_e32 v18, vcc, v14, v18, vcc
	global_store_short v[17:18], v13, off
	v_lshlrev_b64 v[17:18], 3, v[19:20]
	v_mov_b32_e32 v14, s20
	v_add_co_u32_e32 v17, vcc, s19, v17
	v_mov_b32_e32 v1, v5
	v_addc_co_u32_e32 v18, vcc, v14, v18, vcc
	global_store_dwordx2 v[17:18], v[0:1], off
	s_branch .LBB64_28
.LBB64_46:                              ;   in Loop: Header=BB64_47 Depth=1
	s_add_u32 s16, s16, 4
	s_addc_u32 s17, s17, 0
	s_waitcnt lgkmcnt(0)
	s_add_i32 s41, s15, s41
	s_add_u32 s18, s18, 4
	s_addc_u32 s19, s19, 0
	s_add_i32 s14, s14, 1
	s_cmp_lt_u32 s14, s10
	s_cbranch_scc0 .LBB64_25
.LBB64_47:                              ; =>This Inner Loop Header: Depth=1
	s_load_dword s15, s[16:17], 0x0
	s_cmp_ge_u32 s14, s11
	s_cbranch_scc1 .LBB64_46
; %bb.48:                               ;   in Loop: Header=BB64_47 Depth=1
	s_load_dword s34, s[18:19], 0x0
	s_waitcnt lgkmcnt(0)
	s_add_i32 s21, s15, s21
	s_add_i32 s20, s34, s20
	s_branch .LBB64_46
.LBB64_49:
	s_endpgm
	.section	.rodata,"a",@progbits
	.p2align	6, 0x0
	.amdhsa_kernel _ZN2at6native6mbtopk10gatherTopKIsjLin1EEEvNS_4cuda6detail10TensorInfoIKT_T0_EES8_S8_bjS8_NS5_IS6_S8_EES8_NS5_IlS8_EES8_jjPS6_PjSD_j
		.amdhsa_group_segment_fixed_size 1068
		.amdhsa_private_segment_fixed_size 0
		.amdhsa_kernarg_size 984
		.amdhsa_user_sgpr_count 6
		.amdhsa_user_sgpr_private_segment_buffer 1
		.amdhsa_user_sgpr_dispatch_ptr 0
		.amdhsa_user_sgpr_queue_ptr 0
		.amdhsa_user_sgpr_kernarg_segment_ptr 1
		.amdhsa_user_sgpr_dispatch_id 0
		.amdhsa_user_sgpr_flat_scratch_init 0
		.amdhsa_user_sgpr_private_segment_size 0
		.amdhsa_uses_dynamic_stack 0
		.amdhsa_system_sgpr_private_segment_wavefront_offset 0
		.amdhsa_system_sgpr_workgroup_id_x 1
		.amdhsa_system_sgpr_workgroup_id_y 1
		.amdhsa_system_sgpr_workgroup_id_z 1
		.amdhsa_system_sgpr_workgroup_info 0
		.amdhsa_system_vgpr_workitem_id 0
		.amdhsa_next_free_vgpr 21
		.amdhsa_next_free_sgpr 45
		.amdhsa_reserve_vcc 1
		.amdhsa_reserve_flat_scratch 0
		.amdhsa_float_round_mode_32 0
		.amdhsa_float_round_mode_16_64 0
		.amdhsa_float_denorm_mode_32 3
		.amdhsa_float_denorm_mode_16_64 3
		.amdhsa_dx10_clamp 1
		.amdhsa_ieee_mode 1
		.amdhsa_fp16_overflow 0
		.amdhsa_exception_fp_ieee_invalid_op 0
		.amdhsa_exception_fp_denorm_src 0
		.amdhsa_exception_fp_ieee_div_zero 0
		.amdhsa_exception_fp_ieee_overflow 0
		.amdhsa_exception_fp_ieee_underflow 0
		.amdhsa_exception_fp_ieee_inexact 0
		.amdhsa_exception_int_div_zero 0
	.end_amdhsa_kernel
	.section	.text._ZN2at6native6mbtopk10gatherTopKIsjLin1EEEvNS_4cuda6detail10TensorInfoIKT_T0_EES8_S8_bjS8_NS5_IS6_S8_EES8_NS5_IlS8_EES8_jjPS6_PjSD_j,"axG",@progbits,_ZN2at6native6mbtopk10gatherTopKIsjLin1EEEvNS_4cuda6detail10TensorInfoIKT_T0_EES8_S8_bjS8_NS5_IS6_S8_EES8_NS5_IlS8_EES8_jjPS6_PjSD_j,comdat
.Lfunc_end64:
	.size	_ZN2at6native6mbtopk10gatherTopKIsjLin1EEEvNS_4cuda6detail10TensorInfoIKT_T0_EES8_S8_bjS8_NS5_IS6_S8_EES8_NS5_IlS8_EES8_jjPS6_PjSD_j, .Lfunc_end64-_ZN2at6native6mbtopk10gatherTopKIsjLin1EEEvNS_4cuda6detail10TensorInfoIKT_T0_EES8_S8_bjS8_NS5_IS6_S8_EES8_NS5_IlS8_EES8_jjPS6_PjSD_j
                                        ; -- End function
	.set _ZN2at6native6mbtopk10gatherTopKIsjLin1EEEvNS_4cuda6detail10TensorInfoIKT_T0_EES8_S8_bjS8_NS5_IS6_S8_EES8_NS5_IlS8_EES8_jjPS6_PjSD_j.num_vgpr, 21
	.set _ZN2at6native6mbtopk10gatherTopKIsjLin1EEEvNS_4cuda6detail10TensorInfoIKT_T0_EES8_S8_bjS8_NS5_IS6_S8_EES8_NS5_IlS8_EES8_jjPS6_PjSD_j.num_agpr, 0
	.set _ZN2at6native6mbtopk10gatherTopKIsjLin1EEEvNS_4cuda6detail10TensorInfoIKT_T0_EES8_S8_bjS8_NS5_IS6_S8_EES8_NS5_IlS8_EES8_jjPS6_PjSD_j.numbered_sgpr, 45
	.set _ZN2at6native6mbtopk10gatherTopKIsjLin1EEEvNS_4cuda6detail10TensorInfoIKT_T0_EES8_S8_bjS8_NS5_IS6_S8_EES8_NS5_IlS8_EES8_jjPS6_PjSD_j.num_named_barrier, 0
	.set _ZN2at6native6mbtopk10gatherTopKIsjLin1EEEvNS_4cuda6detail10TensorInfoIKT_T0_EES8_S8_bjS8_NS5_IS6_S8_EES8_NS5_IlS8_EES8_jjPS6_PjSD_j.private_seg_size, 0
	.set _ZN2at6native6mbtopk10gatherTopKIsjLin1EEEvNS_4cuda6detail10TensorInfoIKT_T0_EES8_S8_bjS8_NS5_IS6_S8_EES8_NS5_IlS8_EES8_jjPS6_PjSD_j.uses_vcc, 1
	.set _ZN2at6native6mbtopk10gatherTopKIsjLin1EEEvNS_4cuda6detail10TensorInfoIKT_T0_EES8_S8_bjS8_NS5_IS6_S8_EES8_NS5_IlS8_EES8_jjPS6_PjSD_j.uses_flat_scratch, 0
	.set _ZN2at6native6mbtopk10gatherTopKIsjLin1EEEvNS_4cuda6detail10TensorInfoIKT_T0_EES8_S8_bjS8_NS5_IS6_S8_EES8_NS5_IlS8_EES8_jjPS6_PjSD_j.has_dyn_sized_stack, 0
	.set _ZN2at6native6mbtopk10gatherTopKIsjLin1EEEvNS_4cuda6detail10TensorInfoIKT_T0_EES8_S8_bjS8_NS5_IS6_S8_EES8_NS5_IlS8_EES8_jjPS6_PjSD_j.has_recursion, 0
	.set _ZN2at6native6mbtopk10gatherTopKIsjLin1EEEvNS_4cuda6detail10TensorInfoIKT_T0_EES8_S8_bjS8_NS5_IS6_S8_EES8_NS5_IlS8_EES8_jjPS6_PjSD_j.has_indirect_call, 0
	.section	.AMDGPU.csdata,"",@progbits
; Kernel info:
; codeLenInByte = 2764
; TotalNumSgprs: 49
; NumVgprs: 21
; ScratchSize: 0
; MemoryBound: 0
; FloatMode: 240
; IeeeMode: 1
; LDSByteSize: 1068 bytes/workgroup (compile time only)
; SGPRBlocks: 6
; VGPRBlocks: 5
; NumSGPRsForWavesPerEU: 49
; NumVGPRsForWavesPerEU: 21
; Occupancy: 10
; WaveLimiterHint : 1
; COMPUTE_PGM_RSRC2:SCRATCH_EN: 0
; COMPUTE_PGM_RSRC2:USER_SGPR: 6
; COMPUTE_PGM_RSRC2:TRAP_HANDLER: 0
; COMPUTE_PGM_RSRC2:TGID_X_EN: 1
; COMPUTE_PGM_RSRC2:TGID_Y_EN: 1
; COMPUTE_PGM_RSRC2:TGID_Z_EN: 1
; COMPUTE_PGM_RSRC2:TIDIG_COMP_CNT: 0
	.section	.text._ZN2at6native6sbtopk10gatherTopKIsjLin1ELb0EEEvNS_4cuda6detail10TensorInfoIKT_T0_EES8_S8_bS8_S8_NS5_IS6_S8_EES8_NS5_IlS8_EES8_PS6_,"axG",@progbits,_ZN2at6native6sbtopk10gatherTopKIsjLin1ELb0EEEvNS_4cuda6detail10TensorInfoIKT_T0_EES8_S8_bS8_S8_NS5_IS6_S8_EES8_NS5_IlS8_EES8_PS6_,comdat
	.protected	_ZN2at6native6sbtopk10gatherTopKIsjLin1ELb0EEEvNS_4cuda6detail10TensorInfoIKT_T0_EES8_S8_bS8_S8_NS5_IS6_S8_EES8_NS5_IlS8_EES8_PS6_ ; -- Begin function _ZN2at6native6sbtopk10gatherTopKIsjLin1ELb0EEEvNS_4cuda6detail10TensorInfoIKT_T0_EES8_S8_bS8_S8_NS5_IS6_S8_EES8_NS5_IlS8_EES8_PS6_
	.globl	_ZN2at6native6sbtopk10gatherTopKIsjLin1ELb0EEEvNS_4cuda6detail10TensorInfoIKT_T0_EES8_S8_bS8_S8_NS5_IS6_S8_EES8_NS5_IlS8_EES8_PS6_
	.p2align	8
	.type	_ZN2at6native6sbtopk10gatherTopKIsjLin1ELb0EEEvNS_4cuda6detail10TensorInfoIKT_T0_EES8_S8_bS8_S8_NS5_IS6_S8_EES8_NS5_IlS8_EES8_PS6_,@function
_ZN2at6native6sbtopk10gatherTopKIsjLin1ELb0EEEvNS_4cuda6detail10TensorInfoIKT_T0_EES8_S8_bS8_S8_NS5_IS6_S8_EES8_NS5_IlS8_EES8_PS6_: ; @_ZN2at6native6sbtopk10gatherTopKIsjLin1ELb0EEEvNS_4cuda6detail10TensorInfoIKT_T0_EES8_S8_bS8_S8_NS5_IS6_S8_EES8_NS5_IlS8_EES8_PS6_
; %bb.0:
	s_load_dwordx2 s[14:15], s[4:5], 0x2b8
	s_load_dwordx4 s[36:39], s[4:5], 0xd8
	s_mov_b64 s[20:21], s[4:5]
	s_add_u32 s12, s20, 0x2b8
	s_addc_u32 s13, s21, 0
	s_waitcnt lgkmcnt(0)
	s_mul_i32 s0, s15, s8
	s_add_i32 s0, s0, s7
	s_mul_i32 s0, s0, s14
	s_add_i32 s55, s0, s6
	s_cmp_ge_u32 s55, s39
	s_cbranch_scc1 .LBB65_420
; %bb.1:
	s_load_dword s2, s[20:21], 0xd0
	s_load_dword s33, s[20:21], 0xe8
	s_mov_b32 s1, 0
	s_mov_b32 s0, s55
	s_waitcnt lgkmcnt(0)
	s_cmp_lt_i32 s2, 2
	s_cbranch_scc1 .LBB65_4
; %bb.2:
	s_add_i32 s0, s2, -1
	s_add_i32 s4, s2, 1
	s_lshl_b64 s[2:3], s[0:1], 2
	s_add_u32 s0, s20, s2
	s_addc_u32 s3, s21, s3
	s_add_u32 s2, s0, 8
	s_addc_u32 s3, s3, 0
	s_mov_b32 s0, s55
.LBB65_3:                               ; =>This Inner Loop Header: Depth=1
	s_load_dword s5, s[2:3], 0x0
	s_load_dword s8, s[2:3], 0x64
	s_mov_b32 s7, s0
	s_waitcnt lgkmcnt(0)
	v_cvt_f32_u32_e32 v1, s5
	s_sub_i32 s0, 0, s5
	v_rcp_iflag_f32_e32 v1, v1
	v_mul_f32_e32 v1, 0x4f7ffffe, v1
	v_cvt_u32_f32_e32 v1, v1
	v_readfirstlane_b32 s9, v1
	s_mul_i32 s0, s0, s9
	s_mul_hi_u32 s0, s9, s0
	s_add_i32 s9, s9, s0
	s_mul_hi_u32 s0, s7, s9
	s_mul_i32 s9, s0, s5
	s_sub_i32 s9, s7, s9
	s_add_i32 s10, s0, 1
	s_sub_i32 s11, s9, s5
	s_cmp_ge_u32 s9, s5
	s_cselect_b32 s0, s10, s0
	s_cselect_b32 s9, s11, s9
	s_add_i32 s10, s0, 1
	s_cmp_ge_u32 s9, s5
	s_cselect_b32 s0, s10, s0
	s_mul_i32 s5, s0, s5
	s_sub_i32 s5, s7, s5
	s_mul_i32 s5, s8, s5
	s_add_i32 s4, s4, -1
	s_add_i32 s1, s5, s1
	s_add_u32 s2, s2, -4
	s_addc_u32 s3, s3, -1
	s_cmp_gt_u32 s4, 2
	s_cbranch_scc1 .LBB65_3
.LBB65_4:
	s_load_dword s5, s[20:21], 0x1c0
	s_add_u32 s2, s20, 0xf0
	s_addc_u32 s3, s21, 0
	s_mov_b32 s41, 0
	s_mov_b32 s18, s55
	s_waitcnt lgkmcnt(0)
	s_cmp_lt_i32 s5, 2
	s_cbranch_scc1 .LBB65_7
; %bb.5:
	s_add_i32 s40, s5, -1
	s_add_i32 s4, s5, 1
	s_lshl_b64 s[8:9], s[40:41], 2
	s_add_u32 s5, s2, s8
	s_addc_u32 s7, s3, s9
	s_add_u32 s8, s5, 8
	s_addc_u32 s9, s7, 0
	s_mov_b32 s18, s55
.LBB65_6:                               ; =>This Inner Loop Header: Depth=1
	s_load_dword s5, s[8:9], 0x0
	s_load_dword s10, s[8:9], 0x64
	s_mov_b32 s7, s18
	s_waitcnt lgkmcnt(0)
	v_cvt_f32_u32_e32 v1, s5
	s_sub_i32 s11, 0, s5
	v_rcp_iflag_f32_e32 v1, v1
	v_mul_f32_e32 v1, 0x4f7ffffe, v1
	v_cvt_u32_f32_e32 v1, v1
	v_readfirstlane_b32 s15, v1
	s_mul_i32 s11, s11, s15
	s_mul_hi_u32 s11, s15, s11
	s_add_i32 s15, s15, s11
	s_mul_hi_u32 s11, s18, s15
	s_mul_i32 s15, s11, s5
	s_sub_i32 s15, s18, s15
	s_add_i32 s16, s11, 1
	s_sub_i32 s17, s15, s5
	s_cmp_ge_u32 s15, s5
	s_cselect_b32 s11, s16, s11
	s_cselect_b32 s15, s17, s15
	s_add_i32 s16, s11, 1
	s_cmp_ge_u32 s15, s5
	s_cselect_b32 s18, s16, s11
	s_mul_i32 s5, s18, s5
	s_sub_i32 s5, s7, s5
	s_mul_i32 s5, s10, s5
	s_add_i32 s4, s4, -1
	s_add_i32 s41, s5, s41
	s_add_u32 s8, s8, -4
	s_addc_u32 s9, s9, -1
	s_cmp_gt_u32 s4, 2
	s_cbranch_scc1 .LBB65_6
.LBB65_7:
	s_load_dword s4, s[20:21], 0x6c
	s_load_dword s9, s[20:21], 0x2a0
	s_add_u32 s7, s20, 0x1d0
	s_addc_u32 s8, s21, 0
	s_mov_b32 s43, 0
	s_waitcnt lgkmcnt(0)
	s_cmp_lt_i32 s9, 2
	s_cbranch_scc1 .LBB65_10
; %bb.8:
	s_add_i32 s42, s9, -1
	s_add_i32 s5, s9, 1
	s_lshl_b64 s[10:11], s[42:43], 2
	s_add_u32 s7, s7, s10
	s_addc_u32 s9, s8, s11
	s_add_u32 s8, s7, 8
	s_addc_u32 s9, s9, 0
.LBB65_9:                               ; =>This Inner Loop Header: Depth=1
	s_load_dword s7, s[8:9], 0x0
	s_load_dword s11, s[8:9], 0x64
	s_mov_b32 s10, s55
	s_waitcnt lgkmcnt(0)
	v_cvt_f32_u32_e32 v1, s7
	s_sub_i32 s15, 0, s7
	v_rcp_iflag_f32_e32 v1, v1
	v_mul_f32_e32 v1, 0x4f7ffffe, v1
	v_cvt_u32_f32_e32 v1, v1
	v_readfirstlane_b32 s16, v1
	s_mul_i32 s15, s15, s16
	s_mul_hi_u32 s15, s16, s15
	s_add_i32 s16, s16, s15
	s_mul_hi_u32 s15, s55, s16
	s_mul_i32 s16, s15, s7
	s_sub_i32 s16, s55, s16
	s_add_i32 s17, s15, 1
	s_sub_i32 s19, s16, s7
	s_cmp_ge_u32 s16, s7
	s_cselect_b32 s15, s17, s15
	s_cselect_b32 s16, s19, s16
	s_add_i32 s17, s15, 1
	s_cmp_ge_u32 s16, s7
	s_cselect_b32 s55, s17, s15
	s_mul_i32 s7, s55, s7
	s_sub_i32 s7, s10, s7
	s_mul_i32 s7, s11, s7
	s_add_i32 s5, s5, -1
	s_add_i32 s43, s7, s43
	s_add_u32 s8, s8, -4
	s_addc_u32 s9, s9, -1
	s_cmp_gt_u32 s5, 2
	s_cbranch_scc1 .LBB65_9
.LBB65_10:
	s_load_dword s2, s[2:3], 0x6c
                                        ; implicit-def: $vgpr49 : SGPR spill to VGPR lane
	s_mov_b32 s49, 0
	v_cmp_eq_u32_e64 s[10:11], 0, v0
	s_waitcnt lgkmcnt(0)
	v_writelane_b32 v49, s2, 0
	s_load_dwordx2 s[2:3], s[20:21], 0x0
	s_load_dwordx2 s[8:9], s[20:21], 0xf0
	s_waitcnt lgkmcnt(0)
	v_writelane_b32 v49, s8, 1
	v_writelane_b32 v49, s9, 2
	;; [unrolled: 1-line block ×3, first 2 shown]
	s_load_dwordx2 s[8:9], s[20:21], 0x1d0
	v_writelane_b32 v49, s21, 4
	s_waitcnt lgkmcnt(0)
	v_writelane_b32 v49, s8, 5
	v_writelane_b32 v49, s9, 6
	s_mov_b64 s[8:9], exec
	v_writelane_b32 v49, s10, 7
	v_writelane_b32 v49, s11, 8
	s_and_b64 s[10:11], s[8:9], s[10:11]
	s_mov_b64 exec, s[10:11]
; %bb.11:
	v_mov_b32_e32 v1, 0
	v_mov_b32_e32 v2, s36
	;; [unrolled: 1-line block ×3, first 2 shown]
	ds_write_b96 v1, v[1:3] offset:4096
; %bb.12:
	s_or_b64 exec, exec, s[8:9]
	s_mul_i32 s0, s4, s0
	s_add_i32 s48, s0, s1
	s_lshl_b64 s[0:1], s[48:49], 1
	s_add_u32 s40, s2, s0
	s_addc_u32 s42, s3, s1
	s_waitcnt lgkmcnt(0)
	s_barrier
	s_load_dword s0, s[12:13], 0xc
	s_bitcmp1_b32 s38, 0
	s_cselect_b64 s[2:3], -1, 0
	v_writelane_b32 v49, s2, 9
	v_writelane_b32 v49, s3, 10
	s_xor_b64 s[2:3], s[2:3], -1
	v_mbcnt_lo_u32_b32 v1, -1, 0
	v_writelane_b32 v49, s2, 11
	v_mbcnt_hi_u32_b32 v24, -1, v1
	v_writelane_b32 v49, s3, 12
	s_waitcnt lgkmcnt(0)
	s_and_b32 s48, s0, 0xffff
	v_cmp_gt_u32_e32 vcc, 64, v0
	v_cmp_gt_i32_e64 s[2:3], 4, v24
	s_lshl_b32 s19, s48, 2
	s_bfe_u32 s4, s0, 0xa0006
	s_and_b64 s[2:3], vcc, s[2:3]
	v_writelane_b32 v49, s2, 13
	s_cmpk_gt_u32 s36, 0x600
	v_writelane_b32 v49, s3, 14
	s_cselect_b64 s[2:3], -1, 0
	v_writelane_b32 v49, s2, 15
	v_writelane_b32 v49, s3, 16
	v_cmp_gt_u32_e64 s[2:3], s36, v0
	v_writelane_b32 v49, s2, 17
	s_cmp_gt_u32 s48, 63
	v_mul_lo_u32 v7, s33, v0
	v_writelane_b32 v49, s3, 18
	s_cselect_b64 s[2:3], -1, 0
	v_writelane_b32 v49, s2, 19
	v_mov_b32_e32 v9, 0
	v_writelane_b32 v49, s3, 20
	v_cmp_gt_u32_e64 s[2:3], 2, v0
	v_mov_b32_e32 v8, v9
	v_writelane_b32 v49, s2, 21
	v_lshlrev_b64 v[1:2], 1, v[7:8]
	v_writelane_b32 v49, s3, 22
	s_add_i32 s2, s48, -1
	v_writelane_b32 v49, s2, 23
	s_add_i32 s2, s2, s36
	v_add_co_u32_e32 v5, vcc, s40, v1
	v_lshrrev_b32_e32 v1, 2, v0
	s_cmp_lt_u32 s6, s14
	v_and_b32_e32 v1, 0xf0, v1
	s_cselect_b32 s3, 12, 18
	v_or_b32_e32 v27, 0xc00, v1
	s_add_u32 s6, s12, s3
	v_add_u32_e32 v1, 2, v0
	v_mov_b32_e32 v3, s42
	s_addc_u32 s7, s13, 0
	v_max_u32_e32 v1, s36, v1
	v_addc_co_u32_e32 v6, vcc, v3, v2, vcc
	v_lshlrev_b64 v[3:4], v24, -1
	v_writelane_b32 v49, s6, 24
	v_xad_u32 v1, v0, -1, v1
	v_writelane_b32 v49, s7, 25
	v_cmp_lt_u32_e64 s[6:7], 31, v1
	v_not_b32_e32 v22, v3
	v_add_u32_e32 v3, -2, v1
	v_writelane_b32 v49, s6, 26
	v_not_b32_e32 v21, v4
	v_lshrrev_b32_e32 v4, 1, v3
	v_writelane_b32 v49, s7, 27
	v_cmp_lt_u32_e64 s[6:7], 13, v3
	v_cvt_f32_u32_e32 v3, s19
	v_add_u32_e32 v4, 1, v4
	v_and_b32_e32 v12, 7, v4
	v_writelane_b32 v49, s6, 28
	v_rcp_iflag_f32_e32 v3, v3
	s_add_i32 s3, s4, -1
	v_writelane_b32 v49, s7, 29
	v_cmp_ne_u32_e64 s[6:7], 0, v12
	s_bfe_u32 s5, s48, 0x30006
	s_and_b32 s3, s3, 0xffff
	v_writelane_b32 v49, s6, 30
	s_cmp_gt_u32 s3, 6
	v_writelane_b32 v49, s7, 31
	s_cselect_b64 s[6:7], -1, 0
	v_mul_f32_e32 v3, 0x4f7ffffe, v3
	v_writelane_b32 v49, s6, 32
	s_and_b32 s21, s4, 0x3f8
	v_cvt_u32_f32_e32 v3, v3
	v_writelane_b32 v49, s7, 33
	s_cmp_lg_u32 s5, 0
	v_writelane_b32 v49, s5, 34
	s_cselect_b64 s[4:5], -1, 0
	v_writelane_b32 v49, s4, 35
	v_writelane_b32 v49, s5, 36
	s_sub_i32 s3, 0, s19
	v_readfirstlane_b32 s4, v3
	s_mul_i32 s3, s3, s4
	s_mul_hi_u32 s3, s4, s3
	s_add_i32 s3, s4, s3
	v_writelane_b32 v49, s3, 37
	s_mul_hi_u32 s3, s36, s3
	s_mul_i32 s3, s3, s19
	v_cvt_f32_u32_e32 v3, s48
	s_sub_i32 s3, s36, s3
	s_sub_i32 s4, s3, s19
	s_cmp_ge_u32 s3, s19
	s_cselect_b32 s3, s4, s3
	v_rcp_iflag_f32_e32 v10, v3
	s_sub_i32 s4, s3, s19
	s_cmp_ge_u32 s3, s19
	s_cselect_b32 s3, s4, s3
	v_lshlrev_b32_e32 v23, 2, v0
	s_sub_i32 s60, s36, s3
	v_mul_f32_e32 v10, 0x4f7ffffe, v10
	v_cmp_gt_u32_e64 s[4:5], s60, v23
	v_cvt_u32_f32_e32 v13, v10
	v_add_u32_e32 v30, s60, v0
	v_writelane_b32 v49, s4, 38
	v_writelane_b32 v49, s5, 39
	v_cmp_gt_u32_e64 s[4:5], s36, v30
	v_writelane_b32 v49, s4, 40
	v_writelane_b32 v49, s5, 41
	s_sub_i32 s4, 0, s48
	v_readfirstlane_b32 s5, v13
	s_mul_i32 s4, s4, s5
	v_mul_lo_u32 v8, v30, s33
	s_mul_hi_u32 s4, s5, s4
	s_add_i32 s4, s5, s4
	v_writelane_b32 v49, s4, 42
	s_mul_hi_u32 s4, s2, s4
	s_mul_i32 s4, s4, s48
	v_and_b32_e32 v29, -8, v4
	v_lshlrev_b64 v[3:4], 1, v[8:9]
	s_sub_i32 s4, s2, s4
	s_sub_i32 s5, s4, s48
	v_add_co_u32_e32 v10, vcc, s40, v3
	s_cmp_ge_u32 s4, s48
	v_mul_lo_u32 v3, s33, v23
	s_cselect_b32 s4, s5, s4
	s_sub_i32 s5, s4, s48
	s_cmp_ge_u32 s4, s48
	s_cselect_b32 s4, s5, s4
	v_add_u32_e32 v32, s33, v3
	v_or_b32_e32 v3, 2, v23
	s_sub_i32 s61, s2, s4
	v_mul_lo_u32 v33, s33, v3
	v_or_b32_e32 v3, 3, v23
	s_add_i32 s2, s48, s36
	v_mul_lo_u32 v34, s33, v3
	v_add_u32_e32 v3, s2, v0
	v_subrev_u32_e32 v3, s3, v3
	v_cmp_gt_u32_e64 s[4:5], s61, v0
	v_mul_lo_u32 v35, s33, v3
	v_and_b32_e32 v28, -2, v1
	v_writelane_b32 v49, s4, 43
	v_lshlrev_b32_e32 v25, 1, v0
	v_lshlrev_b32_e32 v2, 2, v24
	v_mov_b32_e32 v8, s42
	v_writelane_b32 v49, s5, 44
	s_mul_i32 s54, s33, s48
	v_cmp_ne_u32_e64 s[2:3], v1, v28
	v_cmp_eq_u32_e64 s[0:1], 0, v24
	v_add_u32_e32 v26, 0xc00, v25
	v_and_b32_e32 v20, 0x100, v2
	s_mov_b32 s20, s33
	v_addc_co_u32_e32 v11, vcc, v8, v4, vcc
	v_lshlrev_b32_e32 v31, 2, v12
	s_lshl_b32 s10, s54, 2
	s_lshl_b32 s11, s48, 3
	;; [unrolled: 1-line block ×3, first 2 shown]
	v_or_b32_e32 v36, 0xc00, v2
	s_mov_b32 s38, 14
	s_mov_b64 s[62:63], 0
	s_mov_b32 s5, 0x8000
	v_add_u32_e32 v38, v0, v28
	v_lshlrev_b32_e32 v39, 2, v7
	v_lshlrev_b32_e32 v40, 3, v0
	v_mov_b32_e32 v44, s37
	v_writelane_b32 v49, s2, 45
	v_mov_b32_e32 v41, 0x5040100
	v_mov_b32_e32 v43, 0
	;; [unrolled: 1-line block ×4, first 2 shown]
                                        ; implicit-def: $sgpr64_sgpr65
                                        ; implicit-def: $sgpr66_sgpr67
                                        ; implicit-def: $sgpr70_sgpr71
                                        ; implicit-def: $sgpr72_sgpr73
                                        ; implicit-def: $sgpr68_sgpr69
                                        ; implicit-def: $sgpr74_sgpr75
                                        ; implicit-def: $sgpr76_sgpr77
	v_writelane_b32 v49, s3, 46
                                        ; implicit-def: $sgpr78_sgpr79
                                        ; implicit-def: $sgpr80_sgpr81
                                        ; implicit-def: $sgpr82_sgpr83
	s_branch .LBB65_15
.LBB65_13:                              ;   in Loop: Header=BB65_15 Depth=1
	s_or_b64 exec, exec, s[12:13]
	s_andn2_b64 s[12:13], s[82:83], exec
	s_and_b64 s[8:9], s[8:9], exec
	s_or_b64 s[82:83], s[12:13], s[8:9]
	s_andn2_b64 s[80:81], s[80:81], exec
	s_andn2_b64 s[78:79], s[78:79], exec
	;; [unrolled: 1-line block ×4, first 2 shown]
	s_orn2_b64 s[6:7], s[6:7], exec
	v_mov_b32_e32 v44, v4
.LBB65_14:                              ;   in Loop: Header=BB65_15 Depth=1
	s_or_b64 exec, exec, s[2:3]
	s_and_b64 s[2:3], exec, s[6:7]
	s_or_b64 s[62:63], s[2:3], s[62:63]
	s_andn2_b64 s[2:3], s[68:69], exec
	s_and_b64 s[6:7], s[82:83], exec
	s_or_b64 s[68:69], s[2:3], s[6:7]
	s_andn2_b64 s[2:3], s[72:73], exec
	s_and_b64 s[6:7], s[80:81], exec
	;; [unrolled: 3-line block ×5, first 2 shown]
	s_or_b64 s[64:65], s[2:3], s[6:7]
	s_andn2_b64 exec, exec, s[62:63]
	s_cbranch_execz .LBB65_416
.LBB65_15:                              ; =>This Loop Header: Depth=1
                                        ;     Child Loop BB65_20 Depth 2
                                        ;     Child Loop BB65_41 Depth 2
	;; [unrolled: 1-line block ×26, first 2 shown]
	ds_read_b64 v[1:2], v9 offset:4096
	s_waitcnt lgkmcnt(0)
	v_readfirstlane_b32 s14, v1
	s_cmp_lg_u32 s14, 0
	s_cbranch_scc1 .LBB65_60
; %bb.16:                               ;   in Loop: Header=BB65_15 Depth=1
	v_readlane_b32 s2, v49, 15
	v_readlane_b32 s3, v49, 16
	s_and_b64 vcc, exec, s[2:3]
	s_cbranch_vccz .LBB65_28
; %bb.17:                               ;   in Loop: Header=BB65_15 Depth=1
	s_movk_i32 s6, 0x601
	v_cmp_gt_u32_e32 vcc, s6, v2
	s_mov_b64 s[2:3], 0
	s_mov_b64 s[6:7], 0
	s_cbranch_vccz .LBB65_29
; %bb.18:                               ;   in Loop: Header=BB65_15 Depth=1
	v_readlane_b32 s6, v49, 24
	v_readlane_b32 s7, v49, 25
	s_nop 4
	global_load_ushort v1, v9, s[6:7]
	global_load_ushort v3, v[5:6], off
	s_mov_b64 s[12:13], 0
	v_mov_b32_e32 v4, v0
	s_waitcnt vmcnt(1)
	v_add_u32_e32 v2, v0, v1
	v_mul_lo_u32 v8, s33, v2
	v_mul_lo_u32 v2, s33, v1
	s_branch .LBB65_20
.LBB65_19:                              ;   in Loop: Header=BB65_20 Depth=2
	s_or_b64 exec, exec, s[6:7]
	v_add_u32_e32 v8, v8, v2
	v_mov_b32_e32 v3, v12
	s_andn2_b64 exec, exec, s[12:13]
	s_cbranch_execz .LBB65_35
.LBB65_20:                              ;   Parent Loop BB65_15 Depth=1
                                        ; =>  This Inner Loop Header: Depth=2
	v_add_u32_e32 v4, v4, v1
	v_cmp_gt_u32_e64 s[6:7], s36, v4
	v_cmp_le_u32_e32 vcc, s36, v4
	s_waitcnt lgkmcnt(0)
	v_mov_b32_e32 v13, 0
	v_mov_b32_e32 v12, 0
	s_and_saveexec_b64 s[8:9], s[6:7]
	s_cbranch_execz .LBB65_22
; %bb.21:                               ;   in Loop: Header=BB65_20 Depth=2
	v_lshlrev_b64 v[14:15], 1, v[8:9]
	v_mov_b32_e32 v12, s42
	v_add_co_u32_e64 v14, s[6:7], s40, v14
	v_addc_co_u32_e64 v15, s[6:7], v12, v15, s[6:7]
	global_load_ushort v12, v[14:15], off
.LBB65_22:                              ;   in Loop: Header=BB65_20 Depth=2
	s_or_b64 exec, exec, s[8:9]
	s_waitcnt vmcnt(0)
	v_add_u32_sdwa v14, sext(v3), s5 dst_sel:DWORD dst_unused:UNUSED_PAD src0_sel:WORD_0 src1_sel:DWORD
	v_and_b32_e32 v14, v14, v42
	v_cmp_eq_u32_e64 s[26:27], v14, v37
	s_cmp_lg_u64 s[26:27], 0
	s_cselect_b64 s[6:7], -1, 0
	s_and_b64 s[6:7], s[0:1], s[6:7]
	s_and_saveexec_b64 s[8:9], s[6:7]
	s_cbranch_execz .LBB65_26
; %bb.23:                               ;   in Loop: Header=BB65_20 Depth=2
	s_mov_b64 s[16:17], exec
	v_mbcnt_lo_u32_b32 v13, s16, 0
	v_mbcnt_hi_u32_b32 v13, s17, v13
	s_bcnt1_i32_b64 s22, s[26:27]
	v_cmp_eq_u32_e64 s[6:7], 0, v13
                                        ; implicit-def: $vgpr14
	s_and_saveexec_b64 s[14:15], s[6:7]
; %bb.24:                               ;   in Loop: Header=BB65_20 Depth=2
	s_bcnt1_i32_b64 s6, s[16:17]
	s_mul_i32 s6, s22, s6
	v_mov_b32_e32 v14, s6
	ds_add_rtn_u32 v14, v9, v14 offset:4104
; %bb.25:                               ;   in Loop: Header=BB65_20 Depth=2
	s_or_b64 exec, exec, s[14:15]
	s_waitcnt lgkmcnt(0)
	v_readfirstlane_b32 s6, v14
	v_mov_b32_e32 v14, s6
	v_mad_u32_u24 v13, s22, v13, v14
.LBB65_26:                              ;   in Loop: Header=BB65_20 Depth=2
	s_or_b64 exec, exec, s[8:9]
	ds_bpermute_b32 v13, v20, v13
	s_and_b64 s[6:7], exec, vcc
	s_or_b64 s[12:13], s[6:7], s[12:13]
	s_and_saveexec_b64 s[6:7], s[26:27]
	s_cbranch_execz .LBB65_19
; %bb.27:                               ;   in Loop: Header=BB65_20 Depth=2
	v_and_b32_e32 v15, s26, v22
	v_and_b32_e32 v14, s27, v21
	v_bcnt_u32_b32 v15, v15, 0
	v_bcnt_u32_b32 v14, v14, v15
	v_lshlrev_b32_e32 v14, 1, v14
	s_waitcnt lgkmcnt(0)
	v_lshl_add_u32 v13, v13, 1, v14
	ds_write_b16 v13, v3
	s_branch .LBB65_19
.LBB65_28:                              ;   in Loop: Header=BB65_15 Depth=1
	s_mov_b64 s[2:3], -1
	s_mov_b64 s[6:7], 0
.LBB65_29:                              ;   in Loop: Header=BB65_15 Depth=1
	s_and_b64 vcc, exec, s[2:3]
	s_cbranch_vccz .LBB65_58
.LBB65_30:                              ;   in Loop: Header=BB65_15 Depth=1
	s_mov_b64 s[26:27], exec
	v_readlane_b32 s2, v49, 17
	v_readlane_b32 s3, v49, 18
	s_and_b64 s[2:3], s[26:27], s[2:3]
	s_mov_b64 exec, s[2:3]
	s_cbranch_execz .LBB65_55
; %bb.31:                               ;   in Loop: Header=BB65_15 Depth=1
	v_readlane_b32 s2, v49, 24
	v_readlane_b32 s3, v49, 25
	s_nop 4
	global_load_ushort v1, v9, s[2:3]
	global_load_ushort v16, v[5:6], off
	s_waitcnt vmcnt(1)
	v_add_u32_e32 v12, v0, v1
	v_readfirstlane_b32 s12, v1
	v_cmp_gt_u32_e32 vcc, s36, v12
	v_mov_b32_e32 v1, v0
	s_and_saveexec_b64 s[30:31], vcc
	s_cbranch_execz .LBB65_54
; %bb.32:                               ;   in Loop: Header=BB65_15 Depth=1
	s_mov_b64 s[2:3], 0
	s_mul_i32 s13, s33, s12
                                        ; implicit-def: $vgpr1
                                        ; implicit-def: $vgpr4
                                        ; implicit-def: $vgpr2
                                        ; implicit-def: $vgpr3
	s_mov_b64 s[6:7], exec
	v_readlane_b32 s8, v49, 26
	v_readlane_b32 s9, v49, 27
	s_and_b64 s[8:9], s[6:7], s[8:9]
	s_xor_b64 s[34:35], s[8:9], s[6:7]
	s_mov_b64 exec, s[8:9]
	s_cbranch_execnz .LBB65_38
; %bb.33:                               ;   in Loop: Header=BB65_15 Depth=1
	s_andn2_saveexec_b64 s[6:7], s[34:35]
	s_cbranch_execnz .LBB65_49
.LBB65_34:                              ;   in Loop: Header=BB65_15 Depth=1
	s_or_b64 exec, exec, s[6:7]
	s_and_saveexec_b64 s[6:7], s[2:3]
	s_cbranch_execnz .LBB65_50
	s_branch .LBB65_53
.LBB65_35:                              ;   in Loop: Header=BB65_15 Depth=1
	s_or_b64 exec, exec, s[12:13]
	s_waitcnt lgkmcnt(0)
	s_barrier
	s_mov_b64 s[6:7], exec
	v_readlane_b32 s8, v49, 7
	v_readlane_b32 s9, v49, 8
	s_and_b64 s[8:9], s[6:7], s[8:9]
	s_mov_b64 exec, s[8:9]
	s_cbranch_execz .LBB65_37
; %bb.36:                               ;   in Loop: Header=BB65_15 Depth=1
	ds_read_b32 v1, v9 offset:4104
	s_waitcnt lgkmcnt(0)
	ds_write_b32 v9, v1 offset:4096
.LBB65_37:                              ;   in Loop: Header=BB65_15 Depth=1
	s_or_b64 exec, exec, s[6:7]
	s_waitcnt lgkmcnt(0)
	s_barrier
	s_mov_b64 s[6:7], -1
	s_and_b64 vcc, exec, s[2:3]
	s_cbranch_vccnz .LBB65_30
	s_branch .LBB65_58
.LBB65_38:                              ;   in Loop: Header=BB65_15 Depth=1
	v_cvt_f32_u32_e32 v1, s12
	s_sub_i32 s3, 0, s12
	v_add_u32_e32 v2, s12, v12
	v_max_u32_e32 v2, s36, v2
	v_rcp_iflag_f32_e32 v1, v1
	s_lshl_b32 s2, s12, 1
	v_sub_u32_e32 v2, v2, v0
	v_cmp_ne_u32_e32 vcc, s2, v2
	v_mul_f32_e32 v1, 0x4f7ffffe, v1
	v_cvt_u32_f32_e32 v1, v1
	v_cndmask_b32_e64 v8, 0, 1, vcc
	v_or_b32_e32 v8, s2, v8
	v_sub_u32_e32 v2, v2, v8
	v_mul_lo_u32 v3, s3, v1
	s_not_b32 s6, s13
	s_ashr_i32 s14, s6, 31
	s_abs_i32 s8, s13
	v_mul_hi_u32 v3, v1, v3
	v_mul_lo_u32 v4, s33, v12
	s_cmp_eq_u32 s12, 1
	s_mov_b64 s[2:3], -1
	v_add_u32_e32 v1, v1, v3
	v_mul_hi_u32 v3, v2, v1
	v_xor_b32_e32 v4, s14, v4
                                        ; implicit-def: $vgpr1
	v_mul_lo_u32 v8, v3, s12
	v_add_u32_e32 v13, 1, v3
	v_sub_u32_e32 v2, v2, v8
	v_subrev_u32_e32 v8, s12, v2
	v_cmp_le_u32_e64 s[6:7], s12, v2
	v_cndmask_b32_e64 v3, v3, v13, s[6:7]
	v_cndmask_b32_e64 v2, v2, v8, s[6:7]
	v_add_u32_e32 v8, 1, v3
	v_cmp_le_u32_e64 s[6:7], s12, v2
	v_cndmask_b32_e64 v2, v3, v8, s[6:7]
	v_addc_co_u32_e32 v2, vcc, 0, v2, vcc
	v_mul_hi_u32 v3, s8, v2
	v_mul_lo_u32 v2, s8, v2
	s_cselect_b64 s[8:9], -1, 0
	v_cmp_eq_u32_e32 vcc, 0, v3
	v_cmp_le_u32_e64 s[6:7], v2, v4
	s_and_b64 s[8:9], vcc, s[8:9]
	s_and_b64 s[8:9], s[8:9], s[6:7]
	v_mov_b32_e32 v2, v0
	s_and_saveexec_b64 s[6:7], s[8:9]
	s_cbranch_execz .LBB65_48
; %bb.39:                               ;   in Loop: Header=BB65_15 Depth=1
	v_add_u32_e32 v13, 1, v12
	v_mov_b32_e32 v15, v13
	s_waitcnt vmcnt(0)
	v_lshlrev_b32_e32 v17, 16, v16
	v_mov_b32_e32 v1, 0
	v_mov_b32_e32 v14, v12
                                        ; implicit-def: $vgpr16
	s_mov_b64 s[44:45], exec
	v_readlane_b32 s2, v49, 28
	v_readlane_b32 s3, v49, 29
	s_and_b64 s[2:3], s[44:45], s[2:3]
	s_mov_b64 exec, s[2:3]
	s_cbranch_execz .LBB65_43
; %bb.40:                               ;   in Loop: Header=BB65_15 Depth=1
	v_mov_b32_e32 v15, v13
	s_mov_b32 s2, 0
	s_mov_b64 s[84:85], 0
	v_mov_b32_e32 v45, v29
	v_mov_b32_e32 v46, v25
	;; [unrolled: 1-line block ×3, first 2 shown]
	s_mov_b32 s3, 0x5040100
.LBB65_41:                              ;   Parent Loop BB65_15 Depth=1
                                        ; =>  This Inner Loop Header: Depth=2
	v_mul_lo_u32 v8, v14, s33
	v_mul_lo_u32 v1, v15, s20
	v_mov_b32_e32 v13, s42
	v_add_u32_e32 v45, -8, v45
	v_lshlrev_b64 v[2:3], 1, v[8:9]
	s_add_i32 s2, s2, 16
	v_add_co_u32_e32 v18, vcc, s40, v2
	v_mov_b32_e32 v2, v9
	v_lshlrev_b64 v[1:2], 1, v[1:2]
	v_addc_co_u32_e32 v19, vcc, v13, v3, vcc
	v_add_co_u32_e32 v1, vcc, s40, v1
	v_addc_co_u32_e32 v2, vcc, v13, v2, vcc
	global_load_ushort v3, v[18:19], off
	s_nop 0
	global_load_ushort v18, v[1:2], off
	v_add_u32_e32 v2, 2, v15
	v_mul_lo_u32 v2, v2, s20
	s_waitcnt vmcnt(1)
	v_alignbit_b32 v1, v3, v17, 16
	v_add_u32_e32 v3, 2, v14
	v_mul_lo_u32 v8, v3, s33
	v_lshlrev_b64 v[3:4], 1, v[8:9]
	v_add_co_u32_e32 v16, vcc, s40, v3
	v_mov_b32_e32 v3, v9
	v_lshlrev_b64 v[2:3], 1, v[2:3]
	v_addc_co_u32_e32 v17, vcc, v13, v4, vcc
	v_add_co_u32_e32 v2, vcc, s40, v2
	v_addc_co_u32_e32 v3, vcc, v13, v3, vcc
	global_load_ushort v4, v[16:17], off
	global_load_ushort v19, v[2:3], off
	v_add_u32_e32 v3, 4, v15
	v_mul_lo_u32 v3, v3, s20
	s_waitcnt vmcnt(1)
	v_perm_b32 v2, v4, v18, s3
	v_add_u32_e32 v4, 4, v14
	v_mul_lo_u32 v8, v4, s33
	v_mov_b32_e32 v4, v9
	v_lshlrev_b64 v[3:4], 1, v[3:4]
	v_lshlrev_b64 v[16:17], 1, v[8:9]
	v_add_co_u32_e32 v16, vcc, s40, v16
	v_addc_co_u32_e32 v17, vcc, v13, v17, vcc
	v_add_co_u32_e32 v3, vcc, s40, v3
	v_addc_co_u32_e32 v4, vcc, v13, v4, vcc
	global_load_ushort v8, v[16:17], off
	s_nop 0
	global_load_ushort v4, v[3:4], off
	v_add_u32_e32 v16, 6, v15
	v_mul_lo_u32 v16, v16, s20
	s_waitcnt vmcnt(1)
	v_perm_b32 v3, v8, v19, s3
	v_add_u32_e32 v8, 6, v14
	v_mul_lo_u32 v8, v8, s33
	v_lshlrev_b64 v[17:18], 1, v[8:9]
	v_add_co_u32_e32 v47, vcc, s40, v17
	v_mov_b32_e32 v17, v9
	v_lshlrev_b64 v[16:17], 1, v[16:17]
	v_addc_co_u32_e32 v48, vcc, v13, v18, vcc
	v_add_co_u32_e32 v16, vcc, s40, v16
	v_addc_co_u32_e32 v17, vcc, v13, v17, vcc
	global_load_ushort v8, v[47:48], off
	global_load_ushort v18, v[16:17], off
	s_waitcnt vmcnt(1)
	v_perm_b32 v4, v8, v4, s3
	ds_write_b128 v46, v[1:4]
	v_add_u32_e32 v2, 8, v14
	v_mul_lo_u32 v8, v2, s33
	v_add_u32_e32 v1, 8, v15
	v_mul_lo_u32 v1, v1, s20
	v_lshlrev_b64 v[2:3], 1, v[8:9]
	v_add_co_u32_e32 v16, vcc, s40, v2
	v_mov_b32_e32 v2, v9
	v_lshlrev_b64 v[1:2], 1, v[1:2]
	v_addc_co_u32_e32 v17, vcc, v13, v3, vcc
	v_add_co_u32_e32 v1, vcc, s40, v1
	v_addc_co_u32_e32 v2, vcc, v13, v2, vcc
	global_load_ushort v3, v[16:17], off
	global_load_ushort v19, v[1:2], off
	v_add_u32_e32 v2, 10, v15
	v_mul_lo_u32 v2, v2, s20
	s_waitcnt vmcnt(1)
	v_perm_b32 v1, v3, v18, s3
	v_add_u32_e32 v3, 10, v14
	v_mul_lo_u32 v8, v3, s33
	v_lshlrev_b64 v[3:4], 1, v[8:9]
	v_add_co_u32_e32 v16, vcc, s40, v3
	v_mov_b32_e32 v3, v9
	v_lshlrev_b64 v[2:3], 1, v[2:3]
	v_addc_co_u32_e32 v17, vcc, v13, v4, vcc
	v_add_co_u32_e32 v2, vcc, s40, v2
	v_addc_co_u32_e32 v3, vcc, v13, v3, vcc
	global_load_ushort v4, v[16:17], off
	global_load_ushort v18, v[2:3], off
	v_add_u32_e32 v3, 12, v15
	v_mul_lo_u32 v3, v3, s20
	s_waitcnt vmcnt(1)
	v_perm_b32 v2, v4, v19, s3
	v_add_u32_e32 v4, 12, v14
	v_mul_lo_u32 v8, v4, s33
	v_mov_b32_e32 v4, v9
	v_lshlrev_b64 v[3:4], 1, v[3:4]
	v_mov_b32_e32 v19, v9
	v_lshlrev_b64 v[16:17], 1, v[8:9]
	v_add_co_u32_e32 v16, vcc, s40, v16
	v_addc_co_u32_e32 v17, vcc, v13, v17, vcc
	v_add_co_u32_e32 v3, vcc, s40, v3
	v_addc_co_u32_e32 v4, vcc, v13, v4, vcc
	global_load_ushort v8, v[16:17], off
	s_nop 0
	global_load_ushort v4, v[3:4], off
	v_add_u32_e32 v16, 14, v15
	v_add_u32_e32 v15, 16, v15
	s_waitcnt vmcnt(1)
	v_perm_b32 v3, v8, v18, s3
	v_add_u32_e32 v8, 14, v14
	v_mul_lo_u32 v8, v8, s33
	v_mul_lo_u32 v18, v16, s20
	v_add_u32_e32 v14, 16, v14
	v_lshlrev_b64 v[16:17], 1, v[8:9]
	v_lshlrev_b64 v[18:19], 1, v[18:19]
	v_add_co_u32_e32 v16, vcc, s40, v16
	v_addc_co_u32_e32 v17, vcc, v13, v17, vcc
	v_add_co_u32_e32 v18, vcc, s40, v18
	v_addc_co_u32_e32 v19, vcc, v13, v19, vcc
	global_load_ushort v8, v[16:17], off
	s_nop 0
	global_load_ushort v16, v[18:19], off
	v_cmp_eq_u32_e32 vcc, 0, v45
	s_or_b64 s[84:85], vcc, s[84:85]
	s_waitcnt vmcnt(1)
	v_perm_b32 v4, v8, v4, s3
	s_waitcnt vmcnt(0)
	v_perm_b32 v17, v16, v8, s3
	ds_write_b128 v46, v[1:4] offset:16
	v_add_u32_e32 v46, 32, v46
	v_mov_b32_e32 v1, s2
	s_andn2_b64 exec, exec, s[84:85]
	s_cbranch_execnz .LBB65_41
; %bb.42:                               ;   in Loop: Header=BB65_15 Depth=1
	s_or_b64 exec, exec, s[84:85]
.LBB65_43:                              ;   in Loop: Header=BB65_15 Depth=1
	s_or_b64 exec, exec, s[44:45]
	s_mov_b64 s[2:3], exec
	v_readlane_b32 s8, v49, 30
	v_readlane_b32 s9, v49, 31
	s_and_b64 s[8:9], s[2:3], s[8:9]
	s_mov_b64 exec, s[8:9]
	s_cbranch_execz .LBB65_47
; %bb.44:                               ;   in Loop: Header=BB65_15 Depth=1
	v_lshl_add_u32 v1, v1, 1, v25
	s_mov_b64 s[8:9], 0
	v_mov_b32_e32 v2, v31
	s_mov_b32 s14, 0x5040100
.LBB65_45:                              ;   Parent Loop BB65_15 Depth=1
                                        ; =>  This Inner Loop Header: Depth=2
	v_mul_lo_u32 v8, v14, s33
	v_mul_lo_u32 v3, v15, s20
	v_mov_b32_e32 v4, v9
	v_mov_b32_e32 v13, s42
	v_lshlrev_b64 v[18:19], 1, v[8:9]
	v_lshlrev_b64 v[3:4], 1, v[3:4]
	v_add_co_u32_e32 v18, vcc, s40, v18
	v_addc_co_u32_e32 v19, vcc, v13, v19, vcc
	v_add_co_u32_e32 v3, vcc, s40, v3
	v_addc_co_u32_e32 v4, vcc, v13, v4, vcc
	global_load_ushort v8, v[18:19], off
	global_load_ushort v16, v[3:4], off
	v_add_u32_e32 v2, -4, v2
	v_cmp_eq_u32_e32 vcc, 0, v2
	v_add_u32_e32 v15, 2, v15
	v_add_u32_e32 v14, 2, v14
	s_or_b64 s[8:9], vcc, s[8:9]
	s_waitcnt vmcnt(1)
	v_alignbit_b32 v4, v8, v17, 16
	s_waitcnt vmcnt(0)
	v_perm_b32 v3, v16, v8, s14
	ds_write_b32 v1, v4
	v_add_u32_e32 v1, 4, v1
	v_mov_b32_e32 v17, v3
	s_andn2_b64 exec, exec, s[8:9]
	s_cbranch_execnz .LBB65_45
; %bb.46:                               ;   in Loop: Header=BB65_15 Depth=1
	s_or_b64 exec, exec, s[8:9]
.LBB65_47:                              ;   in Loop: Header=BB65_15 Depth=1
	s_or_b64 exec, exec, s[2:3]
	v_readlane_b32 s2, v49, 45
	v_add_u32_e32 v12, v12, v28
	v_readlane_b32 s3, v49, 46
	v_add_u32_e32 v1, -1, v12
	s_orn2_b64 s[2:3], s[2:3], exec
	v_mov_b32_e32 v2, v38
.LBB65_48:                              ;   in Loop: Header=BB65_15 Depth=1
	s_or_b64 exec, exec, s[6:7]
	v_mov_b32_e32 v3, s13
	s_and_b64 s[2:3], s[2:3], exec
	s_waitcnt vmcnt(0)
	v_mov_b32_e32 v4, v16
	s_andn2_saveexec_b64 s[6:7], s[34:35]
	s_cbranch_execz .LBB65_34
.LBB65_49:                              ;   in Loop: Header=BB65_15 Depth=1
	v_mov_b32_e32 v3, s13
	s_or_b64 s[2:3], s[2:3], exec
	s_waitcnt vmcnt(0)
	v_mov_b32_e32 v4, v16
	v_mov_b32_e32 v2, v0
	s_or_b64 exec, exec, s[6:7]
	s_and_saveexec_b64 s[6:7], s[2:3]
	s_cbranch_execz .LBB65_53
.LBB65_50:                              ;   in Loop: Header=BB65_15 Depth=1
	v_mul_lo_u32 v8, s33, v12
	s_sub_i32 s8, 0, s12
	s_mov_b64 s[2:3], 0
.LBB65_51:                              ;   Parent Loop BB65_15 Depth=1
                                        ; =>  This Inner Loop Header: Depth=2
	v_lshlrev_b64 v[13:14], 1, v[8:9]
	v_mov_b32_e32 v1, s42
	v_add_co_u32_e32 v13, vcc, s40, v13
	v_addc_co_u32_e32 v14, vcc, v1, v14, vcc
	global_load_ushort v16, v[13:14], off
	v_mov_b32_e32 v1, v12
	v_add_u32_e32 v12, s12, v1
	v_lshlrev_b32_e32 v2, 1, v2
	v_cmp_le_u32_e32 vcc, s36, v12
	v_add_u32_e32 v8, v8, v3
	ds_write_b16 v2, v4
	v_mov_b32_e32 v2, v1
	s_or_b64 s[2:3], vcc, s[2:3]
	s_waitcnt vmcnt(0)
	v_mov_b32_e32 v4, v16
	s_andn2_b64 exec, exec, s[2:3]
	s_cbranch_execnz .LBB65_51
; %bb.52:                               ;   in Loop: Header=BB65_15 Depth=1
	s_or_b64 exec, exec, s[2:3]
	v_add_u32_e32 v1, s8, v12
.LBB65_53:                              ;   in Loop: Header=BB65_15 Depth=1
	s_or_b64 exec, exec, s[6:7]
.LBB65_54:                              ;   in Loop: Header=BB65_15 Depth=1
	s_or_b64 exec, exec, s[30:31]
	v_lshlrev_b32_e32 v1, 1, v1
	s_waitcnt vmcnt(0)
	ds_write_b16 v1, v16
.LBB65_55:                              ;   in Loop: Header=BB65_15 Depth=1
	s_or_b64 exec, exec, s[26:27]
	s_waitcnt lgkmcnt(0)
	s_barrier
	s_mov_b64 s[2:3], exec
	v_readlane_b32 s6, v49, 7
	v_readlane_b32 s7, v49, 8
	s_and_b64 s[6:7], s[2:3], s[6:7]
	s_mov_b64 exec, s[6:7]
; %bb.56:                               ;   in Loop: Header=BB65_15 Depth=1
	v_mov_b32_e32 v1, s36
	ds_write_b32 v9, v1 offset:4096
; %bb.57:                               ;   in Loop: Header=BB65_15 Depth=1
	s_or_b64 exec, exec, s[2:3]
	s_mov_b64 s[6:7], -1
	s_waitcnt lgkmcnt(0)
	s_barrier
.LBB65_58:                              ;   in Loop: Header=BB65_15 Depth=1
	s_mov_b32 s14, 0
	s_and_b64 vcc, exec, s[6:7]
	s_cbranch_vccz .LBB65_60
; %bb.59:                               ;   in Loop: Header=BB65_15 Depth=1
	ds_read_b32 v1, v9 offset:4096
	s_waitcnt lgkmcnt(0)
	v_readfirstlane_b32 s14, v1
.LBB65_60:                              ;   in Loop: Header=BB65_15 Depth=1
	s_cmp_lt_i32 s14, 1
	s_mov_b64 s[2:3], -1
                                        ; implicit-def: $vgpr1
	s_cbranch_scc1 .LBB65_70
; %bb.61:                               ;   in Loop: Header=BB65_15 Depth=1
	s_and_b64 vcc, exec, s[2:3]
	s_cbranch_vccnz .LBB65_81
.LBB65_62:                              ;   in Loop: Header=BB65_15 Depth=1
	s_lshl_b32 s6, s49, 6
	s_and_saveexec_b64 s[2:3], s[0:1]
.LBB65_63:                              ;   in Loop: Header=BB65_15 Depth=1
	v_lshl_add_u32 v8, s6, 2, v27
	ds_write_b128 v8, v[1:4]
.LBB65_64:                              ;   in Loop: Header=BB65_15 Depth=1
	s_or_b64 exec, exec, s[2:3]
	s_waitcnt lgkmcnt(0)
	s_barrier
	s_mov_b64 s[2:3], exec
	v_readlane_b32 s8, v49, 13
	v_readlane_b32 s9, v49, 14
	s_and_b64 s[8:9], s[2:3], s[8:9]
	s_mov_b64 exec, s[8:9]
	s_cbranch_execz .LBB65_95
; %bb.65:                               ;   in Loop: Header=BB65_15 Depth=1
	v_readlane_b32 s8, v49, 19
	v_readlane_b32 s9, v49, 20
	s_andn2_b64 vcc, exec, s[8:9]
	v_mov_b32_e32 v1, 0
	s_cbranch_vccnz .LBB65_94
; %bb.66:                               ;   in Loop: Header=BB65_15 Depth=1
	v_readlane_b32 s8, v49, 32
	v_readlane_b32 s9, v49, 33
	s_andn2_b64 vcc, exec, s[8:9]
	s_cbranch_vccnz .LBB65_90
; %bb.67:                               ;   in Loop: Header=BB65_15 Depth=1
	v_lshl_add_u32 v2, s49, 8, v36
	s_mov_b32 s7, 0
	v_mov_b32_e32 v1, 0
.LBB65_68:                              ;   Parent Loop BB65_15 Depth=1
                                        ; =>  This Inner Loop Header: Depth=2
	ds_read2_b32 v[3:4], v2 offset1:4
	ds_read2_b32 v[12:13], v2 offset0:8 offset1:12
	ds_read2_b32 v[14:15], v2 offset0:16 offset1:20
	;; [unrolled: 1-line block ×3, first 2 shown]
	s_add_i32 s7, s7, 8
	s_waitcnt lgkmcnt(3)
	v_add3_u32 v1, v3, v1, v4
	s_waitcnt lgkmcnt(2)
	v_add3_u32 v1, v12, v1, v13
	;; [unrolled: 2-line block ×3, first 2 shown]
	v_add_u32_e32 v2, 0x80, v2
	s_cmp_eq_u32 s21, s7
	s_waitcnt lgkmcnt(0)
	v_add3_u32 v1, v16, v1, v17
	s_cbranch_scc0 .LBB65_68
; %bb.69:                               ;   in Loop: Header=BB65_15 Depth=1
	s_mov_b32 s7, s21
	s_branch .LBB65_91
.LBB65_70:                              ;   in Loop: Header=BB65_15 Depth=1
	v_mov_b32_e32 v1, 0
	v_mov_b32_e32 v2, 0
	;; [unrolled: 1-line block ×4, first 2 shown]
	s_mov_b64 s[84:85], exec
	v_readlane_b32 s2, v49, 38
	v_readlane_b32 s3, v49, 39
	s_and_b64 s[2:3], s[84:85], s[2:3]
	s_mov_b64 exec, s[2:3]
	s_cbranch_execz .LBB65_74
; %bb.71:                               ;   in Loop: Header=BB65_15 Depth=1
	s_mov_b32 s2, 0
	s_mov_b64 s[86:87], 0
	s_mov_b32 s3, 0
	s_mov_b32 s8, 0
	;; [unrolled: 1-line block ×4, first 2 shown]
	v_mov_b32_e32 v12, v23
.LBB65_72:                              ;   Parent Loop BB65_15 Depth=1
                                        ; =>  This Inner Loop Header: Depth=2
	v_add_u32_e32 v8, s2, v39
	v_lshlrev_b64 v[1:2], 1, v[8:9]
	v_mov_b32_e32 v3, s42
	v_add_co_u32_e32 v1, vcc, s40, v1
	v_addc_co_u32_e32 v2, vcc, v3, v2, vcc
	v_add_u32_e32 v8, s2, v32
	global_load_sshort v4, v[1:2], off
	v_lshlrev_b64 v[1:2], 1, v[8:9]
	v_add_u32_e32 v8, s2, v33
	v_add_co_u32_e32 v1, vcc, s40, v1
	v_addc_co_u32_e32 v2, vcc, v3, v2, vcc
	global_load_sshort v13, v[1:2], off
	v_lshlrev_b64 v[1:2], 1, v[8:9]
	v_add_u32_e32 v8, s2, v34
	v_add_co_u32_e32 v1, vcc, s40, v1
	v_addc_co_u32_e32 v2, vcc, v3, v2, vcc
	;; [unrolled: 5-line block ×3, first 2 shown]
	global_load_sshort v1, v[1:2], off
	s_add_i32 s2, s2, s10
	s_waitcnt vmcnt(3)
	v_add_u32_e32 v2, 0x8000, v4
	v_and_b32_e32 v8, v2, v42
	v_bfe_u32 v2, v2, s38, 2
	v_cmp_eq_u32_e32 vcc, v8, v37
	v_cmp_eq_u32_e64 s[34:35], 0, v2
	s_and_b64 s[16:17], vcc, s[34:35]
	s_waitcnt vmcnt(2)
	v_add_u32_e32 v3, 0x8000, v13
	v_and_b32_e32 v8, v3, v42
	v_bfe_u32 v3, v3, s38, 2
	v_cmp_eq_u32_e64 s[6:7], v8, v37
	v_cmp_eq_u32_e64 s[34:35], 0, v3
	s_and_b64 s[22:23], s[6:7], s[34:35]
	s_waitcnt vmcnt(1)
	v_add_u32_e32 v4, 0x8000, v14
	v_and_b32_e32 v8, v4, v42
	v_bfe_u32 v4, v4, s38, 2
	v_cmp_eq_u32_e64 s[26:27], v8, v37
	v_cmp_eq_u32_e64 s[34:35], 0, v4
	s_and_b64 s[24:25], s[26:27], s[34:35]
	s_waitcnt vmcnt(0)
	v_add_u32_e32 v1, 0x8000, v1
	v_and_b32_e32 v8, v1, v42
	v_bfe_u32 v1, v1, s38, 2
	v_cmp_eq_u32_e64 s[30:31], v8, v37
	v_cmp_eq_u32_e64 s[34:35], 0, v1
	v_cndmask_b32_e64 v8, 0, 1, s[16:17]
	s_and_b64 s[28:29], s[30:31], s[34:35]
	v_cmp_ne_u32_e64 s[34:35], 0, v8
	v_cndmask_b32_e64 v8, 0, 1, s[22:23]
	s_bcnt1_i32_b64 s13, s[34:35]
	v_cmp_ne_u32_e64 s[34:35], 0, v8
	v_cndmask_b32_e64 v8, 0, 1, s[24:25]
	s_bcnt1_i32_b64 s15, s[34:35]
	v_cmp_ne_u32_e64 s[34:35], 0, v8
	v_cndmask_b32_e64 v8, 0, 1, s[28:29]
	s_add_i32 s12, s12, s13
	s_bcnt1_i32_b64 s16, s[34:35]
	v_cmp_ne_u32_e64 s[34:35], 0, v8
	s_add_i32 s12, s12, s15
	s_bcnt1_i32_b64 s17, s[34:35]
	s_add_i32 s12, s12, s16
	v_cmp_eq_u32_e64 s[34:35], 1, v2
	s_add_i32 s12, s12, s17
	s_and_b64 s[16:17], vcc, s[34:35]
	v_cmp_eq_u32_e64 s[34:35], 1, v3
	s_and_b64 s[22:23], s[6:7], s[34:35]
	v_cmp_eq_u32_e64 s[34:35], 1, v4
	s_and_b64 s[24:25], s[26:27], s[34:35]
	v_cmp_eq_u32_e64 s[34:35], 1, v1
	v_cndmask_b32_e64 v8, 0, 1, s[16:17]
	s_and_b64 s[28:29], s[30:31], s[34:35]
	v_cmp_ne_u32_e64 s[34:35], 0, v8
	v_cndmask_b32_e64 v8, 0, 1, s[22:23]
	s_bcnt1_i32_b64 s13, s[34:35]
	v_cmp_ne_u32_e64 s[34:35], 0, v8
	v_cndmask_b32_e64 v8, 0, 1, s[24:25]
	s_bcnt1_i32_b64 s15, s[34:35]
	v_cmp_ne_u32_e64 s[34:35], 0, v8
	v_cndmask_b32_e64 v8, 0, 1, s[28:29]
	s_add_i32 s9, s9, s13
	s_bcnt1_i32_b64 s16, s[34:35]
	v_cmp_ne_u32_e64 s[34:35], 0, v8
	s_add_i32 s9, s9, s15
	s_bcnt1_i32_b64 s17, s[34:35]
	s_add_i32 s9, s9, s16
	v_cmp_eq_u32_e64 s[34:35], 2, v2
	s_add_i32 s9, s9, s17
	s_and_b64 s[16:17], vcc, s[34:35]
	v_cmp_eq_u32_e64 s[34:35], 2, v3
	s_and_b64 s[22:23], s[6:7], s[34:35]
	v_cmp_eq_u32_e64 s[34:35], 2, v4
	s_and_b64 s[24:25], s[26:27], s[34:35]
	v_cmp_eq_u32_e64 s[34:35], 2, v1
	v_cndmask_b32_e64 v8, 0, 1, s[16:17]
	s_and_b64 s[28:29], s[30:31], s[34:35]
	v_cmp_ne_u32_e64 s[34:35], 0, v8
	v_cndmask_b32_e64 v8, 0, 1, s[22:23]
	s_bcnt1_i32_b64 s13, s[34:35]
	v_cmp_ne_u32_e64 s[34:35], 0, v8
	v_cndmask_b32_e64 v8, 0, 1, s[24:25]
	s_bcnt1_i32_b64 s15, s[34:35]
	v_cmp_ne_u32_e64 s[34:35], 0, v8
	v_cndmask_b32_e64 v8, 0, 1, s[28:29]
	s_add_i32 s8, s8, s13
	s_bcnt1_i32_b64 s16, s[34:35]
	v_cmp_ne_u32_e64 s[34:35], 0, v8
	s_add_i32 s8, s8, s15
	s_bcnt1_i32_b64 s17, s[34:35]
	s_add_i32 s8, s8, s16
	v_cmp_eq_u32_e64 s[34:35], 3, v2
	s_add_i32 s8, s8, s17
	s_and_b64 s[16:17], vcc, s[34:35]
	v_cmp_eq_u32_e32 vcc, 3, v3
	s_and_b64 s[6:7], s[6:7], vcc
	v_cmp_eq_u32_e32 vcc, 3, v4
	s_and_b64 s[22:23], s[26:27], vcc
	v_cmp_eq_u32_e32 vcc, 3, v1
	v_cndmask_b32_e64 v1, 0, 1, s[16:17]
	s_and_b64 s[24:25], s[30:31], vcc
	v_cmp_ne_u32_e32 vcc, 0, v1
	v_cndmask_b32_e64 v1, 0, 1, s[6:7]
	s_bcnt1_i32_b64 s13, vcc
	v_cmp_ne_u32_e32 vcc, 0, v1
	v_cndmask_b32_e64 v1, 0, 1, s[22:23]
	s_bcnt1_i32_b64 s6, vcc
	v_cmp_ne_u32_e32 vcc, 0, v1
	v_cndmask_b32_e64 v1, 0, 1, s[24:25]
	s_add_i32 s3, s3, s13
	s_bcnt1_i32_b64 s7, vcc
	v_cmp_ne_u32_e32 vcc, 0, v1
	s_add_i32 s3, s3, s6
	s_bcnt1_i32_b64 s15, vcc
	s_add_i32 s3, s3, s7
	s_add_i32 s3, s3, s15
	v_cmp_le_u32_e32 vcc, s60, v12
	s_or_b64 s[86:87], vcc, s[86:87]
	v_mov_b32_e32 v1, s12
	v_mov_b32_e32 v2, s9
	v_mov_b32_e32 v3, s8
	v_mov_b32_e32 v4, s3
	s_andn2_b64 exec, exec, s[86:87]
	s_cbranch_execnz .LBB65_72
; %bb.73:                               ;   in Loop: Header=BB65_15 Depth=1
	s_or_b64 exec, exec, s[86:87]
.LBB65_74:                              ;   in Loop: Header=BB65_15 Depth=1
	s_or_b64 exec, exec, s[84:85]
	s_mov_b64 s[2:3], exec
	v_readlane_b32 s6, v49, 40
	v_readlane_b32 s7, v49, 41
	s_and_b64 s[6:7], s[2:3], s[6:7]
	s_mov_b64 exec, s[6:7]
	s_cbranch_execz .LBB65_80
; %bb.75:                               ;   in Loop: Header=BB65_15 Depth=1
	global_load_ushort v13, v[10:11], off
	s_mov_b64 s[12:13], 0
	v_mov_b32_e32 v8, v35
	v_mov_b32_e32 v12, v30
	s_branch .LBB65_77
.LBB65_76:                              ;   in Loop: Header=BB65_77 Depth=2
	s_or_b64 exec, exec, s[8:9]
	s_waitcnt vmcnt(0)
	v_add_u32_sdwa v13, sext(v13), s5 dst_sel:DWORD dst_unused:UNUSED_PAD src0_sel:WORD_0 src1_sel:DWORD
	s_and_b64 s[6:7], exec, vcc
	v_and_b32_e32 v15, v13, v42
	v_bfe_u32 v13, v13, s38, 2
	s_or_b64 s[12:13], s[6:7], s[12:13]
	v_cmp_eq_u32_e32 vcc, v15, v37
	v_cmp_eq_u32_e64 s[6:7], 0, v13
	s_and_b64 s[6:7], vcc, s[6:7]
	v_cndmask_b32_e64 v15, 0, 1, s[6:7]
	v_cmp_ne_u32_e64 s[6:7], 0, v15
	s_bcnt1_i32_b64 s6, s[6:7]
	v_add_u32_e32 v1, s6, v1
	v_cmp_eq_u32_e64 s[6:7], 1, v13
	s_and_b64 s[6:7], vcc, s[6:7]
	v_cndmask_b32_e64 v15, 0, 1, s[6:7]
	v_cmp_ne_u32_e64 s[6:7], 0, v15
	s_bcnt1_i32_b64 s6, s[6:7]
	v_add_u32_e32 v2, s6, v2
	;; [unrolled: 6-line block ×3, first 2 shown]
	v_cmp_eq_u32_e64 s[6:7], 3, v13
	s_and_b64 s[6:7], vcc, s[6:7]
	v_cndmask_b32_e64 v13, 0, 1, s[6:7]
	v_cmp_ne_u32_e32 vcc, 0, v13
	s_bcnt1_i32_b64 s6, vcc
	v_add_u32_e32 v4, s6, v4
	v_add_u32_e32 v8, s54, v8
	v_mov_b32_e32 v13, v14
	s_andn2_b64 exec, exec, s[12:13]
	s_cbranch_execz .LBB65_79
.LBB65_77:                              ;   Parent Loop BB65_15 Depth=1
                                        ; =>  This Inner Loop Header: Depth=2
	v_add_u32_e32 v12, s48, v12
	v_cmp_gt_u32_e64 s[6:7], s36, v12
	v_cmp_le_u32_e32 vcc, s36, v12
	v_mov_b32_e32 v14, 0
	s_and_saveexec_b64 s[8:9], s[6:7]
	s_cbranch_execz .LBB65_76
; %bb.78:                               ;   in Loop: Header=BB65_77 Depth=2
	v_lshlrev_b64 v[14:15], 1, v[8:9]
	v_mov_b32_e32 v16, s42
	v_add_co_u32_e64 v14, s[6:7], s40, v14
	v_addc_co_u32_e64 v15, s[6:7], v16, v15, s[6:7]
	global_load_ushort v14, v[14:15], off
	s_branch .LBB65_76
.LBB65_79:                              ;   in Loop: Header=BB65_15 Depth=1
	s_or_b64 exec, exec, s[12:13]
.LBB65_80:                              ;   in Loop: Header=BB65_15 Depth=1
	s_or_b64 exec, exec, s[2:3]
	s_branch .LBB65_62
.LBB65_81:                              ;   in Loop: Header=BB65_15 Depth=1
	v_readlane_b32 s2, v49, 37
	s_mul_hi_u32 s2, s14, s2
	s_mul_i32 s2, s2, s19
	s_sub_i32 s2, s14, s2
	s_sub_i32 s3, s2, s19
	s_cmp_ge_u32 s2, s19
	s_cselect_b32 s2, s3, s2
	s_sub_i32 s3, s2, s19
	s_cmp_ge_u32 s2, s19
	s_cselect_b32 s2, s3, s2
	s_sub_i32 s2, s14, s2
	v_cmp_gt_u32_e32 vcc, s2, v23
	v_mov_b32_e32 v1, 0
	v_mov_b32_e32 v2, 0
	;; [unrolled: 1-line block ×4, first 2 shown]
	s_and_saveexec_b64 s[84:85], vcc
	s_cbranch_execz .LBB65_85
; %bb.82:                               ;   in Loop: Header=BB65_15 Depth=1
	s_mov_b32 s3, 0
	s_mov_b64 s[86:87], 0
	v_mov_b32_e32 v8, v40
	s_mov_b32 s8, 0
	s_mov_b32 s9, 0
	;; [unrolled: 1-line block ×3, first 2 shown]
	v_mov_b32_e32 v12, v23
.LBB65_83:                              ;   Parent Loop BB65_15 Depth=1
                                        ; =>  This Inner Loop Header: Depth=2
	ds_read_b64 v[1:2], v8
	v_add_u32_e32 v12, s19, v12
	v_add_u32_e32 v8, s11, v8
	s_waitcnt lgkmcnt(0)
	v_add_u32_sdwa v3, sext(v1), s5 dst_sel:DWORD dst_unused:UNUSED_PAD src0_sel:WORD_0 src1_sel:DWORD
	v_add_u32_sdwa v1, sext(v1), s5 dst_sel:DWORD dst_unused:UNUSED_PAD src0_sel:WORD_1 src1_sel:DWORD
	v_and_b32_e32 v13, v3, v42
	v_bfe_u32 v3, v3, s38, 2
	v_add_u32_sdwa v4, sext(v2), s5 dst_sel:DWORD dst_unused:UNUSED_PAD src0_sel:WORD_0 src1_sel:DWORD
	v_cmp_eq_u32_e32 vcc, v13, v37
	v_and_b32_e32 v13, v1, v42
	v_bfe_u32 v1, v1, s38, 2
	v_cmp_eq_u32_e64 s[34:35], 0, v3
	v_add_u32_sdwa v2, sext(v2), s5 dst_sel:DWORD dst_unused:UNUSED_PAD src0_sel:WORD_1 src1_sel:DWORD
	v_cmp_eq_u32_e64 s[6:7], v13, v37
	v_and_b32_e32 v13, v4, v42
	v_bfe_u32 v4, v4, s38, 2
	s_and_b64 s[16:17], vcc, s[34:35]
	v_cmp_eq_u32_e64 s[34:35], 0, v1
	v_cmp_eq_u32_e64 s[26:27], v13, v37
	v_and_b32_e32 v13, v2, v42
	v_bfe_u32 v2, v2, s38, 2
	s_and_b64 s[22:23], s[6:7], s[34:35]
	v_cmp_eq_u32_e64 s[34:35], 0, v4
	v_cmp_eq_u32_e64 s[30:31], v13, v37
	s_and_b64 s[24:25], s[26:27], s[34:35]
	v_cmp_eq_u32_e64 s[34:35], 0, v2
	v_cndmask_b32_e64 v13, 0, 1, s[16:17]
	s_and_b64 s[28:29], s[30:31], s[34:35]
	v_cmp_ne_u32_e64 s[34:35], 0, v13
	v_cndmask_b32_e64 v13, 0, 1, s[22:23]
	s_bcnt1_i32_b64 s13, s[34:35]
	v_cmp_ne_u32_e64 s[34:35], 0, v13
	v_cndmask_b32_e64 v13, 0, 1, s[24:25]
	s_bcnt1_i32_b64 s15, s[34:35]
	v_cmp_ne_u32_e64 s[34:35], 0, v13
	v_cndmask_b32_e64 v13, 0, 1, s[28:29]
	s_add_i32 s12, s12, s13
	s_bcnt1_i32_b64 s16, s[34:35]
	v_cmp_ne_u32_e64 s[34:35], 0, v13
	s_add_i32 s12, s12, s15
	s_bcnt1_i32_b64 s17, s[34:35]
	s_add_i32 s12, s12, s16
	v_cmp_eq_u32_e64 s[34:35], 1, v3
	s_add_i32 s12, s12, s17
	s_and_b64 s[16:17], vcc, s[34:35]
	v_cmp_eq_u32_e64 s[34:35], 1, v1
	s_and_b64 s[22:23], s[6:7], s[34:35]
	v_cmp_eq_u32_e64 s[34:35], 1, v4
	s_and_b64 s[24:25], s[26:27], s[34:35]
	v_cmp_eq_u32_e64 s[34:35], 1, v2
	v_cndmask_b32_e64 v13, 0, 1, s[16:17]
	s_and_b64 s[28:29], s[30:31], s[34:35]
	v_cmp_ne_u32_e64 s[34:35], 0, v13
	v_cndmask_b32_e64 v13, 0, 1, s[22:23]
	s_bcnt1_i32_b64 s13, s[34:35]
	v_cmp_ne_u32_e64 s[34:35], 0, v13
	v_cndmask_b32_e64 v13, 0, 1, s[24:25]
	s_bcnt1_i32_b64 s15, s[34:35]
	v_cmp_ne_u32_e64 s[34:35], 0, v13
	v_cndmask_b32_e64 v13, 0, 1, s[28:29]
	s_add_i32 s9, s9, s13
	s_bcnt1_i32_b64 s16, s[34:35]
	v_cmp_ne_u32_e64 s[34:35], 0, v13
	s_add_i32 s9, s9, s15
	s_bcnt1_i32_b64 s17, s[34:35]
	s_add_i32 s9, s9, s16
	v_cmp_eq_u32_e64 s[34:35], 2, v3
	s_add_i32 s9, s9, s17
	s_and_b64 s[16:17], vcc, s[34:35]
	v_cmp_eq_u32_e64 s[34:35], 2, v1
	s_and_b64 s[22:23], s[6:7], s[34:35]
	v_cmp_eq_u32_e64 s[34:35], 2, v4
	s_and_b64 s[24:25], s[26:27], s[34:35]
	v_cmp_eq_u32_e64 s[34:35], 2, v2
	v_cndmask_b32_e64 v13, 0, 1, s[16:17]
	s_and_b64 s[28:29], s[30:31], s[34:35]
	v_cmp_ne_u32_e64 s[34:35], 0, v13
	v_cndmask_b32_e64 v13, 0, 1, s[22:23]
	s_bcnt1_i32_b64 s13, s[34:35]
	v_cmp_ne_u32_e64 s[34:35], 0, v13
	v_cndmask_b32_e64 v13, 0, 1, s[24:25]
	s_bcnt1_i32_b64 s15, s[34:35]
	v_cmp_ne_u32_e64 s[34:35], 0, v13
	v_cndmask_b32_e64 v13, 0, 1, s[28:29]
	s_add_i32 s8, s8, s13
	s_bcnt1_i32_b64 s16, s[34:35]
	v_cmp_ne_u32_e64 s[34:35], 0, v13
	s_add_i32 s8, s8, s15
	s_bcnt1_i32_b64 s17, s[34:35]
	s_add_i32 s8, s8, s16
	v_cmp_eq_u32_e64 s[34:35], 3, v3
	s_add_i32 s8, s8, s17
	s_and_b64 s[16:17], vcc, s[34:35]
	v_cmp_eq_u32_e32 vcc, 3, v1
	s_and_b64 s[6:7], s[6:7], vcc
	v_cmp_eq_u32_e32 vcc, 3, v4
	s_and_b64 s[22:23], s[26:27], vcc
	v_cmp_eq_u32_e32 vcc, 3, v2
	v_cndmask_b32_e64 v1, 0, 1, s[16:17]
	s_and_b64 s[24:25], s[30:31], vcc
	v_cmp_ne_u32_e32 vcc, 0, v1
	v_cndmask_b32_e64 v1, 0, 1, s[6:7]
	s_bcnt1_i32_b64 s13, vcc
	v_cmp_ne_u32_e32 vcc, 0, v1
	v_cndmask_b32_e64 v1, 0, 1, s[22:23]
	s_bcnt1_i32_b64 s6, vcc
	v_cmp_ne_u32_e32 vcc, 0, v1
	v_cndmask_b32_e64 v1, 0, 1, s[24:25]
	s_add_i32 s3, s3, s13
	s_bcnt1_i32_b64 s7, vcc
	v_cmp_ne_u32_e32 vcc, 0, v1
	s_add_i32 s3, s3, s6
	s_bcnt1_i32_b64 s15, vcc
	s_add_i32 s3, s3, s7
	s_add_i32 s3, s3, s15
	v_cmp_le_u32_e32 vcc, s2, v12
	s_or_b64 s[86:87], vcc, s[86:87]
	v_mov_b32_e32 v1, s12
	v_mov_b32_e32 v2, s9
	;; [unrolled: 1-line block ×4, first 2 shown]
	s_andn2_b64 exec, exec, s[86:87]
	s_cbranch_execnz .LBB65_83
; %bb.84:                               ;   in Loop: Header=BB65_15 Depth=1
	s_or_b64 exec, exec, s[86:87]
.LBB65_85:                              ;   in Loop: Header=BB65_15 Depth=1
	s_or_b64 exec, exec, s[84:85]
	v_add_u32_e32 v8, s2, v0
	v_cmp_gt_u32_e32 vcc, s14, v8
	s_and_saveexec_b64 s[2:3], vcc
	s_cbranch_execz .LBB65_89
; %bb.86:                               ;   in Loop: Header=BB65_15 Depth=1
	v_lshlrev_b32_e32 v12, 1, v8
	s_mov_b64 s[12:13], 0
.LBB65_87:                              ;   Parent Loop BB65_15 Depth=1
                                        ; =>  This Inner Loop Header: Depth=2
	ds_read_i16 v13, v12
	v_add_u32_e32 v8, s48, v8
	v_add_u32_e32 v12, s4, v12
	s_waitcnt lgkmcnt(0)
	v_add_u32_e32 v13, 0x8000, v13
	v_and_b32_e32 v14, v13, v42
	v_bfe_u32 v13, v13, s38, 2
	v_cmp_eq_u32_e32 vcc, v14, v37
	v_cmp_eq_u32_e64 s[6:7], 0, v13
	s_and_b64 s[6:7], vcc, s[6:7]
	v_cndmask_b32_e64 v14, 0, 1, s[6:7]
	v_cmp_ne_u32_e64 s[6:7], 0, v14
	s_bcnt1_i32_b64 s6, s[6:7]
	v_add_u32_e32 v1, s6, v1
	v_cmp_eq_u32_e64 s[6:7], 1, v13
	s_and_b64 s[6:7], vcc, s[6:7]
	v_cndmask_b32_e64 v14, 0, 1, s[6:7]
	v_cmp_ne_u32_e64 s[6:7], 0, v14
	s_bcnt1_i32_b64 s6, s[6:7]
	v_add_u32_e32 v2, s6, v2
	v_cmp_eq_u32_e64 s[6:7], 2, v13
	s_and_b64 s[6:7], vcc, s[6:7]
	v_cndmask_b32_e64 v14, 0, 1, s[6:7]
	v_cmp_ne_u32_e64 s[6:7], 0, v14
	s_bcnt1_i32_b64 s6, s[6:7]
	v_add_u32_e32 v3, s6, v3
	v_cmp_eq_u32_e64 s[6:7], 3, v13
	s_and_b64 s[6:7], vcc, s[6:7]
	v_cndmask_b32_e64 v13, 0, 1, s[6:7]
	v_cmp_ne_u32_e32 vcc, 0, v13
	s_bcnt1_i32_b64 s6, vcc
	v_cmp_le_u32_e32 vcc, s14, v8
	v_add_u32_e32 v4, s6, v4
	s_or_b64 s[12:13], vcc, s[12:13]
	s_andn2_b64 exec, exec, s[12:13]
	s_cbranch_execnz .LBB65_87
; %bb.88:                               ;   in Loop: Header=BB65_15 Depth=1
	s_or_b64 exec, exec, s[12:13]
.LBB65_89:                              ;   in Loop: Header=BB65_15 Depth=1
	s_or_b64 exec, exec, s[2:3]
	s_lshl_b32 s6, s49, 6
	s_and_saveexec_b64 s[2:3], s[0:1]
	s_cbranch_execnz .LBB65_63
	s_branch .LBB65_64
.LBB65_90:                              ;   in Loop: Header=BB65_15 Depth=1
	v_mov_b32_e32 v1, 0
	s_mov_b32 s7, 0
.LBB65_91:                              ;   in Loop: Header=BB65_15 Depth=1
	v_readlane_b32 s8, v49, 35
	v_readlane_b32 s9, v49, 36
	s_andn2_b64 vcc, exec, s[8:9]
	s_cbranch_vccnz .LBB65_94
; %bb.92:                               ;   in Loop: Header=BB65_15 Depth=1
	s_lshl_b32 s8, s49, 8
	s_lshl_b32 s7, s7, 4
	s_add_i32 s8, s8, s7
	v_add_u32_e32 v2, s8, v36
	v_readlane_b32 s7, v49, 34
.LBB65_93:                              ;   Parent Loop BB65_15 Depth=1
                                        ; =>  This Inner Loop Header: Depth=2
	ds_read_b32 v3, v2
	s_add_i32 s7, s7, -1
	v_add_u32_e32 v2, 16, v2
	s_cmp_lg_u32 s7, 0
	s_waitcnt lgkmcnt(0)
	v_add_u32_e32 v1, v3, v1
	s_cbranch_scc1 .LBB65_93
.LBB65_94:                              ;   in Loop: Header=BB65_15 Depth=1
	v_add_lshl_u32 v2, s6, v24, 2
	ds_write_b32 v2, v1 offset:3072
.LBB65_95:                              ;   in Loop: Header=BB65_15 Depth=1
	s_or_b64 exec, exec, s[2:3]
	s_lshl_b32 s2, s6, 2
	v_mov_b32_e32 v1, s2
	s_waitcnt lgkmcnt(0)
	s_barrier
	ds_read_b128 v[1:4], v1 offset:3072
	v_readlane_b32 s2, v49, 11
	s_lshl_b32 s50, 3, s38
	v_readlane_b32 s3, v49, 12
	s_not_b32 s51, s50
	s_waitcnt lgkmcnt(0)
	v_readfirstlane_b32 s39, v1
	v_readfirstlane_b32 s46, v2
	;; [unrolled: 1-line block ×4, first 2 shown]
	v_cmp_eq_u32_e64 s[26:27], 1, v44
	s_mov_b64 s[90:91], -1
	s_mov_b64 s[30:31], 0
	s_andn2_b64 vcc, exec, s[2:3]
	s_mov_b64 s[84:85], 0
	s_mov_b64 s[34:35], 0
                                        ; implicit-def: $sgpr86_sgpr87
                                        ; implicit-def: $sgpr88_sgpr89
                                        ; implicit-def: $vgpr4
                                        ; implicit-def: $vgpr1
                                        ; implicit-def: $vgpr3
                                        ; implicit-def: $vgpr2
                                        ; implicit-def: $vgpr8
	s_cbranch_vccnz .LBB65_253
; %bb.96:                               ;   in Loop: Header=BB65_15 Depth=1
	s_cmp_eq_u32 s39, 1
	s_cselect_b64 s[2:3], -1, 0
	s_and_b64 s[6:7], s[2:3], s[26:27]
	s_mov_b64 s[8:9], -1
	v_mov_b32_e32 v3, v37
	v_mov_b32_e32 v2, v42
	v_mov_b32_e32 v8, v43
                                        ; implicit-def: $sgpr88_sgpr89
                                        ; implicit-def: $sgpr86_sgpr87
	s_and_saveexec_b64 s[2:3], s[6:7]
	s_cbranch_execz .LBB65_122
; %bb.97:                               ;   in Loop: Header=BB65_15 Depth=1
	ds_read_b32 v1, v9 offset:4096
	s_waitcnt lgkmcnt(0)
	s_barrier
	v_readfirstlane_b32 s28, v1
	s_mov_b64 s[8:9], exec
	v_readlane_b32 s12, v49, 21
	v_readlane_b32 s13, v49, 22
	s_and_b64 s[12:13], s[8:9], s[12:13]
	s_mov_b64 exec, s[12:13]
; %bb.98:                               ;   in Loop: Header=BB65_15 Depth=1
	ds_write_b16 v26, v9
; %bb.99:                               ;   in Loop: Header=BB65_15 Depth=1
	s_or_b64 exec, exec, s[8:9]
	v_and_b32_e32 v3, s51, v37
	v_or_b32_e32 v2, s50, v42
	s_mov_b64 s[86:87], -1
	s_mov_b64 s[88:89], 0
	s_cmp_eq_u32 s28, 0
	s_mov_b64 s[12:13], 0
	s_mov_b64 s[14:15], -1
	s_waitcnt lgkmcnt(0)
	s_barrier
                                        ; implicit-def: $vgpr8
	s_cbranch_scc1 .LBB65_110
; %bb.100:                              ;   in Loop: Header=BB65_15 Depth=1
	v_readlane_b32 s8, v49, 23
	s_add_i32 s8, s28, s8
	v_readlane_b32 s9, v49, 42
	s_mul_hi_u32 s9, s8, s9
	s_mul_i32 s9, s9, s48
	s_sub_i32 s9, s8, s9
	s_sub_i32 s12, s9, s48
	s_cmp_ge_u32 s9, s48
	s_cselect_b32 s9, s12, s9
	s_sub_i32 s12, s9, s48
	s_cmp_ge_u32 s9, s48
	s_cselect_b32 s9, s12, s9
	s_sub_i32 s29, s8, s9
	v_cmp_gt_u32_e32 vcc, s29, v0
	s_mov_b64 s[14:15], 0
	s_mov_b64 s[12:13], 0
                                        ; implicit-def: $vgpr8
	s_and_saveexec_b64 s[16:17], vcc
	s_cbranch_execz .LBB65_109
; %bb.101:                              ;   in Loop: Header=BB65_15 Depth=1
	v_mov_b32_e32 v1, v25
	v_mov_b32_e32 v4, v0
                                        ; implicit-def: $sgpr8_sgpr9
	s_branch .LBB65_104
.LBB65_102:                             ;   in Loop: Header=BB65_104 Depth=2
	s_or_b64 exec, exec, s[22:23]
	s_waitcnt lgkmcnt(0)
	s_barrier
	ds_read_b32 v8, v9 offset:3072
	s_mov_b64 s[22:23], -1
	s_waitcnt lgkmcnt(0)
	s_barrier
	v_cmp_ne_u32_sdwa s[24:25], v8, v9 src0_sel:WORD_0 src1_sel:DWORD
	s_and_b64 vcc, exec, s[24:25]
	s_mov_b64 s[24:25], -1
	s_cbranch_vccz .LBB65_107
.LBB65_103:                             ;   in Loop: Header=BB65_104 Depth=2
	s_and_b64 s[22:23], exec, s[22:23]
	s_or_b64 s[12:13], s[22:23], s[12:13]
	s_andn2_b64 s[8:9], s[8:9], exec
	s_and_b64 s[22:23], s[24:25], exec
	s_or_b64 s[8:9], s[8:9], s[22:23]
	s_andn2_b64 exec, exec, s[12:13]
	s_cbranch_execz .LBB65_108
.LBB65_104:                             ;   Parent Loop BB65_15 Depth=1
                                        ; =>  This Inner Loop Header: Depth=2
	v_cmp_gt_u32_e32 vcc, s28, v4
	s_and_saveexec_b64 s[22:23], vcc
	s_cbranch_execz .LBB65_102
; %bb.105:                              ;   in Loop: Header=BB65_104 Depth=2
	ds_read_u16 v8, v1
	s_waitcnt lgkmcnt(0)
	v_add_u32_sdwa v12, sext(v8), s5 dst_sel:DWORD dst_unused:UNUSED_PAD src0_sel:WORD_0 src1_sel:DWORD
	v_and_b32_e32 v12, v12, v2
	v_cmp_eq_u32_e32 vcc, v12, v3
	s_and_b64 exec, exec, vcc
	s_cbranch_execz .LBB65_102
; %bb.106:                              ;   in Loop: Header=BB65_104 Depth=2
	v_perm_b32 v8, v8, 1, v41
	ds_write_b32 v9, v8 offset:3072
	s_branch .LBB65_102
.LBB65_107:                             ;   in Loop: Header=BB65_104 Depth=2
	v_add_u32_e32 v4, s48, v4
	v_cmp_le_u32_e32 vcc, s29, v4
	v_add_u32_e32 v1, s4, v1
	s_mov_b64 s[24:25], 0
	s_orn2_b64 s[22:23], vcc, exec
	s_branch .LBB65_103
.LBB65_108:                             ;   in Loop: Header=BB65_15 Depth=1
	s_or_b64 exec, exec, s[12:13]
	v_lshrrev_b32_e32 v8, 16, v8
	s_and_b64 s[12:13], s[8:9], exec
.LBB65_109:                             ;   in Loop: Header=BB65_15 Depth=1
	s_or_b64 exec, exec, s[16:17]
.LBB65_110:                             ;   in Loop: Header=BB65_15 Depth=1
	s_and_b64 vcc, exec, s[14:15]
	s_cbranch_vccz .LBB65_121
; %bb.111:                              ;   in Loop: Header=BB65_15 Depth=1
                                        ; implicit-def: $vgpr8
	s_mov_b64 s[14:15], exec
	v_readlane_b32 s8, v49, 43
	v_readlane_b32 s9, v49, 44
	s_and_b64 s[8:9], s[14:15], s[8:9]
	s_mov_b64 exec, s[8:9]
	s_cbranch_execz .LBB65_120
; %bb.112:                              ;   in Loop: Header=BB65_15 Depth=1
	s_mov_b64 s[16:17], 0
	v_mov_b32_e32 v8, v7
	v_mov_b32_e32 v1, v0
                                        ; implicit-def: $sgpr22_sgpr23
	s_branch .LBB65_115
.LBB65_113:                             ;   in Loop: Header=BB65_115 Depth=2
	s_or_b64 exec, exec, s[8:9]
	s_waitcnt lgkmcnt(0)
	s_barrier
	ds_read_b32 v4, v9 offset:3072
	s_mov_b64 s[8:9], -1
	s_waitcnt lgkmcnt(0)
	s_barrier
	v_cmp_ne_u32_sdwa s[24:25], v4, v9 src0_sel:WORD_0 src1_sel:DWORD
	s_and_b64 vcc, exec, s[24:25]
	s_mov_b64 s[24:25], -1
	s_cbranch_vccz .LBB65_118
.LBB65_114:                             ;   in Loop: Header=BB65_115 Depth=2
	s_and_b64 s[8:9], exec, s[8:9]
	s_or_b64 s[16:17], s[8:9], s[16:17]
	s_andn2_b64 s[8:9], s[22:23], exec
	s_and_b64 s[22:23], s[24:25], exec
	s_or_b64 s[22:23], s[8:9], s[22:23]
	s_andn2_b64 exec, exec, s[16:17]
	s_cbranch_execz .LBB65_119
.LBB65_115:                             ;   Parent Loop BB65_15 Depth=1
                                        ; =>  This Inner Loop Header: Depth=2
	v_cmp_gt_u32_e32 vcc, s36, v1
	s_and_saveexec_b64 s[8:9], vcc
	s_cbranch_execz .LBB65_113
; %bb.116:                              ;   in Loop: Header=BB65_115 Depth=2
	v_lshlrev_b64 v[12:13], 1, v[8:9]
	v_mov_b32_e32 v4, s42
	v_add_co_u32_e32 v12, vcc, s40, v12
	v_addc_co_u32_e32 v13, vcc, v4, v13, vcc
	global_load_ushort v4, v[12:13], off
	s_waitcnt vmcnt(0)
	v_add_u32_sdwa v12, sext(v4), s5 dst_sel:DWORD dst_unused:UNUSED_PAD src0_sel:WORD_0 src1_sel:DWORD
	v_and_b32_e32 v12, v12, v2
	v_cmp_eq_u32_e32 vcc, v12, v3
	s_and_b64 exec, exec, vcc
	s_cbranch_execz .LBB65_113
; %bb.117:                              ;   in Loop: Header=BB65_115 Depth=2
	v_perm_b32 v4, v4, 1, v41
	ds_write_b32 v9, v4 offset:3072
	s_branch .LBB65_113
.LBB65_118:                             ;   in Loop: Header=BB65_115 Depth=2
	v_add_u32_e32 v1, s48, v1
	v_cmp_le_u32_e32 vcc, s61, v1
	v_add_u32_e32 v8, s54, v8
	s_mov_b64 s[24:25], 0
	s_orn2_b64 s[8:9], vcc, exec
	s_branch .LBB65_114
.LBB65_119:                             ;   in Loop: Header=BB65_15 Depth=1
	s_or_b64 exec, exec, s[16:17]
	s_andn2_b64 s[8:9], s[12:13], exec
	s_and_b64 s[12:13], s[22:23], exec
	v_lshrrev_b32_e32 v8, 16, v4
	s_or_b64 s[12:13], s[8:9], s[12:13]
.LBB65_120:                             ;   in Loop: Header=BB65_15 Depth=1
	s_or_b64 exec, exec, s[14:15]
	s_mov_b64 s[86:87], 0
	s_mov_b64 s[88:89], -1
.LBB65_121:                             ;   in Loop: Header=BB65_15 Depth=1
	s_orn2_b64 s[8:9], s[12:13], exec
.LBB65_122:                             ;   in Loop: Header=BB65_15 Depth=1
	s_or_b64 exec, exec, s[2:3]
	s_mov_b64 s[90:91], 0
	s_mov_b64 s[84:85], 0
	s_mov_b64 s[34:35], 0
                                        ; implicit-def: $vgpr4
                                        ; implicit-def: $vgpr1
	s_and_saveexec_b64 s[92:93], s[8:9]
	s_cbranch_execz .LBB65_252
; %bb.123:                              ;   in Loop: Header=BB65_15 Depth=1
	s_xor_b64 s[8:9], s[6:7], -1
	s_mov_b64 s[6:7], 0
	v_mov_b32_e32 v4, 1
	v_mov_b32_e32 v1, 1
	s_and_saveexec_b64 s[2:3], s[8:9]
	s_cbranch_execz .LBB65_132
; %bb.124:                              ;   in Loop: Header=BB65_15 Depth=1
	v_cmp_ge_u32_e32 vcc, s39, v44
	s_and_saveexec_b64 s[6:7], vcc
	s_xor_b64 s[6:7], exec, s[6:7]
	s_cbranch_execz .LBB65_129
; %bb.125:                              ;   in Loop: Header=BB65_15 Depth=1
	ds_read_b32 v1, v9 offset:4096
	v_and_b32_e32 v3, s51, v3
	v_or_b32_e32 v2, s50, v2
	s_waitcnt lgkmcnt(0)
	v_cmp_ne_u32_e32 vcc, 0, v1
	s_cbranch_vccnz .LBB65_129
; %bb.126:                              ;   in Loop: Header=BB65_15 Depth=1
	s_mov_b64 s[8:9], exec
	v_readlane_b32 s12, v49, 7
	v_readlane_b32 s13, v49, 8
	s_and_b64 s[12:13], s[8:9], s[12:13]
	s_mov_b64 exec, s[12:13]
; %bb.127:                              ;   in Loop: Header=BB65_15 Depth=1
	v_mov_b32_e32 v1, s39
	ds_write_b32 v9, v1 offset:4100
; %bb.128:                              ;   in Loop: Header=BB65_15 Depth=1
	s_or_b64 exec, exec, s[8:9]
	s_waitcnt lgkmcnt(0)
	s_barrier
.LBB65_129:                             ;   in Loop: Header=BB65_15 Depth=1
	s_or_saveexec_b64 s[6:7], s[6:7]
	s_mov_b64 s[8:9], 0
	v_mov_b32_e32 v1, 8
	v_mov_b32_e32 v4, v44
	s_xor_b64 exec, exec, s[6:7]
; %bb.130:                              ;   in Loop: Header=BB65_15 Depth=1
	s_mov_b64 s[8:9], exec
	v_subrev_u32_e32 v4, s39, v44
	v_mov_b32_e32 v1, 0
; %bb.131:                              ;   in Loop: Header=BB65_15 Depth=1
	s_or_b64 exec, exec, s[6:7]
	s_and_b64 s[6:7], s[8:9], exec
.LBB65_132:                             ;   in Loop: Header=BB65_15 Depth=1
	s_or_b64 exec, exec, s[2:3]
	s_mov_b64 s[2:3], -1
                                        ; implicit-def: $sgpr34_sgpr35
                                        ; implicit-def: $sgpr84_sgpr85
	s_and_saveexec_b64 s[8:9], s[6:7]
	s_xor_b64 s[6:7], exec, s[8:9]
	s_cbranch_execz .LBB65_249
; %bb.133:                              ;   in Loop: Header=BB65_15 Depth=1
	s_cmp_eq_u32 s46, 1
	s_cselect_b64 s[2:3], -1, 0
	v_cmp_eq_u32_e32 vcc, 1, v4
	s_and_b64 s[12:13], s[2:3], vcc
	s_mov_b64 s[8:9], -1
                                        ; implicit-def: $sgpr84_sgpr85
                                        ; implicit-def: $sgpr34_sgpr35
	s_and_saveexec_b64 s[2:3], s[12:13]
	s_cbranch_execz .LBB65_159
; %bb.134:                              ;   in Loop: Header=BB65_15 Depth=1
	ds_read_b32 v8, v9 offset:4096
	s_waitcnt lgkmcnt(0)
	s_barrier
	v_readfirstlane_b32 s44, v8
	s_mov_b64 s[8:9], exec
	v_readlane_b32 s14, v49, 21
	v_readlane_b32 s15, v49, 22
	s_and_b64 s[14:15], s[8:9], s[14:15]
	s_mov_b64 exec, s[14:15]
; %bb.135:                              ;   in Loop: Header=BB65_15 Depth=1
	ds_write_b16 v26, v9
; %bb.136:                              ;   in Loop: Header=BB65_15 Depth=1
	s_or_b64 exec, exec, s[8:9]
	v_and_b32_e32 v3, s51, v3
	v_lshl_or_b32 v3, 1, s38, v3
	v_or_b32_e32 v2, s50, v2
	s_mov_b64 s[34:35], -1
	s_mov_b64 s[84:85], 0
	s_cmp_eq_u32 s44, 0
	s_mov_b64 s[14:15], 0
	s_mov_b64 s[16:17], -1
	s_waitcnt lgkmcnt(0)
	s_barrier
                                        ; implicit-def: $vgpr8
	s_cbranch_scc1 .LBB65_147
; %bb.137:                              ;   in Loop: Header=BB65_15 Depth=1
	v_readlane_b32 s8, v49, 23
	s_add_i32 s8, s44, s8
	v_readlane_b32 s9, v49, 42
	s_mul_hi_u32 s9, s8, s9
	s_mul_i32 s9, s9, s48
	s_sub_i32 s9, s8, s9
	s_sub_i32 s14, s9, s48
	s_cmp_ge_u32 s9, s48
	s_cselect_b32 s9, s14, s9
	s_sub_i32 s14, s9, s48
	s_cmp_ge_u32 s9, s48
	s_cselect_b32 s9, s14, s9
	s_sub_i32 s45, s8, s9
	v_cmp_gt_u32_e32 vcc, s45, v0
	s_mov_b64 s[16:17], 0
	s_mov_b64 s[14:15], 0
                                        ; implicit-def: $vgpr8
	s_and_saveexec_b64 s[24:25], vcc
	s_cbranch_execz .LBB65_146
; %bb.138:                              ;   in Loop: Header=BB65_15 Depth=1
	v_mov_b32_e32 v8, v25
	v_mov_b32_e32 v12, v0
                                        ; implicit-def: $sgpr22_sgpr23
	s_branch .LBB65_141
.LBB65_139:                             ;   in Loop: Header=BB65_141 Depth=2
	s_or_b64 exec, exec, s[8:9]
	s_waitcnt lgkmcnt(0)
	s_barrier
	ds_read_b32 v13, v9 offset:3072
	s_mov_b64 s[8:9], -1
	s_waitcnt lgkmcnt(0)
	s_barrier
	v_cmp_ne_u32_sdwa s[28:29], v13, v9 src0_sel:WORD_0 src1_sel:DWORD
	s_and_b64 vcc, exec, s[28:29]
	s_mov_b64 s[28:29], -1
	s_cbranch_vccz .LBB65_144
.LBB65_140:                             ;   in Loop: Header=BB65_141 Depth=2
	s_and_b64 s[8:9], exec, s[8:9]
	s_or_b64 s[14:15], s[8:9], s[14:15]
	s_andn2_b64 s[8:9], s[22:23], exec
	s_and_b64 s[22:23], s[28:29], exec
	s_or_b64 s[22:23], s[8:9], s[22:23]
	s_andn2_b64 exec, exec, s[14:15]
	s_cbranch_execz .LBB65_145
.LBB65_141:                             ;   Parent Loop BB65_15 Depth=1
                                        ; =>  This Inner Loop Header: Depth=2
	v_cmp_gt_u32_e32 vcc, s44, v12
	s_and_saveexec_b64 s[8:9], vcc
	s_cbranch_execz .LBB65_139
; %bb.142:                              ;   in Loop: Header=BB65_141 Depth=2
	ds_read_u16 v13, v8
	s_waitcnt lgkmcnt(0)
	v_add_u32_sdwa v14, sext(v13), s5 dst_sel:DWORD dst_unused:UNUSED_PAD src0_sel:WORD_0 src1_sel:DWORD
	v_and_b32_e32 v14, v14, v2
	v_cmp_eq_u32_e32 vcc, v14, v3
	s_and_b64 exec, exec, vcc
	s_cbranch_execz .LBB65_139
; %bb.143:                              ;   in Loop: Header=BB65_141 Depth=2
	v_perm_b32 v13, v13, 1, v41
	ds_write_b32 v9, v13 offset:3072
	s_branch .LBB65_139
.LBB65_144:                             ;   in Loop: Header=BB65_141 Depth=2
	v_add_u32_e32 v12, s48, v12
	v_cmp_le_u32_e32 vcc, s45, v12
	v_add_u32_e32 v8, s4, v8
	s_mov_b64 s[28:29], 0
	s_orn2_b64 s[8:9], vcc, exec
	s_branch .LBB65_140
.LBB65_145:                             ;   in Loop: Header=BB65_15 Depth=1
	s_or_b64 exec, exec, s[14:15]
	v_lshrrev_b32_e32 v8, 16, v13
	s_and_b64 s[14:15], s[22:23], exec
.LBB65_146:                             ;   in Loop: Header=BB65_15 Depth=1
	s_or_b64 exec, exec, s[24:25]
.LBB65_147:                             ;   in Loop: Header=BB65_15 Depth=1
	s_and_b64 vcc, exec, s[16:17]
	s_cbranch_vccz .LBB65_158
; %bb.148:                              ;   in Loop: Header=BB65_15 Depth=1
                                        ; implicit-def: $vgpr8
	s_mov_b64 s[16:17], exec
	v_readlane_b32 s8, v49, 43
	v_readlane_b32 s9, v49, 44
	s_and_b64 s[8:9], s[16:17], s[8:9]
	s_mov_b64 exec, s[8:9]
	s_cbranch_execz .LBB65_157
; %bb.149:                              ;   in Loop: Header=BB65_15 Depth=1
	s_mov_b64 s[22:23], 0
	v_mov_b32_e32 v8, v7
	v_mov_b32_e32 v12, v0
                                        ; implicit-def: $sgpr24_sgpr25
	s_branch .LBB65_152
.LBB65_150:                             ;   in Loop: Header=BB65_152 Depth=2
	s_or_b64 exec, exec, s[8:9]
	s_waitcnt lgkmcnt(0)
	s_barrier
	ds_read_b32 v13, v9 offset:3072
	s_mov_b64 s[8:9], -1
	s_waitcnt lgkmcnt(0)
	s_barrier
	v_cmp_eq_u32_sdwa s[28:29], v13, v9 src0_sel:WORD_0 src1_sel:DWORD
	s_and_b64 vcc, exec, s[28:29]
	s_mov_b64 s[28:29], -1
	s_cbranch_vccnz .LBB65_155
.LBB65_151:                             ;   in Loop: Header=BB65_152 Depth=2
	s_and_b64 s[8:9], exec, s[8:9]
	s_or_b64 s[22:23], s[8:9], s[22:23]
	s_andn2_b64 s[8:9], s[24:25], exec
	s_and_b64 s[24:25], s[28:29], exec
	s_or_b64 s[24:25], s[8:9], s[24:25]
	s_andn2_b64 exec, exec, s[22:23]
	s_cbranch_execz .LBB65_156
.LBB65_152:                             ;   Parent Loop BB65_15 Depth=1
                                        ; =>  This Inner Loop Header: Depth=2
	v_cmp_gt_u32_e32 vcc, s36, v12
	s_and_saveexec_b64 s[8:9], vcc
	s_cbranch_execz .LBB65_150
; %bb.153:                              ;   in Loop: Header=BB65_152 Depth=2
	v_lshlrev_b64 v[13:14], 1, v[8:9]
	v_mov_b32_e32 v15, s42
	v_add_co_u32_e32 v13, vcc, s40, v13
	v_addc_co_u32_e32 v14, vcc, v15, v14, vcc
	global_load_ushort v13, v[13:14], off
	s_waitcnt vmcnt(0)
	v_add_u32_sdwa v14, sext(v13), s5 dst_sel:DWORD dst_unused:UNUSED_PAD src0_sel:WORD_0 src1_sel:DWORD
	v_and_b32_e32 v14, v14, v2
	v_cmp_eq_u32_e32 vcc, v14, v3
	s_and_b64 exec, exec, vcc
	s_cbranch_execz .LBB65_150
; %bb.154:                              ;   in Loop: Header=BB65_152 Depth=2
	v_perm_b32 v13, v13, 1, v41
	ds_write_b32 v9, v13 offset:3072
	s_branch .LBB65_150
.LBB65_155:                             ;   in Loop: Header=BB65_152 Depth=2
	v_add_u32_e32 v12, s48, v12
	v_cmp_le_u32_e32 vcc, s61, v12
	v_add_u32_e32 v8, s54, v8
	s_mov_b64 s[28:29], 0
	s_orn2_b64 s[8:9], vcc, exec
	s_branch .LBB65_151
.LBB65_156:                             ;   in Loop: Header=BB65_15 Depth=1
	s_or_b64 exec, exec, s[22:23]
	s_andn2_b64 s[8:9], s[14:15], exec
	s_and_b64 s[14:15], s[24:25], exec
	v_lshrrev_b32_e32 v8, 16, v13
	s_or_b64 s[14:15], s[8:9], s[14:15]
.LBB65_157:                             ;   in Loop: Header=BB65_15 Depth=1
	s_or_b64 exec, exec, s[16:17]
	s_mov_b64 s[34:35], 0
	s_mov_b64 s[84:85], -1
.LBB65_158:                             ;   in Loop: Header=BB65_15 Depth=1
	s_orn2_b64 s[8:9], s[14:15], exec
.LBB65_159:                             ;   in Loop: Header=BB65_15 Depth=1
	s_or_b64 exec, exec, s[2:3]
	s_mov_b64 s[2:3], 0
	s_and_saveexec_b64 s[94:95], s[8:9]
	s_cbranch_execz .LBB65_248
; %bb.160:                              ;   in Loop: Header=BB65_15 Depth=1
	s_xor_b64 s[12:13], s[12:13], -1
	s_mov_b64 s[8:9], 0
	v_mov_b32_e32 v12, 1
	v_mov_b32_e32 v1, 1
	s_and_saveexec_b64 s[2:3], s[12:13]
	s_cbranch_execz .LBB65_169
; %bb.161:                              ;   in Loop: Header=BB65_15 Depth=1
	v_cmp_ge_u32_e32 vcc, s46, v4
	s_and_saveexec_b64 s[8:9], vcc
	s_xor_b64 s[8:9], exec, s[8:9]
	s_cbranch_execz .LBB65_166
; %bb.162:                              ;   in Loop: Header=BB65_15 Depth=1
	v_and_b32_e32 v1, s51, v3
	v_lshl_or_b32 v3, 1, s38, v1
	ds_read_b32 v1, v9 offset:4096
	v_or_b32_e32 v2, s50, v2
	s_waitcnt lgkmcnt(0)
	v_cmp_ne_u32_e32 vcc, 0, v1
	s_cbranch_vccnz .LBB65_166
; %bb.163:                              ;   in Loop: Header=BB65_15 Depth=1
	s_mov_b64 s[12:13], exec
	v_readlane_b32 s14, v49, 7
	v_readlane_b32 s15, v49, 8
	s_and_b64 s[14:15], s[12:13], s[14:15]
	s_mov_b64 exec, s[14:15]
; %bb.164:                              ;   in Loop: Header=BB65_15 Depth=1
	v_mov_b32_e32 v1, s46
	ds_write_b32 v9, v1 offset:4100
; %bb.165:                              ;   in Loop: Header=BB65_15 Depth=1
	s_or_b64 exec, exec, s[12:13]
	s_waitcnt lgkmcnt(0)
	s_barrier
.LBB65_166:                             ;   in Loop: Header=BB65_15 Depth=1
	s_or_saveexec_b64 s[8:9], s[8:9]
	s_mov_b64 s[12:13], 0
	v_mov_b32_e32 v1, 8
	s_xor_b64 exec, exec, s[8:9]
; %bb.167:                              ;   in Loop: Header=BB65_15 Depth=1
	s_mov_b64 s[12:13], exec
	v_subrev_u32_e32 v4, s46, v4
	v_mov_b32_e32 v1, 0
; %bb.168:                              ;   in Loop: Header=BB65_15 Depth=1
	s_or_b64 exec, exec, s[8:9]
	s_and_b64 s[8:9], s[12:13], exec
	v_mov_b32_e32 v12, v4
.LBB65_169:                             ;   in Loop: Header=BB65_15 Depth=1
	s_or_b64 exec, exec, s[2:3]
	s_mov_b64 s[2:3], -1
                                        ; implicit-def: $sgpr52_sgpr53
                                        ; implicit-def: $sgpr14_sgpr15
	s_and_saveexec_b64 s[44:45], s[8:9]
	s_cbranch_execz .LBB65_247
; %bb.170:                              ;   in Loop: Header=BB65_15 Depth=1
	s_cmp_eq_u32 s47, 1
	s_cselect_b64 s[2:3], -1, 0
	v_cmp_eq_u32_e32 vcc, 1, v12
	s_and_b64 s[12:13], s[2:3], vcc
	s_mov_b64 s[8:9], -1
                                        ; implicit-def: $sgpr14_sgpr15
                                        ; implicit-def: $sgpr52_sgpr53
	s_and_saveexec_b64 s[2:3], s[12:13]
	s_cbranch_execz .LBB65_196
; %bb.171:                              ;   in Loop: Header=BB65_15 Depth=1
	ds_read_b32 v4, v9 offset:4096
	s_waitcnt lgkmcnt(0)
	s_barrier
	v_readfirstlane_b32 s57, v4
	s_mov_b64 s[8:9], exec
	v_readlane_b32 s14, v49, 21
	v_readlane_b32 s15, v49, 22
	s_and_b64 s[14:15], s[8:9], s[14:15]
	s_mov_b64 exec, s[14:15]
; %bb.172:                              ;   in Loop: Header=BB65_15 Depth=1
	ds_write_b16 v26, v9
; %bb.173:                              ;   in Loop: Header=BB65_15 Depth=1
	s_or_b64 exec, exec, s[8:9]
	v_and_b32_e32 v3, s51, v3
	v_lshl_or_b32 v3, 2, s38, v3
	v_or_b32_e32 v2, s50, v2
	s_mov_b64 s[52:53], -1
	s_mov_b64 s[14:15], 0
	s_cmp_eq_u32 s57, 0
	s_mov_b64 s[16:17], 0
	s_mov_b64 s[24:25], -1
	s_waitcnt lgkmcnt(0)
	s_barrier
                                        ; implicit-def: $vgpr8
	s_cbranch_scc1 .LBB65_184
; %bb.174:                              ;   in Loop: Header=BB65_15 Depth=1
	v_readlane_b32 s8, v49, 23
	s_add_i32 s8, s57, s8
	v_readlane_b32 s9, v49, 42
	s_mul_hi_u32 s9, s8, s9
	s_mul_i32 s9, s9, s48
	s_sub_i32 s9, s8, s9
	s_sub_i32 s16, s9, s48
	s_cmp_ge_u32 s9, s48
	s_cselect_b32 s9, s16, s9
	s_sub_i32 s16, s9, s48
	s_cmp_ge_u32 s9, s48
	s_cselect_b32 s9, s16, s9
	s_sub_i32 s58, s8, s9
	v_cmp_gt_u32_e32 vcc, s58, v0
	s_mov_b64 s[24:25], 0
	s_mov_b64 s[16:17], 0
                                        ; implicit-def: $vgpr8
	s_and_saveexec_b64 s[28:29], vcc
	s_cbranch_execz .LBB65_183
; %bb.175:                              ;   in Loop: Header=BB65_15 Depth=1
	v_mov_b32_e32 v4, v25
	v_mov_b32_e32 v8, v0
                                        ; implicit-def: $sgpr22_sgpr23
	s_branch .LBB65_178
.LBB65_176:                             ;   in Loop: Header=BB65_178 Depth=2
	s_or_b64 exec, exec, s[8:9]
	s_waitcnt lgkmcnt(0)
	s_barrier
	ds_read_b32 v13, v9 offset:3072
	s_mov_b64 s[8:9], -1
	s_waitcnt lgkmcnt(0)
	s_barrier
	v_cmp_ne_u32_sdwa s[52:53], v13, v9 src0_sel:WORD_0 src1_sel:DWORD
	s_and_b64 vcc, exec, s[52:53]
	s_mov_b64 s[52:53], -1
	s_cbranch_vccz .LBB65_181
.LBB65_177:                             ;   in Loop: Header=BB65_178 Depth=2
	s_and_b64 s[8:9], exec, s[8:9]
	s_or_b64 s[16:17], s[8:9], s[16:17]
	s_andn2_b64 s[8:9], s[22:23], exec
	s_and_b64 s[22:23], s[52:53], exec
	s_or_b64 s[22:23], s[8:9], s[22:23]
	s_andn2_b64 exec, exec, s[16:17]
	s_cbranch_execz .LBB65_182
.LBB65_178:                             ;   Parent Loop BB65_15 Depth=1
                                        ; =>  This Inner Loop Header: Depth=2
	v_cmp_gt_u32_e32 vcc, s57, v8
	s_and_saveexec_b64 s[8:9], vcc
	s_cbranch_execz .LBB65_176
; %bb.179:                              ;   in Loop: Header=BB65_178 Depth=2
	ds_read_u16 v13, v4
	s_waitcnt lgkmcnt(0)
	v_add_u32_sdwa v14, sext(v13), s5 dst_sel:DWORD dst_unused:UNUSED_PAD src0_sel:WORD_0 src1_sel:DWORD
	v_and_b32_e32 v14, v14, v2
	v_cmp_eq_u32_e32 vcc, v14, v3
	s_and_b64 exec, exec, vcc
	s_cbranch_execz .LBB65_176
; %bb.180:                              ;   in Loop: Header=BB65_178 Depth=2
	v_perm_b32 v13, v13, 1, v41
	ds_write_b32 v9, v13 offset:3072
	s_branch .LBB65_176
.LBB65_181:                             ;   in Loop: Header=BB65_178 Depth=2
	v_add_u32_e32 v8, s48, v8
	v_cmp_le_u32_e32 vcc, s58, v8
	v_add_u32_e32 v4, s4, v4
	s_mov_b64 s[52:53], 0
	s_orn2_b64 s[8:9], vcc, exec
	s_branch .LBB65_177
.LBB65_182:                             ;   in Loop: Header=BB65_15 Depth=1
	s_or_b64 exec, exec, s[16:17]
	v_lshrrev_b32_e32 v8, 16, v13
	s_and_b64 s[16:17], s[22:23], exec
	s_mov_b64 s[52:53], -1
.LBB65_183:                             ;   in Loop: Header=BB65_15 Depth=1
	s_or_b64 exec, exec, s[28:29]
.LBB65_184:                             ;   in Loop: Header=BB65_15 Depth=1
	s_and_b64 vcc, exec, s[24:25]
	s_cbranch_vccz .LBB65_195
; %bb.185:                              ;   in Loop: Header=BB65_15 Depth=1
                                        ; implicit-def: $vgpr8
	s_mov_b64 s[14:15], exec
	v_readlane_b32 s8, v49, 43
	v_readlane_b32 s9, v49, 44
	s_and_b64 s[8:9], s[14:15], s[8:9]
	s_mov_b64 exec, s[8:9]
	s_cbranch_execz .LBB65_194
; %bb.186:                              ;   in Loop: Header=BB65_15 Depth=1
	s_mov_b64 s[22:23], 0
	v_mov_b32_e32 v8, v7
	v_mov_b32_e32 v4, v0
                                        ; implicit-def: $sgpr24_sgpr25
	s_branch .LBB65_189
.LBB65_187:                             ;   in Loop: Header=BB65_189 Depth=2
	s_or_b64 exec, exec, s[8:9]
	s_waitcnt lgkmcnt(0)
	s_barrier
	ds_read_b32 v13, v9 offset:3072
	s_mov_b64 s[8:9], -1
	s_waitcnt lgkmcnt(0)
	s_barrier
	v_cmp_eq_u32_sdwa s[28:29], v13, v9 src0_sel:WORD_0 src1_sel:DWORD
	s_and_b64 vcc, exec, s[28:29]
	s_mov_b64 s[28:29], -1
	s_cbranch_vccnz .LBB65_192
.LBB65_188:                             ;   in Loop: Header=BB65_189 Depth=2
	s_and_b64 s[8:9], exec, s[8:9]
	s_or_b64 s[22:23], s[8:9], s[22:23]
	s_andn2_b64 s[8:9], s[24:25], exec
	s_and_b64 s[24:25], s[28:29], exec
	s_or_b64 s[24:25], s[8:9], s[24:25]
	s_andn2_b64 exec, exec, s[22:23]
	s_cbranch_execz .LBB65_193
.LBB65_189:                             ;   Parent Loop BB65_15 Depth=1
                                        ; =>  This Inner Loop Header: Depth=2
	v_cmp_gt_u32_e32 vcc, s36, v4
	s_and_saveexec_b64 s[8:9], vcc
	s_cbranch_execz .LBB65_187
; %bb.190:                              ;   in Loop: Header=BB65_189 Depth=2
	v_lshlrev_b64 v[13:14], 1, v[8:9]
	v_mov_b32_e32 v15, s42
	v_add_co_u32_e32 v13, vcc, s40, v13
	v_addc_co_u32_e32 v14, vcc, v15, v14, vcc
	global_load_ushort v13, v[13:14], off
	s_waitcnt vmcnt(0)
	v_add_u32_sdwa v14, sext(v13), s5 dst_sel:DWORD dst_unused:UNUSED_PAD src0_sel:WORD_0 src1_sel:DWORD
	v_and_b32_e32 v14, v14, v2
	v_cmp_eq_u32_e32 vcc, v14, v3
	s_and_b64 exec, exec, vcc
	s_cbranch_execz .LBB65_187
; %bb.191:                              ;   in Loop: Header=BB65_189 Depth=2
	v_perm_b32 v13, v13, 1, v41
	ds_write_b32 v9, v13 offset:3072
	s_branch .LBB65_187
.LBB65_192:                             ;   in Loop: Header=BB65_189 Depth=2
	v_add_u32_e32 v4, s48, v4
	v_cmp_le_u32_e32 vcc, s61, v4
	v_add_u32_e32 v8, s54, v8
	s_mov_b64 s[28:29], 0
	s_orn2_b64 s[8:9], vcc, exec
	s_branch .LBB65_188
.LBB65_193:                             ;   in Loop: Header=BB65_15 Depth=1
	s_or_b64 exec, exec, s[22:23]
	s_andn2_b64 s[8:9], s[16:17], exec
	s_and_b64 s[16:17], s[24:25], exec
	v_lshrrev_b32_e32 v8, 16, v13
	s_or_b64 s[16:17], s[8:9], s[16:17]
.LBB65_194:                             ;   in Loop: Header=BB65_15 Depth=1
	s_or_b64 exec, exec, s[14:15]
	s_mov_b64 s[52:53], 0
	s_mov_b64 s[14:15], -1
.LBB65_195:                             ;   in Loop: Header=BB65_15 Depth=1
	s_orn2_b64 s[8:9], s[16:17], exec
.LBB65_196:                             ;   in Loop: Header=BB65_15 Depth=1
	s_or_b64 exec, exec, s[2:3]
	s_mov_b64 s[2:3], 0
	s_and_saveexec_b64 s[16:17], s[8:9]
	s_cbranch_execz .LBB65_246
; %bb.197:                              ;   in Loop: Header=BB65_15 Depth=1
	s_xor_b64 s[12:13], s[12:13], -1
	s_mov_b64 s[8:9], 0
	v_mov_b32_e32 v4, 1
	v_mov_b32_e32 v1, 1
	s_and_saveexec_b64 s[2:3], s[12:13]
	s_cbranch_execz .LBB65_206
; %bb.198:                              ;   in Loop: Header=BB65_15 Depth=1
	v_cmp_ge_u32_e32 vcc, s47, v12
	s_and_saveexec_b64 s[8:9], vcc
	s_xor_b64 s[8:9], exec, s[8:9]
	s_cbranch_execz .LBB65_203
; %bb.199:                              ;   in Loop: Header=BB65_15 Depth=1
	v_and_b32_e32 v1, s51, v3
	v_lshl_or_b32 v3, 2, s38, v1
	ds_read_b32 v1, v9 offset:4096
	v_or_b32_e32 v2, s50, v2
	s_waitcnt lgkmcnt(0)
	v_cmp_ne_u32_e32 vcc, 0, v1
	s_cbranch_vccnz .LBB65_203
; %bb.200:                              ;   in Loop: Header=BB65_15 Depth=1
	s_mov_b64 s[12:13], exec
	v_readlane_b32 s22, v49, 7
	v_readlane_b32 s23, v49, 8
	s_and_b64 s[22:23], s[12:13], s[22:23]
	s_mov_b64 exec, s[22:23]
; %bb.201:                              ;   in Loop: Header=BB65_15 Depth=1
	v_mov_b32_e32 v1, s47
	ds_write_b32 v9, v1 offset:4100
; %bb.202:                              ;   in Loop: Header=BB65_15 Depth=1
	s_or_b64 exec, exec, s[12:13]
	s_waitcnt lgkmcnt(0)
	s_barrier
.LBB65_203:                             ;   in Loop: Header=BB65_15 Depth=1
	s_or_saveexec_b64 s[8:9], s[8:9]
	s_mov_b64 s[12:13], 0
	v_mov_b32_e32 v1, 8
	s_xor_b64 exec, exec, s[8:9]
; %bb.204:                              ;   in Loop: Header=BB65_15 Depth=1
	s_mov_b64 s[12:13], exec
	v_subrev_u32_e32 v12, s47, v12
	v_mov_b32_e32 v1, 0
; %bb.205:                              ;   in Loop: Header=BB65_15 Depth=1
	s_or_b64 exec, exec, s[8:9]
	s_and_b64 s[8:9], s[12:13], exec
	v_mov_b32_e32 v4, v12
.LBB65_206:                             ;   in Loop: Header=BB65_15 Depth=1
	s_or_b64 exec, exec, s[2:3]
	s_mov_b64 s[2:3], -1
                                        ; implicit-def: $sgpr12_sgpr13
                                        ; kill: killed $sgpr12_sgpr13
                                        ; implicit-def: $sgpr58_sgpr59
	s_and_saveexec_b64 s[24:25], s[8:9]
	s_cbranch_execz .LBB65_245
; %bb.207:                              ;   in Loop: Header=BB65_15 Depth=1
	s_cmp_eq_u32 s56, 1
	s_cselect_b64 s[2:3], -1, 0
	v_cmp_eq_u32_e32 vcc, 1, v4
	s_mov_b64 s[8:9], -1
	s_and_b64 s[12:13], s[2:3], vcc
                                        ; implicit-def: $sgpr2_sgpr3
                                        ; kill: killed $sgpr2_sgpr3
                                        ; implicit-def: $sgpr58_sgpr59
	s_mov_b64 s[2:3], exec
	v_writelane_b32 v49, s12, 49
	v_writelane_b32 v49, s13, 50
	;; [unrolled: 1-line block ×4, first 2 shown]
	s_and_b64 s[2:3], s[2:3], s[12:13]
	s_mov_b64 exec, s[2:3]
	s_cbranch_execz .LBB65_233
; %bb.208:                              ;   in Loop: Header=BB65_15 Depth=1
	ds_read_b32 v8, v9 offset:4096
	s_waitcnt lgkmcnt(0)
	s_barrier
	v_readfirstlane_b32 s57, v8
	s_mov_b64 s[2:3], exec
	v_readlane_b32 s8, v49, 21
	v_readlane_b32 s9, v49, 22
	s_and_b64 s[8:9], s[2:3], s[8:9]
	s_mov_b64 exec, s[8:9]
; %bb.209:                              ;   in Loop: Header=BB65_15 Depth=1
	ds_write_b16 v26, v9
; %bb.210:                              ;   in Loop: Header=BB65_15 Depth=1
	s_or_b64 exec, exec, s[2:3]
	s_mov_b64 s[2:3], -1
	v_writelane_b32 v49, s2, 53
	v_writelane_b32 v49, s3, 54
	s_mov_b64 s[2:3], 0
	v_or_b32_e32 v3, s50, v3
	v_or_b32_e32 v2, s50, v2
	v_writelane_b32 v49, s2, 47
	s_cmp_eq_u32 s57, 0
	s_mov_b64 s[58:59], 0
	s_mov_b64 s[12:13], -1
	s_waitcnt lgkmcnt(0)
	s_barrier
	v_writelane_b32 v49, s3, 48
                                        ; implicit-def: $vgpr8
	s_cbranch_scc1 .LBB65_221
; %bb.211:                              ;   in Loop: Header=BB65_15 Depth=1
	v_readlane_b32 s2, v49, 23
	s_add_i32 s2, s57, s2
	v_readlane_b32 s3, v49, 42
	s_mul_hi_u32 s3, s2, s3
	s_mul_i32 s3, s3, s48
	s_sub_i32 s3, s2, s3
	s_sub_i32 s8, s3, s48
	s_cmp_ge_u32 s3, s48
	s_cselect_b32 s3, s8, s3
	s_sub_i32 s8, s3, s48
	s_cmp_ge_u32 s3, s48
	s_cselect_b32 s3, s8, s3
	s_sub_i32 s28, s2, s3
	v_cmp_gt_u32_e32 vcc, s28, v0
	s_mov_b64 s[12:13], 0
                                        ; implicit-def: $vgpr8
	s_and_saveexec_b64 s[22:23], vcc
	s_cbranch_execz .LBB65_220
; %bb.212:                              ;   in Loop: Header=BB65_15 Depth=1
	v_writelane_b32 v49, s52, 55
	v_mov_b32_e32 v8, v25
	v_mov_b32_e32 v12, v0
	v_writelane_b32 v49, s53, 56
                                        ; implicit-def: $sgpr8_sgpr9
	s_branch .LBB65_215
.LBB65_213:                             ;   in Loop: Header=BB65_215 Depth=2
	s_or_b64 exec, exec, s[52:53]
	s_waitcnt lgkmcnt(0)
	s_barrier
	ds_read_b32 v13, v9 offset:3072
	s_mov_b64 s[52:53], -1
	s_waitcnt lgkmcnt(0)
	s_barrier
	v_cmp_ne_u32_sdwa s[2:3], v13, v9 src0_sel:WORD_0 src1_sel:DWORD
	s_and_b64 vcc, exec, s[2:3]
	s_mov_b64 s[2:3], -1
	s_cbranch_vccz .LBB65_218
.LBB65_214:                             ;   in Loop: Header=BB65_215 Depth=2
	s_and_b64 s[52:53], exec, s[52:53]
	s_or_b64 s[58:59], s[52:53], s[58:59]
	s_andn2_b64 s[8:9], s[8:9], exec
	s_and_b64 s[2:3], s[2:3], exec
	s_or_b64 s[8:9], s[8:9], s[2:3]
	s_andn2_b64 exec, exec, s[58:59]
	s_cbranch_execz .LBB65_219
.LBB65_215:                             ;   Parent Loop BB65_15 Depth=1
                                        ; =>  This Inner Loop Header: Depth=2
	v_cmp_gt_u32_e32 vcc, s57, v12
	s_and_saveexec_b64 s[52:53], vcc
	s_cbranch_execz .LBB65_213
; %bb.216:                              ;   in Loop: Header=BB65_215 Depth=2
	ds_read_u16 v13, v8
	s_waitcnt lgkmcnt(0)
	v_add_u32_sdwa v14, sext(v13), s5 dst_sel:DWORD dst_unused:UNUSED_PAD src0_sel:WORD_0 src1_sel:DWORD
	v_and_b32_e32 v14, v14, v2
	v_cmp_eq_u32_e32 vcc, v14, v3
	s_and_b64 exec, exec, vcc
	s_cbranch_execz .LBB65_213
; %bb.217:                              ;   in Loop: Header=BB65_215 Depth=2
	v_perm_b32 v13, v13, 1, v41
	ds_write_b32 v9, v13 offset:3072
	s_branch .LBB65_213
.LBB65_218:                             ;   in Loop: Header=BB65_215 Depth=2
	v_add_u32_e32 v12, s48, v12
	v_cmp_le_u32_e32 vcc, s28, v12
	v_add_u32_e32 v8, s4, v8
	s_mov_b64 s[2:3], 0
	s_orn2_b64 s[52:53], vcc, exec
	s_branch .LBB65_214
.LBB65_219:                             ;   in Loop: Header=BB65_15 Depth=1
	s_or_b64 exec, exec, s[58:59]
	v_readlane_b32 s52, v49, 55
	v_lshrrev_b32_e32 v8, 16, v13
	s_and_b64 s[58:59], s[8:9], exec
	v_readlane_b32 s53, v49, 56
.LBB65_220:                             ;   in Loop: Header=BB65_15 Depth=1
	s_or_b64 exec, exec, s[22:23]
.LBB65_221:                             ;   in Loop: Header=BB65_15 Depth=1
	s_and_b64 vcc, exec, s[12:13]
	s_cbranch_vccz .LBB65_232
; %bb.222:                              ;   in Loop: Header=BB65_15 Depth=1
                                        ; implicit-def: $vgpr8
	s_mov_b64 s[12:13], exec
	v_readlane_b32 s2, v49, 43
	v_readlane_b32 s3, v49, 44
	s_and_b64 s[2:3], s[12:13], s[2:3]
	s_mov_b64 exec, s[2:3]
	s_cbranch_execz .LBB65_231
; %bb.223:                              ;   in Loop: Header=BB65_15 Depth=1
	s_mov_b64 s[22:23], 0
	v_mov_b32_e32 v8, v7
	v_mov_b32_e32 v12, v0
                                        ; implicit-def: $sgpr28_sgpr29
	s_branch .LBB65_226
.LBB65_224:                             ;   in Loop: Header=BB65_226 Depth=2
	s_or_b64 exec, exec, s[8:9]
	s_waitcnt lgkmcnt(0)
	s_barrier
	ds_read_b32 v13, v9 offset:3072
	s_mov_b64 s[8:9], -1
	s_waitcnt lgkmcnt(0)
	s_barrier
	v_cmp_eq_u32_sdwa s[2:3], v13, v9 src0_sel:WORD_0 src1_sel:DWORD
	s_and_b64 vcc, exec, s[2:3]
	s_mov_b64 s[2:3], -1
	s_cbranch_vccnz .LBB65_229
.LBB65_225:                             ;   in Loop: Header=BB65_226 Depth=2
	s_and_b64 s[8:9], exec, s[8:9]
	s_or_b64 s[22:23], s[8:9], s[22:23]
	s_andn2_b64 s[8:9], s[28:29], exec
	s_and_b64 s[2:3], s[2:3], exec
	s_or_b64 s[28:29], s[8:9], s[2:3]
	s_andn2_b64 exec, exec, s[22:23]
	s_cbranch_execz .LBB65_230
.LBB65_226:                             ;   Parent Loop BB65_15 Depth=1
                                        ; =>  This Inner Loop Header: Depth=2
	v_cmp_gt_u32_e32 vcc, s36, v12
	s_and_saveexec_b64 s[8:9], vcc
	s_cbranch_execz .LBB65_224
; %bb.227:                              ;   in Loop: Header=BB65_226 Depth=2
	v_lshlrev_b64 v[13:14], 1, v[8:9]
	v_mov_b32_e32 v15, s42
	v_add_co_u32_e32 v13, vcc, s40, v13
	v_addc_co_u32_e32 v14, vcc, v15, v14, vcc
	global_load_ushort v13, v[13:14], off
	s_waitcnt vmcnt(0)
	v_add_u32_sdwa v14, sext(v13), s5 dst_sel:DWORD dst_unused:UNUSED_PAD src0_sel:WORD_0 src1_sel:DWORD
	v_and_b32_e32 v14, v14, v2
	v_cmp_eq_u32_e32 vcc, v14, v3
	s_and_b64 exec, exec, vcc
	s_cbranch_execz .LBB65_224
; %bb.228:                              ;   in Loop: Header=BB65_226 Depth=2
	v_perm_b32 v13, v13, 1, v41
	ds_write_b32 v9, v13 offset:3072
	s_branch .LBB65_224
.LBB65_229:                             ;   in Loop: Header=BB65_226 Depth=2
	v_add_u32_e32 v12, s48, v12
	v_cmp_le_u32_e32 vcc, s61, v12
	v_add_u32_e32 v8, s54, v8
	s_mov_b64 s[2:3], 0
	s_orn2_b64 s[8:9], vcc, exec
	s_branch .LBB65_225
.LBB65_230:                             ;   in Loop: Header=BB65_15 Depth=1
	s_or_b64 exec, exec, s[22:23]
	s_andn2_b64 s[2:3], s[58:59], exec
	s_and_b64 s[8:9], s[28:29], exec
	v_lshrrev_b32_e32 v8, 16, v13
	s_or_b64 s[58:59], s[2:3], s[8:9]
.LBB65_231:                             ;   in Loop: Header=BB65_15 Depth=1
	s_or_b64 exec, exec, s[12:13]
	s_mov_b64 s[2:3], 0
	v_writelane_b32 v49, s2, 53
	v_writelane_b32 v49, s3, 54
	s_mov_b64 s[2:3], -1
	v_writelane_b32 v49, s2, 47
	v_writelane_b32 v49, s3, 48
.LBB65_232:                             ;   in Loop: Header=BB65_15 Depth=1
	s_orn2_b64 s[8:9], s[58:59], exec
	v_readlane_b32 s58, v49, 53
	v_readlane_b32 s59, v49, 54
.LBB65_233:                             ;   in Loop: Header=BB65_15 Depth=1
	v_readlane_b32 s2, v49, 51
	v_readlane_b32 s3, v49, 52
	s_or_b64 exec, exec, s[2:3]
	s_mov_b64 s[22:23], 0
	s_and_saveexec_b64 s[12:13], s[8:9]
	s_cbranch_execz .LBB65_244
; %bb.234:                              ;   in Loop: Header=BB65_15 Depth=1
	v_readlane_b32 s2, v49, 49
	v_readlane_b32 s3, v49, 50
	s_xor_b64 s[8:9], s[2:3], -1
	v_mov_b32_e32 v1, 1
	v_mov_b32_e32 v12, 1
	s_and_saveexec_b64 s[2:3], s[8:9]
	s_cbranch_execz .LBB65_243
; %bb.235:                              ;   in Loop: Header=BB65_15 Depth=1
	v_cmp_ge_u32_e32 vcc, s56, v4
	s_and_saveexec_b64 s[8:9], vcc
	s_xor_b64 s[8:9], exec, s[8:9]
	s_cbranch_execz .LBB65_240
; %bb.236:                              ;   in Loop: Header=BB65_15 Depth=1
	ds_read_b32 v1, v9 offset:4096
	v_or_b32_e32 v3, s50, v3
	v_or_b32_e32 v2, s50, v2
	s_waitcnt lgkmcnt(0)
	v_cmp_ne_u32_e32 vcc, 0, v1
	s_cbranch_vccnz .LBB65_240
; %bb.237:                              ;   in Loop: Header=BB65_15 Depth=1
	s_mov_b64 s[22:23], exec
	v_readlane_b32 s28, v49, 7
	v_readlane_b32 s29, v49, 8
	s_and_b64 s[28:29], s[22:23], s[28:29]
	s_mov_b64 exec, s[28:29]
; %bb.238:                              ;   in Loop: Header=BB65_15 Depth=1
	v_mov_b32_e32 v1, s56
	ds_write_b32 v9, v1 offset:4100
; %bb.239:                              ;   in Loop: Header=BB65_15 Depth=1
	s_or_b64 exec, exec, s[22:23]
	s_waitcnt lgkmcnt(0)
	s_barrier
.LBB65_240:                             ;   in Loop: Header=BB65_15 Depth=1
	s_andn2_saveexec_b64 s[8:9], s[8:9]
; %bb.241:                              ;   in Loop: Header=BB65_15 Depth=1
	v_subrev_u32_e32 v4, s56, v4
; %bb.242:                              ;   in Loop: Header=BB65_15 Depth=1
	s_or_b64 exec, exec, s[8:9]
	v_mov_b32_e32 v1, 8
	v_mov_b32_e32 v12, v4
.LBB65_243:                             ;   in Loop: Header=BB65_15 Depth=1
	s_or_b64 exec, exec, s[2:3]
	s_mov_b64 s[22:23], exec
	v_mov_b32_e32 v4, v12
.LBB65_244:                             ;   in Loop: Header=BB65_15 Depth=1
	s_or_b64 exec, exec, s[12:13]
	s_orn2_b64 s[2:3], s[22:23], exec
.LBB65_245:                             ;   in Loop: Header=BB65_15 Depth=1
	s_or_b64 exec, exec, s[24:25]
	v_readlane_b32 s12, v49, 47
	v_readlane_b32 s13, v49, 48
	s_andn2_b64 s[8:9], s[14:15], exec
	s_and_b64 s[12:13], s[12:13], exec
	s_or_b64 s[14:15], s[8:9], s[12:13]
	s_andn2_b64 s[8:9], s[52:53], exec
	s_and_b64 s[12:13], s[58:59], exec
	s_or_b64 s[52:53], s[8:9], s[12:13]
	s_and_b64 s[2:3], s[2:3], exec
	v_mov_b32_e32 v12, v4
.LBB65_246:                             ;   in Loop: Header=BB65_15 Depth=1
	s_or_b64 exec, exec, s[16:17]
	s_orn2_b64 s[2:3], s[2:3], exec
.LBB65_247:                             ;   in Loop: Header=BB65_15 Depth=1
	s_or_b64 exec, exec, s[44:45]
	s_andn2_b64 s[8:9], s[84:85], exec
	s_and_b64 s[12:13], s[14:15], exec
	s_or_b64 s[84:85], s[8:9], s[12:13]
	s_andn2_b64 s[8:9], s[34:35], exec
	s_and_b64 s[12:13], s[52:53], exec
	s_or_b64 s[34:35], s[8:9], s[12:13]
	s_and_b64 s[2:3], s[2:3], exec
	v_mov_b32_e32 v4, v12
.LBB65_248:                             ;   in Loop: Header=BB65_15 Depth=1
	s_or_b64 exec, exec, s[94:95]
	s_orn2_b64 s[2:3], s[2:3], exec
.LBB65_249:                             ;   in Loop: Header=BB65_15 Depth=1
	s_or_b64 exec, exec, s[6:7]
	s_mov_b64 s[6:7], 0
	s_mov_b64 s[8:9], 0
	s_and_saveexec_b64 s[12:13], s[2:3]
	s_xor_b64 s[2:3], exec, s[12:13]
; %bb.250:                              ;   in Loop: Header=BB65_15 Depth=1
	v_cmp_eq_u32_e32 vcc, 8, v1
	v_cmp_ne_u32_e64 s[6:7], 8, v1
	s_and_b64 s[8:9], s[6:7], exec
	s_and_b64 s[6:7], vcc, exec
; %bb.251:                              ;   in Loop: Header=BB65_15 Depth=1
	s_or_b64 exec, exec, s[2:3]
	s_andn2_b64 s[2:3], s[88:89], exec
	s_and_b64 s[12:13], s[84:85], exec
	s_or_b64 s[88:89], s[2:3], s[12:13]
	s_andn2_b64 s[2:3], s[86:87], exec
	s_and_b64 s[12:13], s[34:35], exec
	s_or_b64 s[86:87], s[2:3], s[12:13]
	s_and_b64 s[34:35], s[8:9], exec
	s_and_b64 s[84:85], s[6:7], exec
.LBB65_252:                             ;   in Loop: Header=BB65_15 Depth=1
	s_or_b64 exec, exec, s[92:93]
.LBB65_253:                             ;   in Loop: Header=BB65_15 Depth=1
	s_and_b64 vcc, exec, s[90:91]
	s_cbranch_vccz .LBB65_266
; %bb.254:                              ;   in Loop: Header=BB65_15 Depth=1
	s_cmp_eq_u32 s56, 1
	s_cselect_b64 s[2:3], -1, 0
	s_and_b64 s[6:7], s[2:3], s[26:27]
	s_mov_b64 s[8:9], -1
                                        ; implicit-def: $sgpr26_sgpr27
                                        ; implicit-def: $sgpr30_sgpr31
	s_and_saveexec_b64 s[2:3], s[6:7]
	s_cbranch_execz .LBB65_281
; %bb.255:                              ;   in Loop: Header=BB65_15 Depth=1
	ds_read_b32 v1, v9 offset:4096
	s_waitcnt lgkmcnt(0)
	s_barrier
	v_readfirstlane_b32 s28, v1
	s_mov_b64 s[8:9], exec
	v_readlane_b32 s12, v49, 21
	v_readlane_b32 s13, v49, 22
	s_and_b64 s[12:13], s[8:9], s[12:13]
	s_mov_b64 exec, s[12:13]
; %bb.256:                              ;   in Loop: Header=BB65_15 Depth=1
	ds_write_b16 v26, v9
; %bb.257:                              ;   in Loop: Header=BB65_15 Depth=1
	s_or_b64 exec, exec, s[8:9]
	v_or_b32_e32 v37, s50, v37
	v_or_b32_e32 v42, s50, v42
	s_mov_b64 s[30:31], -1
	s_mov_b64 s[26:27], 0
	s_cmp_eq_u32 s28, 0
	s_mov_b64 s[12:13], 0
	s_mov_b64 s[14:15], -1
	s_waitcnt lgkmcnt(0)
	s_barrier
                                        ; implicit-def: $vgpr43
	s_cbranch_scc1 .LBB65_269
; %bb.258:                              ;   in Loop: Header=BB65_15 Depth=1
	v_readlane_b32 s8, v49, 23
	s_add_i32 s8, s28, s8
	v_readlane_b32 s9, v49, 42
	s_mul_hi_u32 s9, s8, s9
	s_mul_i32 s9, s9, s48
	s_sub_i32 s9, s8, s9
	s_sub_i32 s12, s9, s48
	s_cmp_ge_u32 s9, s48
	s_cselect_b32 s9, s12, s9
	s_sub_i32 s12, s9, s48
	s_cmp_ge_u32 s9, s48
	s_cselect_b32 s9, s12, s9
	s_sub_i32 s29, s8, s9
	v_cmp_gt_u32_e32 vcc, s29, v0
	s_mov_b64 s[14:15], 0
	s_mov_b64 s[12:13], 0
                                        ; implicit-def: $vgpr43
	s_and_saveexec_b64 s[16:17], vcc
	s_cbranch_execz .LBB65_268
; %bb.259:                              ;   in Loop: Header=BB65_15 Depth=1
	v_mov_b32_e32 v1, v25
	v_mov_b32_e32 v2, v0
                                        ; implicit-def: $sgpr22_sgpr23
	s_branch .LBB65_262
.LBB65_260:                             ;   in Loop: Header=BB65_262 Depth=2
	s_or_b64 exec, exec, s[8:9]
	s_waitcnt lgkmcnt(0)
	s_barrier
	ds_read_b32 v3, v9 offset:3072
	s_mov_b64 s[8:9], -1
	s_waitcnt lgkmcnt(0)
	s_barrier
	v_cmp_ne_u32_sdwa s[24:25], v3, v9 src0_sel:WORD_0 src1_sel:DWORD
	s_and_b64 vcc, exec, s[24:25]
	s_mov_b64 s[24:25], -1
	s_cbranch_vccz .LBB65_265
.LBB65_261:                             ;   in Loop: Header=BB65_262 Depth=2
	s_and_b64 s[8:9], exec, s[8:9]
	s_or_b64 s[12:13], s[8:9], s[12:13]
	s_andn2_b64 s[8:9], s[22:23], exec
	s_and_b64 s[22:23], s[24:25], exec
	s_or_b64 s[22:23], s[8:9], s[22:23]
	s_andn2_b64 exec, exec, s[12:13]
	s_cbranch_execz .LBB65_267
.LBB65_262:                             ;   Parent Loop BB65_15 Depth=1
                                        ; =>  This Inner Loop Header: Depth=2
	v_cmp_gt_u32_e32 vcc, s28, v2
	s_and_saveexec_b64 s[8:9], vcc
	s_cbranch_execz .LBB65_260
; %bb.263:                              ;   in Loop: Header=BB65_262 Depth=2
	ds_read_u16 v3, v1
	s_waitcnt lgkmcnt(0)
	v_add_u32_sdwa v4, sext(v3), s5 dst_sel:DWORD dst_unused:UNUSED_PAD src0_sel:WORD_0 src1_sel:DWORD
	v_and_b32_e32 v4, v4, v42
	v_cmp_eq_u32_e32 vcc, v4, v37
	s_and_b64 exec, exec, vcc
	s_cbranch_execz .LBB65_260
; %bb.264:                              ;   in Loop: Header=BB65_262 Depth=2
	v_perm_b32 v3, v3, 1, v41
	ds_write_b32 v9, v3 offset:3072
	s_branch .LBB65_260
.LBB65_265:                             ;   in Loop: Header=BB65_262 Depth=2
	v_add_u32_e32 v2, s48, v2
	v_cmp_le_u32_e32 vcc, s29, v2
	v_add_u32_e32 v1, s4, v1
	s_mov_b64 s[24:25], 0
	s_orn2_b64 s[8:9], vcc, exec
	s_branch .LBB65_261
.LBB65_266:                             ;   in Loop: Header=BB65_15 Depth=1
	s_mov_b64 s[26:27], 0
	v_mov_b32_e32 v37, v3
	v_mov_b32_e32 v42, v2
	;; [unrolled: 1-line block ×3, first 2 shown]
	s_and_saveexec_b64 s[2:3], s[84:85]
	s_cbranch_execnz .LBB65_412
	s_branch .LBB65_413
.LBB65_267:                             ;   in Loop: Header=BB65_15 Depth=1
	s_or_b64 exec, exec, s[12:13]
	v_lshrrev_b32_e32 v43, 16, v3
	s_and_b64 s[12:13], s[22:23], exec
.LBB65_268:                             ;   in Loop: Header=BB65_15 Depth=1
	s_or_b64 exec, exec, s[16:17]
.LBB65_269:                             ;   in Loop: Header=BB65_15 Depth=1
	s_and_b64 vcc, exec, s[14:15]
	s_cbranch_vccz .LBB65_280
; %bb.270:                              ;   in Loop: Header=BB65_15 Depth=1
                                        ; implicit-def: $vgpr43
	s_mov_b64 s[14:15], exec
	v_readlane_b32 s8, v49, 43
	v_readlane_b32 s9, v49, 44
	s_and_b64 s[8:9], s[14:15], s[8:9]
	s_mov_b64 exec, s[8:9]
	s_cbranch_execz .LBB65_279
; %bb.271:                              ;   in Loop: Header=BB65_15 Depth=1
	s_mov_b64 s[16:17], 0
	v_mov_b32_e32 v8, v7
	v_mov_b32_e32 v1, v0
                                        ; implicit-def: $sgpr22_sgpr23
	s_branch .LBB65_274
.LBB65_272:                             ;   in Loop: Header=BB65_274 Depth=2
	s_or_b64 exec, exec, s[8:9]
	s_waitcnt lgkmcnt(0)
	s_barrier
	ds_read_b32 v2, v9 offset:3072
	s_mov_b64 s[8:9], -1
	s_waitcnt lgkmcnt(0)
	s_barrier
	v_cmp_ne_u32_sdwa s[24:25], v2, v9 src0_sel:WORD_0 src1_sel:DWORD
	s_and_b64 vcc, exec, s[24:25]
	s_mov_b64 s[24:25], -1
	s_cbranch_vccz .LBB65_277
.LBB65_273:                             ;   in Loop: Header=BB65_274 Depth=2
	s_and_b64 s[8:9], exec, s[8:9]
	s_or_b64 s[16:17], s[8:9], s[16:17]
	s_andn2_b64 s[8:9], s[22:23], exec
	s_and_b64 s[22:23], s[24:25], exec
	s_or_b64 s[22:23], s[8:9], s[22:23]
	s_andn2_b64 exec, exec, s[16:17]
	s_cbranch_execz .LBB65_278
.LBB65_274:                             ;   Parent Loop BB65_15 Depth=1
                                        ; =>  This Inner Loop Header: Depth=2
	v_cmp_gt_u32_e32 vcc, s36, v1
	s_and_saveexec_b64 s[8:9], vcc
	s_cbranch_execz .LBB65_272
; %bb.275:                              ;   in Loop: Header=BB65_274 Depth=2
	v_lshlrev_b64 v[2:3], 1, v[8:9]
	v_mov_b32_e32 v4, s42
	v_add_co_u32_e32 v2, vcc, s40, v2
	v_addc_co_u32_e32 v3, vcc, v4, v3, vcc
	global_load_ushort v2, v[2:3], off
	s_waitcnt vmcnt(0)
	v_add_u32_sdwa v3, sext(v2), s5 dst_sel:DWORD dst_unused:UNUSED_PAD src0_sel:WORD_0 src1_sel:DWORD
	v_and_b32_e32 v3, v3, v42
	v_cmp_eq_u32_e32 vcc, v3, v37
	s_and_b64 exec, exec, vcc
	s_cbranch_execz .LBB65_272
; %bb.276:                              ;   in Loop: Header=BB65_274 Depth=2
	v_perm_b32 v2, v2, 1, v41
	ds_write_b32 v9, v2 offset:3072
	s_branch .LBB65_272
.LBB65_277:                             ;   in Loop: Header=BB65_274 Depth=2
	v_add_u32_e32 v1, s48, v1
	v_cmp_le_u32_e32 vcc, s61, v1
	v_add_u32_e32 v8, s54, v8
	s_mov_b64 s[24:25], 0
	s_orn2_b64 s[8:9], vcc, exec
	s_branch .LBB65_273
.LBB65_278:                             ;   in Loop: Header=BB65_15 Depth=1
	s_or_b64 exec, exec, s[16:17]
	s_andn2_b64 s[8:9], s[12:13], exec
	s_and_b64 s[12:13], s[22:23], exec
	v_lshrrev_b32_e32 v43, 16, v2
	s_or_b64 s[12:13], s[8:9], s[12:13]
.LBB65_279:                             ;   in Loop: Header=BB65_15 Depth=1
	s_or_b64 exec, exec, s[14:15]
	s_mov_b64 s[30:31], 0
	s_mov_b64 s[26:27], -1
.LBB65_280:                             ;   in Loop: Header=BB65_15 Depth=1
	s_orn2_b64 s[8:9], s[12:13], exec
.LBB65_281:                             ;   in Loop: Header=BB65_15 Depth=1
	s_or_b64 exec, exec, s[2:3]
                                        ; implicit-def: $vgpr4
                                        ; implicit-def: $vgpr1
	s_and_saveexec_b64 s[86:87], s[8:9]
	s_cbranch_execz .LBB65_411
; %bb.282:                              ;   in Loop: Header=BB65_15 Depth=1
	s_xor_b64 s[8:9], s[6:7], -1
	s_mov_b64 s[6:7], 0
	v_mov_b32_e32 v4, 1
	v_mov_b32_e32 v1, 1
	s_and_saveexec_b64 s[2:3], s[8:9]
	s_cbranch_execz .LBB65_291
; %bb.283:                              ;   in Loop: Header=BB65_15 Depth=1
	v_cmp_ge_u32_e32 vcc, s56, v44
	s_and_saveexec_b64 s[6:7], vcc
	s_xor_b64 s[6:7], exec, s[6:7]
	s_cbranch_execz .LBB65_288
; %bb.284:                              ;   in Loop: Header=BB65_15 Depth=1
	ds_read_b32 v1, v9 offset:4096
	v_or_b32_e32 v37, s50, v37
	v_or_b32_e32 v42, s50, v42
	s_waitcnt lgkmcnt(0)
	v_cmp_ne_u32_e32 vcc, 0, v1
	s_cbranch_vccnz .LBB65_288
; %bb.285:                              ;   in Loop: Header=BB65_15 Depth=1
	s_mov_b64 s[8:9], exec
	v_readlane_b32 s12, v49, 7
	v_readlane_b32 s13, v49, 8
	s_and_b64 s[12:13], s[8:9], s[12:13]
	s_mov_b64 exec, s[12:13]
; %bb.286:                              ;   in Loop: Header=BB65_15 Depth=1
	v_mov_b32_e32 v1, s56
	ds_write_b32 v9, v1 offset:4100
; %bb.287:                              ;   in Loop: Header=BB65_15 Depth=1
	s_or_b64 exec, exec, s[8:9]
	s_waitcnt lgkmcnt(0)
	s_barrier
.LBB65_288:                             ;   in Loop: Header=BB65_15 Depth=1
	s_or_saveexec_b64 s[6:7], s[6:7]
	s_mov_b64 s[8:9], 0
	v_mov_b32_e32 v1, 5
	s_xor_b64 exec, exec, s[6:7]
; %bb.289:                              ;   in Loop: Header=BB65_15 Depth=1
	v_subrev_u32_e32 v44, s56, v44
	v_mov_b32_e32 v1, 0
	s_mov_b64 s[8:9], exec
; %bb.290:                              ;   in Loop: Header=BB65_15 Depth=1
	s_or_b64 exec, exec, s[6:7]
	s_and_b64 s[6:7], s[8:9], exec
	v_mov_b32_e32 v4, v44
.LBB65_291:                             ;   in Loop: Header=BB65_15 Depth=1
	s_or_b64 exec, exec, s[2:3]
	s_mov_b64 s[2:3], -1
                                        ; implicit-def: $sgpr88_sgpr89
                                        ; implicit-def: $sgpr90_sgpr91
	s_and_saveexec_b64 s[8:9], s[6:7]
	s_xor_b64 s[6:7], exec, s[8:9]
	s_cbranch_execz .LBB65_408
; %bb.292:                              ;   in Loop: Header=BB65_15 Depth=1
	s_cmp_eq_u32 s47, 1
	s_cselect_b64 s[2:3], -1, 0
	v_cmp_eq_u32_e32 vcc, 1, v4
	s_and_b64 s[12:13], s[2:3], vcc
	s_mov_b64 s[8:9], -1
                                        ; implicit-def: $sgpr90_sgpr91
                                        ; implicit-def: $sgpr88_sgpr89
	s_and_saveexec_b64 s[2:3], s[12:13]
	s_cbranch_execz .LBB65_318
; %bb.293:                              ;   in Loop: Header=BB65_15 Depth=1
	ds_read_b32 v2, v9 offset:4096
	s_waitcnt lgkmcnt(0)
	s_barrier
	v_readfirstlane_b32 s44, v2
	s_mov_b64 s[8:9], exec
	v_readlane_b32 s14, v49, 21
	v_readlane_b32 s15, v49, 22
	s_and_b64 s[14:15], s[8:9], s[14:15]
	s_mov_b64 exec, s[14:15]
; %bb.294:                              ;   in Loop: Header=BB65_15 Depth=1
	ds_write_b16 v26, v9
; %bb.295:                              ;   in Loop: Header=BB65_15 Depth=1
	s_or_b64 exec, exec, s[8:9]
	v_and_b32_e32 v2, s51, v37
	v_lshl_or_b32 v37, 2, s38, v2
	v_or_b32_e32 v42, s50, v42
	s_mov_b64 s[88:89], -1
	s_mov_b64 s[90:91], 0
	s_cmp_eq_u32 s44, 0
	s_mov_b64 s[14:15], 0
	s_mov_b64 s[16:17], -1
	s_waitcnt lgkmcnt(0)
	s_barrier
                                        ; implicit-def: $vgpr43
	s_cbranch_scc1 .LBB65_306
; %bb.296:                              ;   in Loop: Header=BB65_15 Depth=1
	v_readlane_b32 s8, v49, 23
	s_add_i32 s8, s44, s8
	v_readlane_b32 s9, v49, 42
	s_mul_hi_u32 s9, s8, s9
	s_mul_i32 s9, s9, s48
	s_sub_i32 s9, s8, s9
	s_sub_i32 s14, s9, s48
	s_cmp_ge_u32 s9, s48
	s_cselect_b32 s9, s14, s9
	s_sub_i32 s14, s9, s48
	s_cmp_ge_u32 s9, s48
	s_cselect_b32 s9, s14, s9
	s_sub_i32 s45, s8, s9
	v_cmp_gt_u32_e32 vcc, s45, v0
	s_mov_b64 s[16:17], 0
	s_mov_b64 s[14:15], 0
                                        ; implicit-def: $vgpr43
	s_and_saveexec_b64 s[24:25], vcc
	s_cbranch_execz .LBB65_305
; %bb.297:                              ;   in Loop: Header=BB65_15 Depth=1
	v_mov_b32_e32 v2, v25
	v_mov_b32_e32 v3, v0
                                        ; implicit-def: $sgpr22_sgpr23
	s_branch .LBB65_300
.LBB65_298:                             ;   in Loop: Header=BB65_300 Depth=2
	s_or_b64 exec, exec, s[8:9]
	s_waitcnt lgkmcnt(0)
	s_barrier
	ds_read_b32 v8, v9 offset:3072
	s_mov_b64 s[8:9], -1
	s_waitcnt lgkmcnt(0)
	s_barrier
	v_cmp_ne_u32_sdwa s[28:29], v8, v9 src0_sel:WORD_0 src1_sel:DWORD
	s_and_b64 vcc, exec, s[28:29]
	s_mov_b64 s[28:29], -1
	s_cbranch_vccz .LBB65_303
.LBB65_299:                             ;   in Loop: Header=BB65_300 Depth=2
	s_and_b64 s[8:9], exec, s[8:9]
	s_or_b64 s[14:15], s[8:9], s[14:15]
	s_andn2_b64 s[8:9], s[22:23], exec
	s_and_b64 s[22:23], s[28:29], exec
	s_or_b64 s[22:23], s[8:9], s[22:23]
	s_andn2_b64 exec, exec, s[14:15]
	s_cbranch_execz .LBB65_304
.LBB65_300:                             ;   Parent Loop BB65_15 Depth=1
                                        ; =>  This Inner Loop Header: Depth=2
	v_cmp_gt_u32_e32 vcc, s44, v3
	s_and_saveexec_b64 s[8:9], vcc
	s_cbranch_execz .LBB65_298
; %bb.301:                              ;   in Loop: Header=BB65_300 Depth=2
	ds_read_u16 v8, v2
	s_waitcnt lgkmcnt(0)
	v_add_u32_sdwa v12, sext(v8), s5 dst_sel:DWORD dst_unused:UNUSED_PAD src0_sel:WORD_0 src1_sel:DWORD
	v_and_b32_e32 v12, v12, v42
	v_cmp_eq_u32_e32 vcc, v12, v37
	s_and_b64 exec, exec, vcc
	s_cbranch_execz .LBB65_298
; %bb.302:                              ;   in Loop: Header=BB65_300 Depth=2
	v_perm_b32 v8, v8, 1, v41
	ds_write_b32 v9, v8 offset:3072
	s_branch .LBB65_298
.LBB65_303:                             ;   in Loop: Header=BB65_300 Depth=2
	v_add_u32_e32 v3, s48, v3
	v_cmp_le_u32_e32 vcc, s45, v3
	v_add_u32_e32 v2, s4, v2
	s_mov_b64 s[28:29], 0
	s_orn2_b64 s[8:9], vcc, exec
	s_branch .LBB65_299
.LBB65_304:                             ;   in Loop: Header=BB65_15 Depth=1
	s_or_b64 exec, exec, s[14:15]
	v_lshrrev_b32_e32 v43, 16, v8
	s_and_b64 s[14:15], s[22:23], exec
.LBB65_305:                             ;   in Loop: Header=BB65_15 Depth=1
	s_or_b64 exec, exec, s[24:25]
.LBB65_306:                             ;   in Loop: Header=BB65_15 Depth=1
	s_and_b64 vcc, exec, s[16:17]
	s_cbranch_vccz .LBB65_317
; %bb.307:                              ;   in Loop: Header=BB65_15 Depth=1
                                        ; implicit-def: $vgpr43
	s_mov_b64 s[16:17], exec
	v_readlane_b32 s8, v49, 43
	v_readlane_b32 s9, v49, 44
	s_and_b64 s[8:9], s[16:17], s[8:9]
	s_mov_b64 exec, s[8:9]
	s_cbranch_execz .LBB65_316
; %bb.308:                              ;   in Loop: Header=BB65_15 Depth=1
	s_mov_b64 s[22:23], 0
	v_mov_b32_e32 v8, v7
	v_mov_b32_e32 v2, v0
                                        ; implicit-def: $sgpr24_sgpr25
	s_branch .LBB65_311
.LBB65_309:                             ;   in Loop: Header=BB65_311 Depth=2
	s_or_b64 exec, exec, s[8:9]
	s_waitcnt lgkmcnt(0)
	s_barrier
	ds_read_b32 v3, v9 offset:3072
	s_mov_b64 s[8:9], -1
	s_waitcnt lgkmcnt(0)
	s_barrier
	v_cmp_eq_u32_sdwa s[28:29], v3, v9 src0_sel:WORD_0 src1_sel:DWORD
	s_and_b64 vcc, exec, s[28:29]
	s_mov_b64 s[28:29], -1
	s_cbranch_vccnz .LBB65_314
.LBB65_310:                             ;   in Loop: Header=BB65_311 Depth=2
	s_and_b64 s[8:9], exec, s[8:9]
	s_or_b64 s[22:23], s[8:9], s[22:23]
	s_andn2_b64 s[8:9], s[24:25], exec
	s_and_b64 s[24:25], s[28:29], exec
	s_or_b64 s[24:25], s[8:9], s[24:25]
	s_andn2_b64 exec, exec, s[22:23]
	s_cbranch_execz .LBB65_315
.LBB65_311:                             ;   Parent Loop BB65_15 Depth=1
                                        ; =>  This Inner Loop Header: Depth=2
	v_cmp_gt_u32_e32 vcc, s36, v2
	s_and_saveexec_b64 s[8:9], vcc
	s_cbranch_execz .LBB65_309
; %bb.312:                              ;   in Loop: Header=BB65_311 Depth=2
	v_lshlrev_b64 v[12:13], 1, v[8:9]
	v_mov_b32_e32 v3, s42
	v_add_co_u32_e32 v12, vcc, s40, v12
	v_addc_co_u32_e32 v13, vcc, v3, v13, vcc
	global_load_ushort v3, v[12:13], off
	s_waitcnt vmcnt(0)
	v_add_u32_sdwa v12, sext(v3), s5 dst_sel:DWORD dst_unused:UNUSED_PAD src0_sel:WORD_0 src1_sel:DWORD
	v_and_b32_e32 v12, v12, v42
	v_cmp_eq_u32_e32 vcc, v12, v37
	s_and_b64 exec, exec, vcc
	s_cbranch_execz .LBB65_309
; %bb.313:                              ;   in Loop: Header=BB65_311 Depth=2
	v_perm_b32 v3, v3, 1, v41
	ds_write_b32 v9, v3 offset:3072
	s_branch .LBB65_309
.LBB65_314:                             ;   in Loop: Header=BB65_311 Depth=2
	v_add_u32_e32 v2, s48, v2
	v_cmp_le_u32_e32 vcc, s61, v2
	v_add_u32_e32 v8, s54, v8
	s_mov_b64 s[28:29], 0
	s_orn2_b64 s[8:9], vcc, exec
	s_branch .LBB65_310
.LBB65_315:                             ;   in Loop: Header=BB65_15 Depth=1
	s_or_b64 exec, exec, s[22:23]
	s_andn2_b64 s[8:9], s[14:15], exec
	s_and_b64 s[14:15], s[24:25], exec
	v_lshrrev_b32_e32 v43, 16, v3
	s_or_b64 s[14:15], s[8:9], s[14:15]
.LBB65_316:                             ;   in Loop: Header=BB65_15 Depth=1
	s_or_b64 exec, exec, s[16:17]
	s_mov_b64 s[88:89], 0
	s_mov_b64 s[90:91], -1
.LBB65_317:                             ;   in Loop: Header=BB65_15 Depth=1
	s_orn2_b64 s[8:9], s[14:15], exec
.LBB65_318:                             ;   in Loop: Header=BB65_15 Depth=1
	s_or_b64 exec, exec, s[2:3]
	s_mov_b64 s[2:3], 0
	s_and_saveexec_b64 s[92:93], s[8:9]
	s_cbranch_execz .LBB65_407
; %bb.319:                              ;   in Loop: Header=BB65_15 Depth=1
	s_xor_b64 s[12:13], s[12:13], -1
	s_mov_b64 s[8:9], 0
	v_mov_b32_e32 v2, 1
	v_mov_b32_e32 v1, 1
	s_and_saveexec_b64 s[2:3], s[12:13]
	s_cbranch_execz .LBB65_328
; %bb.320:                              ;   in Loop: Header=BB65_15 Depth=1
	v_cmp_ge_u32_e32 vcc, s47, v4
	s_and_saveexec_b64 s[8:9], vcc
	s_xor_b64 s[8:9], exec, s[8:9]
	s_cbranch_execz .LBB65_325
; %bb.321:                              ;   in Loop: Header=BB65_15 Depth=1
	v_and_b32_e32 v1, s51, v37
	v_lshl_or_b32 v37, 2, s38, v1
	ds_read_b32 v1, v9 offset:4096
	v_or_b32_e32 v42, s50, v42
	s_waitcnt lgkmcnt(0)
	v_cmp_ne_u32_e32 vcc, 0, v1
	s_cbranch_vccnz .LBB65_325
; %bb.322:                              ;   in Loop: Header=BB65_15 Depth=1
	s_mov_b64 s[12:13], exec
	v_readlane_b32 s14, v49, 7
	v_readlane_b32 s15, v49, 8
	s_and_b64 s[14:15], s[12:13], s[14:15]
	s_mov_b64 exec, s[14:15]
; %bb.323:                              ;   in Loop: Header=BB65_15 Depth=1
	v_mov_b32_e32 v1, s47
	ds_write_b32 v9, v1 offset:4100
; %bb.324:                              ;   in Loop: Header=BB65_15 Depth=1
	s_or_b64 exec, exec, s[12:13]
	s_waitcnt lgkmcnt(0)
	s_barrier
.LBB65_325:                             ;   in Loop: Header=BB65_15 Depth=1
	s_or_saveexec_b64 s[8:9], s[8:9]
	s_mov_b64 s[12:13], 0
	v_mov_b32_e32 v1, 5
	s_xor_b64 exec, exec, s[8:9]
; %bb.326:                              ;   in Loop: Header=BB65_15 Depth=1
	v_subrev_u32_e32 v4, s47, v4
	v_mov_b32_e32 v1, 0
	s_mov_b64 s[12:13], exec
; %bb.327:                              ;   in Loop: Header=BB65_15 Depth=1
	s_or_b64 exec, exec, s[8:9]
	s_and_b64 s[8:9], s[12:13], exec
	v_mov_b32_e32 v2, v4
.LBB65_328:                             ;   in Loop: Header=BB65_15 Depth=1
	s_or_b64 exec, exec, s[2:3]
	s_mov_b64 s[2:3], -1
                                        ; implicit-def: $sgpr44_sgpr45
                                        ; implicit-def: $sgpr58_sgpr59
	s_and_saveexec_b64 s[94:95], s[8:9]
	s_cbranch_execz .LBB65_406
; %bb.329:                              ;   in Loop: Header=BB65_15 Depth=1
	s_cmp_eq_u32 s46, 1
	s_cselect_b64 s[2:3], -1, 0
	v_cmp_eq_u32_e32 vcc, 1, v2
	s_and_b64 s[12:13], s[2:3], vcc
	s_mov_b64 s[8:9], -1
                                        ; implicit-def: $sgpr58_sgpr59
                                        ; implicit-def: $sgpr44_sgpr45
	s_and_saveexec_b64 s[2:3], s[12:13]
	s_cbranch_execz .LBB65_355
; %bb.330:                              ;   in Loop: Header=BB65_15 Depth=1
	ds_read_b32 v3, v9 offset:4096
	s_waitcnt lgkmcnt(0)
	s_barrier
	v_readfirstlane_b32 s47, v3
	s_mov_b64 s[8:9], exec
	v_readlane_b32 s14, v49, 21
	v_readlane_b32 s15, v49, 22
	s_and_b64 s[14:15], s[8:9], s[14:15]
	s_mov_b64 exec, s[14:15]
; %bb.331:                              ;   in Loop: Header=BB65_15 Depth=1
	ds_write_b16 v26, v9
; %bb.332:                              ;   in Loop: Header=BB65_15 Depth=1
	s_or_b64 exec, exec, s[8:9]
	v_and_b32_e32 v3, s51, v37
	v_lshl_or_b32 v37, 1, s38, v3
	v_or_b32_e32 v42, s50, v42
	s_mov_b64 s[44:45], -1
	s_mov_b64 s[58:59], 0
	s_cmp_eq_u32 s47, 0
	s_mov_b64 s[14:15], 0
	s_mov_b64 s[16:17], -1
	s_waitcnt lgkmcnt(0)
	s_barrier
                                        ; implicit-def: $vgpr43
	s_cbranch_scc1 .LBB65_343
; %bb.333:                              ;   in Loop: Header=BB65_15 Depth=1
	v_readlane_b32 s8, v49, 23
	s_add_i32 s8, s47, s8
	v_readlane_b32 s9, v49, 42
	s_mul_hi_u32 s9, s8, s9
	s_mul_i32 s9, s9, s48
	s_sub_i32 s9, s8, s9
	s_sub_i32 s14, s9, s48
	s_cmp_ge_u32 s9, s48
	s_cselect_b32 s9, s14, s9
	s_sub_i32 s14, s9, s48
	s_cmp_ge_u32 s9, s48
	s_cselect_b32 s9, s14, s9
	s_sub_i32 s52, s8, s9
	v_cmp_gt_u32_e32 vcc, s52, v0
	s_mov_b64 s[16:17], 0
	s_mov_b64 s[14:15], 0
                                        ; implicit-def: $vgpr43
	s_and_saveexec_b64 s[24:25], vcc
	s_cbranch_execz .LBB65_342
; %bb.334:                              ;   in Loop: Header=BB65_15 Depth=1
	v_mov_b32_e32 v3, v25
	v_mov_b32_e32 v4, v0
                                        ; implicit-def: $sgpr22_sgpr23
	s_branch .LBB65_337
.LBB65_335:                             ;   in Loop: Header=BB65_337 Depth=2
	s_or_b64 exec, exec, s[8:9]
	s_waitcnt lgkmcnt(0)
	s_barrier
	ds_read_b32 v8, v9 offset:3072
	s_mov_b64 s[8:9], -1
	s_waitcnt lgkmcnt(0)
	s_barrier
	v_cmp_ne_u32_sdwa s[28:29], v8, v9 src0_sel:WORD_0 src1_sel:DWORD
	s_and_b64 vcc, exec, s[28:29]
	s_mov_b64 s[28:29], -1
	s_cbranch_vccz .LBB65_340
.LBB65_336:                             ;   in Loop: Header=BB65_337 Depth=2
	s_and_b64 s[8:9], exec, s[8:9]
	s_or_b64 s[14:15], s[8:9], s[14:15]
	s_andn2_b64 s[8:9], s[22:23], exec
	s_and_b64 s[22:23], s[28:29], exec
	s_or_b64 s[22:23], s[8:9], s[22:23]
	s_andn2_b64 exec, exec, s[14:15]
	s_cbranch_execz .LBB65_341
.LBB65_337:                             ;   Parent Loop BB65_15 Depth=1
                                        ; =>  This Inner Loop Header: Depth=2
	v_cmp_gt_u32_e32 vcc, s47, v4
	s_and_saveexec_b64 s[8:9], vcc
	s_cbranch_execz .LBB65_335
; %bb.338:                              ;   in Loop: Header=BB65_337 Depth=2
	ds_read_u16 v8, v3
	s_waitcnt lgkmcnt(0)
	v_add_u32_sdwa v12, sext(v8), s5 dst_sel:DWORD dst_unused:UNUSED_PAD src0_sel:WORD_0 src1_sel:DWORD
	v_and_b32_e32 v12, v12, v42
	v_cmp_eq_u32_e32 vcc, v12, v37
	s_and_b64 exec, exec, vcc
	s_cbranch_execz .LBB65_335
; %bb.339:                              ;   in Loop: Header=BB65_337 Depth=2
	v_perm_b32 v8, v8, 1, v41
	ds_write_b32 v9, v8 offset:3072
	s_branch .LBB65_335
.LBB65_340:                             ;   in Loop: Header=BB65_337 Depth=2
	v_add_u32_e32 v4, s48, v4
	v_cmp_le_u32_e32 vcc, s52, v4
	v_add_u32_e32 v3, s4, v3
	s_mov_b64 s[28:29], 0
	s_orn2_b64 s[8:9], vcc, exec
	s_branch .LBB65_336
.LBB65_341:                             ;   in Loop: Header=BB65_15 Depth=1
	s_or_b64 exec, exec, s[14:15]
	v_lshrrev_b32_e32 v43, 16, v8
	s_and_b64 s[14:15], s[22:23], exec
.LBB65_342:                             ;   in Loop: Header=BB65_15 Depth=1
	s_or_b64 exec, exec, s[24:25]
.LBB65_343:                             ;   in Loop: Header=BB65_15 Depth=1
	s_and_b64 vcc, exec, s[16:17]
	s_cbranch_vccz .LBB65_354
; %bb.344:                              ;   in Loop: Header=BB65_15 Depth=1
                                        ; implicit-def: $vgpr43
	s_mov_b64 s[16:17], exec
	v_readlane_b32 s8, v49, 43
	v_readlane_b32 s9, v49, 44
	s_and_b64 s[8:9], s[16:17], s[8:9]
	s_mov_b64 exec, s[8:9]
	s_cbranch_execz .LBB65_353
; %bb.345:                              ;   in Loop: Header=BB65_15 Depth=1
	s_mov_b64 s[22:23], 0
	v_mov_b32_e32 v8, v7
	v_mov_b32_e32 v3, v0
                                        ; implicit-def: $sgpr24_sgpr25
	s_branch .LBB65_348
.LBB65_346:                             ;   in Loop: Header=BB65_348 Depth=2
	s_or_b64 exec, exec, s[8:9]
	s_waitcnt lgkmcnt(0)
	s_barrier
	ds_read_b32 v4, v9 offset:3072
	s_mov_b64 s[8:9], -1
	s_waitcnt lgkmcnt(0)
	s_barrier
	v_cmp_eq_u32_sdwa s[28:29], v4, v9 src0_sel:WORD_0 src1_sel:DWORD
	s_and_b64 vcc, exec, s[28:29]
	s_mov_b64 s[28:29], -1
	s_cbranch_vccnz .LBB65_351
.LBB65_347:                             ;   in Loop: Header=BB65_348 Depth=2
	s_and_b64 s[8:9], exec, s[8:9]
	s_or_b64 s[22:23], s[8:9], s[22:23]
	s_andn2_b64 s[8:9], s[24:25], exec
	s_and_b64 s[24:25], s[28:29], exec
	s_or_b64 s[24:25], s[8:9], s[24:25]
	s_andn2_b64 exec, exec, s[22:23]
	s_cbranch_execz .LBB65_352
.LBB65_348:                             ;   Parent Loop BB65_15 Depth=1
                                        ; =>  This Inner Loop Header: Depth=2
	v_cmp_gt_u32_e32 vcc, s36, v3
	s_and_saveexec_b64 s[8:9], vcc
	s_cbranch_execz .LBB65_346
; %bb.349:                              ;   in Loop: Header=BB65_348 Depth=2
	v_lshlrev_b64 v[12:13], 1, v[8:9]
	v_mov_b32_e32 v4, s42
	v_add_co_u32_e32 v12, vcc, s40, v12
	v_addc_co_u32_e32 v13, vcc, v4, v13, vcc
	global_load_ushort v4, v[12:13], off
	s_waitcnt vmcnt(0)
	v_add_u32_sdwa v12, sext(v4), s5 dst_sel:DWORD dst_unused:UNUSED_PAD src0_sel:WORD_0 src1_sel:DWORD
	v_and_b32_e32 v12, v12, v42
	v_cmp_eq_u32_e32 vcc, v12, v37
	s_and_b64 exec, exec, vcc
	s_cbranch_execz .LBB65_346
; %bb.350:                              ;   in Loop: Header=BB65_348 Depth=2
	v_perm_b32 v4, v4, 1, v41
	ds_write_b32 v9, v4 offset:3072
	s_branch .LBB65_346
.LBB65_351:                             ;   in Loop: Header=BB65_348 Depth=2
	v_add_u32_e32 v3, s48, v3
	v_cmp_le_u32_e32 vcc, s61, v3
	v_add_u32_e32 v8, s54, v8
	s_mov_b64 s[28:29], 0
	s_orn2_b64 s[8:9], vcc, exec
	s_branch .LBB65_347
.LBB65_352:                             ;   in Loop: Header=BB65_15 Depth=1
	s_or_b64 exec, exec, s[22:23]
	s_andn2_b64 s[8:9], s[14:15], exec
	s_and_b64 s[14:15], s[24:25], exec
	v_lshrrev_b32_e32 v43, 16, v4
	s_or_b64 s[14:15], s[8:9], s[14:15]
.LBB65_353:                             ;   in Loop: Header=BB65_15 Depth=1
	s_or_b64 exec, exec, s[16:17]
	s_mov_b64 s[44:45], 0
	s_mov_b64 s[58:59], -1
.LBB65_354:                             ;   in Loop: Header=BB65_15 Depth=1
	s_orn2_b64 s[8:9], s[14:15], exec
.LBB65_355:                             ;   in Loop: Header=BB65_15 Depth=1
	s_or_b64 exec, exec, s[2:3]
	s_mov_b64 s[2:3], 0
	s_and_saveexec_b64 s[14:15], s[8:9]
	s_cbranch_execz .LBB65_405
; %bb.356:                              ;   in Loop: Header=BB65_15 Depth=1
	s_xor_b64 s[12:13], s[12:13], -1
	s_mov_b64 s[8:9], 0
	v_mov_b32_e32 v3, 1
	v_mov_b32_e32 v1, 1
	s_and_saveexec_b64 s[2:3], s[12:13]
	s_cbranch_execz .LBB65_365
; %bb.357:                              ;   in Loop: Header=BB65_15 Depth=1
	v_cmp_ge_u32_e32 vcc, s46, v2
	s_and_saveexec_b64 s[8:9], vcc
	s_xor_b64 s[8:9], exec, s[8:9]
	s_cbranch_execz .LBB65_362
; %bb.358:                              ;   in Loop: Header=BB65_15 Depth=1
	v_and_b32_e32 v1, s51, v37
	v_lshl_or_b32 v37, 1, s38, v1
	ds_read_b32 v1, v9 offset:4096
	v_or_b32_e32 v42, s50, v42
	s_waitcnt lgkmcnt(0)
	v_cmp_ne_u32_e32 vcc, 0, v1
	s_cbranch_vccnz .LBB65_362
; %bb.359:                              ;   in Loop: Header=BB65_15 Depth=1
	s_mov_b64 s[12:13], exec
	v_readlane_b32 s16, v49, 7
	v_readlane_b32 s17, v49, 8
	s_and_b64 s[16:17], s[12:13], s[16:17]
	s_mov_b64 exec, s[16:17]
; %bb.360:                              ;   in Loop: Header=BB65_15 Depth=1
	v_mov_b32_e32 v1, s46
	ds_write_b32 v9, v1 offset:4100
; %bb.361:                              ;   in Loop: Header=BB65_15 Depth=1
	s_or_b64 exec, exec, s[12:13]
	s_waitcnt lgkmcnt(0)
	s_barrier
.LBB65_362:                             ;   in Loop: Header=BB65_15 Depth=1
	s_or_saveexec_b64 s[8:9], s[8:9]
	s_mov_b64 s[12:13], 0
	v_mov_b32_e32 v1, 5
	s_xor_b64 exec, exec, s[8:9]
; %bb.363:                              ;   in Loop: Header=BB65_15 Depth=1
	v_subrev_u32_e32 v2, s46, v2
	v_mov_b32_e32 v1, 0
	s_mov_b64 s[12:13], exec
; %bb.364:                              ;   in Loop: Header=BB65_15 Depth=1
	s_or_b64 exec, exec, s[8:9]
	s_and_b64 s[8:9], s[12:13], exec
	v_mov_b32_e32 v3, v2
.LBB65_365:                             ;   in Loop: Header=BB65_15 Depth=1
	s_or_b64 exec, exec, s[2:3]
	s_mov_b64 s[2:3], -1
                                        ; implicit-def: $sgpr12_sgpr13
                                        ; implicit-def: $sgpr52_sgpr53
	s_and_saveexec_b64 s[16:17], s[8:9]
	s_cbranch_execz .LBB65_404
; %bb.366:                              ;   in Loop: Header=BB65_15 Depth=1
	s_cmp_eq_u32 s39, 1
	s_cselect_b64 s[2:3], -1, 0
	v_cmp_eq_u32_e32 vcc, 1, v3
	s_mov_b64 s[8:9], -1
	s_and_b64 s[2:3], s[2:3], vcc
                                        ; implicit-def: $sgpr12_sgpr13
                                        ; implicit-def: $sgpr52_sgpr53
	s_mov_b64 s[28:29], exec
	v_writelane_b32 v49, s2, 47
	v_writelane_b32 v49, s3, 48
	s_and_b64 s[2:3], s[28:29], s[2:3]
	s_mov_b64 exec, s[2:3]
	s_cbranch_execz .LBB65_392
; %bb.367:                              ;   in Loop: Header=BB65_15 Depth=1
	ds_read_b32 v2, v9 offset:4096
	s_waitcnt lgkmcnt(0)
	s_barrier
	v_readfirstlane_b32 s24, v2
	s_mov_b64 s[8:9], exec
	v_readlane_b32 s2, v49, 21
	v_readlane_b32 s3, v49, 22
	s_and_b64 s[2:3], s[8:9], s[2:3]
	s_mov_b64 exec, s[2:3]
; %bb.368:                              ;   in Loop: Header=BB65_15 Depth=1
	ds_write_b16 v26, v9
; %bb.369:                              ;   in Loop: Header=BB65_15 Depth=1
	s_or_b64 exec, exec, s[8:9]
	v_and_b32_e32 v37, s51, v37
	v_or_b32_e32 v42, s50, v42
	s_mov_b64 s[52:53], -1
	s_mov_b64 s[12:13], 0
	s_cmp_eq_u32 s24, 0
	s_mov_b64 s[56:57], 0
	s_mov_b64 s[46:47], -1
	s_waitcnt lgkmcnt(0)
	s_barrier
                                        ; implicit-def: $vgpr43
	s_cbranch_scc1 .LBB65_380
; %bb.370:                              ;   in Loop: Header=BB65_15 Depth=1
	v_readlane_b32 s2, v49, 23
	s_add_i32 s2, s24, s2
	v_readlane_b32 s3, v49, 42
	s_mul_hi_u32 s3, s2, s3
	s_mul_i32 s3, s3, s48
	s_sub_i32 s3, s2, s3
	s_sub_i32 s8, s3, s48
	s_cmp_ge_u32 s3, s48
	s_cselect_b32 s3, s8, s3
	s_sub_i32 s8, s3, s48
	s_cmp_ge_u32 s3, s48
	s_cselect_b32 s3, s8, s3
	s_sub_i32 s25, s2, s3
	v_cmp_gt_u32_e32 vcc, s25, v0
	s_mov_b64 s[46:47], 0
                                        ; implicit-def: $vgpr43
	s_and_saveexec_b64 s[2:3], vcc
	s_cbranch_execz .LBB65_379
; %bb.371:                              ;   in Loop: Header=BB65_15 Depth=1
	s_mov_b64 s[22:23], 0
	v_mov_b32_e32 v2, v25
	v_mov_b32_e32 v4, v0
                                        ; implicit-def: $sgpr56_sgpr57
	s_branch .LBB65_374
.LBB65_372:                             ;   in Loop: Header=BB65_374 Depth=2
	s_or_b64 exec, exec, s[8:9]
	s_waitcnt lgkmcnt(0)
	s_barrier
	ds_read_b32 v8, v9 offset:3072
	s_mov_b64 s[8:9], -1
	s_waitcnt lgkmcnt(0)
	s_barrier
	v_cmp_ne_u32_sdwa s[52:53], v8, v9 src0_sel:WORD_0 src1_sel:DWORD
	s_and_b64 vcc, exec, s[52:53]
	s_mov_b64 s[52:53], -1
	s_cbranch_vccz .LBB65_377
.LBB65_373:                             ;   in Loop: Header=BB65_374 Depth=2
	s_and_b64 s[8:9], exec, s[8:9]
	s_or_b64 s[22:23], s[8:9], s[22:23]
	s_andn2_b64 s[8:9], s[56:57], exec
	s_and_b64 s[52:53], s[52:53], exec
	s_or_b64 s[56:57], s[8:9], s[52:53]
	s_andn2_b64 exec, exec, s[22:23]
	s_cbranch_execz .LBB65_378
.LBB65_374:                             ;   Parent Loop BB65_15 Depth=1
                                        ; =>  This Inner Loop Header: Depth=2
	v_cmp_gt_u32_e32 vcc, s24, v4
	s_and_saveexec_b64 s[8:9], vcc
	s_cbranch_execz .LBB65_372
; %bb.375:                              ;   in Loop: Header=BB65_374 Depth=2
	ds_read_u16 v8, v2
	s_waitcnt lgkmcnt(0)
	v_add_u32_sdwa v12, sext(v8), s5 dst_sel:DWORD dst_unused:UNUSED_PAD src0_sel:WORD_0 src1_sel:DWORD
	v_and_b32_e32 v12, v12, v42
	v_cmp_eq_u32_e32 vcc, v12, v37
	s_and_b64 exec, exec, vcc
	s_cbranch_execz .LBB65_372
; %bb.376:                              ;   in Loop: Header=BB65_374 Depth=2
	v_perm_b32 v8, v8, 1, v41
	ds_write_b32 v9, v8 offset:3072
	s_branch .LBB65_372
.LBB65_377:                             ;   in Loop: Header=BB65_374 Depth=2
	v_add_u32_e32 v4, s48, v4
	v_cmp_le_u32_e32 vcc, s25, v4
	v_add_u32_e32 v2, s4, v2
	s_mov_b64 s[52:53], 0
	s_orn2_b64 s[8:9], vcc, exec
	s_branch .LBB65_373
.LBB65_378:                             ;   in Loop: Header=BB65_15 Depth=1
	s_or_b64 exec, exec, s[22:23]
	v_lshrrev_b32_e32 v43, 16, v8
	s_and_b64 s[56:57], s[56:57], exec
	s_mov_b64 s[52:53], -1
.LBB65_379:                             ;   in Loop: Header=BB65_15 Depth=1
	s_or_b64 exec, exec, s[2:3]
.LBB65_380:                             ;   in Loop: Header=BB65_15 Depth=1
	s_and_b64 vcc, exec, s[46:47]
	s_cbranch_vccz .LBB65_391
; %bb.381:                              ;   in Loop: Header=BB65_15 Depth=1
                                        ; implicit-def: $vgpr43
	s_mov_b64 s[12:13], exec
	v_readlane_b32 s2, v49, 43
	v_readlane_b32 s3, v49, 44
	s_and_b64 s[2:3], s[12:13], s[2:3]
	s_mov_b64 exec, s[2:3]
	s_cbranch_execz .LBB65_390
; %bb.382:                              ;   in Loop: Header=BB65_15 Depth=1
	s_mov_b64 s[22:23], 0
	v_mov_b32_e32 v8, v7
	v_mov_b32_e32 v2, v0
                                        ; implicit-def: $sgpr24_sgpr25
	s_branch .LBB65_385
.LBB65_383:                             ;   in Loop: Header=BB65_385 Depth=2
	s_or_b64 exec, exec, s[8:9]
	s_waitcnt lgkmcnt(0)
	s_barrier
	ds_read_b32 v4, v9 offset:3072
	s_mov_b64 s[8:9], -1
	s_mov_b64 s[52:53], -1
	s_waitcnt lgkmcnt(0)
	s_barrier
	v_cmp_eq_u32_sdwa s[2:3], v4, v9 src0_sel:WORD_0 src1_sel:DWORD
	s_and_b64 vcc, exec, s[2:3]
	s_cbranch_vccnz .LBB65_388
.LBB65_384:                             ;   in Loop: Header=BB65_385 Depth=2
	s_and_b64 s[2:3], exec, s[8:9]
	s_or_b64 s[22:23], s[2:3], s[22:23]
	s_andn2_b64 s[2:3], s[24:25], exec
	s_and_b64 s[8:9], s[52:53], exec
	s_or_b64 s[24:25], s[2:3], s[8:9]
	s_andn2_b64 exec, exec, s[22:23]
	s_cbranch_execz .LBB65_389
.LBB65_385:                             ;   Parent Loop BB65_15 Depth=1
                                        ; =>  This Inner Loop Header: Depth=2
	v_cmp_gt_u32_e32 vcc, s36, v2
	s_and_saveexec_b64 s[8:9], vcc
	s_cbranch_execz .LBB65_383
; %bb.386:                              ;   in Loop: Header=BB65_385 Depth=2
	v_lshlrev_b64 v[12:13], 1, v[8:9]
	v_mov_b32_e32 v4, s42
	v_add_co_u32_e32 v12, vcc, s40, v12
	v_addc_co_u32_e32 v13, vcc, v4, v13, vcc
	global_load_ushort v4, v[12:13], off
	s_waitcnt vmcnt(0)
	v_add_u32_sdwa v12, sext(v4), s5 dst_sel:DWORD dst_unused:UNUSED_PAD src0_sel:WORD_0 src1_sel:DWORD
	v_and_b32_e32 v12, v12, v42
	v_cmp_eq_u32_e32 vcc, v12, v37
	s_and_b64 exec, exec, vcc
	s_cbranch_execz .LBB65_383
; %bb.387:                              ;   in Loop: Header=BB65_385 Depth=2
	v_perm_b32 v4, v4, 1, v41
	ds_write_b32 v9, v4 offset:3072
	s_branch .LBB65_383
.LBB65_388:                             ;   in Loop: Header=BB65_385 Depth=2
	v_add_u32_e32 v2, s48, v2
	v_cmp_le_u32_e32 vcc, s61, v2
	v_add_u32_e32 v8, s54, v8
	s_mov_b64 s[52:53], 0
	s_orn2_b64 s[8:9], vcc, exec
	s_branch .LBB65_384
.LBB65_389:                             ;   in Loop: Header=BB65_15 Depth=1
	s_or_b64 exec, exec, s[22:23]
	s_andn2_b64 s[2:3], s[56:57], exec
	s_and_b64 s[8:9], s[24:25], exec
	v_lshrrev_b32_e32 v43, 16, v4
	s_or_b64 s[56:57], s[2:3], s[8:9]
.LBB65_390:                             ;   in Loop: Header=BB65_15 Depth=1
	s_or_b64 exec, exec, s[12:13]
	s_mov_b64 s[52:53], 0
	s_mov_b64 s[12:13], -1
.LBB65_391:                             ;   in Loop: Header=BB65_15 Depth=1
	s_orn2_b64 s[8:9], s[56:57], exec
.LBB65_392:                             ;   in Loop: Header=BB65_15 Depth=1
	s_or_b64 exec, exec, s[28:29]
	s_mov_b64 s[22:23], 0
	s_and_saveexec_b64 s[28:29], s[8:9]
	s_cbranch_execz .LBB65_403
; %bb.393:                              ;   in Loop: Header=BB65_15 Depth=1
	v_readlane_b32 s2, v49, 47
	v_readlane_b32 s3, v49, 48
	s_xor_b64 s[8:9], s[2:3], -1
	v_mov_b32_e32 v1, 1
	v_mov_b32_e32 v2, 1
	s_and_saveexec_b64 s[2:3], s[8:9]
	s_cbranch_execz .LBB65_402
; %bb.394:                              ;   in Loop: Header=BB65_15 Depth=1
	v_cmp_ge_u32_e32 vcc, s39, v3
	s_and_saveexec_b64 s[8:9], vcc
	s_xor_b64 s[8:9], exec, s[8:9]
	s_cbranch_execz .LBB65_399
; %bb.395:                              ;   in Loop: Header=BB65_15 Depth=1
	ds_read_b32 v1, v9 offset:4096
	v_and_b32_e32 v37, s51, v37
	v_or_b32_e32 v42, s50, v42
	s_waitcnt lgkmcnt(0)
	v_cmp_ne_u32_e32 vcc, 0, v1
	s_cbranch_vccnz .LBB65_399
; %bb.396:                              ;   in Loop: Header=BB65_15 Depth=1
	s_mov_b64 s[22:23], exec
	v_readlane_b32 s24, v49, 7
	v_readlane_b32 s25, v49, 8
	s_and_b64 s[24:25], s[22:23], s[24:25]
	s_mov_b64 exec, s[24:25]
; %bb.397:                              ;   in Loop: Header=BB65_15 Depth=1
	v_mov_b32_e32 v1, s39
	ds_write_b32 v9, v1 offset:4100
; %bb.398:                              ;   in Loop: Header=BB65_15 Depth=1
	s_or_b64 exec, exec, s[22:23]
	s_waitcnt lgkmcnt(0)
	s_barrier
.LBB65_399:                             ;   in Loop: Header=BB65_15 Depth=1
	s_andn2_saveexec_b64 s[8:9], s[8:9]
; %bb.400:                              ;   in Loop: Header=BB65_15 Depth=1
	v_subrev_u32_e32 v3, s39, v3
; %bb.401:                              ;   in Loop: Header=BB65_15 Depth=1
	s_or_b64 exec, exec, s[8:9]
	v_mov_b32_e32 v1, 5
	v_mov_b32_e32 v2, v3
.LBB65_402:                             ;   in Loop: Header=BB65_15 Depth=1
	s_or_b64 exec, exec, s[2:3]
	s_mov_b64 s[22:23], exec
	v_mov_b32_e32 v3, v2
.LBB65_403:                             ;   in Loop: Header=BB65_15 Depth=1
	s_or_b64 exec, exec, s[28:29]
	s_orn2_b64 s[2:3], s[22:23], exec
.LBB65_404:                             ;   in Loop: Header=BB65_15 Depth=1
	s_or_b64 exec, exec, s[16:17]
	s_andn2_b64 s[8:9], s[58:59], exec
	s_and_b64 s[12:13], s[12:13], exec
	s_or_b64 s[58:59], s[8:9], s[12:13]
	s_andn2_b64 s[8:9], s[44:45], exec
	s_and_b64 s[12:13], s[52:53], exec
	s_or_b64 s[44:45], s[8:9], s[12:13]
	s_and_b64 s[2:3], s[2:3], exec
	v_mov_b32_e32 v2, v3
.LBB65_405:                             ;   in Loop: Header=BB65_15 Depth=1
	s_or_b64 exec, exec, s[14:15]
	s_orn2_b64 s[2:3], s[2:3], exec
.LBB65_406:                             ;   in Loop: Header=BB65_15 Depth=1
	s_or_b64 exec, exec, s[94:95]
	s_andn2_b64 s[8:9], s[90:91], exec
	s_and_b64 s[12:13], s[58:59], exec
	s_or_b64 s[90:91], s[8:9], s[12:13]
	s_andn2_b64 s[8:9], s[88:89], exec
	s_and_b64 s[12:13], s[44:45], exec
	s_or_b64 s[88:89], s[8:9], s[12:13]
	s_and_b64 s[2:3], s[2:3], exec
	v_mov_b32_e32 v4, v2
.LBB65_407:                             ;   in Loop: Header=BB65_15 Depth=1
	s_or_b64 exec, exec, s[92:93]
	s_orn2_b64 s[2:3], s[2:3], exec
.LBB65_408:                             ;   in Loop: Header=BB65_15 Depth=1
	s_or_b64 exec, exec, s[6:7]
	s_mov_b64 s[6:7], s[84:85]
	s_mov_b64 s[8:9], s[34:35]
	s_and_saveexec_b64 s[12:13], s[2:3]
; %bb.409:                              ;   in Loop: Header=BB65_15 Depth=1
	v_cmp_ne_u32_e64 s[6:7], 5, v1
	v_cmp_eq_u32_e32 vcc, 5, v1
	s_andn2_b64 s[2:3], s[34:35], exec
	s_and_b64 s[6:7], s[6:7], exec
	s_or_b64 s[8:9], s[2:3], s[6:7]
	s_andn2_b64 s[2:3], s[84:85], exec
	s_and_b64 s[6:7], vcc, exec
	s_or_b64 s[6:7], s[2:3], s[6:7]
; %bb.410:                              ;   in Loop: Header=BB65_15 Depth=1
	s_or_b64 exec, exec, s[12:13]
	s_andn2_b64 s[2:3], s[26:27], exec
	s_and_b64 s[12:13], s[90:91], exec
	s_or_b64 s[26:27], s[2:3], s[12:13]
	s_andn2_b64 s[2:3], s[30:31], exec
	s_and_b64 s[12:13], s[88:89], exec
	s_or_b64 s[30:31], s[2:3], s[12:13]
	;; [unrolled: 3-line block ×4, first 2 shown]
.LBB65_411:                             ;   in Loop: Header=BB65_15 Depth=1
	s_or_b64 exec, exec, s[86:87]
	s_mov_b64 s[86:87], 0
	s_mov_b64 s[88:89], 0
	s_and_saveexec_b64 s[2:3], s[84:85]
.LBB65_412:                             ;   in Loop: Header=BB65_15 Depth=1
	v_mov_b32_e32 v1, 0
	s_or_b64 s[34:35], s[34:35], exec
.LBB65_413:                             ;   in Loop: Header=BB65_15 Depth=1
	s_or_b64 exec, exec, s[2:3]
	s_andn2_b64 s[2:3], s[80:81], exec
	s_and_b64 s[8:9], s[26:27], exec
	s_or_b64 s[80:81], s[2:3], s[8:9]
	s_andn2_b64 s[2:3], s[78:79], exec
	s_and_b64 s[8:9], s[30:31], exec
	s_or_b64 s[78:79], s[2:3], s[8:9]
	;; [unrolled: 3-line block ×3, first 2 shown]
	s_andn2_b64 s[2:3], s[74:75], exec
	s_and_b64 s[8:9], s[86:87], exec
	s_mov_b64 s[6:7], -1
	s_andn2_b64 s[82:83], s[82:83], exec
	s_or_b64 s[74:75], s[2:3], s[8:9]
	v_mov_b32_e32 v44, v4
	s_and_saveexec_b64 s[2:3], s[34:35]
	s_xor_b64 s[2:3], exec, s[2:3]
	s_cbranch_execz .LBB65_14
; %bb.414:                              ;   in Loop: Header=BB65_15 Depth=1
	v_cmp_eq_u32_e32 vcc, 0, v1
	s_mov_b64 s[8:9], -1
	s_and_saveexec_b64 s[12:13], vcc
	s_cbranch_execz .LBB65_13
; %bb.415:                              ;   in Loop: Header=BB65_15 Depth=1
	s_xor_b32 s49, s49, 1
	s_add_i32 s14, s38, -2
	s_cmp_eq_u32 s38, 0
	s_cselect_b64 s[6:7], -1, 0
	s_xor_b64 s[8:9], exec, -1
	s_orn2_b64 s[6:7], s[6:7], exec
	s_mov_b32 s38, s14
	s_branch .LBB65_13
.LBB65_416:
	s_or_b64 exec, exec, s[62:63]
	s_xor_b64 s[6:7], s[72:73], -1
	s_xor_b64 s[14:15], s[70:71], -1
	;; [unrolled: 1-line block ×5, first 2 shown]
	s_mov_b64 s[8:9], 0
	s_and_saveexec_b64 s[10:11], s[4:5]
	s_xor_b64 s[10:11], exec, s[10:11]
	s_cbranch_execnz .LBB65_421
; %bb.417:
	s_andn2_saveexec_b64 s[0:1], s[10:11]
	s_cbranch_execnz .LBB65_440
.LBB65_418:
	s_or_b64 exec, exec, s[0:1]
	s_and_saveexec_b64 s[0:1], s[8:9]
.LBB65_419:
	; divergent unreachable
.LBB65_420:
	s_endpgm
.LBB65_421:
	s_and_saveexec_b64 s[4:5], s[12:13]
	s_xor_b64 s[12:13], exec, s[4:5]
	s_cbranch_execz .LBB65_438
; %bb.422:
	s_and_saveexec_b64 s[4:5], s[14:15]
	s_xor_b64 s[14:15], exec, s[4:5]
	s_cbranch_execz .LBB65_436
; %bb.423:
	;; [unrolled: 4-line block ×3, first 2 shown]
	s_and_saveexec_b64 s[4:5], s[2:3]
	s_xor_b64 s[2:3], exec, s[4:5]
; %bb.425:
	v_xor_b32_e32 v43, 0xffff8000, v37
; %bb.426:
	s_or_b64 exec, exec, s[2:3]
	s_mov_b64 s[2:3], exec
	v_readlane_b32 s4, v49, 7
	v_readlane_b32 s5, v49, 8
	;; [unrolled: 1-line block ×3, first 2 shown]
	s_and_b64 s[4:5], s[2:3], s[4:5]
	v_readlane_b32 s47, v49, 10
	s_mov_b64 exec, s[4:5]
; %bb.427:
	v_mov_b32_e32 v1, 0
	ds_write_b32 v1, v1 offset:4108
; %bb.428:
	s_or_b64 exec, exec, s[2:3]
	v_mov_b32_e32 v4, 0
	s_waitcnt lgkmcnt(0)
	s_barrier
	s_mov_b64 s[2:3], exec
	v_readlane_b32 s4, v49, 17
	v_readlane_b32 s5, v49, 18
	s_and_b64 s[4:5], s[2:3], s[4:5]
	s_mov_b64 exec, s[4:5]
	s_cbranch_execz .LBB65_430
; %bb.429:
	global_load_ushort v4, v[5:6], off
.LBB65_430:
	s_or_b64 exec, exec, s[2:3]
	v_readlane_b32 s4, v49, 3
	v_readlane_b32 s5, v49, 4
	s_load_dword s3, s[4:5], 0x23c
	v_readlane_b32 s2, v49, 0
	s_mul_i32 s2, s2, s18
	s_add_i32 s30, s36, 63
	s_add_i32 s2, s2, s41
	s_waitcnt lgkmcnt(0)
	s_mul_i32 s3, s3, s55
	s_load_dword s31, s[4:5], 0x2a8
	s_load_dword s34, s[4:5], 0x1c8
	s_add_i32 s4, s3, s43
	s_mov_b32 s3, 0
	s_andn2_b32 s30, s30, 63
	s_lshl_b64 s[6:7], s[2:3], 1
	v_readlane_b32 s8, v49, 1
	v_readlane_b32 s9, v49, 2
	s_add_u32 s35, s8, s6
	s_mov_b32 s5, s3
	s_addc_u32 s38, s9, s7
	s_lshl_b64 s[2:3], s[4:5], 3
	v_readlane_b32 s4, v49, 5
	v_readlane_b32 s5, v49, 6
	s_add_u32 s39, s4, s2
	s_addc_u32 s41, s5, s3
	v_cmp_gt_u32_e32 vcc, s30, v0
	s_mov_b64 s[18:19], -1
	s_mov_b64 s[2:3], 0
	s_mov_b64 s[4:5], 0
	s_and_saveexec_b64 s[8:9], vcc
	s_cbranch_execnz .LBB65_441
; %bb.431:
	s_or_b64 exec, exec, s[8:9]
	s_and_saveexec_b64 s[6:7], s[18:19]
	s_cbranch_execnz .LBB65_456
.LBB65_432:
	s_or_b64 exec, exec, s[6:7]
	s_and_saveexec_b64 s[0:1], s[4:5]
	s_xor_b64 s[0:1], exec, s[0:1]
	s_cbranch_execnz .LBB65_479
.LBB65_433:
	s_or_b64 exec, exec, s[0:1]
	s_and_b64 s[8:9], s[2:3], exec
.LBB65_434:
	s_andn2_saveexec_b64 s[0:1], s[16:17]
	s_cbranch_execnz .LBB65_481
.LBB65_435:
	s_or_b64 exec, exec, s[0:1]
	s_and_b64 s[8:9], s[8:9], exec
.LBB65_436:
	s_andn2_saveexec_b64 s[0:1], s[14:15]
	s_cbranch_execnz .LBB65_480
.LBB65_437:
	s_or_b64 exec, exec, s[0:1]
	s_and_b64 s[8:9], s[8:9], exec
.LBB65_438:
	s_andn2_saveexec_b64 s[0:1], s[12:13]
	s_cbranch_execnz .LBB65_475
.LBB65_439:
	s_or_b64 exec, exec, s[0:1]
	s_and_b64 s[8:9], s[8:9], exec
	s_andn2_saveexec_b64 s[0:1], s[10:11]
	s_cbranch_execz .LBB65_418
.LBB65_440:
	s_or_b64 s[8:9], s[8:9], exec
	s_trap 2
	s_or_b64 exec, exec, s[0:1]
	s_and_saveexec_b64 s[0:1], s[8:9]
	s_cbranch_execnz .LBB65_419
	s_branch .LBB65_420
.LBB65_441:
	v_add_u32_e32 v1, s48, v0
	v_mul_lo_u32 v1, s33, v1
	s_mov_b32 s43, 0x8000
	v_add_u32_sdwa v7, sext(v43), s43 dst_sel:DWORD dst_unused:UNUSED_PAD src0_sel:WORD_0 src1_sel:DWORD
	s_mov_b64 s[18:19], 0
	v_mov_b32_e32 v2, 0
	v_mov_b32_e32 v3, v0
                                        ; implicit-def: $sgpr20_sgpr21
                                        ; implicit-def: $vgpr9
	s_branch .LBB65_443
.LBB65_442:                             ;   in Loop: Header=BB65_443 Depth=1
	s_or_b64 exec, exec, s[24:25]
	s_xor_b64 s[4:5], s[22:23], -1
	s_and_b64 s[6:7], exec, s[6:7]
	s_or_b64 s[18:19], s[6:7], s[18:19]
	s_andn2_b64 s[6:7], s[20:21], exec
	s_and_b64 s[4:5], s[4:5], exec
	s_or_b64 s[20:21], s[6:7], s[4:5]
	v_mov_b32_e32 v4, v10
	v_mov_b32_e32 v3, v8
	s_andn2_b64 exec, exec, s[18:19]
	s_cbranch_execz .LBB65_455
.LBB65_443:                             ; =>This Inner Loop Header: Depth=1
	v_add_u32_e32 v8, s48, v3
	v_cmp_gt_u32_e64 s[4:5], s36, v8
	v_mov_b32_e32 v10, 0
	s_and_saveexec_b64 s[6:7], s[4:5]
	s_cbranch_execz .LBB65_445
; %bb.444:                              ;   in Loop: Header=BB65_443 Depth=1
	v_lshlrev_b64 v[10:11], 1, v[1:2]
	v_mov_b32_e32 v12, s42
	v_add_co_u32_e64 v10, s[4:5], s40, v10
	v_addc_co_u32_e64 v11, s[4:5], v12, v11, s[4:5]
	global_load_ushort v10, v[10:11], off
.LBB65_445:                             ;   in Loop: Header=BB65_443 Depth=1
	s_or_b64 exec, exec, s[6:7]
	s_waitcnt vmcnt(0)
	v_add_u32_sdwa v11, sext(v4), s43 dst_sel:DWORD dst_unused:UNUSED_PAD src0_sel:WORD_0 src1_sel:DWORD
	v_cmp_gt_u32_e64 s[6:7], v11, v7
	v_cndmask_b32_e64 v12, 0, 1, s[6:7]
	v_cmp_lt_u32_e64 s[6:7], v11, v7
	v_cndmask_b32_e64 v11, 0, 1, s[6:7]
	v_cndmask_b32_e64 v11, v11, v12, s[46:47]
	v_and_b32_e32 v11, 1, v11
	v_cmp_gt_u32_e64 s[4:5], s36, v3
	v_cmp_eq_u32_e64 s[6:7], 1, v11
	s_and_b64 s[24:25], s[4:5], s[6:7]
	v_cndmask_b32_e64 v11, 0, 1, s[24:25]
	v_cmp_ne_u32_e64 s[4:5], 0, v11
	s_cmp_lg_u64 s[4:5], 0
	s_cselect_b64 s[6:7], -1, 0
	s_and_b64 s[6:7], s[0:1], s[6:7]
	s_and_saveexec_b64 s[22:23], s[6:7]
	s_cbranch_execz .LBB65_449
; %bb.446:                              ;   in Loop: Header=BB65_443 Depth=1
	s_mov_b64 s[28:29], exec
	s_waitcnt lgkmcnt(0)
	v_mbcnt_lo_u32_b32 v9, s28, 0
	v_mbcnt_hi_u32_b32 v9, s29, v9
	s_bcnt1_i32_b64 s44, s[4:5]
	v_cmp_eq_u32_e64 s[6:7], 0, v9
                                        ; implicit-def: $vgpr11
	s_and_saveexec_b64 s[26:27], s[6:7]
; %bb.447:                              ;   in Loop: Header=BB65_443 Depth=1
	s_bcnt1_i32_b64 s6, s[28:29]
	s_mul_i32 s6, s44, s6
	v_mov_b32_e32 v11, s6
	ds_add_rtn_u32 v11, v2, v11 offset:4108
; %bb.448:                              ;   in Loop: Header=BB65_443 Depth=1
	s_or_b64 exec, exec, s[26:27]
	s_waitcnt lgkmcnt(0)
	v_readfirstlane_b32 s6, v11
	v_mov_b32_e32 v11, s6
	v_mad_u32_u24 v9, s44, v9, v11
.LBB65_449:                             ;   in Loop: Header=BB65_443 Depth=1
	s_or_b64 exec, exec, s[22:23]
	s_waitcnt lgkmcnt(0)
	ds_bpermute_b32 v9, v20, v9
	s_mov_b64 s[6:7], -1
	s_mov_b64 s[26:27], -1
	s_and_saveexec_b64 s[22:23], s[24:25]
	s_cbranch_execz .LBB65_453
; %bb.450:                              ;   in Loop: Header=BB65_443 Depth=1
	v_and_b32_e32 v12, s4, v22
	v_and_b32_e32 v11, s5, v21
	v_bcnt_u32_b32 v12, v12, 0
	v_bcnt_u32_b32 v11, v11, v12
	s_waitcnt lgkmcnt(0)
	v_add_u32_e32 v11, v9, v11
	v_cmp_gt_u32_e64 s[4:5], s37, v11
	s_mov_b64 s[24:25], 0
	s_and_saveexec_b64 s[26:27], s[4:5]
; %bb.451:                              ;   in Loop: Header=BB65_443 Depth=1
	v_mul_lo_u32 v12, v11, s34
	v_mov_b32_e32 v13, v2
	v_mul_lo_u32 v11, v11, s31
	v_mov_b32_e32 v14, s38
	v_lshlrev_b64 v[12:13], 1, v[12:13]
	s_mov_b64 s[24:25], exec
	v_add_co_u32_e64 v12, s[4:5], s35, v12
	v_addc_co_u32_e64 v13, s[4:5], v14, v13, s[4:5]
	global_store_short v[12:13], v4, off
	v_mov_b32_e32 v12, v2
	v_lshlrev_b64 v[11:12], 3, v[11:12]
	v_mov_b32_e32 v13, s41
	v_add_co_u32_e64 v11, s[4:5], s39, v11
	v_mov_b32_e32 v4, v2
	v_addc_co_u32_e64 v12, s[4:5], v13, v12, s[4:5]
	global_store_dwordx2 v[11:12], v[3:4], off
; %bb.452:                              ;   in Loop: Header=BB65_443 Depth=1
	s_or_b64 exec, exec, s[26:27]
	s_orn2_b64 s[26:27], s[24:25], exec
.LBB65_453:                             ;   in Loop: Header=BB65_443 Depth=1
	s_or_b64 exec, exec, s[22:23]
	s_mov_b64 s[22:23], -1
	s_and_saveexec_b64 s[24:25], s[26:27]
	s_cbranch_execz .LBB65_442
; %bb.454:                              ;   in Loop: Header=BB65_443 Depth=1
	v_cmp_le_u32_e64 s[4:5], s30, v8
	v_add_u32_e32 v1, s54, v1
	s_xor_b64 s[22:23], exec, -1
	s_orn2_b64 s[6:7], s[4:5], exec
	s_branch .LBB65_442
.LBB65_455:
	s_or_b64 exec, exec, s[18:19]
	s_mov_b64 s[4:5], exec
	s_orn2_b64 s[18:19], s[20:21], exec
	s_or_b64 exec, exec, s[8:9]
	s_and_saveexec_b64 s[6:7], s[18:19]
	s_cbranch_execz .LBB65_432
.LBB65_456:
	v_mov_b32_e32 v1, 0
	s_waitcnt vmcnt(0) lgkmcnt(0)
	s_barrier
	s_mov_b64 s[2:3], exec
	v_readlane_b32 s8, v49, 17
	v_readlane_b32 s9, v49, 18
	s_and_b64 s[8:9], s[2:3], s[8:9]
	s_mov_b64 exec, s[8:9]
	s_cbranch_execz .LBB65_458
; %bb.457:
	global_load_ushort v1, v[5:6], off
.LBB65_458:
	s_or_b64 exec, exec, s[2:3]
	s_mov_b64 s[2:3], 0
	s_and_saveexec_b64 s[8:9], vcc
	s_cbranch_execz .LBB65_478
; %bb.459:
	v_add_u32_e32 v2, s48, v0
	v_mul_lo_u32 v2, s33, v2
	s_mov_b64 s[18:19], 0
	v_mov_b32_e32 v3, 0
                                        ; implicit-def: $sgpr20_sgpr21
                                        ; implicit-def: $vgpr5
	s_branch .LBB65_462
.LBB65_460:                             ;   in Loop: Header=BB65_462 Depth=1
	s_or_b64 exec, exec, s[24:25]
	s_orn2_b64 s[26:27], s[28:29], exec
	s_orn2_b64 s[24:25], s[22:23], exec
.LBB65_461:                             ;   in Loop: Header=BB65_462 Depth=1
	s_or_b64 exec, exec, s[2:3]
	s_xor_b64 s[2:3], s[26:27], -1
	s_and_b64 s[22:23], exec, s[24:25]
	s_or_b64 s[18:19], s[22:23], s[18:19]
	s_andn2_b64 s[20:21], s[20:21], exec
	s_and_b64 s[2:3], s[2:3], exec
	s_or_b64 s[20:21], s[20:21], s[2:3]
	v_mov_b32_e32 v0, v4
	v_mov_b32_e32 v1, v6
	s_andn2_b64 exec, exec, s[18:19]
	s_cbranch_execz .LBB65_476
.LBB65_462:                             ; =>This Inner Loop Header: Depth=1
	v_add_u32_e32 v4, s48, v0
	v_cmp_gt_u32_e32 vcc, s36, v4
	v_mov_b32_e32 v6, 0
	s_and_saveexec_b64 s[2:3], vcc
	s_cbranch_execz .LBB65_464
; %bb.463:                              ;   in Loop: Header=BB65_462 Depth=1
	v_lshlrev_b64 v[6:7], 1, v[2:3]
	v_mov_b32_e32 v8, s42
	v_add_co_u32_e32 v6, vcc, s40, v6
	v_addc_co_u32_e32 v7, vcc, v8, v7, vcc
	global_load_ushort v6, v[6:7], off
.LBB65_464:                             ;   in Loop: Header=BB65_462 Depth=1
	s_or_b64 exec, exec, s[2:3]
	v_cmp_gt_u32_e32 vcc, s36, v0
	s_waitcnt vmcnt(0)
	v_cmp_eq_u16_e64 s[2:3], v1, v43
	s_and_b64 s[22:23], vcc, s[2:3]
	v_cndmask_b32_e64 v1, 0, 1, s[22:23]
	v_cmp_ne_u32_e32 vcc, 0, v1
	s_cmp_lg_u64 vcc, 0
	s_cselect_b64 s[2:3], -1, 0
	s_and_b64 s[2:3], s[0:1], s[2:3]
	s_and_saveexec_b64 s[24:25], s[2:3]
	s_cbranch_execz .LBB65_468
; %bb.465:                              ;   in Loop: Header=BB65_462 Depth=1
	s_mov_b64 s[28:29], exec
	v_mbcnt_lo_u32_b32 v1, s28, 0
	v_mbcnt_hi_u32_b32 v1, s29, v1
	s_bcnt1_i32_b64 s33, vcc
	v_cmp_eq_u32_e64 s[2:3], 0, v1
                                        ; implicit-def: $vgpr5
	s_and_saveexec_b64 s[26:27], s[2:3]
; %bb.466:                              ;   in Loop: Header=BB65_462 Depth=1
	s_bcnt1_i32_b64 s2, s[28:29]
	s_mul_i32 s2, s33, s2
	v_mov_b32_e32 v5, s2
	ds_add_rtn_u32 v5, v3, v5 offset:4108
; %bb.467:                              ;   in Loop: Header=BB65_462 Depth=1
	s_or_b64 exec, exec, s[26:27]
	s_waitcnt lgkmcnt(0)
	v_readfirstlane_b32 s2, v5
	v_mov_b32_e32 v5, s2
	v_mad_u32_u24 v5, s33, v1, v5
.LBB65_468:                             ;   in Loop: Header=BB65_462 Depth=1
	s_or_b64 exec, exec, s[24:25]
	ds_bpermute_b32 v5, v20, v5
	s_cmp_eq_u64 vcc, 0
	s_cselect_b64 s[26:27], -1, 0
	s_mov_b64 s[24:25], -1
	s_waitcnt lgkmcnt(0)
	v_cmp_gt_u32_e64 s[2:3], s37, v5
	s_or_b64 s[28:29], s[26:27], s[2:3]
	s_mov_b64 s[26:27], -1
	s_and_saveexec_b64 s[2:3], s[28:29]
	s_cbranch_execz .LBB65_461
; %bb.469:                              ;   in Loop: Header=BB65_462 Depth=1
	v_and_b32_e32 v7, vcc_lo, v22
	v_and_b32_e32 v1, vcc_hi, v21
	v_bcnt_u32_b32 v7, v7, 0
	v_bcnt_u32_b32 v1, v1, v7
	v_sub_u32_e32 v7, s37, v5
	v_cmp_gt_u32_e32 vcc, v7, v1
	s_and_b64 s[44:45], s[22:23], vcc
	s_mov_b64 s[22:23], -1
	s_mov_b64 s[28:29], -1
	s_and_saveexec_b64 s[24:25], s[44:45]
	s_cbranch_execz .LBB65_473
; %bb.470:                              ;   in Loop: Header=BB65_462 Depth=1
	v_add_u32_e32 v1, v5, v1
	v_cmp_gt_u32_e32 vcc, s37, v1
	s_mov_b64 s[26:27], 0
	s_and_saveexec_b64 s[28:29], vcc
; %bb.471:                              ;   in Loop: Header=BB65_462 Depth=1
	v_mul_lo_u32 v7, v1, s34
	v_mov_b32_e32 v8, v3
	v_mul_lo_u32 v9, v1, s31
	v_mov_b32_e32 v1, s38
	v_lshlrev_b64 v[7:8], 1, v[7:8]
	v_mov_b32_e32 v10, v3
	v_add_co_u32_e32 v7, vcc, s35, v7
	v_addc_co_u32_e32 v8, vcc, v1, v8, vcc
	global_store_short v[7:8], v43, off
	v_lshlrev_b64 v[7:8], 3, v[9:10]
	v_mov_b32_e32 v9, s41
	v_add_co_u32_e32 v7, vcc, s39, v7
	s_mov_b64 s[26:27], exec
	v_mov_b32_e32 v1, v3
	v_addc_co_u32_e32 v8, vcc, v9, v8, vcc
	global_store_dwordx2 v[7:8], v[0:1], off
; %bb.472:                              ;   in Loop: Header=BB65_462 Depth=1
	s_or_b64 exec, exec, s[28:29]
	s_xor_b64 s[28:29], exec, -1
	s_orn2_b64 s[26:27], s[26:27], exec
.LBB65_473:                             ;   in Loop: Header=BB65_462 Depth=1
	s_or_b64 exec, exec, s[24:25]
	s_and_saveexec_b64 s[24:25], s[26:27]
	s_cbranch_execz .LBB65_460
; %bb.474:                              ;   in Loop: Header=BB65_462 Depth=1
	v_cmp_le_u32_e32 vcc, s30, v4
	v_add_u32_e32 v2, s54, v2
	s_or_b64 s[28:29], s[28:29], exec
	s_orn2_b64 s[22:23], vcc, exec
	s_branch .LBB65_460
.LBB65_475:
	s_or_b64 s[8:9], s[8:9], exec
	s_trap 2
	s_branch .LBB65_439
.LBB65_476:
	s_or_b64 exec, exec, s[18:19]
	s_mov_b64 s[0:1], 0
	s_and_saveexec_b64 s[2:3], s[20:21]
	s_xor_b64 s[2:3], exec, s[2:3]
	s_cbranch_execnz .LBB65_482
.LBB65_477:
	s_or_b64 exec, exec, s[2:3]
	s_and_b64 s[2:3], s[0:1], exec
.LBB65_478:
	s_or_b64 exec, exec, s[8:9]
	s_and_b64 s[2:3], s[2:3], exec
	s_andn2_b64 s[4:5], s[4:5], exec
	s_or_b64 exec, exec, s[6:7]
	s_and_saveexec_b64 s[0:1], s[4:5]
	s_xor_b64 s[0:1], exec, s[0:1]
	s_cbranch_execz .LBB65_433
.LBB65_479:
	s_trap 2
	s_or_b64 s[2:3], s[2:3], exec
	s_branch .LBB65_433
.LBB65_480:
	s_or_b64 s[8:9], s[8:9], exec
	s_trap 2
	s_branch .LBB65_437
.LBB65_481:
	s_trap 2
	s_or_b64 s[8:9], s[8:9], exec
	s_branch .LBB65_435
.LBB65_482:
	s_mov_b64 s[0:1], exec
	s_trap 2
	s_branch .LBB65_477
	.section	.rodata,"a",@progbits
	.p2align	6, 0x0
	.amdhsa_kernel _ZN2at6native6sbtopk10gatherTopKIsjLin1ELb0EEEvNS_4cuda6detail10TensorInfoIKT_T0_EES8_S8_bS8_S8_NS5_IS6_S8_EES8_NS5_IlS8_EES8_PS6_
		.amdhsa_group_segment_fixed_size 4112
		.amdhsa_private_segment_fixed_size 0
		.amdhsa_kernarg_size 952
		.amdhsa_user_sgpr_count 6
		.amdhsa_user_sgpr_private_segment_buffer 1
		.amdhsa_user_sgpr_dispatch_ptr 0
		.amdhsa_user_sgpr_queue_ptr 0
		.amdhsa_user_sgpr_kernarg_segment_ptr 1
		.amdhsa_user_sgpr_dispatch_id 0
		.amdhsa_user_sgpr_flat_scratch_init 0
		.amdhsa_user_sgpr_private_segment_size 0
		.amdhsa_uses_dynamic_stack 0
		.amdhsa_system_sgpr_private_segment_wavefront_offset 0
		.amdhsa_system_sgpr_workgroup_id_x 1
		.amdhsa_system_sgpr_workgroup_id_y 1
		.amdhsa_system_sgpr_workgroup_id_z 1
		.amdhsa_system_sgpr_workgroup_info 0
		.amdhsa_system_vgpr_workitem_id 0
		.amdhsa_next_free_vgpr 50
		.amdhsa_next_free_sgpr 96
		.amdhsa_reserve_vcc 1
		.amdhsa_reserve_flat_scratch 0
		.amdhsa_float_round_mode_32 0
		.amdhsa_float_round_mode_16_64 0
		.amdhsa_float_denorm_mode_32 3
		.amdhsa_float_denorm_mode_16_64 3
		.amdhsa_dx10_clamp 1
		.amdhsa_ieee_mode 1
		.amdhsa_fp16_overflow 0
		.amdhsa_exception_fp_ieee_invalid_op 0
		.amdhsa_exception_fp_denorm_src 0
		.amdhsa_exception_fp_ieee_div_zero 0
		.amdhsa_exception_fp_ieee_overflow 0
		.amdhsa_exception_fp_ieee_underflow 0
		.amdhsa_exception_fp_ieee_inexact 0
		.amdhsa_exception_int_div_zero 0
	.end_amdhsa_kernel
	.section	.text._ZN2at6native6sbtopk10gatherTopKIsjLin1ELb0EEEvNS_4cuda6detail10TensorInfoIKT_T0_EES8_S8_bS8_S8_NS5_IS6_S8_EES8_NS5_IlS8_EES8_PS6_,"axG",@progbits,_ZN2at6native6sbtopk10gatherTopKIsjLin1ELb0EEEvNS_4cuda6detail10TensorInfoIKT_T0_EES8_S8_bS8_S8_NS5_IS6_S8_EES8_NS5_IlS8_EES8_PS6_,comdat
.Lfunc_end65:
	.size	_ZN2at6native6sbtopk10gatherTopKIsjLin1ELb0EEEvNS_4cuda6detail10TensorInfoIKT_T0_EES8_S8_bS8_S8_NS5_IS6_S8_EES8_NS5_IlS8_EES8_PS6_, .Lfunc_end65-_ZN2at6native6sbtopk10gatherTopKIsjLin1ELb0EEEvNS_4cuda6detail10TensorInfoIKT_T0_EES8_S8_bS8_S8_NS5_IS6_S8_EES8_NS5_IlS8_EES8_PS6_
                                        ; -- End function
	.set _ZN2at6native6sbtopk10gatherTopKIsjLin1ELb0EEEvNS_4cuda6detail10TensorInfoIKT_T0_EES8_S8_bS8_S8_NS5_IS6_S8_EES8_NS5_IlS8_EES8_PS6_.num_vgpr, 50
	.set _ZN2at6native6sbtopk10gatherTopKIsjLin1ELb0EEEvNS_4cuda6detail10TensorInfoIKT_T0_EES8_S8_bS8_S8_NS5_IS6_S8_EES8_NS5_IlS8_EES8_PS6_.num_agpr, 0
	.set _ZN2at6native6sbtopk10gatherTopKIsjLin1ELb0EEEvNS_4cuda6detail10TensorInfoIKT_T0_EES8_S8_bS8_S8_NS5_IS6_S8_EES8_NS5_IlS8_EES8_PS6_.numbered_sgpr, 96
	.set _ZN2at6native6sbtopk10gatherTopKIsjLin1ELb0EEEvNS_4cuda6detail10TensorInfoIKT_T0_EES8_S8_bS8_S8_NS5_IS6_S8_EES8_NS5_IlS8_EES8_PS6_.num_named_barrier, 0
	.set _ZN2at6native6sbtopk10gatherTopKIsjLin1ELb0EEEvNS_4cuda6detail10TensorInfoIKT_T0_EES8_S8_bS8_S8_NS5_IS6_S8_EES8_NS5_IlS8_EES8_PS6_.private_seg_size, 0
	.set _ZN2at6native6sbtopk10gatherTopKIsjLin1ELb0EEEvNS_4cuda6detail10TensorInfoIKT_T0_EES8_S8_bS8_S8_NS5_IS6_S8_EES8_NS5_IlS8_EES8_PS6_.uses_vcc, 1
	.set _ZN2at6native6sbtopk10gatherTopKIsjLin1ELb0EEEvNS_4cuda6detail10TensorInfoIKT_T0_EES8_S8_bS8_S8_NS5_IS6_S8_EES8_NS5_IlS8_EES8_PS6_.uses_flat_scratch, 0
	.set _ZN2at6native6sbtopk10gatherTopKIsjLin1ELb0EEEvNS_4cuda6detail10TensorInfoIKT_T0_EES8_S8_bS8_S8_NS5_IS6_S8_EES8_NS5_IlS8_EES8_PS6_.has_dyn_sized_stack, 0
	.set _ZN2at6native6sbtopk10gatherTopKIsjLin1ELb0EEEvNS_4cuda6detail10TensorInfoIKT_T0_EES8_S8_bS8_S8_NS5_IS6_S8_EES8_NS5_IlS8_EES8_PS6_.has_recursion, 0
	.set _ZN2at6native6sbtopk10gatherTopKIsjLin1ELb0EEEvNS_4cuda6detail10TensorInfoIKT_T0_EES8_S8_bS8_S8_NS5_IS6_S8_EES8_NS5_IlS8_EES8_PS6_.has_indirect_call, 0
	.section	.AMDGPU.csdata,"",@progbits
; Kernel info:
; codeLenInByte = 16888
; TotalNumSgprs: 100
; NumVgprs: 50
; ScratchSize: 0
; MemoryBound: 0
; FloatMode: 240
; IeeeMode: 1
; LDSByteSize: 4112 bytes/workgroup (compile time only)
; SGPRBlocks: 12
; VGPRBlocks: 12
; NumSGPRsForWavesPerEU: 100
; NumVGPRsForWavesPerEU: 50
; Occupancy: 4
; WaveLimiterHint : 1
; COMPUTE_PGM_RSRC2:SCRATCH_EN: 0
; COMPUTE_PGM_RSRC2:USER_SGPR: 6
; COMPUTE_PGM_RSRC2:TRAP_HANDLER: 0
; COMPUTE_PGM_RSRC2:TGID_X_EN: 1
; COMPUTE_PGM_RSRC2:TGID_Y_EN: 1
; COMPUTE_PGM_RSRC2:TGID_Z_EN: 1
; COMPUTE_PGM_RSRC2:TIDIG_COMP_CNT: 0
	.section	.text._ZN2at6native6mbtopk23computeBlockDigitCountsIdjmLi1EEEvNS_4cuda6detail10TensorInfoIKT_T0_EEjPjjS8_iijT1_PSB_Ps,"axG",@progbits,_ZN2at6native6mbtopk23computeBlockDigitCountsIdjmLi1EEEvNS_4cuda6detail10TensorInfoIKT_T0_EEjPjjS8_iijT1_PSB_Ps,comdat
	.protected	_ZN2at6native6mbtopk23computeBlockDigitCountsIdjmLi1EEEvNS_4cuda6detail10TensorInfoIKT_T0_EEjPjjS8_iijT1_PSB_Ps ; -- Begin function _ZN2at6native6mbtopk23computeBlockDigitCountsIdjmLi1EEEvNS_4cuda6detail10TensorInfoIKT_T0_EEjPjjS8_iijT1_PSB_Ps
	.globl	_ZN2at6native6mbtopk23computeBlockDigitCountsIdjmLi1EEEvNS_4cuda6detail10TensorInfoIKT_T0_EEjPjjS8_iijT1_PSB_Ps
	.p2align	8
	.type	_ZN2at6native6mbtopk23computeBlockDigitCountsIdjmLi1EEEvNS_4cuda6detail10TensorInfoIKT_T0_EEjPjjS8_iijT1_PSB_Ps,@function
_ZN2at6native6mbtopk23computeBlockDigitCountsIdjmLi1EEEvNS_4cuda6detail10TensorInfoIKT_T0_EEjPjjS8_iijT1_PSB_Ps: ; @_ZN2at6native6mbtopk23computeBlockDigitCountsIdjmLi1EEEvNS_4cuda6detail10TensorInfoIKT_T0_EEjPjjS8_iijT1_PSB_Ps
; %bb.0:
	s_load_dword s17, s[4:5], 0xf8
	s_load_dwordx4 s[12:15], s[4:5], 0xe8
	s_load_dwordx2 s[0:1], s[4:5], 0x118
	s_waitcnt lgkmcnt(0)
	v_cvt_f32_u32_e32 v1, s17
	s_sub_i32 s2, 0, s17
	s_mul_i32 s1, s1, s8
	s_add_i32 s1, s1, s7
	v_rcp_iflag_f32_e32 v1, v1
	s_mul_i32 s16, s1, s0
	s_add_i32 s16, s16, s6
	v_mul_f32_e32 v1, 0x4f7ffffe, v1
	v_cvt_u32_f32_e32 v1, v1
	v_readfirstlane_b32 s0, v1
	s_mul_i32 s2, s2, s0
	s_mul_hi_u32 s1, s0, s2
	s_add_i32 s0, s0, s1
	s_mul_hi_u32 s0, s16, s0
	s_mul_i32 s1, s0, s17
	s_sub_i32 s1, s16, s1
	s_add_i32 s2, s0, 1
	s_sub_i32 s3, s1, s17
	s_cmp_ge_u32 s1, s17
	s_cselect_b32 s0, s2, s0
	s_cselect_b32 s1, s3, s1
	s_add_i32 s2, s0, 1
	s_cmp_ge_u32 s1, s17
	s_cselect_b32 s0, s2, s0
	s_cmp_ge_u32 s0, s12
	s_mov_b32 s1, 0
	s_cbranch_scc1 .LBB66_21
; %bb.1:
	s_load_dwordx4 s[8:11], s[4:5], 0x100
	s_load_dwordx2 s[2:3], s[4:5], 0x110
	s_lshl_b64 s[6:7], s[0:1], 3
	s_movk_i32 s1, 0x100
	v_cmp_gt_u32_e32 vcc, s1, v0
	s_waitcnt lgkmcnt(0)
	s_add_u32 s10, s10, s6
	s_addc_u32 s11, s11, s7
	v_lshlrev_b32_e32 v5, 2, v0
	s_and_saveexec_b64 s[6:7], vcc
; %bb.2:
	v_mov_b32_e32 v1, 0
	ds_write_b32 v5, v1
; %bb.3:
	s_or_b64 exec, exec, s[6:7]
	s_load_dword s12, s[4:5], 0xd8
	s_mul_i32 s1, s0, s17
	s_sub_i32 s1, s16, s1
	s_add_i32 s19, s1, 1
	s_mul_i32 s1, s15, s1
	s_lshl_b32 s18, s1, 8
	s_waitcnt lgkmcnt(0)
	s_sub_i32 s1, s12, s18
	s_add_u32 s6, s1, 0xff
	s_addc_u32 s7, 0, 0
	s_lshr_b64 s[6:7], s[6:7], 8
	s_cmp_lt_u32 s19, s17
	s_cselect_b32 s15, s15, s6
	s_cmp_lt_i32 s15, 1
	s_mov_b32 s1, 0
	s_barrier
	s_cbranch_scc1 .LBB66_19
; %bb.4:
	s_load_dword s17, s[4:5], 0x6c
	s_load_dwordx2 s[20:21], s[4:5], 0x0
	s_load_dwordx2 s[6:7], s[10:11], 0x0
	v_add_u32_e32 v6, s18, v0
	s_waitcnt lgkmcnt(0)
	s_mul_i32 s0, s17, s0
	s_lshl_b64 s[4:5], s[0:1], 3
	s_add_u32 s11, s20, s4
	s_addc_u32 s17, s21, s5
	s_and_b32 s10, s14, 0xff
	s_cmp_eq_u32 s15, 1
	s_cbranch_scc1 .LBB66_14
; %bb.5:
	v_add_u32_e32 v1, 0x100, v6
	v_mul_lo_u32 v7, s13, v1
	v_mul_lo_u32 v8, s13, v6
	s_and_b32 s14, s15, 0x7ffffffe
	s_lshl_b32 s18, s13, 9
	s_mov_b32 s19, 0
	v_mov_b32_e32 v2, 0
	v_mov_b32_e32 v9, 1
	;; [unrolled: 1-line block ×4, first 2 shown]
	s_mov_b32 s20, 0
	s_branch .LBB66_7
.LBB66_6:                               ;   in Loop: Header=BB66_7 Depth=1
	s_or_b64 exec, exec, s[4:5]
	s_add_i32 s20, s20, 2
	s_add_i32 s19, s19, s18
	s_cmp_eq_u32 s14, s20
	v_add_u32_e32 v11, 0x200, v11
	s_cbranch_scc1 .LBB66_13
.LBB66_7:                               ; =>This Inner Loop Header: Depth=1
	v_cmp_gt_u32_e64 s[0:1], s12, v11
	s_and_saveexec_b64 s[4:5], s[0:1]
	s_cbranch_execz .LBB66_10
; %bb.8:                                ;   in Loop: Header=BB66_7 Depth=1
	v_add_u32_e32 v1, s19, v8
	v_lshlrev_b64 v[3:4], 3, v[1:2]
	v_mov_b32_e32 v1, s17
	v_add_co_u32_e64 v3, s[0:1], s11, v3
	v_addc_co_u32_e64 v4, s[0:1], v1, v4, s[0:1]
	global_load_dwordx2 v[3:4], v[3:4], off
	s_waitcnt vmcnt(0)
	v_cmp_o_f64_e64 s[0:1], v[3:4], v[3:4]
	v_ashrrev_i32_e32 v1, 31, v4
	v_or_b32_e32 v12, 0x80000000, v1
	v_xor_b32_e32 v12, v12, v4
	v_xor_b32_e32 v1, v1, v3
	v_cndmask_b32_e64 v4, -1, v12, s[0:1]
	v_cndmask_b32_e64 v3, -1, v1, s[0:1]
	v_xor_b32_e32 v12, s7, v4
	v_xor_b32_e32 v1, s6, v3
	v_and_b32_e32 v13, s9, v12
	v_and_b32_e32 v12, s8, v1
	v_cmp_eq_u64_e64 s[0:1], 0, v[12:13]
	s_and_b64 exec, exec, s[0:1]
; %bb.9:                                ;   in Loop: Header=BB66_7 Depth=1
	v_lshrrev_b64 v[3:4], s10, v[3:4]
	v_lshlrev_b32_sdwa v1, v10, v3 dst_sel:DWORD dst_unused:UNUSED_PAD src0_sel:DWORD src1_sel:BYTE_0
	ds_add_u32 v1, v9
.LBB66_10:                              ;   in Loop: Header=BB66_7 Depth=1
	s_or_b64 exec, exec, s[4:5]
	v_add_u32_e32 v1, 0x100, v11
	v_cmp_gt_u32_e64 s[0:1], s12, v1
	s_and_saveexec_b64 s[4:5], s[0:1]
	s_cbranch_execz .LBB66_6
; %bb.11:                               ;   in Loop: Header=BB66_7 Depth=1
	v_add_u32_e32 v1, s19, v7
	v_lshlrev_b64 v[3:4], 3, v[1:2]
	v_mov_b32_e32 v1, s17
	v_add_co_u32_e64 v3, s[0:1], s11, v3
	v_addc_co_u32_e64 v4, s[0:1], v1, v4, s[0:1]
	global_load_dwordx2 v[3:4], v[3:4], off
	s_waitcnt vmcnt(0)
	v_cmp_o_f64_e64 s[0:1], v[3:4], v[3:4]
	v_ashrrev_i32_e32 v1, 31, v4
	v_or_b32_e32 v12, 0x80000000, v1
	v_xor_b32_e32 v12, v12, v4
	v_xor_b32_e32 v1, v1, v3
	v_cndmask_b32_e64 v4, -1, v12, s[0:1]
	v_cndmask_b32_e64 v3, -1, v1, s[0:1]
	v_xor_b32_e32 v12, s7, v4
	v_xor_b32_e32 v1, s6, v3
	v_and_b32_e32 v13, s9, v12
	v_and_b32_e32 v12, s8, v1
	v_cmp_eq_u64_e64 s[0:1], 0, v[12:13]
	s_and_b64 exec, exec, s[0:1]
	s_cbranch_execz .LBB66_6
; %bb.12:                               ;   in Loop: Header=BB66_7 Depth=1
	v_lshrrev_b64 v[3:4], s10, v[3:4]
	v_lshlrev_b32_sdwa v1, v10, v3 dst_sel:DWORD dst_unused:UNUSED_PAD src0_sel:DWORD src1_sel:BYTE_0
	ds_add_u32 v1, v9
	s_branch .LBB66_6
.LBB66_13:
	s_lshl_b32 s1, s14, 8
.LBB66_14:
	s_bitcmp0_b32 s15, 0
	s_cbranch_scc1 .LBB66_19
; %bb.15:
	v_add_u32_e32 v1, s1, v6
	v_cmp_gt_u32_e64 s[0:1], s12, v1
	s_and_saveexec_b64 s[4:5], s[0:1]
	s_cbranch_execz .LBB66_18
; %bb.16:
	v_mul_lo_u32 v1, v1, s13
	v_mov_b32_e32 v2, 0
	v_mov_b32_e32 v3, s17
	v_lshlrev_b64 v[1:2], 3, v[1:2]
	v_add_co_u32_e64 v1, s[0:1], s11, v1
	v_addc_co_u32_e64 v2, s[0:1], v3, v2, s[0:1]
	global_load_dwordx2 v[1:2], v[1:2], off
	s_waitcnt vmcnt(0)
	v_cmp_o_f64_e64 s[0:1], v[1:2], v[1:2]
	v_ashrrev_i32_e32 v3, 31, v2
	v_or_b32_e32 v4, 0x80000000, v3
	v_xor_b32_e32 v4, v4, v2
	v_xor_b32_e32 v1, v3, v1
	v_cndmask_b32_e64 v2, -1, v4, s[0:1]
	v_cndmask_b32_e64 v1, -1, v1, s[0:1]
	v_xor_b32_e32 v3, s7, v2
	v_xor_b32_e32 v6, s6, v1
	v_and_b32_e32 v4, s9, v3
	v_and_b32_e32 v3, s8, v6
	v_cmp_eq_u64_e64 s[0:1], 0, v[3:4]
	s_and_b64 exec, exec, s[0:1]
	s_cbranch_execz .LBB66_18
; %bb.17:
	v_lshrrev_b64 v[1:2], s10, v[1:2]
	v_mov_b32_e32 v2, 2
	v_lshlrev_b32_sdwa v1, v2, v1 dst_sel:DWORD dst_unused:UNUSED_PAD src0_sel:DWORD src1_sel:BYTE_0
	v_mov_b32_e32 v2, 1
	ds_add_u32 v1, v2
.LBB66_18:
	s_or_b64 exec, exec, s[4:5]
.LBB66_19:
	s_waitcnt lgkmcnt(0)
	s_barrier
	s_and_saveexec_b64 s[0:1], vcc
	s_cbranch_execz .LBB66_21
; %bb.20:
	v_lshl_or_b32 v0, s16, 8, v0
	v_mov_b32_e32 v1, 0
	ds_read_b32 v3, v5
	v_lshlrev_b64 v[0:1], 1, v[0:1]
	v_mov_b32_e32 v2, s3
	v_add_co_u32_e32 v0, vcc, s2, v0
	v_addc_co_u32_e32 v1, vcc, v2, v1, vcc
	s_waitcnt lgkmcnt(0)
	global_store_short v[0:1], v3, off
.LBB66_21:
	s_endpgm
	.section	.rodata,"a",@progbits
	.p2align	6, 0x0
	.amdhsa_kernel _ZN2at6native6mbtopk23computeBlockDigitCountsIdjmLi1EEEvNS_4cuda6detail10TensorInfoIKT_T0_EEjPjjS8_iijT1_PSB_Ps
		.amdhsa_group_segment_fixed_size 1024
		.amdhsa_private_segment_fixed_size 0
		.amdhsa_kernarg_size 536
		.amdhsa_user_sgpr_count 6
		.amdhsa_user_sgpr_private_segment_buffer 1
		.amdhsa_user_sgpr_dispatch_ptr 0
		.amdhsa_user_sgpr_queue_ptr 0
		.amdhsa_user_sgpr_kernarg_segment_ptr 1
		.amdhsa_user_sgpr_dispatch_id 0
		.amdhsa_user_sgpr_flat_scratch_init 0
		.amdhsa_user_sgpr_private_segment_size 0
		.amdhsa_uses_dynamic_stack 0
		.amdhsa_system_sgpr_private_segment_wavefront_offset 0
		.amdhsa_system_sgpr_workgroup_id_x 1
		.amdhsa_system_sgpr_workgroup_id_y 1
		.amdhsa_system_sgpr_workgroup_id_z 1
		.amdhsa_system_sgpr_workgroup_info 0
		.amdhsa_system_vgpr_workitem_id 0
		.amdhsa_next_free_vgpr 14
		.amdhsa_next_free_sgpr 22
		.amdhsa_reserve_vcc 1
		.amdhsa_reserve_flat_scratch 0
		.amdhsa_float_round_mode_32 0
		.amdhsa_float_round_mode_16_64 0
		.amdhsa_float_denorm_mode_32 3
		.amdhsa_float_denorm_mode_16_64 3
		.amdhsa_dx10_clamp 1
		.amdhsa_ieee_mode 1
		.amdhsa_fp16_overflow 0
		.amdhsa_exception_fp_ieee_invalid_op 0
		.amdhsa_exception_fp_denorm_src 0
		.amdhsa_exception_fp_ieee_div_zero 0
		.amdhsa_exception_fp_ieee_overflow 0
		.amdhsa_exception_fp_ieee_underflow 0
		.amdhsa_exception_fp_ieee_inexact 0
		.amdhsa_exception_int_div_zero 0
	.end_amdhsa_kernel
	.section	.text._ZN2at6native6mbtopk23computeBlockDigitCountsIdjmLi1EEEvNS_4cuda6detail10TensorInfoIKT_T0_EEjPjjS8_iijT1_PSB_Ps,"axG",@progbits,_ZN2at6native6mbtopk23computeBlockDigitCountsIdjmLi1EEEvNS_4cuda6detail10TensorInfoIKT_T0_EEjPjjS8_iijT1_PSB_Ps,comdat
.Lfunc_end66:
	.size	_ZN2at6native6mbtopk23computeBlockDigitCountsIdjmLi1EEEvNS_4cuda6detail10TensorInfoIKT_T0_EEjPjjS8_iijT1_PSB_Ps, .Lfunc_end66-_ZN2at6native6mbtopk23computeBlockDigitCountsIdjmLi1EEEvNS_4cuda6detail10TensorInfoIKT_T0_EEjPjjS8_iijT1_PSB_Ps
                                        ; -- End function
	.set _ZN2at6native6mbtopk23computeBlockDigitCountsIdjmLi1EEEvNS_4cuda6detail10TensorInfoIKT_T0_EEjPjjS8_iijT1_PSB_Ps.num_vgpr, 14
	.set _ZN2at6native6mbtopk23computeBlockDigitCountsIdjmLi1EEEvNS_4cuda6detail10TensorInfoIKT_T0_EEjPjjS8_iijT1_PSB_Ps.num_agpr, 0
	.set _ZN2at6native6mbtopk23computeBlockDigitCountsIdjmLi1EEEvNS_4cuda6detail10TensorInfoIKT_T0_EEjPjjS8_iijT1_PSB_Ps.numbered_sgpr, 22
	.set _ZN2at6native6mbtopk23computeBlockDigitCountsIdjmLi1EEEvNS_4cuda6detail10TensorInfoIKT_T0_EEjPjjS8_iijT1_PSB_Ps.num_named_barrier, 0
	.set _ZN2at6native6mbtopk23computeBlockDigitCountsIdjmLi1EEEvNS_4cuda6detail10TensorInfoIKT_T0_EEjPjjS8_iijT1_PSB_Ps.private_seg_size, 0
	.set _ZN2at6native6mbtopk23computeBlockDigitCountsIdjmLi1EEEvNS_4cuda6detail10TensorInfoIKT_T0_EEjPjjS8_iijT1_PSB_Ps.uses_vcc, 1
	.set _ZN2at6native6mbtopk23computeBlockDigitCountsIdjmLi1EEEvNS_4cuda6detail10TensorInfoIKT_T0_EEjPjjS8_iijT1_PSB_Ps.uses_flat_scratch, 0
	.set _ZN2at6native6mbtopk23computeBlockDigitCountsIdjmLi1EEEvNS_4cuda6detail10TensorInfoIKT_T0_EEjPjjS8_iijT1_PSB_Ps.has_dyn_sized_stack, 0
	.set _ZN2at6native6mbtopk23computeBlockDigitCountsIdjmLi1EEEvNS_4cuda6detail10TensorInfoIKT_T0_EEjPjjS8_iijT1_PSB_Ps.has_recursion, 0
	.set _ZN2at6native6mbtopk23computeBlockDigitCountsIdjmLi1EEEvNS_4cuda6detail10TensorInfoIKT_T0_EEjPjjS8_iijT1_PSB_Ps.has_indirect_call, 0
	.section	.AMDGPU.csdata,"",@progbits
; Kernel info:
; codeLenInByte = 1036
; TotalNumSgprs: 26
; NumVgprs: 14
; ScratchSize: 0
; MemoryBound: 0
; FloatMode: 240
; IeeeMode: 1
; LDSByteSize: 1024 bytes/workgroup (compile time only)
; SGPRBlocks: 3
; VGPRBlocks: 3
; NumSGPRsForWavesPerEU: 26
; NumVGPRsForWavesPerEU: 14
; Occupancy: 10
; WaveLimiterHint : 1
; COMPUTE_PGM_RSRC2:SCRATCH_EN: 0
; COMPUTE_PGM_RSRC2:USER_SGPR: 6
; COMPUTE_PGM_RSRC2:TRAP_HANDLER: 0
; COMPUTE_PGM_RSRC2:TGID_X_EN: 1
; COMPUTE_PGM_RSRC2:TGID_Y_EN: 1
; COMPUTE_PGM_RSRC2:TGID_Z_EN: 1
; COMPUTE_PGM_RSRC2:TIDIG_COMP_CNT: 0
	.section	.text._ZN2at6native6mbtopk29computeBlockwiseWithinKCountsImdEEvPT_PsPjjibS6_PT0_S6_S4_S6_j,"axG",@progbits,_ZN2at6native6mbtopk29computeBlockwiseWithinKCountsImdEEvPT_PsPjjibS6_PT0_S6_S4_S6_j,comdat
	.protected	_ZN2at6native6mbtopk29computeBlockwiseWithinKCountsImdEEvPT_PsPjjibS6_PT0_S6_S4_S6_j ; -- Begin function _ZN2at6native6mbtopk29computeBlockwiseWithinKCountsImdEEvPT_PsPjjibS6_PT0_S6_S4_S6_j
	.globl	_ZN2at6native6mbtopk29computeBlockwiseWithinKCountsImdEEvPT_PsPjjibS6_PT0_S6_S4_S6_j
	.p2align	8
	.type	_ZN2at6native6mbtopk29computeBlockwiseWithinKCountsImdEEvPT_PsPjjibS6_PT0_S6_S4_S6_j,@function
_ZN2at6native6mbtopk29computeBlockwiseWithinKCountsImdEEvPT_PsPjjibS6_PT0_S6_S4_S6_j: ; @_ZN2at6native6mbtopk29computeBlockwiseWithinKCountsImdEEvPT_PsPjjibS6_PT0_S6_S4_S6_j
; %bb.0:
	s_load_dwordx4 s[16:19], s[4:5], 0x18
	s_load_dword s2, s[4:5], 0x50
	s_load_dwordx2 s[0:1], s[4:5], 0x58
	s_waitcnt lgkmcnt(0)
	v_cvt_f32_u32_e32 v1, s16
	s_mul_i32 s1, s1, s8
	s_add_i32 s1, s1, s7
	v_rcp_iflag_f32_e32 v1, v1
	s_mul_i32 s0, s1, s0
	s_add_i32 s6, s0, s6
	s_cmp_ge_u32 s6, s2
	v_mul_f32_e32 v1, 0x4f7ffffe, v1
	v_cvt_u32_f32_e32 v1, v1
	v_readfirstlane_b32 s0, v1
	s_cbranch_scc1 .LBB67_40
; %bb.1:
	s_sub_i32 s1, 0, s16
	s_mul_i32 s1, s1, s0
	s_mul_hi_u32 s1, s0, s1
	s_add_i32 s0, s0, s1
	s_mul_hi_u32 s2, s6, s0
	s_mul_i32 s3, s2, s16
	s_sub_i32 s3, s6, s3
	s_add_i32 s8, s2, 1
	s_sub_i32 s9, s3, s16
	s_cmp_ge_u32 s3, s16
	s_load_dwordx4 s[20:23], s[4:5], 0x0
	s_load_dwordx2 s[0:1], s[4:5], 0x10
	s_cselect_b32 s2, s8, s2
	s_cselect_b32 s3, s9, s3
	s_add_i32 s8, s2, 1
	s_mov_b32 s7, 0
	s_cmp_ge_u32 s3, s16
	s_cselect_b32 s28, s8, s2
	s_mov_b32 s29, s7
	s_lshl_b64 s[24:25], s[28:29], 2
	s_waitcnt lgkmcnt(0)
	s_add_u32 s0, s0, s24
	s_movk_i32 s2, 0x100
	s_addc_u32 s1, s1, s25
	v_cmp_gt_u32_e64 s[2:3], s2, v0
	s_and_saveexec_b64 s[8:9], s[2:3]
	s_cbranch_execz .LBB67_8
; %bb.2:
	s_mul_i32 s10, s28, s16
	s_lshl_b32 s10, s10, 8
	s_mov_b32 s11, s7
	s_lshl_b64 s[10:11], s[10:11], 1
	s_add_u32 s10, s22, s10
	s_addc_u32 s11, s23, s11
	v_lshlrev_b32_e32 v1, 1, v0
	v_mov_b32_e32 v2, s11
	v_add_co_u32_e32 v1, vcc, s10, v1
	v_mov_b32_e32 v3, 0
	s_cmp_lt_u32 s16, 4
	v_addc_co_u32_e32 v2, vcc, 0, v2, vcc
	s_cbranch_scc1 .LBB67_41
; %bb.3:
	v_mov_b32_e32 v3, 0
	s_mov_b32 s10, 0
.LBB67_4:                               ; =>This Inner Loop Header: Depth=1
	global_load_sshort v4, v[1:2], off
	global_load_sshort v5, v[1:2], off offset:512
	global_load_sshort v6, v[1:2], off offset:1024
	;; [unrolled: 1-line block ×3, first 2 shown]
	s_mov_b32 s11, s10
	v_add_co_u32_e32 v1, vcc, 0x800, v1
	s_add_i32 s10, s10, 4
	s_add_i32 s11, s11, 7
	v_addc_co_u32_e32 v2, vcc, 0, v2, vcc
	s_cmp_ge_u32 s11, s16
	s_waitcnt vmcnt(2)
	v_add3_u32 v3, v3, v4, v5
	s_waitcnt vmcnt(0)
	v_add3_u32 v3, v3, v6, v7
	s_cbranch_scc0 .LBB67_4
; %bb.5:
	s_cmp_ge_u32 s10, s16
	s_cbranch_scc1 .LBB67_7
.LBB67_6:                               ; =>This Inner Loop Header: Depth=1
	global_load_sshort v4, v[1:2], off
	v_add_co_u32_e32 v1, vcc, 0x200, v1
	s_add_i32 s10, s10, 1
	v_addc_co_u32_e32 v2, vcc, 0, v2, vcc
	s_cmp_lt_u32 s10, s16
	s_waitcnt vmcnt(0)
	v_add_u32_e32 v3, v3, v4
	s_cbranch_scc1 .LBB67_6
.LBB67_7:
	v_lshlrev_b32_e32 v1, 2, v0
	ds_write_b32 v1, v3 offset:1056
.LBB67_8:
	s_or_b64 exec, exec, s[8:9]
	s_load_dword s19, s[0:1], 0x0
	v_mov_b32_e32 v2, 0
	s_waitcnt lgkmcnt(0)
	s_barrier
	s_and_saveexec_b64 s[0:1], s[2:3]
; %bb.9:
	v_lshlrev_b32_e32 v1, 2, v0
	ds_read_b32 v2, v1 offset:1056
; %bb.10:
	s_or_b64 exec, exec, s[0:1]
	v_lshrrev_b32_e32 v1, 3, v0
	v_and_b32_e32 v1, 28, v1
	v_lshl_add_u32 v1, v0, 2, v1
	v_cmp_gt_u32_e64 s[0:1], 64, v0
	v_mbcnt_lo_u32_b32 v4, -1, 0
	s_waitcnt lgkmcnt(0)
	ds_write_b32 v1, v2
	s_waitcnt lgkmcnt(0)
	s_barrier
	s_and_saveexec_b64 s[8:9], s[0:1]
	s_cbranch_execz .LBB67_12
; %bb.11:
	v_lshrrev_b32_e32 v3, 1, v0
	v_and_b32_e32 v3, 0x7c, v3
	v_lshl_add_u32 v9, v0, 4, v3
	ds_read2_b32 v[5:6], v9 offset1:1
	ds_read2_b32 v[7:8], v9 offset0:2 offset1:3
	v_mbcnt_hi_u32_b32 v3, -1, v4
	v_and_b32_e32 v10, 15, v3
	v_cmp_ne_u32_e32 vcc, 0, v10
	s_waitcnt lgkmcnt(1)
	v_add_u32_e32 v6, v6, v5
	s_waitcnt lgkmcnt(0)
	v_add3_u32 v6, v6, v7, v8
	v_bfe_i32 v8, v3, 4, 1
	s_nop 0
	v_mov_b32_dpp v7, v6 row_shr:1 row_mask:0xf bank_mask:0xf
	v_cndmask_b32_e32 v7, 0, v7, vcc
	v_add_u32_e32 v6, v7, v6
	v_cmp_lt_u32_e32 vcc, 1, v10
	; wave barrier
	s_nop 0
	v_mov_b32_dpp v7, v6 row_shr:2 row_mask:0xf bank_mask:0xf
	v_cndmask_b32_e32 v7, 0, v7, vcc
	v_add_u32_e32 v6, v6, v7
	v_cmp_lt_u32_e32 vcc, 3, v10
	s_nop 0
	v_mov_b32_dpp v7, v6 row_shr:4 row_mask:0xf bank_mask:0xf
	v_cndmask_b32_e32 v7, 0, v7, vcc
	v_add_u32_e32 v6, v6, v7
	v_cmp_lt_u32_e32 vcc, 7, v10
	;; [unrolled: 5-line block ×3, first 2 shown]
	s_nop 0
	v_mov_b32_dpp v7, v6 row_bcast:15 row_mask:0xf bank_mask:0xf
	v_and_b32_e32 v7, v8, v7
	v_add_u32_e32 v6, v6, v7
	v_and_b32_e32 v8, 64, v3
	s_nop 0
	v_mov_b32_dpp v7, v6 row_bcast:31 row_mask:0xf bank_mask:0xf
	v_cndmask_b32_e32 v7, 0, v7, vcc
	v_add_u32_e32 v6, v6, v7
	v_add_u32_e32 v7, -1, v3
	v_cmp_lt_i32_e32 vcc, v7, v8
	v_cndmask_b32_e32 v3, v7, v3, vcc
	v_lshlrev_b32_e32 v3, 2, v3
	ds_bpermute_b32 v3, v3, v6
	v_cmp_eq_u32_e32 vcc, 0, v0
	s_waitcnt lgkmcnt(0)
	v_add_u32_e32 v3, v3, v5
	v_cndmask_b32_e32 v5, v3, v2, vcc
	ds_write_b32 v9, v5
	; wave barrier
	ds_read2_b32 v[2:3], v9 offset0:1 offset1:2
	ds_read_b32 v6, v9 offset:12
	s_waitcnt lgkmcnt(1)
	v_add_u32_e32 v2, v2, v5
	v_add_u32_e32 v3, v3, v2
	ds_write2_b32 v9, v2, v3 offset0:1 offset1:2
	s_waitcnt lgkmcnt(1)
	v_add_u32_e32 v2, v6, v3
	ds_write_b32 v9, v2 offset:12
.LBB67_12:
	s_or_b64 exec, exec, s[8:9]
	s_waitcnt lgkmcnt(0)
	s_barrier
	ds_read_b32 v1, v1
	s_waitcnt lgkmcnt(0)
	s_barrier
	s_and_saveexec_b64 s[8:9], s[2:3]
; %bb.13:
	v_lshlrev_b32_e32 v2, 2, v0
	ds_write_b32 v2, v1 offset:1056
; %bb.14:
	s_or_b64 exec, exec, s[8:9]
	s_load_dwordx8 s[8:15], s[4:5], 0x28
	s_load_dwordx2 s[26:27], s[4:5], 0x48
	s_waitcnt lgkmcnt(0)
	s_barrier
	s_and_saveexec_b64 s[4:5], s[2:3]
	s_cbranch_execz .LBB67_23
; %bb.15:
	v_mov_b32_e32 v5, 0
	v_cmp_ne_u32_e32 vcc, 0, v0
	s_and_saveexec_b64 s[2:3], vcc
; %bb.16:
	v_lshlrev_b32_e32 v2, 2, v0
	ds_read_b32 v5, v2 offset:1052
; %bb.17:
	s_or_b64 exec, exec, s[2:3]
	s_waitcnt lgkmcnt(0)
	v_cmp_gt_u32_e32 vcc, s19, v5
	v_cmp_le_u32_e64 s[2:3], s19, v1
	s_and_b64 s[2:3], vcc, s[2:3]
	s_and_b64 exec, exec, s[2:3]
	s_cbranch_execz .LBB67_23
; %bb.18:
	s_lshl_b64 s[2:3], s[28:29], 3
	s_add_u32 s20, s20, s2
	s_addc_u32 s21, s21, s3
	v_mov_b32_e32 v1, 0
	global_load_dwordx2 v[2:3], v1, s[20:21]
	s_lshl_b64 s[20:21], 0xff, s17
	v_lshlrev_b64 v[6:7], s17, v[0:1]
	v_not_b32_e32 v8, s20
	v_not_b32_e32 v9, s21
	s_mul_i32 s16, s28, s16
	s_cmp_lg_u32 s6, s16
	s_waitcnt vmcnt(0)
	v_and_b32_e32 v2, v2, v8
	v_and_b32_e32 v3, v3, v9
	v_or_b32_e32 v3, v3, v7
	v_or_b32_e32 v2, v2, v6
	ds_write_b64 v1, v[2:3] offset:2096
	s_cbranch_scc1 .LBB67_23
; %bb.19:
	s_add_u32 s14, s14, s2
	s_addc_u32 s15, s15, s3
	global_store_dwordx2 v1, v[2:3], s[14:15]
	s_cmp_lt_i32 s17, 1
	s_mov_b64 s[14:15], -1
	s_cbranch_scc0 .LBB67_21
; %bb.20:
	v_lshrrev_b32_e32 v1, 31, v3
	v_add_co_u32_e32 v1, vcc, -1, v1
	v_addc_co_u32_e64 v7, s[14:15], 0, -1, vcc
	v_or_b32_e32 v7, 0x80000000, v7
	s_add_u32 s2, s10, s2
	v_mov_b32_e32 v6, 0
	v_xor_b32_e32 v3, v7, v3
	v_xor_b32_e32 v2, v1, v2
	s_addc_u32 s3, s11, s3
	global_store_dwordx2 v6, v[2:3], s[2:3]
	s_mov_b64 s[14:15], 0
.LBB67_21:
	s_andn2_b64 vcc, exec, s[14:15]
	s_cbranch_vccnz .LBB67_23
; %bb.22:
	s_add_u32 s2, s12, s24
	v_sub_u32_e32 v1, s19, v5
	s_addc_u32 s3, s13, s25
	v_mov_b32_e32 v2, 0
	global_store_dword v2, v1, s[2:3]
.LBB67_23:
	s_or_b64 exec, exec, s[4:5]
	v_mov_b32_e32 v3, 0
	s_waitcnt vmcnt(0) lgkmcnt(0)
	s_barrier
	ds_read_b64 v[1:2], v3 offset:2096
	s_bitcmp0_b32 s18, 0
	s_waitcnt lgkmcnt(0)
	v_lshrrev_b64 v[1:2], s17, v[1:2]
	v_and_b32_e32 v2, 0xff, v1
	v_mov_b32_e32 v1, v3
	s_cbranch_scc0 .LBB67_25
; %bb.24:
	v_and_b32_e32 v5, 0xc0, v0
	v_mov_b32_e32 v6, v3
	v_cmp_gt_u64_e64 s[10:11], v[2:3], v[5:6]
	v_cmp_gt_u64_e64 s[4:5], v[2:3], v[0:1]
	s_cbranch_execz .LBB67_26
	s_branch .LBB67_27
.LBB67_25:
                                        ; implicit-def: $sgpr4_sgpr5
                                        ; implicit-def: $sgpr10_sgpr11
.LBB67_26:
	v_or_b32_e32 v5, 63, v0
	v_mov_b32_e32 v6, 0
	v_cmp_lt_u64_e64 s[2:3], v[2:3], v[0:1]
	v_cmp_lt_u64_e32 vcc, v[2:3], v[5:6]
	s_andn2_b64 s[4:5], s[4:5], exec
	s_and_b64 s[2:3], s[2:3], exec
	s_or_b64 s[4:5], s[4:5], s[2:3]
	s_andn2_b64 s[2:3], s[10:11], exec
	s_and_b64 s[10:11], vcc, exec
	s_or_b64 s[10:11], s[2:3], s[10:11]
.LBB67_27:
	v_mov_b32_e32 v1, 0
	s_and_saveexec_b64 s[2:3], s[10:11]
	s_cbranch_execz .LBB67_31
; %bb.28:
	v_mov_b32_e32 v1, 0
	s_and_saveexec_b64 s[10:11], s[4:5]
	s_cbranch_execz .LBB67_30
; %bb.29:
	s_lshl_b32 s4, s6, 8
	s_mov_b32 s5, 0
	s_lshl_b64 s[4:5], s[4:5], 1
	s_add_u32 s4, s22, s4
	s_addc_u32 s5, s23, s5
	v_lshlrev_b32_e32 v1, 1, v0
	global_load_sshort v1, v1, s[4:5]
.LBB67_30:
	s_or_b64 exec, exec, s[10:11]
	v_mbcnt_hi_u32_b32 v2, -1, v4
	v_mov_b32_e32 v3, 0x80
	v_lshl_or_b32 v3, v2, 2, v3
	s_waitcnt vmcnt(0)
	ds_bpermute_b32 v3, v3, v1
	v_and_b32_e32 v5, 63, v2
	v_cmp_gt_u32_e32 vcc, 48, v5
	v_cndmask_b32_e64 v6, 0, 16, vcc
	v_cmp_gt_u32_e32 vcc, 56, v5
	s_waitcnt lgkmcnt(0)
	v_add_u32_e32 v1, v3, v1
	v_add_lshl_u32 v3, v6, v2, 2
	ds_bpermute_b32 v3, v3, v1
	v_cndmask_b32_e64 v6, 0, 8, vcc
	v_add_lshl_u32 v6, v6, v2, 2
	v_cmp_gt_u32_e32 vcc, 60, v5
	s_waitcnt lgkmcnt(0)
	v_add_u32_e32 v1, v3, v1
	ds_bpermute_b32 v3, v6, v1
	v_cndmask_b32_e64 v6, 0, 4, vcc
	v_add_lshl_u32 v6, v6, v2, 2
	v_cmp_gt_u32_e32 vcc, 62, v5
	s_waitcnt lgkmcnt(0)
	v_add_u32_e32 v1, v3, v1
	ds_bpermute_b32 v3, v6, v1
	v_cndmask_b32_e64 v6, 0, 2, vcc
	v_add_lshl_u32 v6, v6, v2, 2
	v_cmp_ne_u32_e32 vcc, 63, v5
	v_addc_co_u32_e32 v2, vcc, 0, v2, vcc
	s_waitcnt lgkmcnt(0)
	v_add_u32_e32 v1, v3, v1
	ds_bpermute_b32 v3, v6, v1
	v_lshlrev_b32_e32 v2, 2, v2
	s_waitcnt lgkmcnt(0)
	v_add_u32_e32 v1, v3, v1
	ds_bpermute_b32 v2, v2, v1
	s_waitcnt lgkmcnt(0)
	v_add_u32_e32 v1, v2, v1
.LBB67_31:
	s_or_b64 exec, exec, s[2:3]
	v_and_b32_e32 v2, 63, v0
	v_cmp_eq_u32_e32 vcc, 0, v2
	s_and_saveexec_b64 s[2:3], vcc
; %bb.32:
	v_lshrrev_b32_e32 v2, 4, v0
	v_and_b32_e32 v2, 12, v2
	ds_write_b32 v2, v1 offset:2080
; %bb.33:
	s_or_b64 exec, exec, s[2:3]
	s_waitcnt lgkmcnt(0)
	s_barrier
	s_and_saveexec_b64 s[2:3], s[0:1]
	s_cbranch_execz .LBB67_40
; %bb.34:
	v_cmp_gt_u32_e32 vcc, 4, v0
	v_mov_b32_e32 v1, 0
	s_and_saveexec_b64 s[0:1], vcc
; %bb.35:
	v_lshlrev_b32_e32 v1, 2, v0
	ds_read_b32 v1, v1 offset:2080
; %bb.36:
	s_or_b64 exec, exec, s[0:1]
	v_mbcnt_hi_u32_b32 v2, -1, v4
	v_and_b32_e32 v3, 63, v2
	v_cmp_gt_u32_e32 vcc, 62, v3
	v_cndmask_b32_e64 v4, 0, 2, vcc
	v_add_lshl_u32 v4, v4, v2, 2
	s_waitcnt lgkmcnt(0)
	ds_bpermute_b32 v4, v4, v1
	v_cmp_ne_u32_e32 vcc, 63, v3
	v_addc_co_u32_e32 v2, vcc, 0, v2, vcc
	v_lshlrev_b32_e32 v2, 2, v2
	s_waitcnt lgkmcnt(0)
	v_add_u32_e32 v1, v4, v1
	ds_bpermute_b32 v2, v2, v1
	v_cmp_eq_u32_e32 vcc, 0, v0
	s_and_saveexec_b64 s[0:1], vcc
	s_cbranch_execz .LBB67_38
; %bb.37:
	s_lshl_b64 s[2:3], s[6:7], 2
	s_add_u32 s2, s8, s2
	s_addc_u32 s3, s9, s3
	v_mov_b32_e32 v3, 0
	global_load_dword v4, v3, s[2:3]
	s_waitcnt vmcnt(0) lgkmcnt(0)
	v_add3_u32 v1, v2, v1, v4
	global_store_dword v3, v1, s[2:3]
.LBB67_38:
	s_or_b64 exec, exec, s[0:1]
	v_or_b32_e32 v0, s17, v0
	v_cmp_eq_u32_e32 vcc, 0, v0
	s_and_b64 exec, exec, vcc
	s_cbranch_execz .LBB67_40
; %bb.39:
	v_mov_b32_e32 v0, 0
	ds_read_b32 v1, v0 offset:2096
	s_lshl_b32 s0, s6, 8
	s_mov_b32 s1, 0
	s_lshl_b64 s[0:1], s[0:1], 1
	s_add_u32 s0, s22, s0
	s_waitcnt lgkmcnt(1)
	v_mov_b32_e32 v2, 1
	s_addc_u32 s1, s23, s1
	s_waitcnt lgkmcnt(0)
	v_lshlrev_b32_sdwa v1, v2, v1 dst_sel:DWORD dst_unused:UNUSED_PAD src0_sel:DWORD src1_sel:BYTE_0
	global_load_sshort v1, v1, s[0:1]
	s_lshl_b64 s[0:1], s[6:7], 2
	s_add_u32 s0, s26, s0
	s_addc_u32 s1, s27, s1
	s_waitcnt vmcnt(0)
	global_store_dword v0, v1, s[0:1]
.LBB67_40:
	s_endpgm
.LBB67_41:
	s_mov_b32 s10, s7
	s_cmp_ge_u32 s10, s16
	s_cbranch_scc0 .LBB67_6
	s_branch .LBB67_7
	.section	.rodata,"a",@progbits
	.p2align	6, 0x0
	.amdhsa_kernel _ZN2at6native6mbtopk29computeBlockwiseWithinKCountsImdEEvPT_PsPjjibS6_PT0_S6_S4_S6_j
		.amdhsa_group_segment_fixed_size 2104
		.amdhsa_private_segment_fixed_size 0
		.amdhsa_kernarg_size 344
		.amdhsa_user_sgpr_count 6
		.amdhsa_user_sgpr_private_segment_buffer 1
		.amdhsa_user_sgpr_dispatch_ptr 0
		.amdhsa_user_sgpr_queue_ptr 0
		.amdhsa_user_sgpr_kernarg_segment_ptr 1
		.amdhsa_user_sgpr_dispatch_id 0
		.amdhsa_user_sgpr_flat_scratch_init 0
		.amdhsa_user_sgpr_private_segment_size 0
		.amdhsa_uses_dynamic_stack 0
		.amdhsa_system_sgpr_private_segment_wavefront_offset 0
		.amdhsa_system_sgpr_workgroup_id_x 1
		.amdhsa_system_sgpr_workgroup_id_y 1
		.amdhsa_system_sgpr_workgroup_id_z 1
		.amdhsa_system_sgpr_workgroup_info 0
		.amdhsa_system_vgpr_workitem_id 0
		.amdhsa_next_free_vgpr 11
		.amdhsa_next_free_sgpr 30
		.amdhsa_reserve_vcc 1
		.amdhsa_reserve_flat_scratch 0
		.amdhsa_float_round_mode_32 0
		.amdhsa_float_round_mode_16_64 0
		.amdhsa_float_denorm_mode_32 3
		.amdhsa_float_denorm_mode_16_64 3
		.amdhsa_dx10_clamp 1
		.amdhsa_ieee_mode 1
		.amdhsa_fp16_overflow 0
		.amdhsa_exception_fp_ieee_invalid_op 0
		.amdhsa_exception_fp_denorm_src 0
		.amdhsa_exception_fp_ieee_div_zero 0
		.amdhsa_exception_fp_ieee_overflow 0
		.amdhsa_exception_fp_ieee_underflow 0
		.amdhsa_exception_fp_ieee_inexact 0
		.amdhsa_exception_int_div_zero 0
	.end_amdhsa_kernel
	.section	.text._ZN2at6native6mbtopk29computeBlockwiseWithinKCountsImdEEvPT_PsPjjibS6_PT0_S6_S4_S6_j,"axG",@progbits,_ZN2at6native6mbtopk29computeBlockwiseWithinKCountsImdEEvPT_PsPjjibS6_PT0_S6_S4_S6_j,comdat
.Lfunc_end67:
	.size	_ZN2at6native6mbtopk29computeBlockwiseWithinKCountsImdEEvPT_PsPjjibS6_PT0_S6_S4_S6_j, .Lfunc_end67-_ZN2at6native6mbtopk29computeBlockwiseWithinKCountsImdEEvPT_PsPjjibS6_PT0_S6_S4_S6_j
                                        ; -- End function
	.set _ZN2at6native6mbtopk29computeBlockwiseWithinKCountsImdEEvPT_PsPjjibS6_PT0_S6_S4_S6_j.num_vgpr, 11
	.set _ZN2at6native6mbtopk29computeBlockwiseWithinKCountsImdEEvPT_PsPjjibS6_PT0_S6_S4_S6_j.num_agpr, 0
	.set _ZN2at6native6mbtopk29computeBlockwiseWithinKCountsImdEEvPT_PsPjjibS6_PT0_S6_S4_S6_j.numbered_sgpr, 30
	.set _ZN2at6native6mbtopk29computeBlockwiseWithinKCountsImdEEvPT_PsPjjibS6_PT0_S6_S4_S6_j.num_named_barrier, 0
	.set _ZN2at6native6mbtopk29computeBlockwiseWithinKCountsImdEEvPT_PsPjjibS6_PT0_S6_S4_S6_j.private_seg_size, 0
	.set _ZN2at6native6mbtopk29computeBlockwiseWithinKCountsImdEEvPT_PsPjjibS6_PT0_S6_S4_S6_j.uses_vcc, 1
	.set _ZN2at6native6mbtopk29computeBlockwiseWithinKCountsImdEEvPT_PsPjjibS6_PT0_S6_S4_S6_j.uses_flat_scratch, 0
	.set _ZN2at6native6mbtopk29computeBlockwiseWithinKCountsImdEEvPT_PsPjjibS6_PT0_S6_S4_S6_j.has_dyn_sized_stack, 0
	.set _ZN2at6native6mbtopk29computeBlockwiseWithinKCountsImdEEvPT_PsPjjibS6_PT0_S6_S4_S6_j.has_recursion, 0
	.set _ZN2at6native6mbtopk29computeBlockwiseWithinKCountsImdEEvPT_PsPjjibS6_PT0_S6_S4_S6_j.has_indirect_call, 0
	.section	.AMDGPU.csdata,"",@progbits
; Kernel info:
; codeLenInByte = 1916
; TotalNumSgprs: 34
; NumVgprs: 11
; ScratchSize: 0
; MemoryBound: 0
; FloatMode: 240
; IeeeMode: 1
; LDSByteSize: 2104 bytes/workgroup (compile time only)
; SGPRBlocks: 4
; VGPRBlocks: 2
; NumSGPRsForWavesPerEU: 34
; NumVGPRsForWavesPerEU: 11
; Occupancy: 10
; WaveLimiterHint : 1
; COMPUTE_PGM_RSRC2:SCRATCH_EN: 0
; COMPUTE_PGM_RSRC2:USER_SGPR: 6
; COMPUTE_PGM_RSRC2:TRAP_HANDLER: 0
; COMPUTE_PGM_RSRC2:TGID_X_EN: 1
; COMPUTE_PGM_RSRC2:TGID_Y_EN: 1
; COMPUTE_PGM_RSRC2:TGID_Z_EN: 1
; COMPUTE_PGM_RSRC2:TIDIG_COMP_CNT: 0
	.section	.text._ZN2at6native6mbtopk10gatherTopKIdjLi1EEEvNS_4cuda6detail10TensorInfoIKT_T0_EES8_S8_bjS8_NS5_IS6_S8_EES8_NS5_IlS8_EES8_jjPS6_PjSD_j,"axG",@progbits,_ZN2at6native6mbtopk10gatherTopKIdjLi1EEEvNS_4cuda6detail10TensorInfoIKT_T0_EES8_S8_bjS8_NS5_IS6_S8_EES8_NS5_IlS8_EES8_jjPS6_PjSD_j,comdat
	.protected	_ZN2at6native6mbtopk10gatherTopKIdjLi1EEEvNS_4cuda6detail10TensorInfoIKT_T0_EES8_S8_bjS8_NS5_IS6_S8_EES8_NS5_IlS8_EES8_jjPS6_PjSD_j ; -- Begin function _ZN2at6native6mbtopk10gatherTopKIdjLi1EEEvNS_4cuda6detail10TensorInfoIKT_T0_EES8_S8_bjS8_NS5_IS6_S8_EES8_NS5_IlS8_EES8_jjPS6_PjSD_j
	.globl	_ZN2at6native6mbtopk10gatherTopKIdjLi1EEEvNS_4cuda6detail10TensorInfoIKT_T0_EES8_S8_bjS8_NS5_IS6_S8_EES8_NS5_IlS8_EES8_jjPS6_PjSD_j
	.p2align	8
	.type	_ZN2at6native6mbtopk10gatherTopKIdjLi1EEEvNS_4cuda6detail10TensorInfoIKT_T0_EES8_S8_bjS8_NS5_IS6_S8_EES8_NS5_IlS8_EES8_jjPS6_PjSD_j,@function
_ZN2at6native6mbtopk10gatherTopKIdjLi1EEEvNS_4cuda6detail10TensorInfoIKT_T0_EES8_S8_bjS8_NS5_IS6_S8_EES8_NS5_IlS8_EES8_jjPS6_PjSD_j: ; @_ZN2at6native6mbtopk10gatherTopKIdjLi1EEEvNS_4cuda6detail10TensorInfoIKT_T0_EES8_S8_bjS8_NS5_IS6_S8_EES8_NS5_IlS8_EES8_jjPS6_PjSD_j
; %bb.0:
	s_load_dwordx2 s[0:1], s[4:5], 0x2d8
	s_load_dword s2, s[4:5], 0x2d0
	s_waitcnt lgkmcnt(0)
	s_mul_i32 s1, s1, s8
	s_add_i32 s1, s1, s7
	s_mul_i32 s0, s1, s0
	s_add_i32 s0, s0, s6
	s_cmp_ge_u32 s0, s2
	s_cbranch_scc1 .LBB68_40
; %bb.1:
	s_load_dwordx8 s[8:15], s[4:5], 0x2a8
	s_mov_b32 s25, 0
	s_load_dwordx2 s[6:7], s[4:5], 0x1d0
	s_load_dwordx2 s[20:21], s[4:5], 0xf0
	;; [unrolled: 1-line block ×3, first 2 shown]
	s_waitcnt lgkmcnt(0)
	v_cvt_f32_u32_e32 v1, s10
	s_sub_i32 s1, 0, s10
	v_rcp_iflag_f32_e32 v1, v1
	v_mul_f32_e32 v1, 0x4f7ffffe, v1
	v_cvt_u32_f32_e32 v1, v1
	v_readfirstlane_b32 s2, v1
	s_mul_i32 s1, s1, s2
	s_mul_hi_u32 s1, s2, s1
	s_add_i32 s2, s2, s1
	s_mul_hi_u32 s1, s0, s2
	s_mul_i32 s2, s1, s10
	s_sub_i32 s2, s0, s2
	s_add_i32 s3, s1, 1
	s_sub_i32 s11, s2, s10
	s_cmp_ge_u32 s2, s10
	s_cselect_b32 s1, s3, s1
	s_cselect_b32 s2, s11, s2
	s_add_i32 s3, s1, 1
	s_cmp_ge_u32 s2, s10
	s_cselect_b32 s24, s3, s1
	s_mul_i32 s16, s24, s10
	s_sub_i32 s11, s0, s16
	s_lshl_b64 s[0:1], s[24:25], 3
	s_add_u32 s0, s12, s0
	s_addc_u32 s1, s13, s1
	s_load_dwordx2 s[26:27], s[0:1], 0x0
	v_cmp_ne_u32_e64 s[0:1], 0, v0
	v_cmp_eq_u32_e64 s[2:3], 0, v0
	s_and_saveexec_b64 s[12:13], s[2:3]
	s_cbranch_execz .LBB68_17
; %bb.2:
	s_load_dwordx2 s[28:29], s[4:5], 0x2c8
	s_mov_b32 s17, s25
	s_lshl_b64 s[30:31], s[16:17], 2
	s_add_u32 s16, s14, s30
	s_addc_u32 s17, s15, s31
	s_waitcnt lgkmcnt(0)
	s_add_u32 s18, s28, s30
	s_addc_u32 s19, s29, s31
	s_cmp_lt_u32 s10, 4
	s_cbranch_scc1 .LBB68_14
; %bb.3:
	s_mov_b32 s33, s25
	s_mov_b32 s36, s25
	;; [unrolled: 1-line block ×3, first 2 shown]
.LBB68_4:                               ; =>This Inner Loop Header: Depth=1
	s_add_u32 s34, s14, s30
	s_addc_u32 s35, s15, s31
	s_load_dwordx4 s[16:19], s[34:35], 0x0
	s_add_u32 s34, s28, s30
	s_addc_u32 s35, s29, s31
	s_cmp_ge_u32 s37, s11
	s_cbranch_scc0 .LBB68_11
; %bb.5:                                ;   in Loop: Header=BB68_4 Depth=1
	s_add_i32 s38, s37, 1
	s_cmp_ge_u32 s38, s11
	s_cbranch_scc0 .LBB68_12
.LBB68_6:                               ;   in Loop: Header=BB68_4 Depth=1
	s_add_i32 s38, s38, 1
	s_cmp_ge_u32 s38, s11
	s_cbranch_scc0 .LBB68_13
.LBB68_7:                               ;   in Loop: Header=BB68_4 Depth=1
	s_add_i32 s38, s38, 1
	s_cmp_ge_u32 s38, s11
	s_cbranch_scc1 .LBB68_9
.LBB68_8:                               ;   in Loop: Header=BB68_4 Depth=1
	s_load_dword s34, s[34:35], 0xc
	s_waitcnt lgkmcnt(0)
	s_add_i32 s25, s25, s19
	s_add_i32 s33, s34, s33
.LBB68_9:                               ;   in Loop: Header=BB68_4 Depth=1
	s_waitcnt lgkmcnt(0)
	s_add_i32 s16, s16, s36
	s_add_i32 s16, s16, s17
	;; [unrolled: 1-line block ×4, first 2 shown]
	s_add_u32 s14, s14, 16
	s_addc_u32 s15, s15, 0
	s_add_u32 s28, s28, 16
	s_addc_u32 s29, s29, 0
	s_add_i32 s35, s38, 4
	s_add_u32 s18, s28, s30
	s_addc_u32 s19, s29, s31
	s_add_u32 s16, s14, s30
	s_addc_u32 s17, s15, s31
	s_add_i32 s34, s38, 1
	s_cmp_ge_u32 s35, s10
	s_cbranch_scc1 .LBB68_15
; %bb.10:                               ;   in Loop: Header=BB68_4 Depth=1
	s_mov_b32 s37, s34
	s_branch .LBB68_4
.LBB68_11:                              ;   in Loop: Header=BB68_4 Depth=1
	s_load_dword s38, s[34:35], 0x0
	s_waitcnt lgkmcnt(0)
	s_add_i32 s25, s16, s25
	s_add_i32 s33, s38, s33
	;; [unrolled: 1-line block ×3, first 2 shown]
	s_cmp_ge_u32 s38, s11
	s_cbranch_scc1 .LBB68_6
.LBB68_12:                              ;   in Loop: Header=BB68_4 Depth=1
	s_load_dword s39, s[34:35], 0x4
	s_waitcnt lgkmcnt(0)
	s_add_i32 s25, s25, s17
	s_add_i32 s33, s39, s33
	;; [unrolled: 1-line block ×3, first 2 shown]
	s_cmp_ge_u32 s38, s11
	s_cbranch_scc1 .LBB68_7
.LBB68_13:                              ;   in Loop: Header=BB68_4 Depth=1
	s_load_dword s39, s[34:35], 0x8
	s_waitcnt lgkmcnt(0)
	s_add_i32 s25, s25, s18
	s_add_i32 s33, s39, s33
	;; [unrolled: 1-line block ×3, first 2 shown]
	s_cmp_ge_u32 s38, s11
	s_cbranch_scc0 .LBB68_8
	s_branch .LBB68_9
.LBB68_14:
	s_mov_b32 s33, 0
	s_mov_b32 s36, 0
	s_mov_b32 s14, 0
	s_cmp_ge_u32 s14, s10
	s_cbranch_scc0 .LBB68_38
	s_branch .LBB68_16
.LBB68_15:
	s_add_i32 s14, s37, 4
	s_cmp_ge_u32 s14, s10
	s_cbranch_scc0 .LBB68_38
.LBB68_16:
	v_mov_b32_e32 v1, s33
	v_mov_b32_e32 v2, s36
	v_mov_b32_e32 v3, s25
	v_mov_b32_e32 v4, 0
	ds_write_b96 v4, v[1:3] offset:1056
.LBB68_17:
	s_or_b64 exec, exec, s[12:13]
	s_load_dword s16, s[4:5], 0x23c
	s_load_dword s17, s[4:5], 0x15c
	;; [unrolled: 1-line block ×3, first 2 shown]
	s_load_dwordx4 s[12:15], s[4:5], 0xd8
	s_waitcnt lgkmcnt(0)
	s_mul_i32 s15, s9, s11
	s_lshl_b32 s15, s15, 8
	s_add_i32 s19, s11, 1
	s_mov_b32 s11, 0
	s_sub_i32 s25, s12, s15
	s_add_u32 s28, s25, 0xff
	s_addc_u32 s29, 0, 0
	s_lshr_b64 s[28:29], s[28:29], 8
	s_cmp_lt_u32 s19, s10
	s_cselect_b32 s9, s9, s28
	s_cmp_eq_u32 s9, 0
	s_barrier
	s_cbranch_scc1 .LBB68_40
; %bb.18:
	s_mul_i32 s10, s24, s18
	s_mul_i32 s18, s24, s17
	;; [unrolled: 1-line block ×3, first 2 shown]
	s_lshl_b64 s[16:17], s[10:11], 3
	s_add_u32 s16, s22, s16
	s_addc_u32 s17, s23, s17
	s_mov_b32 s19, s11
	v_cmp_o_f64_e64 s[22:23], s[26:27], s[26:27]
	s_lshl_b64 s[18:19], s[18:19], 3
	v_mov_b32_e32 v5, 0
	s_add_u32 s18, s20, s18
	s_mov_b32 s25, s11
	ds_read_b96 v[1:3], v5 offset:1056
	s_addc_u32 s19, s21, s19
	s_lshl_b64 s[10:11], s[24:25], 3
	s_add_u32 s20, s6, s10
	s_addc_u32 s21, s7, s11
	s_ashr_i32 s6, s27, 31
	s_or_b32 s7, s6, 0x80000000
	s_xor_b64 s[6:7], s[6:7], s[26:27]
	s_waitcnt lgkmcnt(0)
	v_add_u32_e32 v2, v1, v2
	v_lshrrev_b32_e32 v1, 3, v0
	s_and_b64 s[10:11], s[22:23], exec
	v_and_b32_e32 v1, 28, v1
	s_cselect_b32 s11, s7, -1
	s_cselect_b32 s10, s6, -1
	s_bitcmp1_b32 s14, 0
	s_load_dword s14, s[4:5], 0xe8
	s_load_dword s22, s[4:5], 0x1c8
	v_lshl_add_u32 v8, v0, 2, v1
	v_lshrrev_b32_e32 v1, 1, v0
	v_and_b32_e32 v9, 0x7c, v1
	v_add_u32_e32 v1, -1, v0
	v_lshrrev_b32_e32 v4, 3, v1
	v_cmp_gt_u32_e64 s[4:5], 64, v0
	v_lshlrev_b32_e32 v10, 4, v0
	v_and_b32_e32 v4, 0x1ffffffc, v4
	v_add_u32_e32 v0, s15, v0
	v_lshl_add_u32 v11, v1, 2, v4
	s_waitcnt lgkmcnt(0)
	v_mul_lo_u32 v4, s14, v0
	v_mbcnt_lo_u32_b32 v1, -1, 0
	s_cselect_b64 s[6:7], -1, 0
	s_lshl_b32 s23, s14, 8
	v_mbcnt_hi_u32_b32 v12, -1, v1
                                        ; implicit-def: $vgpr6_vgpr7
	s_branch .LBB68_21
.LBB68_19:                              ;   in Loop: Header=BB68_21 Depth=1
	s_or_b64 exec, exec, s[14:15]
	v_add_u32_e32 v2, v15, v2
.LBB68_20:                              ;   in Loop: Header=BB68_21 Depth=1
	s_add_i32 s9, s9, -1
	v_add_u32_e32 v3, v14, v3
	v_add_u32_e32 v4, s23, v4
	s_cmp_lg_u32 s9, 0
	v_add_u32_e32 v0, 0x100, v0
	s_cbranch_scc0 .LBB68_40
.LBB68_21:                              ; =>This Inner Loop Header: Depth=1
	v_cmp_gt_u32_e32 vcc, s12, v0
	v_mov_b32_e32 v1, 0
	v_mov_b32_e32 v13, 0
	s_and_saveexec_b64 s[14:15], vcc
	s_cbranch_execz .LBB68_23
; %bb.22:                               ;   in Loop: Header=BB68_21 Depth=1
	v_lshlrev_b64 v[6:7], 3, v[4:5]
	v_mov_b32_e32 v1, s17
	v_add_co_u32_e32 v6, vcc, s16, v6
	v_addc_co_u32_e32 v7, vcc, v1, v7, vcc
	global_load_dwordx2 v[6:7], v[6:7], off
	s_waitcnt vmcnt(0)
	v_cmp_o_f64_e32 vcc, v[6:7], v[6:7]
	v_ashrrev_i32_e32 v1, 31, v7
	v_or_b32_e32 v13, 0x80000000, v1
	v_xor_b32_e32 v13, v13, v7
	v_xor_b32_e32 v1, v1, v6
	v_cndmask_b32_e32 v14, -1, v13, vcc
	v_cndmask_b32_e32 v13, -1, v1, vcc
	v_cmp_lt_u64_e32 vcc, s[10:11], v[13:14]
	v_cndmask_b32_e64 v1, 0, 1, vcc
	v_cmp_gt_u64_e32 vcc, s[10:11], v[13:14]
	v_cndmask_b32_e64 v15, 0, 1, vcc
	v_cmp_eq_u64_e32 vcc, s[10:11], v[13:14]
	v_cndmask_b32_e64 v1, v15, v1, s[6:7]
	v_and_b32_e32 v1, 1, v1
	v_cndmask_b32_e64 v13, 0, 1, vcc
.LBB68_23:                              ;   in Loop: Header=BB68_21 Depth=1
	s_or_b64 exec, exec, s[14:15]
	ds_write_b32 v8, v1
	s_waitcnt vmcnt(0) lgkmcnt(0)
	s_barrier
	s_and_saveexec_b64 s[14:15], s[4:5]
	s_cbranch_execz .LBB68_25
; %bb.24:                               ;   in Loop: Header=BB68_21 Depth=1
	v_add_u32_e32 v18, v9, v10
	ds_read2_b32 v[14:15], v18 offset1:1
	ds_read2_b32 v[16:17], v18 offset0:2 offset1:3
	v_and_b32_e32 v19, 15, v12
	v_cmp_ne_u32_e32 vcc, 0, v19
	s_waitcnt lgkmcnt(1)
	v_add_u32_e32 v15, v15, v14
	s_waitcnt lgkmcnt(0)
	v_add3_u32 v15, v15, v16, v17
	v_bfe_i32 v17, v12, 4, 1
	; wave barrier
	s_nop 0
	v_mov_b32_dpp v16, v15 row_shr:1 row_mask:0xf bank_mask:0xf
	v_cndmask_b32_e32 v16, 0, v16, vcc
	v_add_u32_e32 v15, v16, v15
	v_cmp_lt_u32_e32 vcc, 1, v19
	s_nop 0
	v_mov_b32_dpp v16, v15 row_shr:2 row_mask:0xf bank_mask:0xf
	v_cndmask_b32_e32 v16, 0, v16, vcc
	v_add_u32_e32 v15, v15, v16
	v_cmp_lt_u32_e32 vcc, 3, v19
	;; [unrolled: 5-line block ×4, first 2 shown]
	s_nop 0
	v_mov_b32_dpp v16, v15 row_bcast:15 row_mask:0xf bank_mask:0xf
	v_and_b32_e32 v16, v17, v16
	v_add_u32_e32 v15, v15, v16
	v_and_b32_e32 v17, 64, v12
	s_nop 0
	v_mov_b32_dpp v16, v15 row_bcast:31 row_mask:0xf bank_mask:0xf
	v_cndmask_b32_e32 v16, 0, v16, vcc
	v_add_u32_e32 v15, v15, v16
	v_add_u32_e32 v16, -1, v12
	v_cmp_lt_i32_e32 vcc, v16, v17
	v_cndmask_b32_e32 v16, v16, v12, vcc
	v_lshlrev_b32_e32 v16, 2, v16
	ds_bpermute_b32 v15, v16, v15
	s_waitcnt lgkmcnt(0)
	v_add_u32_e32 v14, v15, v14
	v_cndmask_b32_e64 v16, v14, v1, s[2:3]
	ds_write_b32 v18, v16
	; wave barrier
	ds_read2_b32 v[14:15], v18 offset0:1 offset1:2
	ds_read_b32 v17, v18 offset:12
	s_waitcnt lgkmcnt(1)
	v_add_u32_e32 v14, v14, v16
	v_add_u32_e32 v15, v15, v14
	ds_write2_b32 v18, v14, v15 offset0:1 offset1:2
	s_waitcnt lgkmcnt(1)
	v_add_u32_e32 v14, v17, v15
	ds_write_b32 v18, v14 offset:12
.LBB68_25:                              ;   in Loop: Header=BB68_21 Depth=1
	s_or_b64 exec, exec, s[14:15]
	v_mov_b32_e32 v15, 0
	s_waitcnt lgkmcnt(0)
	s_barrier
	s_and_saveexec_b64 s[14:15], s[0:1]
; %bb.26:                               ;   in Loop: Header=BB68_21 Depth=1
	ds_read_b32 v15, v11
; %bb.27:                               ;   in Loop: Header=BB68_21 Depth=1
	s_or_b64 exec, exec, s[14:15]
	ds_read_b32 v14, v5 offset:1048
	v_cmp_ne_u32_e32 vcc, 0, v1
	s_waitcnt lgkmcnt(0)
	s_barrier
	s_and_saveexec_b64 s[14:15], vcc
	s_cbranch_execz .LBB68_29
; %bb.28:                               ;   in Loop: Header=BB68_21 Depth=1
	v_add_u32_e32 v1, v15, v3
	v_mul_lo_u32 v15, v1, s22
	v_mov_b32_e32 v16, v5
	v_mov_b32_e32 v17, s19
	;; [unrolled: 1-line block ×3, first 2 shown]
	v_lshlrev_b64 v[15:16], 3, v[15:16]
	v_add_co_u32_e32 v15, vcc, s18, v15
	v_addc_co_u32_e32 v16, vcc, v17, v16, vcc
	v_mul_lo_u32 v17, v1, s8
	global_store_dwordx2 v[15:16], v[6:7], off
	v_mov_b32_e32 v1, v5
	v_lshlrev_b64 v[15:16], 3, v[17:18]
	v_mov_b32_e32 v17, s21
	v_add_co_u32_e32 v15, vcc, s20, v15
	v_addc_co_u32_e32 v16, vcc, v17, v16, vcc
	global_store_dwordx2 v[15:16], v[0:1], off
.LBB68_29:                              ;   in Loop: Header=BB68_21 Depth=1
	s_or_b64 exec, exec, s[14:15]
	v_cmp_le_u32_e32 vcc, s13, v2
	s_cbranch_vccnz .LBB68_20
; %bb.30:                               ;   in Loop: Header=BB68_21 Depth=1
	ds_write_b32 v8, v13
	s_waitcnt vmcnt(0) lgkmcnt(0)
	s_barrier
	s_and_saveexec_b64 s[14:15], s[4:5]
	s_cbranch_execz .LBB68_32
; %bb.31:                               ;   in Loop: Header=BB68_21 Depth=1
	v_add_u32_e32 v1, v9, v10
	ds_read2_b32 v[15:16], v1 offset1:1
	ds_read2_b32 v[17:18], v1 offset0:2 offset1:3
	v_and_b32_e32 v19, 15, v12
	v_cmp_ne_u32_e32 vcc, 0, v19
	s_waitcnt lgkmcnt(1)
	v_add_u32_e32 v16, v16, v15
	s_waitcnt lgkmcnt(0)
	v_add3_u32 v16, v16, v17, v18
	v_bfe_i32 v18, v12, 4, 1
	; wave barrier
	s_nop 0
	v_mov_b32_dpp v17, v16 row_shr:1 row_mask:0xf bank_mask:0xf
	v_cndmask_b32_e32 v17, 0, v17, vcc
	v_add_u32_e32 v16, v17, v16
	v_cmp_lt_u32_e32 vcc, 1, v19
	s_nop 0
	v_mov_b32_dpp v17, v16 row_shr:2 row_mask:0xf bank_mask:0xf
	v_cndmask_b32_e32 v17, 0, v17, vcc
	v_add_u32_e32 v16, v16, v17
	v_cmp_lt_u32_e32 vcc, 3, v19
	;; [unrolled: 5-line block ×4, first 2 shown]
	s_nop 0
	v_mov_b32_dpp v17, v16 row_bcast:15 row_mask:0xf bank_mask:0xf
	v_and_b32_e32 v17, v18, v17
	v_add_u32_e32 v16, v16, v17
	v_and_b32_e32 v18, 64, v12
	s_nop 0
	v_mov_b32_dpp v17, v16 row_bcast:31 row_mask:0xf bank_mask:0xf
	v_cndmask_b32_e32 v17, 0, v17, vcc
	v_add_u32_e32 v16, v16, v17
	v_add_u32_e32 v17, -1, v12
	v_cmp_lt_i32_e32 vcc, v17, v18
	v_cndmask_b32_e32 v17, v17, v12, vcc
	v_lshlrev_b32_e32 v17, 2, v17
	ds_bpermute_b32 v16, v17, v16
	s_waitcnt lgkmcnt(0)
	v_add_u32_e32 v15, v16, v15
	v_cndmask_b32_e64 v17, v15, v13, s[2:3]
	ds_write_b32 v1, v17
	; wave barrier
	ds_read2_b32 v[15:16], v1 offset0:1 offset1:2
	ds_read_b32 v18, v1 offset:12
	s_waitcnt lgkmcnt(1)
	v_add_u32_e32 v15, v15, v17
	v_add_u32_e32 v16, v16, v15
	ds_write2_b32 v1, v15, v16 offset0:1 offset1:2
	s_waitcnt lgkmcnt(1)
	v_add_u32_e32 v15, v18, v16
	ds_write_b32 v1, v15 offset:12
.LBB68_32:                              ;   in Loop: Header=BB68_21 Depth=1
	s_or_b64 exec, exec, s[14:15]
	v_mov_b32_e32 v1, 0
	s_waitcnt lgkmcnt(0)
	s_barrier
	s_and_saveexec_b64 s[14:15], s[0:1]
; %bb.33:                               ;   in Loop: Header=BB68_21 Depth=1
	ds_read_b32 v1, v11
; %bb.34:                               ;   in Loop: Header=BB68_21 Depth=1
	s_or_b64 exec, exec, s[14:15]
	ds_read_b32 v15, v5 offset:1048
	v_cmp_ne_u32_e32 vcc, 0, v13
	s_waitcnt lgkmcnt(0)
	s_barrier
	s_and_saveexec_b64 s[14:15], vcc
	s_cbranch_execz .LBB68_19
; %bb.35:                               ;   in Loop: Header=BB68_21 Depth=1
	v_add_u32_e32 v1, v1, v2
	v_cmp_gt_u32_e32 vcc, s13, v1
	s_and_b64 exec, exec, vcc
	s_cbranch_execz .LBB68_19
; %bb.36:                               ;   in Loop: Header=BB68_21 Depth=1
	v_mul_lo_u32 v16, v1, s22
	v_mov_b32_e32 v17, v5
	v_mul_lo_u32 v18, v1, s8
	v_mov_b32_e32 v13, s19
	v_lshlrev_b64 v[16:17], 3, v[16:17]
	v_mov_b32_e32 v19, v5
	v_add_co_u32_e32 v16, vcc, s18, v16
	v_addc_co_u32_e32 v17, vcc, v13, v17, vcc
	global_store_dwordx2 v[16:17], v[6:7], off
	v_lshlrev_b64 v[16:17], 3, v[18:19]
	v_mov_b32_e32 v13, s21
	v_add_co_u32_e32 v16, vcc, s20, v16
	v_mov_b32_e32 v1, v5
	v_addc_co_u32_e32 v17, vcc, v13, v17, vcc
	global_store_dwordx2 v[16:17], v[0:1], off
	s_branch .LBB68_19
.LBB68_37:                              ;   in Loop: Header=BB68_38 Depth=1
	s_add_u32 s16, s16, 4
	s_addc_u32 s17, s17, 0
	s_waitcnt lgkmcnt(0)
	s_add_i32 s36, s15, s36
	s_add_u32 s18, s18, 4
	s_addc_u32 s19, s19, 0
	s_add_i32 s14, s14, 1
	s_cmp_lt_u32 s14, s10
	s_cbranch_scc0 .LBB68_16
.LBB68_38:                              ; =>This Inner Loop Header: Depth=1
	s_load_dword s15, s[16:17], 0x0
	s_cmp_ge_u32 s14, s11
	s_cbranch_scc1 .LBB68_37
; %bb.39:                               ;   in Loop: Header=BB68_38 Depth=1
	s_load_dword s28, s[18:19], 0x0
	s_waitcnt lgkmcnt(0)
	s_add_i32 s25, s15, s25
	s_add_i32 s33, s28, s33
	s_branch .LBB68_37
.LBB68_40:
	s_endpgm
	.section	.rodata,"a",@progbits
	.p2align	6, 0x0
	.amdhsa_kernel _ZN2at6native6mbtopk10gatherTopKIdjLi1EEEvNS_4cuda6detail10TensorInfoIKT_T0_EES8_S8_bjS8_NS5_IS6_S8_EES8_NS5_IlS8_EES8_jjPS6_PjSD_j
		.amdhsa_group_segment_fixed_size 1068
		.amdhsa_private_segment_fixed_size 0
		.amdhsa_kernarg_size 984
		.amdhsa_user_sgpr_count 6
		.amdhsa_user_sgpr_private_segment_buffer 1
		.amdhsa_user_sgpr_dispatch_ptr 0
		.amdhsa_user_sgpr_queue_ptr 0
		.amdhsa_user_sgpr_kernarg_segment_ptr 1
		.amdhsa_user_sgpr_dispatch_id 0
		.amdhsa_user_sgpr_flat_scratch_init 0
		.amdhsa_user_sgpr_private_segment_size 0
		.amdhsa_uses_dynamic_stack 0
		.amdhsa_system_sgpr_private_segment_wavefront_offset 0
		.amdhsa_system_sgpr_workgroup_id_x 1
		.amdhsa_system_sgpr_workgroup_id_y 1
		.amdhsa_system_sgpr_workgroup_id_z 1
		.amdhsa_system_sgpr_workgroup_info 0
		.amdhsa_system_vgpr_workitem_id 0
		.amdhsa_next_free_vgpr 20
		.amdhsa_next_free_sgpr 40
		.amdhsa_reserve_vcc 1
		.amdhsa_reserve_flat_scratch 0
		.amdhsa_float_round_mode_32 0
		.amdhsa_float_round_mode_16_64 0
		.amdhsa_float_denorm_mode_32 3
		.amdhsa_float_denorm_mode_16_64 3
		.amdhsa_dx10_clamp 1
		.amdhsa_ieee_mode 1
		.amdhsa_fp16_overflow 0
		.amdhsa_exception_fp_ieee_invalid_op 0
		.amdhsa_exception_fp_denorm_src 0
		.amdhsa_exception_fp_ieee_div_zero 0
		.amdhsa_exception_fp_ieee_overflow 0
		.amdhsa_exception_fp_ieee_underflow 0
		.amdhsa_exception_fp_ieee_inexact 0
		.amdhsa_exception_int_div_zero 0
	.end_amdhsa_kernel
	.section	.text._ZN2at6native6mbtopk10gatherTopKIdjLi1EEEvNS_4cuda6detail10TensorInfoIKT_T0_EES8_S8_bjS8_NS5_IS6_S8_EES8_NS5_IlS8_EES8_jjPS6_PjSD_j,"axG",@progbits,_ZN2at6native6mbtopk10gatherTopKIdjLi1EEEvNS_4cuda6detail10TensorInfoIKT_T0_EES8_S8_bjS8_NS5_IS6_S8_EES8_NS5_IlS8_EES8_jjPS6_PjSD_j,comdat
.Lfunc_end68:
	.size	_ZN2at6native6mbtopk10gatherTopKIdjLi1EEEvNS_4cuda6detail10TensorInfoIKT_T0_EES8_S8_bjS8_NS5_IS6_S8_EES8_NS5_IlS8_EES8_jjPS6_PjSD_j, .Lfunc_end68-_ZN2at6native6mbtopk10gatherTopKIdjLi1EEEvNS_4cuda6detail10TensorInfoIKT_T0_EES8_S8_bjS8_NS5_IS6_S8_EES8_NS5_IlS8_EES8_jjPS6_PjSD_j
                                        ; -- End function
	.set _ZN2at6native6mbtopk10gatherTopKIdjLi1EEEvNS_4cuda6detail10TensorInfoIKT_T0_EES8_S8_bjS8_NS5_IS6_S8_EES8_NS5_IlS8_EES8_jjPS6_PjSD_j.num_vgpr, 20
	.set _ZN2at6native6mbtopk10gatherTopKIdjLi1EEEvNS_4cuda6detail10TensorInfoIKT_T0_EES8_S8_bjS8_NS5_IS6_S8_EES8_NS5_IlS8_EES8_jjPS6_PjSD_j.num_agpr, 0
	.set _ZN2at6native6mbtopk10gatherTopKIdjLi1EEEvNS_4cuda6detail10TensorInfoIKT_T0_EES8_S8_bjS8_NS5_IS6_S8_EES8_NS5_IlS8_EES8_jjPS6_PjSD_j.numbered_sgpr, 40
	.set _ZN2at6native6mbtopk10gatherTopKIdjLi1EEEvNS_4cuda6detail10TensorInfoIKT_T0_EES8_S8_bjS8_NS5_IS6_S8_EES8_NS5_IlS8_EES8_jjPS6_PjSD_j.num_named_barrier, 0
	.set _ZN2at6native6mbtopk10gatherTopKIdjLi1EEEvNS_4cuda6detail10TensorInfoIKT_T0_EES8_S8_bjS8_NS5_IS6_S8_EES8_NS5_IlS8_EES8_jjPS6_PjSD_j.private_seg_size, 0
	.set _ZN2at6native6mbtopk10gatherTopKIdjLi1EEEvNS_4cuda6detail10TensorInfoIKT_T0_EES8_S8_bjS8_NS5_IS6_S8_EES8_NS5_IlS8_EES8_jjPS6_PjSD_j.uses_vcc, 1
	.set _ZN2at6native6mbtopk10gatherTopKIdjLi1EEEvNS_4cuda6detail10TensorInfoIKT_T0_EES8_S8_bjS8_NS5_IS6_S8_EES8_NS5_IlS8_EES8_jjPS6_PjSD_j.uses_flat_scratch, 0
	.set _ZN2at6native6mbtopk10gatherTopKIdjLi1EEEvNS_4cuda6detail10TensorInfoIKT_T0_EES8_S8_bjS8_NS5_IS6_S8_EES8_NS5_IlS8_EES8_jjPS6_PjSD_j.has_dyn_sized_stack, 0
	.set _ZN2at6native6mbtopk10gatherTopKIdjLi1EEEvNS_4cuda6detail10TensorInfoIKT_T0_EES8_S8_bjS8_NS5_IS6_S8_EES8_NS5_IlS8_EES8_jjPS6_PjSD_j.has_recursion, 0
	.set _ZN2at6native6mbtopk10gatherTopKIdjLi1EEEvNS_4cuda6detail10TensorInfoIKT_T0_EES8_S8_bjS8_NS5_IS6_S8_EES8_NS5_IlS8_EES8_jjPS6_PjSD_j.has_indirect_call, 0
	.section	.AMDGPU.csdata,"",@progbits
; Kernel info:
; codeLenInByte = 2152
; TotalNumSgprs: 44
; NumVgprs: 20
; ScratchSize: 0
; MemoryBound: 0
; FloatMode: 240
; IeeeMode: 1
; LDSByteSize: 1068 bytes/workgroup (compile time only)
; SGPRBlocks: 5
; VGPRBlocks: 4
; NumSGPRsForWavesPerEU: 44
; NumVGPRsForWavesPerEU: 20
; Occupancy: 10
; WaveLimiterHint : 1
; COMPUTE_PGM_RSRC2:SCRATCH_EN: 0
; COMPUTE_PGM_RSRC2:USER_SGPR: 6
; COMPUTE_PGM_RSRC2:TRAP_HANDLER: 0
; COMPUTE_PGM_RSRC2:TGID_X_EN: 1
; COMPUTE_PGM_RSRC2:TGID_Y_EN: 1
; COMPUTE_PGM_RSRC2:TGID_Z_EN: 1
; COMPUTE_PGM_RSRC2:TIDIG_COMP_CNT: 0
	.section	.text._ZN2at6native6sbtopk10gatherTopKIdjLi1ELb0EEEvNS_4cuda6detail10TensorInfoIKT_T0_EES8_S8_bS8_S8_NS5_IS6_S8_EES8_NS5_IlS8_EES8_PS6_,"axG",@progbits,_ZN2at6native6sbtopk10gatherTopKIdjLi1ELb0EEEvNS_4cuda6detail10TensorInfoIKT_T0_EES8_S8_bS8_S8_NS5_IS6_S8_EES8_NS5_IlS8_EES8_PS6_,comdat
	.protected	_ZN2at6native6sbtopk10gatherTopKIdjLi1ELb0EEEvNS_4cuda6detail10TensorInfoIKT_T0_EES8_S8_bS8_S8_NS5_IS6_S8_EES8_NS5_IlS8_EES8_PS6_ ; -- Begin function _ZN2at6native6sbtopk10gatherTopKIdjLi1ELb0EEEvNS_4cuda6detail10TensorInfoIKT_T0_EES8_S8_bS8_S8_NS5_IS6_S8_EES8_NS5_IlS8_EES8_PS6_
	.globl	_ZN2at6native6sbtopk10gatherTopKIdjLi1ELb0EEEvNS_4cuda6detail10TensorInfoIKT_T0_EES8_S8_bS8_S8_NS5_IS6_S8_EES8_NS5_IlS8_EES8_PS6_
	.p2align	8
	.type	_ZN2at6native6sbtopk10gatherTopKIdjLi1ELb0EEEvNS_4cuda6detail10TensorInfoIKT_T0_EES8_S8_bS8_S8_NS5_IS6_S8_EES8_NS5_IlS8_EES8_PS6_,@function
_ZN2at6native6sbtopk10gatherTopKIdjLi1ELb0EEEvNS_4cuda6detail10TensorInfoIKT_T0_EES8_S8_bS8_S8_NS5_IS6_S8_EES8_NS5_IlS8_EES8_PS6_: ; @_ZN2at6native6sbtopk10gatherTopKIdjLi1ELb0EEEvNS_4cuda6detail10TensorInfoIKT_T0_EES8_S8_bS8_S8_NS5_IS6_S8_EES8_NS5_IlS8_EES8_PS6_
; %bb.0:
	s_load_dwordx2 s[14:15], s[4:5], 0x2b8
	s_load_dwordx4 s[28:31], s[4:5], 0xd8
	s_add_u32 s12, s4, 0x2b8
	s_addc_u32 s13, s5, 0
	s_waitcnt lgkmcnt(0)
	s_mul_i32 s0, s15, s8
	s_add_i32 s0, s0, s7
	s_mul_i32 s0, s0, s14
	s_add_i32 s10, s0, s6
	s_cmp_ge_u32 s10, s31
	s_cbranch_scc1 .LBB69_412
; %bb.1:
	s_load_dwordx2 s[0:1], s[4:5], 0x1d0
                                        ; implicit-def: $vgpr47 : SGPR spill to VGPR lane
	s_mov_b32 s39, 0
	v_cmp_eq_u32_e64 s[8:9], 0, v0
	s_waitcnt lgkmcnt(0)
	v_writelane_b32 v47, s0, 0
	v_writelane_b32 v47, s1, 1
	s_load_dword s0, s[4:5], 0xe8
	s_waitcnt lgkmcnt(0)
	v_writelane_b32 v47, s0, 2
	s_load_dwordx2 s[0:1], s[4:5], 0xf0
	s_waitcnt lgkmcnt(0)
	v_writelane_b32 v47, s0, 3
	v_writelane_b32 v47, s1, 4
	s_load_dword s7, s[4:5], 0x6c
	s_load_dwordx2 s[0:1], s[4:5], 0x0
	s_mov_b64 s[2:3], exec
	v_writelane_b32 v47, s8, 5
	v_writelane_b32 v47, s9, 6
	s_and_b64 s[8:9], s[2:3], s[8:9]
	s_mov_b64 exec, s[8:9]
; %bb.2:
	v_mov_b32_e32 v1, 0
	v_mov_b32_e32 v2, s28
	;; [unrolled: 1-line block ×3, first 2 shown]
	ds_write_b96 v1, v[1:3] offset:4096
; %bb.3:
	s_or_b64 exec, exec, s[2:3]
	s_waitcnt lgkmcnt(0)
	s_mul_i32 s38, s7, s10
	s_lshl_b64 s[2:3], s[38:39], 3
	s_add_u32 s33, s0, s2
	s_addc_u32 s38, s1, s3
	s_barrier
	s_load_dword s0, s[12:13], 0xc
	s_bitcmp1_b32 s30, 0
	v_writelane_b32 v47, s10, 7
	s_cselect_b64 s[2:3], -1, 0
	v_writelane_b32 v47, s2, 8
	v_writelane_b32 v47, s3, 9
	s_xor_b64 s[2:3], s[2:3], -1
	v_mbcnt_lo_u32_b32 v1, -1, 0
	v_writelane_b32 v47, s2, 10
	v_mbcnt_hi_u32_b32 v30, -1, v1
	v_writelane_b32 v47, s3, 11
	s_waitcnt lgkmcnt(0)
	s_and_b32 s44, s0, 0xffff
	v_cmp_gt_u32_e32 vcc, 64, v0
	v_cmp_gt_i32_e64 s[2:3], 4, v30
	s_lshl_b32 s40, s44, 2
	s_bfe_u32 s7, s0, 0xa0006
	s_and_b64 s[2:3], vcc, s[2:3]
	v_writelane_b32 v47, s2, 12
	s_cmpk_gt_u32 s28, 0x180
	v_writelane_b32 v47, s3, 13
	s_cselect_b64 s[2:3], -1, 0
	v_writelane_b32 v47, s2, 14
	v_writelane_b32 v47, s3, 15
	;; [unrolled: 1-line block ×3, first 2 shown]
	s_load_dword s8, s[4:5], 0xe8
	v_mov_b32_e32 v15, 0
	v_mov_b32_e32 v14, v15
	v_writelane_b32 v47, s5, 17
	v_cmp_gt_u32_e64 s[2:3], s28, v0
	s_waitcnt lgkmcnt(0)
	v_mul_lo_u32 v13, s8, v0
	v_mov_b32_e32 v3, s38
	v_writelane_b32 v47, s2, 18
	s_cmp_gt_u32 s44, 63
	v_lshlrev_b64 v[1:2], 3, v[13:14]
	v_writelane_b32 v47, s3, 19
	v_add_co_u32_e32 v11, vcc, s33, v1
	v_addc_co_u32_e32 v12, vcc, v3, v2, vcc
	v_lshlrev_b64 v[2:3], v30, -1
	s_cselect_b64 s[2:3], -1, 0
	v_writelane_b32 v47, s2, 20
	v_not_b32_e32 v28, v2
	v_lshrrev_b32_e32 v2, 2, v0
	v_writelane_b32 v47, s3, 21
	v_cmp_gt_u32_e64 s[2:3], 2, v0
	v_and_b32_e32 v2, 0xf0, v2
	v_writelane_b32 v47, s2, 22
	s_add_i32 s4, s44, -1
	v_or_b32_e32 v33, 0xc00, v2
	v_cvt_f32_u32_e32 v2, s40
	v_writelane_b32 v47, s3, 23
	s_add_i32 s2, s4, s28
	s_cmp_lt_u32 s6, s14
	s_cselect_b32 s3, 12, 18
	s_add_u32 s10, s12, s3
	v_rcp_iflag_f32_e32 v2, v2
	s_addc_u32 s11, s13, 0
	s_add_i32 s3, s7, -1
	s_bfe_u32 s6, s44, 0x30006
	s_and_b32 s3, s3, 0xffff
	v_writelane_b32 v47, s10, 24
	s_cmp_gt_u32 s3, 6
	v_writelane_b32 v47, s11, 25
	s_cselect_b64 s[10:11], -1, 0
	v_mul_f32_e32 v2, 0x4f7ffffe, v2
	v_writelane_b32 v47, s10, 26
	s_and_b32 s5, s7, 0x3f8
	v_cvt_u32_f32_e32 v2, v2
	v_writelane_b32 v47, s11, 27
	s_cmp_lg_u32 s6, 0
	v_writelane_b32 v47, s6, 28
	s_cselect_b64 s[6:7], -1, 0
	v_writelane_b32 v47, s6, 29
	v_writelane_b32 v47, s7, 30
	s_sub_i32 s3, 0, s40
	v_readfirstlane_b32 s6, v2
	s_mul_i32 s3, s3, s6
	s_mul_hi_u32 s3, s6, s3
	s_add_i32 s3, s6, s3
	s_mov_b32 s41, s3
	s_mul_hi_u32 s3, s28, s3
	s_mul_i32 s3, s3, s40
	v_cvt_f32_u32_e32 v2, s44
	s_sub_i32 s3, s28, s3
	s_sub_i32 s6, s3, s40
	s_cmp_ge_u32 s3, s40
	s_cselect_b32 s3, s6, s3
	v_rcp_iflag_f32_e32 v4, v2
	s_sub_i32 s6, s3, s40
	s_cmp_ge_u32 s3, s40
	s_cselect_b32 s3, s6, s3
	v_lshlrev_b32_e32 v29, 2, v0
	s_sub_i32 s13, s28, s3
	v_mul_f32_e32 v4, 0x4f7ffffe, v4
	v_cmp_gt_u32_e64 s[6:7], s13, v29
	v_cvt_u32_f32_e32 v4, v4
	v_add_u32_e32 v34, s13, v0
	v_writelane_b32 v47, s6, 31
	v_writelane_b32 v47, s7, 32
	v_cmp_gt_u32_e64 s[6:7], s28, v34
	v_writelane_b32 v47, s6, 33
	v_writelane_b32 v47, s7, 34
	s_sub_i32 s6, 0, s44
	v_readfirstlane_b32 s7, v4
	s_mul_i32 s6, s6, s7
	v_mul_lo_u32 v14, v34, s8
	s_mul_hi_u32 s6, s7, s6
	s_add_i32 s6, s7, s6
	v_writelane_b32 v47, s6, 35
	s_mul_hi_u32 s6, s2, s6
	s_mul_i32 s6, s6, s44
	v_not_b32_e32 v27, v3
	v_lshlrev_b64 v[2:3], 3, v[14:15]
	s_sub_i32 s6, s2, s6
	s_sub_i32 s7, s6, s44
	v_add_co_u32_e32 v16, vcc, s33, v2
	s_cmp_ge_u32 s6, s44
	v_mul_lo_u32 v2, s8, v29
	s_cselect_b32 s6, s7, s6
	s_sub_i32 s7, s6, s44
	s_cmp_ge_u32 s6, s44
	s_cselect_b32 s6, s7, s6
	v_add_u32_e32 v35, s8, v2
	v_or_b32_e32 v2, 2, v29
	s_sub_i32 s14, s2, s6
	v_mul_lo_u32 v36, s8, v2
	v_or_b32_e32 v2, 3, v29
	s_add_i32 s2, s44, s28
	v_mul_lo_u32 v37, s8, v2
	v_add_u32_e32 v2, s2, v0
	v_subrev_u32_e32 v2, s3, v2
	v_mul_lo_u32 v39, s8, v2
	v_mov_b32_e32 v5, s38
	v_lshlrev_b32_e32 v31, 3, v0
	v_lshlrev_b32_e32 v1, 2, v30
	v_addc_co_u32_e32 v17, vcc, v5, v3, vcc
	v_cmp_gt_u32_e64 s[6:7], s14, v0
	s_mul_i32 s45, s8, s44
	v_mov_b32_e32 v18, 0
	v_mov_b32_e32 v20, 0
	;; [unrolled: 1-line block ×3, first 2 shown]
	v_cmp_eq_u32_e64 s[0:1], 0, v30
	v_add_u32_e32 v32, 0xc00, v31
	v_and_b32_e32 v26, 0x100, v1
	v_writelane_b32 v47, s6, 36
	s_lshl_b32 s15, s45, 2
	v_lshlrev_b32_e32 v38, 2, v13
	v_lshlrev_b32_e32 v40, 5, v0
	s_lshl_b32 s12, s44, 5
	s_lshl_b32 s10, s44, 3
	v_or_b32_e32 v41, 0xc00, v1
	s_mov_b32 s11, 62
	s_mov_b64 s[52:53], 0
	v_mov_b32_e32 v42, s29
	v_mov_b32_e32 v19, 0
	;; [unrolled: 1-line block ×5, first 2 shown]
	v_writelane_b32 v47, s7, 37
                                        ; implicit-def: $sgpr54_sgpr55
                                        ; implicit-def: $sgpr56_sgpr57
                                        ; implicit-def: $sgpr60_sgpr61
                                        ; implicit-def: $sgpr62_sgpr63
                                        ; implicit-def: $sgpr58_sgpr59
                                        ; implicit-def: $sgpr64_sgpr65
                                        ; implicit-def: $sgpr66_sgpr67
                                        ; implicit-def: $sgpr68_sgpr69
                                        ; implicit-def: $sgpr70_sgpr71
                                        ; implicit-def: $sgpr72_sgpr73
	s_branch .LBB69_6
.LBB69_4:                               ;   in Loop: Header=BB69_6 Depth=1
	s_or_b64 exec, exec, s[16:17]
	s_andn2_b64 s[16:17], s[72:73], exec
	s_and_b64 s[8:9], s[8:9], exec
	s_or_b64 s[72:73], s[16:17], s[8:9]
	s_andn2_b64 s[70:71], s[70:71], exec
	s_andn2_b64 s[68:69], s[68:69], exec
	;; [unrolled: 1-line block ×4, first 2 shown]
	s_orn2_b64 s[6:7], s[6:7], exec
	v_mov_b32_e32 v42, v44
.LBB69_5:                               ;   in Loop: Header=BB69_6 Depth=1
	s_or_b64 exec, exec, s[2:3]
	s_and_b64 s[2:3], exec, s[6:7]
	s_or_b64 s[52:53], s[2:3], s[52:53]
	s_andn2_b64 s[2:3], s[58:59], exec
	s_and_b64 s[6:7], s[72:73], exec
	s_or_b64 s[58:59], s[2:3], s[6:7]
	s_andn2_b64 s[2:3], s[62:63], exec
	s_and_b64 s[6:7], s[70:71], exec
	;; [unrolled: 3-line block ×5, first 2 shown]
	s_or_b64 s[54:55], s[2:3], s[6:7]
	s_andn2_b64 exec, exec, s[52:53]
	s_cbranch_execz .LBB69_408
.LBB69_6:                               ; =>This Loop Header: Depth=1
                                        ;     Child Loop BB69_12 Depth 2
                                        ;     Child Loop BB69_25 Depth 2
	;; [unrolled: 1-line block ×24, first 2 shown]
	ds_read_b64 v[3:4], v15 offset:4096
	s_waitcnt lgkmcnt(0)
	v_readfirstlane_b32 s24, v3
	s_cmp_lg_u32 s24, 0
	s_cbranch_scc1 .LBB69_33
; %bb.7:                                ;   in Loop: Header=BB69_6 Depth=1
	v_readlane_b32 s2, v47, 14
	v_readlane_b32 s3, v47, 15
	s_and_b64 vcc, exec, s[2:3]
	s_cbranch_vccz .LBB69_20
; %bb.8:                                ;   in Loop: Header=BB69_6 Depth=1
	s_movk_i32 s2, 0x181
	v_cmp_gt_u32_e32 vcc, s2, v4
	s_mov_b64 s[20:21], 0
	s_mov_b64 s[2:3], 0
	s_cbranch_vccz .LBB69_21
; %bb.9:                                ;   in Loop: Header=BB69_6 Depth=1
	s_mov_b64 s[2:3], exec
	v_readlane_b32 s6, v47, 18
	v_readlane_b32 s7, v47, 19
	s_and_b64 s[6:7], s[2:3], s[6:7]
	s_mov_b64 exec, s[6:7]
	s_cbranch_execz .LBB69_82
; %bb.10:                               ;   in Loop: Header=BB69_6 Depth=1
	v_readlane_b32 s6, v47, 24
	v_readlane_b32 s7, v47, 25
	s_nop 4
	global_load_ushort v1, v15, s[6:7]
	global_load_dwordx2 v[3:4], v[11:12], off
	v_readlane_b32 s6, v47, 16
	v_readlane_b32 s7, v47, 17
	s_load_dword s6, s[6:7], 0xe8
	s_mov_b64 s[22:23], 0
	v_mov_b32_e32 v10, v0
	s_waitcnt vmcnt(1)
	v_add_u32_e32 v7, v0, v1
	s_waitcnt lgkmcnt(0)
	v_mul_lo_u32 v14, s6, v7
	v_mul_lo_u32 v9, s6, v1
	s_branch .LBB69_12
.LBB69_11:                              ;   in Loop: Header=BB69_12 Depth=2
	s_or_b64 exec, exec, s[6:7]
	v_mov_b32_e32 v3, v7
	v_add_u32_e32 v14, v14, v9
	v_mov_b32_e32 v4, v8
	s_andn2_b64 exec, exec, s[22:23]
	s_cbranch_execz .LBB69_82
.LBB69_12:                              ;   Parent Loop BB69_6 Depth=1
                                        ; =>  This Inner Loop Header: Depth=2
	v_add_u32_e32 v10, v10, v1
	v_mov_b32_e32 v7, 0
	v_cmp_gt_u32_e64 s[6:7], s28, v10
	v_mov_b32_e32 v8, 0
	v_cmp_le_u32_e32 vcc, s28, v10
	s_and_saveexec_b64 s[8:9], s[6:7]
	s_cbranch_execz .LBB69_14
; %bb.13:                               ;   in Loop: Header=BB69_12 Depth=2
	v_lshlrev_b64 v[7:8], 3, v[14:15]
	s_waitcnt lgkmcnt(0)
	v_mov_b32_e32 v22, s38
	v_add_co_u32_e64 v7, s[6:7], s33, v7
	v_addc_co_u32_e64 v8, s[6:7], v22, v8, s[6:7]
	global_load_dwordx2 v[7:8], v[7:8], off
.LBB69_14:                              ;   in Loop: Header=BB69_12 Depth=2
	s_or_b64 exec, exec, s[8:9]
	s_waitcnt vmcnt(0)
	v_cmp_o_f64_e64 s[6:7], v[3:4], v[3:4]
	s_waitcnt lgkmcnt(0)
	v_ashrrev_i32_e32 v22, 31, v4
	v_or_b32_e32 v23, 0x80000000, v22
	v_xor_b32_e32 v23, v23, v4
	v_xor_b32_e32 v22, v22, v3
	v_cndmask_b32_e64 v23, -1, v23, s[6:7]
	v_cndmask_b32_e64 v22, -1, v22, s[6:7]
	v_and_b32_e32 v23, v23, v21
	v_and_b32_e32 v22, v22, v20
	v_cmp_eq_u64_e64 s[18:19], v[22:23], v[18:19]
	v_mov_b32_e32 v22, 0
	s_cmp_lg_u64 s[18:19], 0
	s_cselect_b64 s[6:7], -1, 0
	s_and_b64 s[6:7], s[0:1], s[6:7]
	s_and_saveexec_b64 s[8:9], s[6:7]
	s_cbranch_execz .LBB69_18
; %bb.15:                               ;   in Loop: Header=BB69_12 Depth=2
	s_mov_b64 s[24:25], exec
	v_mbcnt_lo_u32_b32 v22, s24, 0
	v_mbcnt_hi_u32_b32 v22, s25, v22
	s_bcnt1_i32_b64 s26, s[18:19]
	v_cmp_eq_u32_e64 s[6:7], 0, v22
                                        ; implicit-def: $vgpr23
	s_and_saveexec_b64 s[16:17], s[6:7]
; %bb.16:                               ;   in Loop: Header=BB69_12 Depth=2
	s_bcnt1_i32_b64 s6, s[24:25]
	s_mul_i32 s6, s26, s6
	v_mov_b32_e32 v23, s6
	ds_add_rtn_u32 v23, v15, v23 offset:4104
; %bb.17:                               ;   in Loop: Header=BB69_12 Depth=2
	s_or_b64 exec, exec, s[16:17]
	s_waitcnt lgkmcnt(0)
	v_readfirstlane_b32 s6, v23
	v_mov_b32_e32 v23, s6
	v_mad_u32_u24 v22, s26, v22, v23
.LBB69_18:                              ;   in Loop: Header=BB69_12 Depth=2
	s_or_b64 exec, exec, s[8:9]
	ds_bpermute_b32 v22, v26, v22
	s_and_b64 s[6:7], exec, vcc
	s_or_b64 s[22:23], s[6:7], s[22:23]
	s_and_saveexec_b64 s[6:7], s[18:19]
	s_cbranch_execz .LBB69_11
; %bb.19:                               ;   in Loop: Header=BB69_12 Depth=2
	v_and_b32_e32 v24, s18, v28
	v_and_b32_e32 v23, s19, v27
	v_bcnt_u32_b32 v24, v24, 0
	v_bcnt_u32_b32 v23, v23, v24
	v_lshlrev_b32_e32 v23, 3, v23
	s_waitcnt lgkmcnt(0)
	v_lshl_add_u32 v22, v22, 3, v23
	ds_write_b64 v22, v[3:4]
	s_branch .LBB69_11
.LBB69_20:                              ;   in Loop: Header=BB69_6 Depth=1
	s_mov_b64 s[20:21], -1
	s_mov_b64 s[2:3], 0
.LBB69_21:                              ;   in Loop: Header=BB69_6 Depth=1
	s_and_b64 vcc, exec, s[20:21]
	s_cbranch_vccz .LBB69_31
.LBB69_22:                              ;   in Loop: Header=BB69_6 Depth=1
	s_mov_b64 s[2:3], exec
	v_readlane_b32 s6, v47, 18
	v_readlane_b32 s7, v47, 19
	s_and_b64 s[6:7], s[2:3], s[6:7]
	s_mov_b64 exec, s[6:7]
	s_cbranch_execz .LBB69_28
; %bb.23:                               ;   in Loop: Header=BB69_6 Depth=1
	v_readlane_b32 s6, v47, 24
	v_readlane_b32 s7, v47, 25
	s_nop 4
	global_load_ushort v1, v15, s[6:7]
	global_load_dwordx2 v[3:4], v[11:12], off
	v_mov_b32_e32 v9, v0
	s_waitcnt vmcnt(1)
	v_add_u32_e32 v7, v0, v1
	v_cmp_gt_u32_e32 vcc, s28, v7
	s_and_saveexec_b64 s[6:7], vcc
	s_cbranch_execz .LBB69_27
; %bb.24:                               ;   in Loop: Header=BB69_6 Depth=1
	v_readlane_b32 s8, v47, 16
	v_readlane_b32 s9, v47, 17
	s_load_dword s8, s[8:9], 0xe8
	v_lshlrev_b32_e32 v10, 3, v1
	v_mov_b32_e32 v23, v31
	v_mov_b32_e32 v9, v0
	s_waitcnt lgkmcnt(0)
	v_mul_lo_u32 v14, s8, v7
	v_mul_lo_u32 v22, s8, v1
	s_mov_b64 s[8:9], 0
.LBB69_25:                              ;   Parent Loop BB69_6 Depth=1
                                        ; =>  This Inner Loop Header: Depth=2
	v_lshlrev_b64 v[7:8], 3, v[14:15]
	v_mov_b32_e32 v24, s38
	v_add_co_u32_e32 v7, vcc, s33, v7
	v_addc_co_u32_e32 v8, vcc, v24, v8, vcc
	global_load_dwordx2 v[7:8], v[7:8], off
	v_add_u32_e32 v9, v9, v1
	s_waitcnt vmcnt(1)
	ds_write_b64 v23, v[3:4]
	v_add_u32_e32 v3, v1, v9
	v_cmp_le_u32_e32 vcc, s28, v3
	v_add_u32_e32 v23, v23, v10
	v_add_u32_e32 v14, v14, v22
	s_or_b64 s[8:9], vcc, s[8:9]
	s_waitcnt vmcnt(0)
	v_mov_b32_e32 v3, v7
	v_mov_b32_e32 v4, v8
	s_andn2_b64 exec, exec, s[8:9]
	s_cbranch_execnz .LBB69_25
; %bb.26:                               ;   in Loop: Header=BB69_6 Depth=1
	s_or_b64 exec, exec, s[8:9]
	v_mov_b32_e32 v3, v7
	v_mov_b32_e32 v4, v8
.LBB69_27:                              ;   in Loop: Header=BB69_6 Depth=1
	s_or_b64 exec, exec, s[6:7]
	v_lshlrev_b32_e32 v1, 3, v9
	s_waitcnt vmcnt(0)
	ds_write_b64 v1, v[3:4]
.LBB69_28:                              ;   in Loop: Header=BB69_6 Depth=1
	s_or_b64 exec, exec, s[2:3]
	s_waitcnt lgkmcnt(0)
	s_barrier
	s_mov_b64 s[2:3], exec
	v_readlane_b32 s6, v47, 5
	v_readlane_b32 s7, v47, 6
	s_and_b64 s[6:7], s[2:3], s[6:7]
	s_mov_b64 exec, s[6:7]
; %bb.29:                               ;   in Loop: Header=BB69_6 Depth=1
	v_mov_b32_e32 v1, s28
	ds_write_b32 v15, v1 offset:4096
; %bb.30:                               ;   in Loop: Header=BB69_6 Depth=1
	s_or_b64 exec, exec, s[2:3]
	s_mov_b64 s[2:3], -1
	s_waitcnt lgkmcnt(0)
	s_barrier
.LBB69_31:                              ;   in Loop: Header=BB69_6 Depth=1
	s_mov_b32 s24, 0
	s_and_b64 vcc, exec, s[2:3]
	s_cbranch_vccz .LBB69_33
; %bb.32:                               ;   in Loop: Header=BB69_6 Depth=1
	ds_read_b32 v1, v15 offset:4096
	s_waitcnt lgkmcnt(0)
	v_readfirstlane_b32 s24, v1
.LBB69_33:                              ;   in Loop: Header=BB69_6 Depth=1
	s_cmp_lt_i32 s24, 1
	s_mov_b64 s[2:3], -1
                                        ; implicit-def: $vgpr7
	s_cbranch_scc1 .LBB69_43
; %bb.34:                               ;   in Loop: Header=BB69_6 Depth=1
	s_and_b64 vcc, exec, s[2:3]
	s_cbranch_vccnz .LBB69_54
.LBB69_35:                              ;   in Loop: Header=BB69_6 Depth=1
	s_lshl_b32 s6, s39, 6
	s_and_saveexec_b64 s[2:3], s[0:1]
.LBB69_36:                              ;   in Loop: Header=BB69_6 Depth=1
	v_lshl_add_u32 v1, s6, 2, v33
	ds_write_b128 v1, v[7:10]
.LBB69_37:                              ;   in Loop: Header=BB69_6 Depth=1
	s_or_b64 exec, exec, s[2:3]
	s_waitcnt lgkmcnt(0)
	s_barrier
	s_mov_b64 s[2:3], exec
	v_readlane_b32 s8, v47, 12
	v_readlane_b32 s9, v47, 13
	s_and_b64 s[8:9], s[2:3], s[8:9]
	s_mov_b64 exec, s[8:9]
	s_cbranch_execz .LBB69_68
; %bb.38:                               ;   in Loop: Header=BB69_6 Depth=1
	v_readlane_b32 s8, v47, 20
	v_readlane_b32 s9, v47, 21
	s_andn2_b64 vcc, exec, s[8:9]
	v_mov_b32_e32 v1, 0
	s_cbranch_vccnz .LBB69_67
; %bb.39:                               ;   in Loop: Header=BB69_6 Depth=1
	v_readlane_b32 s8, v47, 26
	v_readlane_b32 s9, v47, 27
	s_andn2_b64 vcc, exec, s[8:9]
	s_cbranch_vccnz .LBB69_63
; %bb.40:                               ;   in Loop: Header=BB69_6 Depth=1
	v_lshl_add_u32 v3, s39, 8, v41
	s_mov_b32 s7, 0
	v_mov_b32_e32 v1, 0
.LBB69_41:                              ;   Parent Loop BB69_6 Depth=1
                                        ; =>  This Inner Loop Header: Depth=2
	ds_read2_b32 v[7:8], v3 offset1:4
	ds_read2_b32 v[9:10], v3 offset0:8 offset1:12
	ds_read2_b32 v[22:23], v3 offset0:16 offset1:20
	ds_read2_b32 v[24:25], v3 offset0:24 offset1:28
	s_add_i32 s7, s7, 8
	s_waitcnt lgkmcnt(3)
	v_add3_u32 v1, v7, v1, v8
	s_waitcnt lgkmcnt(2)
	v_add3_u32 v1, v9, v1, v10
	s_waitcnt lgkmcnt(1)
	v_add3_u32 v1, v22, v1, v23
	v_add_u32_e32 v3, 0x80, v3
	s_cmp_eq_u32 s5, s7
	s_waitcnt lgkmcnt(0)
	v_add3_u32 v1, v24, v1, v25
	s_cbranch_scc0 .LBB69_41
; %bb.42:                               ;   in Loop: Header=BB69_6 Depth=1
	s_mov_b32 s7, s5
	s_branch .LBB69_64
.LBB69_43:                              ;   in Loop: Header=BB69_6 Depth=1
	v_mov_b32_e32 v7, 0
	v_mov_b32_e32 v8, 0
	;; [unrolled: 1-line block ×4, first 2 shown]
	s_mov_b64 s[26:27], exec
	v_readlane_b32 s2, v47, 31
	v_readlane_b32 s3, v47, 32
	s_and_b64 s[2:3], s[26:27], s[2:3]
	s_mov_b64 exec, s[2:3]
	s_cbranch_execz .LBB69_47
; %bb.44:                               ;   in Loop: Header=BB69_6 Depth=1
	s_mov_b32 s2, 0
	s_mov_b64 s[74:75], 0
	s_mov_b32 s3, 0
	s_mov_b32 s8, 0
	;; [unrolled: 1-line block ×4, first 2 shown]
	v_mov_b32_e32 v1, v29
.LBB69_45:                              ;   Parent Loop BB69_6 Depth=1
                                        ; =>  This Inner Loop Header: Depth=2
	v_add_u32_e32 v14, s2, v38
	v_lshlrev_b64 v[3:4], 3, v[14:15]
	v_mov_b32_e32 v24, s38
	v_add_co_u32_e32 v3, vcc, s33, v3
	v_addc_co_u32_e32 v4, vcc, v24, v4, vcc
	global_load_dwordx2 v[3:4], v[3:4], off
	v_add_u32_e32 v14, s2, v35
	v_lshlrev_b64 v[7:8], 3, v[14:15]
	v_add_u32_e32 v14, s2, v36
	v_add_co_u32_e32 v7, vcc, s33, v7
	v_addc_co_u32_e32 v8, vcc, v24, v8, vcc
	global_load_dwordx2 v[7:8], v[7:8], off
	v_lshlrev_b64 v[9:10], 3, v[14:15]
	v_add_u32_e32 v14, s2, v37
	v_add_co_u32_e32 v9, vcc, s33, v9
	v_addc_co_u32_e32 v10, vcc, v24, v10, vcc
	global_load_dwordx2 v[9:10], v[9:10], off
	;; [unrolled: 5-line block ×3, first 2 shown]
	s_add_i32 s2, s2, s15
	s_waitcnt vmcnt(3)
	v_cmp_o_f64_e32 vcc, v[3:4], v[3:4]
	v_ashrrev_i32_e32 v14, 31, v4
	v_or_b32_e32 v24, 0x80000000, v14
	v_xor_b32_e32 v4, v24, v4
	v_xor_b32_e32 v3, v14, v3
	s_waitcnt vmcnt(2)
	v_ashrrev_i32_e32 v14, 31, v8
	v_cndmask_b32_e32 v4, -1, v4, vcc
	v_cndmask_b32_e32 v3, -1, v3, vcc
	v_cmp_o_f64_e32 vcc, v[7:8], v[7:8]
	v_or_b32_e32 v24, 0x80000000, v14
	v_xor_b32_e32 v8, v24, v8
	v_xor_b32_e32 v7, v14, v7
	v_cndmask_b32_e32 v25, -1, v8, vcc
	v_cndmask_b32_e32 v24, -1, v7, vcc
	s_waitcnt vmcnt(1)
	v_cmp_o_f64_e32 vcc, v[9:10], v[9:10]
	v_ashrrev_i32_e32 v7, 31, v10
	v_or_b32_e32 v8, 0x80000000, v7
	v_xor_b32_e32 v8, v8, v10
	v_xor_b32_e32 v7, v7, v9
	v_cndmask_b32_e32 v10, -1, v8, vcc
	v_cndmask_b32_e32 v9, -1, v7, vcc
	s_waitcnt vmcnt(0)
	v_cmp_o_f64_e32 vcc, v[22:23], v[22:23]
	v_ashrrev_i32_e32 v7, 31, v23
	v_or_b32_e32 v8, 0x80000000, v7
	v_xor_b32_e32 v8, v8, v23
	v_xor_b32_e32 v7, v7, v22
	v_and_b32_e32 v23, v4, v21
	v_and_b32_e32 v22, v3, v20
	v_lshrrev_b64 v[3:4], s11, v[3:4]
	v_cndmask_b32_e32 v8, -1, v8, vcc
	v_and_b32_e32 v14, 3, v3
	v_lshrrev_b64 v[3:4], s11, v[24:25]
	v_cndmask_b32_e32 v7, -1, v7, vcc
	v_cmp_eq_u64_e32 vcc, v[22:23], v[18:19]
	v_and_b32_e32 v23, v25, v21
	v_and_b32_e32 v22, v24, v20
	v_cmp_eq_u64_e64 s[6:7], 0, v[14:15]
	v_cmp_eq_u64_e64 s[18:19], v[22:23], v[18:19]
	v_and_b32_e32 v23, v10, v21
	v_and_b32_e32 v22, v9, v20
	;; [unrolled: 1-line block ×3, first 2 shown]
	v_mov_b32_e32 v4, v15
	v_lshrrev_b64 v[9:10], s11, v[9:10]
	s_and_b64 s[30:31], vcc, s[6:7]
	v_cmp_eq_u64_e64 s[6:7], 0, v[3:4]
	v_cmp_eq_u64_e64 s[20:21], v[22:23], v[18:19]
	v_and_b32_e32 v23, v8, v21
	v_and_b32_e32 v22, v7, v20
	;; [unrolled: 1-line block ×3, first 2 shown]
	v_mov_b32_e32 v10, v15
	v_lshrrev_b64 v[7:8], s11, v[7:8]
	s_and_b64 s[34:35], s[18:19], s[6:7]
	v_cmp_eq_u64_e64 s[6:7], 0, v[9:10]
	v_and_b32_e32 v7, 3, v7
	v_mov_b32_e32 v8, v15
	v_cmp_eq_u64_e64 s[22:23], v[22:23], v[18:19]
	s_and_b64 s[36:37], s[20:21], s[6:7]
	v_cmp_eq_u64_e64 s[6:7], 0, v[7:8]
	v_cndmask_b32_e64 v22, 0, 1, s[30:31]
	s_and_b64 s[42:43], s[22:23], s[6:7]
	v_cmp_ne_u32_e64 s[6:7], 0, v22
	v_cndmask_b32_e64 v22, 0, 1, s[34:35]
	s_bcnt1_i32_b64 s17, s[6:7]
	v_cmp_ne_u32_e64 s[6:7], 0, v22
	v_cndmask_b32_e64 v22, 0, 1, s[36:37]
	s_bcnt1_i32_b64 s25, s[6:7]
	;; [unrolled: 3-line block ×3, first 2 shown]
	v_cmp_ne_u32_e64 s[6:7], 0, v22
	s_bcnt1_i32_b64 s6, s[6:7]
	s_add_i32 s7, s16, s17
	s_add_i32 s7, s7, s25
	s_add_i32 s7, s7, s30
	s_add_i32 s16, s7, s6
	v_cmp_eq_u64_e64 s[6:7], 1, v[14:15]
	s_and_b64 s[30:31], vcc, s[6:7]
	v_cmp_eq_u64_e64 s[6:7], 1, v[3:4]
	v_cndmask_b32_e64 v22, 0, 1, s[30:31]
	s_and_b64 s[34:35], s[18:19], s[6:7]
	v_cmp_eq_u64_e64 s[6:7], 1, v[9:10]
	s_and_b64 s[36:37], s[20:21], s[6:7]
	v_cmp_eq_u64_e64 s[6:7], 1, v[7:8]
	s_and_b64 s[42:43], s[22:23], s[6:7]
	v_cmp_ne_u32_e64 s[6:7], 0, v22
	v_cndmask_b32_e64 v22, 0, 1, s[34:35]
	s_bcnt1_i32_b64 s17, s[6:7]
	v_cmp_ne_u32_e64 s[6:7], 0, v22
	v_cndmask_b32_e64 v22, 0, 1, s[36:37]
	s_bcnt1_i32_b64 s25, s[6:7]
	;; [unrolled: 3-line block ×3, first 2 shown]
	v_cmp_ne_u32_e64 s[6:7], 0, v22
	s_bcnt1_i32_b64 s6, s[6:7]
	s_add_i32 s7, s9, s17
	s_add_i32 s7, s7, s25
	;; [unrolled: 1-line block ×4, first 2 shown]
	v_cmp_eq_u64_e64 s[6:7], 2, v[14:15]
	s_and_b64 s[30:31], vcc, s[6:7]
	v_cmp_eq_u64_e64 s[6:7], 2, v[3:4]
	v_cndmask_b32_e64 v22, 0, 1, s[30:31]
	s_and_b64 s[34:35], s[18:19], s[6:7]
	v_cmp_eq_u64_e64 s[6:7], 2, v[9:10]
	s_and_b64 s[36:37], s[20:21], s[6:7]
	v_cmp_eq_u64_e64 s[6:7], 2, v[7:8]
	s_and_b64 s[42:43], s[22:23], s[6:7]
	v_cmp_ne_u32_e64 s[6:7], 0, v22
	v_cndmask_b32_e64 v22, 0, 1, s[34:35]
	s_bcnt1_i32_b64 s17, s[6:7]
	v_cmp_ne_u32_e64 s[6:7], 0, v22
	v_cndmask_b32_e64 v22, 0, 1, s[36:37]
	s_bcnt1_i32_b64 s25, s[6:7]
	;; [unrolled: 3-line block ×3, first 2 shown]
	v_cmp_ne_u32_e64 s[6:7], 0, v22
	s_bcnt1_i32_b64 s6, s[6:7]
	s_add_i32 s7, s8, s17
	s_add_i32 s7, s7, s25
	;; [unrolled: 1-line block ×4, first 2 shown]
	v_cmp_eq_u64_e64 s[6:7], 3, v[14:15]
	s_and_b64 s[6:7], vcc, s[6:7]
	v_cmp_eq_u64_e32 vcc, 3, v[3:4]
	v_cndmask_b32_e64 v3, 0, 1, s[6:7]
	s_and_b64 s[18:19], s[18:19], vcc
	v_cmp_eq_u64_e32 vcc, 3, v[9:10]
	v_mov_b32_e32 v9, s8
	s_and_b64 s[20:21], s[20:21], vcc
	v_cmp_eq_u64_e32 vcc, 3, v[7:8]
	v_mov_b32_e32 v7, s16
	s_and_b64 s[22:23], s[22:23], vcc
	v_cmp_ne_u32_e32 vcc, 0, v3
	v_cndmask_b32_e64 v3, 0, 1, s[18:19]
	s_bcnt1_i32_b64 s6, vcc
	v_cmp_ne_u32_e32 vcc, 0, v3
	v_cndmask_b32_e64 v3, 0, 1, s[20:21]
	s_bcnt1_i32_b64 s7, vcc
	v_cmp_ne_u32_e32 vcc, 0, v3
	v_cndmask_b32_e64 v3, 0, 1, s[22:23]
	s_add_i32 s3, s3, s6
	s_bcnt1_i32_b64 s17, vcc
	v_cmp_ne_u32_e32 vcc, 0, v3
	s_add_i32 s3, s3, s7
	s_bcnt1_i32_b64 s18, vcc
	s_add_i32 s3, s3, s17
	s_add_i32 s3, s3, s18
	v_cmp_le_u32_e32 vcc, s13, v1
	s_or_b64 s[74:75], vcc, s[74:75]
	v_mov_b32_e32 v8, s9
	v_mov_b32_e32 v10, s3
	s_andn2_b64 exec, exec, s[74:75]
	s_cbranch_execnz .LBB69_45
; %bb.46:                               ;   in Loop: Header=BB69_6 Depth=1
	s_or_b64 exec, exec, s[74:75]
.LBB69_47:                              ;   in Loop: Header=BB69_6 Depth=1
	s_or_b64 exec, exec, s[26:27]
	s_mov_b64 s[2:3], exec
	v_readlane_b32 s6, v47, 33
	v_readlane_b32 s7, v47, 34
	s_and_b64 s[6:7], s[2:3], s[6:7]
	s_mov_b64 exec, s[6:7]
	s_cbranch_execz .LBB69_53
; %bb.48:                               ;   in Loop: Header=BB69_6 Depth=1
	global_load_dwordx2 v[24:25], v[16:17], off
	s_mov_b64 s[16:17], 0
	v_mov_b32_e32 v3, v39
	v_mov_b32_e32 v1, v34
	s_branch .LBB69_50
.LBB69_49:                              ;   in Loop: Header=BB69_50 Depth=2
	s_or_b64 exec, exec, s[8:9]
	s_waitcnt vmcnt(0)
	v_cmp_o_f64_e64 s[6:7], v[24:25], v[24:25]
	v_ashrrev_i32_e32 v4, 31, v25
	v_or_b32_e32 v14, 0x80000000, v4
	v_xor_b32_e32 v14, v14, v25
	v_xor_b32_e32 v4, v4, v24
	s_and_b64 s[8:9], exec, vcc
	s_or_b64 s[16:17], s[8:9], s[16:17]
	v_add_u32_e32 v3, s45, v3
	v_cndmask_b32_e64 v25, -1, v14, s[6:7]
	v_cndmask_b32_e64 v24, -1, v4, s[6:7]
	v_and_b32_e32 v44, v25, v21
	v_and_b32_e32 v43, v24, v20
	v_lshrrev_b64 v[24:25], s11, v[24:25]
	v_cmp_eq_u64_e32 vcc, v[43:44], v[18:19]
	v_and_b32_e32 v14, 3, v24
	v_cmp_eq_u64_e64 s[6:7], 0, v[14:15]
	v_mov_b32_e32 v25, v23
	s_and_b64 s[6:7], vcc, s[6:7]
	v_cndmask_b32_e64 v4, 0, 1, s[6:7]
	v_cmp_ne_u32_e64 s[6:7], 0, v4
	s_bcnt1_i32_b64 s8, s[6:7]
	v_cmp_eq_u64_e64 s[6:7], 1, v[14:15]
	v_add_u32_e32 v7, s8, v7
	s_and_b64 s[6:7], vcc, s[6:7]
	v_cndmask_b32_e64 v4, 0, 1, s[6:7]
	v_cmp_ne_u32_e64 s[6:7], 0, v4
	s_bcnt1_i32_b64 s8, s[6:7]
	v_cmp_eq_u64_e64 s[6:7], 2, v[14:15]
	v_add_u32_e32 v8, s8, v8
	;; [unrolled: 6-line block ×3, first 2 shown]
	s_and_b64 s[6:7], vcc, s[6:7]
	v_cndmask_b32_e64 v4, 0, 1, s[6:7]
	v_cmp_ne_u32_e32 vcc, 0, v4
	s_bcnt1_i32_b64 s6, vcc
	v_add_u32_e32 v10, s6, v10
	v_mov_b32_e32 v24, v22
	s_andn2_b64 exec, exec, s[16:17]
	s_cbranch_execz .LBB69_52
.LBB69_50:                              ;   Parent Loop BB69_6 Depth=1
                                        ; =>  This Inner Loop Header: Depth=2
	v_add_u32_e32 v1, s44, v1
	v_mov_b32_e32 v22, 0
	v_cmp_gt_u32_e64 s[6:7], s28, v1
	v_mov_b32_e32 v23, 0
	v_cmp_le_u32_e32 vcc, s28, v1
	s_and_saveexec_b64 s[8:9], s[6:7]
	s_cbranch_execz .LBB69_49
; %bb.51:                               ;   in Loop: Header=BB69_50 Depth=2
	v_mov_b32_e32 v4, v15
	v_lshlrev_b64 v[22:23], 3, v[3:4]
	v_mov_b32_e32 v4, s38
	v_add_co_u32_e64 v22, s[6:7], s33, v22
	v_addc_co_u32_e64 v23, s[6:7], v4, v23, s[6:7]
	global_load_dwordx2 v[22:23], v[22:23], off
	s_branch .LBB69_49
.LBB69_52:                              ;   in Loop: Header=BB69_6 Depth=1
	s_or_b64 exec, exec, s[16:17]
.LBB69_53:                              ;   in Loop: Header=BB69_6 Depth=1
	s_or_b64 exec, exec, s[2:3]
	s_branch .LBB69_35
.LBB69_54:                              ;   in Loop: Header=BB69_6 Depth=1
	s_mul_hi_u32 s2, s24, s41
	s_mul_i32 s2, s2, s40
	s_sub_i32 s2, s24, s2
	s_sub_i32 s3, s2, s40
	s_cmp_ge_u32 s2, s40
	s_cselect_b32 s2, s3, s2
	s_sub_i32 s3, s2, s40
	s_cmp_ge_u32 s2, s40
	s_cselect_b32 s2, s3, s2
	s_sub_i32 s2, s24, s2
	v_cmp_gt_u32_e32 vcc, s2, v29
	v_mov_b32_e32 v7, 0
	v_mov_b32_e32 v8, 0
	;; [unrolled: 1-line block ×4, first 2 shown]
	s_and_saveexec_b64 s[26:27], vcc
	s_cbranch_execz .LBB69_58
; %bb.55:                               ;   in Loop: Header=BB69_6 Depth=1
	s_mov_b32 s3, 0
	s_mov_b64 s[74:75], 0
	v_mov_b32_e32 v1, v40
	s_mov_b32 s8, 0
	s_mov_b32 s9, 0
	;; [unrolled: 1-line block ×3, first 2 shown]
	v_mov_b32_e32 v22, v29
.LBB69_56:                              ;   Parent Loop BB69_6 Depth=1
                                        ; =>  This Inner Loop Header: Depth=2
	ds_read_b128 v[7:10], v1
	ds_read_b128 v[43:46], v1 offset:16
	v_add_u32_e32 v22, s40, v22
	v_add_u32_e32 v1, s12, v1
	s_waitcnt lgkmcnt(1)
	v_cmp_o_f64_e32 vcc, v[7:8], v[7:8]
	v_ashrrev_i32_e32 v3, 31, v8
	v_or_b32_e32 v4, 0x80000000, v3
	v_xor_b32_e32 v4, v4, v8
	v_xor_b32_e32 v3, v3, v7
	v_ashrrev_i32_e32 v7, 31, v10
	v_or_b32_e32 v8, 0x80000000, v7
	v_xor_b32_e32 v8, v8, v10
	v_cndmask_b32_e32 v4, -1, v4, vcc
	v_cndmask_b32_e32 v3, -1, v3, vcc
	v_cmp_o_f64_e32 vcc, v[9:10], v[9:10]
	v_xor_b32_e32 v7, v7, v9
	v_cndmask_b32_e32 v24, -1, v8, vcc
	v_cndmask_b32_e32 v23, -1, v7, vcc
	s_waitcnt lgkmcnt(0)
	v_cmp_o_f64_e32 vcc, v[43:44], v[43:44]
	v_ashrrev_i32_e32 v7, 31, v44
	v_or_b32_e32 v8, 0x80000000, v7
	v_xor_b32_e32 v8, v8, v44
	v_xor_b32_e32 v7, v7, v43
	v_and_b32_e32 v44, v4, v21
	v_and_b32_e32 v43, v3, v20
	v_lshrrev_b64 v[3:4], s11, v[3:4]
	v_cndmask_b32_e32 v10, -1, v8, vcc
	v_cndmask_b32_e32 v9, -1, v7, vcc
	v_cmp_o_f64_e32 vcc, v[45:46], v[45:46]
	v_ashrrev_i32_e32 v7, 31, v46
	v_or_b32_e32 v8, 0x80000000, v7
	v_xor_b32_e32 v8, v8, v46
	v_xor_b32_e32 v7, v7, v45
	v_and_b32_e32 v14, 3, v3
	v_lshrrev_b64 v[3:4], s11, v[23:24]
	v_cmp_eq_u64_e64 s[6:7], 0, v[14:15]
	v_cndmask_b32_e32 v8, -1, v8, vcc
	v_cndmask_b32_e32 v7, -1, v7, vcc
	v_cmp_eq_u64_e32 vcc, v[43:44], v[18:19]
	v_and_b32_e32 v44, v24, v21
	v_and_b32_e32 v43, v23, v20
	v_cmp_eq_u64_e64 s[18:19], v[43:44], v[18:19]
	v_and_b32_e32 v44, v10, v21
	v_and_b32_e32 v43, v9, v20
	;; [unrolled: 1-line block ×3, first 2 shown]
	v_mov_b32_e32 v4, v15
	v_lshrrev_b64 v[9:10], s11, v[9:10]
	s_and_b64 s[30:31], vcc, s[6:7]
	v_cmp_eq_u64_e64 s[6:7], 0, v[3:4]
	v_cmp_eq_u64_e64 s[20:21], v[43:44], v[18:19]
	v_and_b32_e32 v44, v8, v21
	v_and_b32_e32 v43, v7, v20
	;; [unrolled: 1-line block ×3, first 2 shown]
	v_mov_b32_e32 v10, v15
	v_lshrrev_b64 v[7:8], s11, v[7:8]
	s_and_b64 s[34:35], s[18:19], s[6:7]
	v_cmp_eq_u64_e64 s[6:7], 0, v[9:10]
	v_and_b32_e32 v7, 3, v7
	v_mov_b32_e32 v8, v15
	v_cmp_eq_u64_e64 s[22:23], v[43:44], v[18:19]
	s_and_b64 s[36:37], s[20:21], s[6:7]
	v_cmp_eq_u64_e64 s[6:7], 0, v[7:8]
	v_cndmask_b32_e64 v23, 0, 1, s[30:31]
	s_and_b64 s[42:43], s[22:23], s[6:7]
	v_cmp_ne_u32_e64 s[6:7], 0, v23
	v_cndmask_b32_e64 v23, 0, 1, s[34:35]
	s_bcnt1_i32_b64 s17, s[6:7]
	v_cmp_ne_u32_e64 s[6:7], 0, v23
	v_cndmask_b32_e64 v23, 0, 1, s[36:37]
	s_bcnt1_i32_b64 s25, s[6:7]
	;; [unrolled: 3-line block ×3, first 2 shown]
	v_cmp_ne_u32_e64 s[6:7], 0, v23
	s_bcnt1_i32_b64 s6, s[6:7]
	s_add_i32 s7, s16, s17
	s_add_i32 s7, s7, s25
	;; [unrolled: 1-line block ×4, first 2 shown]
	v_cmp_eq_u64_e64 s[6:7], 1, v[14:15]
	s_and_b64 s[30:31], vcc, s[6:7]
	v_cmp_eq_u64_e64 s[6:7], 1, v[3:4]
	v_cndmask_b32_e64 v23, 0, 1, s[30:31]
	s_and_b64 s[34:35], s[18:19], s[6:7]
	v_cmp_eq_u64_e64 s[6:7], 1, v[9:10]
	s_and_b64 s[36:37], s[20:21], s[6:7]
	v_cmp_eq_u64_e64 s[6:7], 1, v[7:8]
	s_and_b64 s[42:43], s[22:23], s[6:7]
	v_cmp_ne_u32_e64 s[6:7], 0, v23
	v_cndmask_b32_e64 v23, 0, 1, s[34:35]
	s_bcnt1_i32_b64 s17, s[6:7]
	v_cmp_ne_u32_e64 s[6:7], 0, v23
	v_cndmask_b32_e64 v23, 0, 1, s[36:37]
	s_bcnt1_i32_b64 s25, s[6:7]
	;; [unrolled: 3-line block ×3, first 2 shown]
	v_cmp_ne_u32_e64 s[6:7], 0, v23
	s_bcnt1_i32_b64 s6, s[6:7]
	s_add_i32 s7, s9, s17
	s_add_i32 s7, s7, s25
	;; [unrolled: 1-line block ×4, first 2 shown]
	v_cmp_eq_u64_e64 s[6:7], 2, v[14:15]
	s_and_b64 s[30:31], vcc, s[6:7]
	v_cmp_eq_u64_e64 s[6:7], 2, v[3:4]
	v_cndmask_b32_e64 v23, 0, 1, s[30:31]
	s_and_b64 s[34:35], s[18:19], s[6:7]
	v_cmp_eq_u64_e64 s[6:7], 2, v[9:10]
	s_and_b64 s[36:37], s[20:21], s[6:7]
	v_cmp_eq_u64_e64 s[6:7], 2, v[7:8]
	s_and_b64 s[42:43], s[22:23], s[6:7]
	v_cmp_ne_u32_e64 s[6:7], 0, v23
	v_cndmask_b32_e64 v23, 0, 1, s[34:35]
	s_bcnt1_i32_b64 s17, s[6:7]
	v_cmp_ne_u32_e64 s[6:7], 0, v23
	v_cndmask_b32_e64 v23, 0, 1, s[36:37]
	s_bcnt1_i32_b64 s25, s[6:7]
	;; [unrolled: 3-line block ×3, first 2 shown]
	v_cmp_ne_u32_e64 s[6:7], 0, v23
	s_bcnt1_i32_b64 s6, s[6:7]
	s_add_i32 s7, s8, s17
	s_add_i32 s7, s7, s25
	;; [unrolled: 1-line block ×4, first 2 shown]
	v_cmp_eq_u64_e64 s[6:7], 3, v[14:15]
	s_and_b64 s[6:7], vcc, s[6:7]
	v_cmp_eq_u64_e32 vcc, 3, v[3:4]
	v_cndmask_b32_e64 v3, 0, 1, s[6:7]
	s_and_b64 s[18:19], s[18:19], vcc
	v_cmp_eq_u64_e32 vcc, 3, v[9:10]
	v_mov_b32_e32 v9, s8
	s_and_b64 s[20:21], s[20:21], vcc
	v_cmp_eq_u64_e32 vcc, 3, v[7:8]
	v_mov_b32_e32 v7, s16
	s_and_b64 s[22:23], s[22:23], vcc
	v_cmp_ne_u32_e32 vcc, 0, v3
	v_cndmask_b32_e64 v3, 0, 1, s[18:19]
	s_bcnt1_i32_b64 s6, vcc
	v_cmp_ne_u32_e32 vcc, 0, v3
	v_cndmask_b32_e64 v3, 0, 1, s[20:21]
	s_bcnt1_i32_b64 s7, vcc
	v_cmp_ne_u32_e32 vcc, 0, v3
	v_cndmask_b32_e64 v3, 0, 1, s[22:23]
	s_add_i32 s3, s3, s6
	s_bcnt1_i32_b64 s17, vcc
	v_cmp_ne_u32_e32 vcc, 0, v3
	s_add_i32 s3, s3, s7
	s_bcnt1_i32_b64 s18, vcc
	s_add_i32 s3, s3, s17
	s_add_i32 s3, s3, s18
	v_cmp_le_u32_e32 vcc, s2, v22
	s_or_b64 s[74:75], vcc, s[74:75]
	v_mov_b32_e32 v8, s9
	v_mov_b32_e32 v10, s3
	s_andn2_b64 exec, exec, s[74:75]
	s_cbranch_execnz .LBB69_56
; %bb.57:                               ;   in Loop: Header=BB69_6 Depth=1
	s_or_b64 exec, exec, s[74:75]
.LBB69_58:                              ;   in Loop: Header=BB69_6 Depth=1
	s_or_b64 exec, exec, s[26:27]
	v_add_u32_e32 v1, s2, v0
	v_cmp_gt_u32_e32 vcc, s24, v1
	s_and_saveexec_b64 s[2:3], vcc
	s_cbranch_execz .LBB69_62
; %bb.59:                               ;   in Loop: Header=BB69_6 Depth=1
	v_lshlrev_b32_e32 v3, 3, v1
	s_mov_b64 s[16:17], 0
.LBB69_60:                              ;   Parent Loop BB69_6 Depth=1
                                        ; =>  This Inner Loop Header: Depth=2
	ds_read_b64 v[22:23], v3
	v_add_u32_e32 v1, s44, v1
	v_cmp_le_u32_e32 vcc, s24, v1
	v_add_u32_e32 v3, s10, v3
	s_waitcnt lgkmcnt(0)
	v_cmp_o_f64_e64 s[6:7], v[22:23], v[22:23]
	v_ashrrev_i32_e32 v4, 31, v23
	v_or_b32_e32 v14, 0x80000000, v4
	v_xor_b32_e32 v4, v4, v22
	v_xor_b32_e32 v14, v14, v23
	v_cndmask_b32_e64 v23, -1, v14, s[6:7]
	v_cndmask_b32_e64 v22, -1, v4, s[6:7]
	v_and_b32_e32 v25, v23, v21
	v_and_b32_e32 v24, v22, v20
	v_lshrrev_b64 v[22:23], s11, v[22:23]
	v_cmp_eq_u64_e64 s[6:7], v[24:25], v[18:19]
	v_and_b32_e32 v14, 3, v22
	v_cmp_eq_u64_e64 s[18:19], 0, v[14:15]
	v_cmp_eq_u64_e64 s[20:21], 1, v[14:15]
	;; [unrolled: 1-line block ×4, first 2 shown]
	s_and_b64 s[8:9], s[6:7], s[18:19]
	v_cndmask_b32_e64 v4, 0, 1, s[8:9]
	s_and_b64 s[8:9], s[6:7], s[20:21]
	v_cndmask_b32_e64 v14, 0, 1, s[8:9]
	s_and_b64 s[8:9], s[6:7], s[22:23]
	s_and_b64 s[6:7], s[6:7], s[26:27]
	v_cndmask_b32_e64 v22, 0, 1, s[8:9]
	v_cndmask_b32_e64 v23, 0, 1, s[6:7]
	v_cmp_ne_u32_e64 s[6:7], 0, v4
	v_cmp_ne_u32_e64 s[18:19], 0, v14
	v_cmp_ne_u32_e64 s[20:21], 0, v22
	v_cmp_ne_u32_e64 s[22:23], 0, v23
	s_bcnt1_i32_b64 s6, s[6:7]
	s_bcnt1_i32_b64 s7, s[18:19]
	;; [unrolled: 1-line block ×4, first 2 shown]
	v_add_u32_e32 v7, s6, v7
	v_add_u32_e32 v8, s7, v8
	;; [unrolled: 1-line block ×3, first 2 shown]
	s_or_b64 s[16:17], vcc, s[16:17]
	v_add_u32_e32 v10, s9, v10
	s_andn2_b64 exec, exec, s[16:17]
	s_cbranch_execnz .LBB69_60
; %bb.61:                               ;   in Loop: Header=BB69_6 Depth=1
	s_or_b64 exec, exec, s[16:17]
.LBB69_62:                              ;   in Loop: Header=BB69_6 Depth=1
	s_or_b64 exec, exec, s[2:3]
	s_lshl_b32 s6, s39, 6
	s_and_saveexec_b64 s[2:3], s[0:1]
	s_cbranch_execnz .LBB69_36
	s_branch .LBB69_37
.LBB69_63:                              ;   in Loop: Header=BB69_6 Depth=1
	v_mov_b32_e32 v1, 0
	s_mov_b32 s7, 0
.LBB69_64:                              ;   in Loop: Header=BB69_6 Depth=1
	v_readlane_b32 s8, v47, 29
	v_readlane_b32 s9, v47, 30
	s_andn2_b64 vcc, exec, s[8:9]
	s_cbranch_vccnz .LBB69_67
; %bb.65:                               ;   in Loop: Header=BB69_6 Depth=1
	s_lshl_b32 s8, s39, 8
	s_lshl_b32 s7, s7, 4
	s_add_i32 s8, s8, s7
	v_add_u32_e32 v3, s8, v41
	v_readlane_b32 s7, v47, 28
.LBB69_66:                              ;   Parent Loop BB69_6 Depth=1
                                        ; =>  This Inner Loop Header: Depth=2
	ds_read_b32 v4, v3
	s_add_i32 s7, s7, -1
	v_add_u32_e32 v3, 16, v3
	s_cmp_lg_u32 s7, 0
	s_waitcnt lgkmcnt(0)
	v_add_u32_e32 v1, v4, v1
	s_cbranch_scc1 .LBB69_66
.LBB69_67:                              ;   in Loop: Header=BB69_6 Depth=1
	v_add_lshl_u32 v3, s6, v30, 2
	ds_write_b32 v3, v1 offset:3072
.LBB69_68:                              ;   in Loop: Header=BB69_6 Depth=1
	s_or_b64 exec, exec, s[2:3]
	s_lshl_b32 s2, s6, 2
	v_mov_b32_e32 v1, s2
	s_waitcnt lgkmcnt(0)
	s_barrier
	ds_read_b128 v[7:10], v1 offset:3072
	v_readlane_b32 s2, v47, 10
	s_lshl_b64 s[22:23], 3, s11
	v_readlane_b32 s3, v47, 11
	s_not_b64 s[26:27], s[22:23]
	s_waitcnt lgkmcnt(0)
	v_readfirstlane_b32 s30, v7
	v_readfirstlane_b32 s31, v8
	;; [unrolled: 1-line block ×4, first 2 shown]
	v_cmp_eq_u32_e64 s[18:19], 1, v42
	s_mov_b64 s[82:83], -1
	s_mov_b64 s[20:21], 0
	s_andn2_b64 vcc, exec, s[2:3]
	s_mov_b64 s[76:77], 0
	s_mov_b64 s[74:75], 0
                                        ; implicit-def: $sgpr78_sgpr79
                                        ; implicit-def: $sgpr80_sgpr81
                                        ; implicit-def: $vgpr44
                                        ; implicit-def: $vgpr43
                                        ; implicit-def: $vgpr22_vgpr23
                                        ; implicit-def: $vgpr24_vgpr25
                                        ; implicit-def: $vgpr9_vgpr10
	s_cbranch_vccnz .LBB69_237
; %bb.69:                               ;   in Loop: Header=BB69_6 Depth=1
	s_cmp_eq_u32 s30, 1
	s_cselect_b64 s[2:3], -1, 0
	v_mov_b32_e32 v23, v19
	v_mov_b32_e32 v25, v21
	;; [unrolled: 1-line block ×3, first 2 shown]
	s_and_b64 s[6:7], s[2:3], s[18:19]
	s_mov_b64 s[2:3], -1
	v_mov_b32_e32 v22, v18
	v_mov_b32_e32 v24, v20
	;; [unrolled: 1-line block ×3, first 2 shown]
                                        ; implicit-def: $sgpr80_sgpr81
                                        ; implicit-def: $sgpr78_sgpr79
	s_and_saveexec_b64 s[24:25], s[6:7]
	s_cbranch_execz .LBB69_100
; %bb.70:                               ;   in Loop: Header=BB69_6 Depth=1
	ds_read_b32 v1, v15 offset:4096
	s_waitcnt lgkmcnt(0)
	s_barrier
	v_readfirstlane_b32 s46, v1
	s_mov_b64 s[2:3], exec
	v_readlane_b32 s8, v47, 22
	v_readlane_b32 s9, v47, 23
	s_and_b64 s[8:9], s[2:3], s[8:9]
	s_mov_b64 exec, s[8:9]
; %bb.71:                               ;   in Loop: Header=BB69_6 Depth=1
	v_mov_b32_e32 v14, v15
	ds_write_b64 v32, v[14:15]
; %bb.72:                               ;   in Loop: Header=BB69_6 Depth=1
	s_or_b64 exec, exec, s[2:3]
	v_and_b32_e32 v23, s27, v19
	v_and_b32_e32 v22, s26, v18
	v_or_b32_e32 v25, s23, v21
	v_or_b32_e32 v24, s22, v20
	s_mov_b64 s[78:79], -1
	s_mov_b64 s[80:81], 0
	s_cmp_eq_u32 s46, 0
	s_mov_b64 s[34:35], 0
	s_mov_b64 s[36:37], -1
	s_waitcnt lgkmcnt(0)
	s_barrier
                                        ; implicit-def: $vgpr9_vgpr10
	s_cbranch_scc1 .LBB69_87
; %bb.73:                               ;   in Loop: Header=BB69_6 Depth=1
	s_add_i32 s2, s46, s4
	v_readlane_b32 s3, v47, 35
	s_mul_hi_u32 s3, s2, s3
	s_mul_i32 s3, s3, s44
	s_sub_i32 s3, s2, s3
	s_sub_i32 s8, s3, s44
	s_cmp_ge_u32 s3, s44
	s_cselect_b32 s3, s8, s3
	s_sub_i32 s8, s3, s44
	s_cmp_ge_u32 s3, s44
	s_cselect_b32 s3, s8, s3
	s_sub_i32 s47, s2, s3
	v_cmp_gt_u32_e32 vcc, s47, v0
	s_mov_b64 s[36:37], 0
                                        ; implicit-def: $vgpr9_vgpr10
	s_and_saveexec_b64 s[2:3], vcc
	s_cbranch_execz .LBB69_86
; %bb.74:                               ;   in Loop: Header=BB69_6 Depth=1
	s_mov_b64 s[16:17], 0
	v_mov_b32_e32 v14, v31
	v_mov_b32_e32 v43, v0
                                        ; implicit-def: $sgpr8_sgpr9
	s_branch .LBB69_78
.LBB69_75:                              ;   in Loop: Header=BB69_78 Depth=2
	s_or_b64 exec, exec, s[34:35]
	s_waitcnt lgkmcnt(0)
	s_barrier
	ds_read_b128 v[7:10], v15 offset:3072
	s_waitcnt lgkmcnt(0)
	s_barrier
	v_cmp_neq_f64_e32 vcc, 0, v[7:8]
	s_cbranch_vccnz .LBB69_81
; %bb.76:                               ;   in Loop: Header=BB69_78 Depth=2
	v_add_u32_e32 v43, s44, v43
	v_cmp_le_u32_e32 vcc, s47, v43
	v_add_u32_e32 v14, s10, v14
	s_mov_b64 s[34:35], 0
	s_orn2_b64 s[42:43], vcc, exec
.LBB69_77:                              ;   in Loop: Header=BB69_78 Depth=2
	s_and_b64 s[42:43], exec, s[42:43]
	s_or_b64 s[16:17], s[42:43], s[16:17]
	s_andn2_b64 s[8:9], s[8:9], exec
	s_and_b64 s[34:35], s[34:35], exec
	s_or_b64 s[8:9], s[8:9], s[34:35]
	s_andn2_b64 exec, exec, s[16:17]
	s_cbranch_execz .LBB69_85
.LBB69_78:                              ;   Parent Loop BB69_6 Depth=1
                                        ; =>  This Inner Loop Header: Depth=2
	v_cmp_gt_u32_e32 vcc, s46, v43
	s_and_saveexec_b64 s[34:35], vcc
	s_cbranch_execz .LBB69_75
; %bb.79:                               ;   in Loop: Header=BB69_78 Depth=2
	ds_read_b64 v[3:4], v14
	s_waitcnt lgkmcnt(0)
	v_cmp_o_f64_e32 vcc, v[3:4], v[3:4]
	v_ashrrev_i32_e32 v1, 31, v4
	v_or_b32_e32 v7, 0x80000000, v1
	v_xor_b32_e32 v7, v7, v4
	v_xor_b32_e32 v1, v1, v3
	v_cndmask_b32_e32 v7, -1, v7, vcc
	v_cndmask_b32_e32 v1, -1, v1, vcc
	v_and_b32_e32 v8, v7, v25
	v_and_b32_e32 v7, v1, v24
	v_cmp_eq_u64_e32 vcc, v[7:8], v[22:23]
	s_and_b64 exec, exec, vcc
	s_cbranch_execz .LBB69_75
; %bb.80:                               ;   in Loop: Header=BB69_78 Depth=2
	v_mov_b32_e32 v1, v15
	ds_write_b128 v15, v[1:4] offset:3072
	s_branch .LBB69_75
.LBB69_81:                              ;   in Loop: Header=BB69_78 Depth=2
	s_mov_b64 s[42:43], -1
                                        ; implicit-def: $vgpr43
                                        ; implicit-def: $vgpr14
	s_mov_b64 s[34:35], -1
	s_branch .LBB69_77
.LBB69_82:                              ;   in Loop: Header=BB69_6 Depth=1
	s_or_b64 exec, exec, s[2:3]
	s_waitcnt lgkmcnt(0)
	s_barrier
	s_mov_b64 s[2:3], exec
	v_readlane_b32 s6, v47, 5
	v_readlane_b32 s7, v47, 6
	s_and_b64 s[6:7], s[2:3], s[6:7]
	s_mov_b64 exec, s[6:7]
	s_cbranch_execz .LBB69_84
; %bb.83:                               ;   in Loop: Header=BB69_6 Depth=1
	ds_read_b32 v1, v15 offset:4104
	s_waitcnt lgkmcnt(0)
	ds_write_b32 v15, v1 offset:4096
.LBB69_84:                              ;   in Loop: Header=BB69_6 Depth=1
	s_or_b64 exec, exec, s[2:3]
	s_waitcnt lgkmcnt(0)
	s_barrier
	s_mov_b64 s[2:3], -1
	s_and_b64 vcc, exec, s[20:21]
	s_cbranch_vccnz .LBB69_22
	s_branch .LBB69_31
.LBB69_85:                              ;   in Loop: Header=BB69_6 Depth=1
	s_or_b64 exec, exec, s[16:17]
	s_and_b64 s[34:35], s[8:9], exec
.LBB69_86:                              ;   in Loop: Header=BB69_6 Depth=1
	s_or_b64 exec, exec, s[2:3]
.LBB69_87:                              ;   in Loop: Header=BB69_6 Depth=1
	s_and_b64 vcc, exec, s[36:37]
	s_cbranch_vccz .LBB69_99
; %bb.88:                               ;   in Loop: Header=BB69_6 Depth=1
                                        ; implicit-def: $vgpr9_vgpr10
	s_mov_b64 s[2:3], exec
	v_readlane_b32 s8, v47, 36
	v_readlane_b32 s9, v47, 37
	s_and_b64 s[8:9], s[2:3], s[8:9]
	s_mov_b64 exec, s[8:9]
	s_cbranch_execz .LBB69_98
; %bb.89:                               ;   in Loop: Header=BB69_6 Depth=1
	s_mov_b64 s[36:37], 0
	v_mov_b32_e32 v14, v13
	v_mov_b32_e32 v43, v0
                                        ; implicit-def: $sgpr16_sgpr17
	s_branch .LBB69_93
.LBB69_90:                              ;   in Loop: Header=BB69_93 Depth=2
	s_or_b64 exec, exec, s[8:9]
	s_waitcnt lgkmcnt(0)
	s_barrier
	ds_read_b128 v[7:10], v15 offset:3072
	s_waitcnt lgkmcnt(0)
	s_barrier
	v_cmp_neq_f64_e32 vcc, 0, v[7:8]
	s_cbranch_vccnz .LBB69_96
; %bb.91:                               ;   in Loop: Header=BB69_93 Depth=2
	v_add_u32_e32 v43, s44, v43
	v_cmp_le_u32_e32 vcc, s14, v43
	v_add_u32_e32 v14, s45, v14
	s_mov_b64 s[8:9], 0
	s_orn2_b64 s[42:43], vcc, exec
.LBB69_92:                              ;   in Loop: Header=BB69_93 Depth=2
	s_and_b64 s[42:43], exec, s[42:43]
	s_or_b64 s[36:37], s[42:43], s[36:37]
	s_andn2_b64 s[16:17], s[16:17], exec
	s_and_b64 s[8:9], s[8:9], exec
	s_or_b64 s[16:17], s[16:17], s[8:9]
	s_andn2_b64 exec, exec, s[36:37]
	s_cbranch_execz .LBB69_97
.LBB69_93:                              ;   Parent Loop BB69_6 Depth=1
                                        ; =>  This Inner Loop Header: Depth=2
	v_cmp_gt_u32_e32 vcc, s28, v43
	s_and_saveexec_b64 s[8:9], vcc
	s_cbranch_execz .LBB69_90
; %bb.94:                               ;   in Loop: Header=BB69_93 Depth=2
	v_lshlrev_b64 v[3:4], 3, v[14:15]
	v_mov_b32_e32 v1, s38
	v_add_co_u32_e32 v3, vcc, s33, v3
	v_addc_co_u32_e32 v4, vcc, v1, v4, vcc
	global_load_dwordx2 v[3:4], v[3:4], off
	s_waitcnt vmcnt(0)
	v_cmp_o_f64_e32 vcc, v[3:4], v[3:4]
	v_ashrrev_i32_e32 v1, 31, v4
	v_or_b32_e32 v7, 0x80000000, v1
	v_xor_b32_e32 v7, v7, v4
	v_xor_b32_e32 v1, v1, v3
	v_cndmask_b32_e32 v7, -1, v7, vcc
	v_cndmask_b32_e32 v1, -1, v1, vcc
	v_and_b32_e32 v8, v7, v25
	v_and_b32_e32 v7, v1, v24
	v_cmp_eq_u64_e32 vcc, v[7:8], v[22:23]
	s_and_b64 exec, exec, vcc
	s_cbranch_execz .LBB69_90
; %bb.95:                               ;   in Loop: Header=BB69_93 Depth=2
	v_mov_b32_e32 v1, v15
	ds_write_b128 v15, v[1:4] offset:3072
	s_branch .LBB69_90
.LBB69_96:                              ;   in Loop: Header=BB69_93 Depth=2
	s_mov_b64 s[42:43], -1
                                        ; implicit-def: $vgpr43
	s_mov_b64 s[8:9], -1
	s_branch .LBB69_92
.LBB69_97:                              ;   in Loop: Header=BB69_6 Depth=1
	s_or_b64 exec, exec, s[36:37]
	s_andn2_b64 s[8:9], s[34:35], exec
	s_and_b64 s[16:17], s[16:17], exec
	s_or_b64 s[34:35], s[8:9], s[16:17]
.LBB69_98:                              ;   in Loop: Header=BB69_6 Depth=1
	s_or_b64 exec, exec, s[2:3]
	s_mov_b64 s[78:79], 0
	s_mov_b64 s[80:81], -1
.LBB69_99:                              ;   in Loop: Header=BB69_6 Depth=1
	s_orn2_b64 s[2:3], s[34:35], exec
.LBB69_100:                             ;   in Loop: Header=BB69_6 Depth=1
	s_or_b64 exec, exec, s[24:25]
	s_mov_b64 s[82:83], 0
	s_mov_b64 s[76:77], 0
	;; [unrolled: 1-line block ×3, first 2 shown]
                                        ; implicit-def: $vgpr44
                                        ; implicit-def: $vgpr43
	s_and_saveexec_b64 s[84:85], s[2:3]
	s_cbranch_execz .LBB69_236
; %bb.101:                              ;   in Loop: Header=BB69_6 Depth=1
	s_xor_b64 s[8:9], s[6:7], -1
	s_mov_b64 s[6:7], 0
	v_mov_b32_e32 v44, 1
	v_mov_b32_e32 v43, 1
	s_and_saveexec_b64 s[2:3], s[8:9]
	s_cbranch_execz .LBB69_110
; %bb.102:                              ;   in Loop: Header=BB69_6 Depth=1
	v_cmp_ge_u32_e32 vcc, s30, v42
	s_and_saveexec_b64 s[6:7], vcc
	s_xor_b64 s[6:7], exec, s[6:7]
	s_cbranch_execz .LBB69_107
; %bb.103:                              ;   in Loop: Header=BB69_6 Depth=1
	ds_read_b32 v1, v15 offset:4096
	v_and_b32_e32 v23, s27, v23
	v_and_b32_e32 v22, s26, v22
	v_or_b32_e32 v25, s23, v25
	v_or_b32_e32 v24, s22, v24
	s_waitcnt lgkmcnt(0)
	v_cmp_ne_u32_e32 vcc, 0, v1
	s_cbranch_vccnz .LBB69_107
; %bb.104:                              ;   in Loop: Header=BB69_6 Depth=1
	s_mov_b64 s[8:9], exec
	v_readlane_b32 s16, v47, 5
	v_readlane_b32 s17, v47, 6
	s_and_b64 s[16:17], s[8:9], s[16:17]
	s_mov_b64 exec, s[16:17]
; %bb.105:                              ;   in Loop: Header=BB69_6 Depth=1
	v_mov_b32_e32 v1, s30
	ds_write_b32 v15, v1 offset:4100
; %bb.106:                              ;   in Loop: Header=BB69_6 Depth=1
	s_or_b64 exec, exec, s[8:9]
	s_waitcnt lgkmcnt(0)
	s_barrier
.LBB69_107:                             ;   in Loop: Header=BB69_6 Depth=1
	s_or_saveexec_b64 s[6:7], s[6:7]
	s_mov_b64 s[8:9], 0
	v_mov_b32_e32 v43, 8
	v_mov_b32_e32 v44, v42
	s_xor_b64 exec, exec, s[6:7]
; %bb.108:                              ;   in Loop: Header=BB69_6 Depth=1
	s_mov_b64 s[8:9], exec
	v_subrev_u32_e32 v44, s30, v42
	v_mov_b32_e32 v43, 0
; %bb.109:                              ;   in Loop: Header=BB69_6 Depth=1
	s_or_b64 exec, exec, s[6:7]
	s_and_b64 s[6:7], s[8:9], exec
.LBB69_110:                             ;   in Loop: Header=BB69_6 Depth=1
	s_or_b64 exec, exec, s[2:3]
	s_mov_b64 s[2:3], -1
                                        ; implicit-def: $sgpr74_sgpr75
                                        ; implicit-def: $sgpr76_sgpr77
	s_and_saveexec_b64 s[8:9], s[6:7]
	s_xor_b64 s[6:7], exec, s[8:9]
	s_cbranch_execz .LBB69_233
; %bb.111:                              ;   in Loop: Header=BB69_6 Depth=1
	s_cmp_eq_u32 s31, 1
	s_cselect_b64 s[2:3], -1, 0
	v_cmp_eq_u32_e32 vcc, 1, v44
	s_and_b64 s[34:35], s[2:3], vcc
	s_mov_b64 s[2:3], -1
                                        ; implicit-def: $sgpr76_sgpr77
                                        ; implicit-def: $sgpr74_sgpr75
	s_and_saveexec_b64 s[24:25], s[34:35]
	s_cbranch_execz .LBB69_139
; %bb.112:                              ;   in Loop: Header=BB69_6 Depth=1
	ds_read_b32 v1, v15 offset:4096
	s_waitcnt lgkmcnt(0)
	s_barrier
	v_readfirstlane_b32 s50, v1
	s_mov_b64 s[2:3], exec
	v_readlane_b32 s8, v47, 22
	v_readlane_b32 s9, v47, 23
	s_and_b64 s[8:9], s[2:3], s[8:9]
	s_mov_b64 exec, s[8:9]
; %bb.113:                              ;   in Loop: Header=BB69_6 Depth=1
	v_mov_b32_e32 v14, v15
	ds_write_b64 v32, v[14:15]
; %bb.114:                              ;   in Loop: Header=BB69_6 Depth=1
	s_or_b64 exec, exec, s[2:3]
	s_lshl_b64 s[2:3], 1, s11
	v_and_b32_e32 v1, s27, v23
	v_and_b32_e32 v3, s26, v22
	v_or_b32_e32 v23, s3, v1
	v_or_b32_e32 v22, s2, v3
	;; [unrolled: 1-line block ×4, first 2 shown]
	s_mov_b64 s[74:75], -1
	s_mov_b64 s[76:77], 0
	s_cmp_eq_u32 s50, 0
	s_mov_b64 s[36:37], 0
	s_mov_b64 s[46:47], -1
	s_waitcnt lgkmcnt(0)
	s_barrier
                                        ; implicit-def: $vgpr9_vgpr10
	s_cbranch_scc1 .LBB69_126
; %bb.115:                              ;   in Loop: Header=BB69_6 Depth=1
	s_add_i32 s2, s50, s4
	v_readlane_b32 s3, v47, 35
	s_mul_hi_u32 s3, s2, s3
	s_mul_i32 s3, s3, s44
	s_sub_i32 s3, s2, s3
	s_sub_i32 s8, s3, s44
	s_cmp_ge_u32 s3, s44
	s_cselect_b32 s3, s8, s3
	s_sub_i32 s8, s3, s44
	s_cmp_ge_u32 s3, s44
	s_cselect_b32 s3, s8, s3
	s_sub_i32 s51, s2, s3
	v_cmp_gt_u32_e32 vcc, s51, v0
	s_mov_b64 s[46:47], 0
                                        ; implicit-def: $vgpr9_vgpr10
	s_and_saveexec_b64 s[2:3], vcc
	s_cbranch_execz .LBB69_125
; %bb.116:                              ;   in Loop: Header=BB69_6 Depth=1
	s_mov_b64 s[16:17], 0
	v_mov_b32_e32 v14, v31
	v_mov_b32_e32 v45, v0
                                        ; implicit-def: $sgpr36_sgpr37
	s_branch .LBB69_120
.LBB69_117:                             ;   in Loop: Header=BB69_120 Depth=2
	s_or_b64 exec, exec, s[8:9]
	s_waitcnt lgkmcnt(0)
	s_barrier
	ds_read_b128 v[7:10], v15 offset:3072
	s_waitcnt lgkmcnt(0)
	s_barrier
	v_cmp_neq_f64_e32 vcc, 0, v[7:8]
	s_cbranch_vccnz .LBB69_123
; %bb.118:                              ;   in Loop: Header=BB69_120 Depth=2
	v_add_u32_e32 v45, s44, v45
	v_cmp_le_u32_e32 vcc, s51, v45
	v_add_u32_e32 v14, s10, v14
	s_mov_b64 s[8:9], 0
	s_orn2_b64 s[42:43], vcc, exec
.LBB69_119:                             ;   in Loop: Header=BB69_120 Depth=2
	s_and_b64 s[42:43], exec, s[42:43]
	s_or_b64 s[16:17], s[42:43], s[16:17]
	s_andn2_b64 s[36:37], s[36:37], exec
	s_and_b64 s[8:9], s[8:9], exec
	s_or_b64 s[36:37], s[36:37], s[8:9]
	s_andn2_b64 exec, exec, s[16:17]
	s_cbranch_execz .LBB69_124
.LBB69_120:                             ;   Parent Loop BB69_6 Depth=1
                                        ; =>  This Inner Loop Header: Depth=2
	v_cmp_gt_u32_e32 vcc, s50, v45
	s_and_saveexec_b64 s[8:9], vcc
	s_cbranch_execz .LBB69_117
; %bb.121:                              ;   in Loop: Header=BB69_120 Depth=2
	ds_read_b64 v[3:4], v14
	s_waitcnt lgkmcnt(0)
	v_cmp_o_f64_e32 vcc, v[3:4], v[3:4]
	v_ashrrev_i32_e32 v1, 31, v4
	v_or_b32_e32 v7, 0x80000000, v1
	v_xor_b32_e32 v7, v7, v4
	v_xor_b32_e32 v1, v1, v3
	v_cndmask_b32_e32 v7, -1, v7, vcc
	v_cndmask_b32_e32 v1, -1, v1, vcc
	v_and_b32_e32 v8, v7, v25
	v_and_b32_e32 v7, v1, v24
	v_cmp_eq_u64_e32 vcc, v[7:8], v[22:23]
	s_and_b64 exec, exec, vcc
	s_cbranch_execz .LBB69_117
; %bb.122:                              ;   in Loop: Header=BB69_120 Depth=2
	v_mov_b32_e32 v1, v15
	ds_write_b128 v15, v[1:4] offset:3072
	s_branch .LBB69_117
.LBB69_123:                             ;   in Loop: Header=BB69_120 Depth=2
	s_mov_b64 s[42:43], -1
                                        ; implicit-def: $vgpr45
                                        ; implicit-def: $vgpr14
	s_mov_b64 s[8:9], -1
	s_branch .LBB69_119
.LBB69_124:                             ;   in Loop: Header=BB69_6 Depth=1
	s_or_b64 exec, exec, s[16:17]
	s_and_b64 s[36:37], s[36:37], exec
.LBB69_125:                             ;   in Loop: Header=BB69_6 Depth=1
	s_or_b64 exec, exec, s[2:3]
.LBB69_126:                             ;   in Loop: Header=BB69_6 Depth=1
	s_and_b64 vcc, exec, s[46:47]
	s_cbranch_vccz .LBB69_138
; %bb.127:                              ;   in Loop: Header=BB69_6 Depth=1
                                        ; implicit-def: $vgpr9_vgpr10
	s_mov_b64 s[2:3], exec
	v_readlane_b32 s8, v47, 36
	v_readlane_b32 s9, v47, 37
	s_and_b64 s[8:9], s[2:3], s[8:9]
	s_mov_b64 exec, s[8:9]
	s_cbranch_execz .LBB69_137
; %bb.128:                              ;   in Loop: Header=BB69_6 Depth=1
	s_mov_b64 s[16:17], 0
	v_mov_b32_e32 v14, v13
	v_mov_b32_e32 v45, v0
                                        ; implicit-def: $sgpr46_sgpr47
	s_branch .LBB69_132
.LBB69_129:                             ;   in Loop: Header=BB69_132 Depth=2
	s_or_b64 exec, exec, s[8:9]
	s_waitcnt lgkmcnt(0)
	s_barrier
	ds_read_b128 v[7:10], v15 offset:3072
	s_waitcnt lgkmcnt(0)
	s_barrier
	v_cmp_eq_f64_e32 vcc, 0, v[7:8]
	s_cbranch_vccz .LBB69_135
; %bb.130:                              ;   in Loop: Header=BB69_132 Depth=2
	v_add_u32_e32 v45, s44, v45
	v_cmp_le_u32_e32 vcc, s14, v45
	v_add_u32_e32 v14, s45, v14
	s_mov_b64 s[8:9], 0
	s_orn2_b64 s[42:43], vcc, exec
.LBB69_131:                             ;   in Loop: Header=BB69_132 Depth=2
	s_and_b64 s[42:43], exec, s[42:43]
	s_or_b64 s[16:17], s[42:43], s[16:17]
	s_andn2_b64 s[42:43], s[46:47], exec
	s_and_b64 s[8:9], s[8:9], exec
	s_or_b64 s[46:47], s[42:43], s[8:9]
	s_andn2_b64 exec, exec, s[16:17]
	s_cbranch_execz .LBB69_136
.LBB69_132:                             ;   Parent Loop BB69_6 Depth=1
                                        ; =>  This Inner Loop Header: Depth=2
	v_cmp_gt_u32_e32 vcc, s28, v45
	s_and_saveexec_b64 s[8:9], vcc
	s_cbranch_execz .LBB69_129
; %bb.133:                              ;   in Loop: Header=BB69_132 Depth=2
	v_lshlrev_b64 v[3:4], 3, v[14:15]
	v_mov_b32_e32 v1, s38
	v_add_co_u32_e32 v3, vcc, s33, v3
	v_addc_co_u32_e32 v4, vcc, v1, v4, vcc
	global_load_dwordx2 v[3:4], v[3:4], off
	s_waitcnt vmcnt(0)
	v_cmp_o_f64_e32 vcc, v[3:4], v[3:4]
	v_ashrrev_i32_e32 v1, 31, v4
	v_or_b32_e32 v7, 0x80000000, v1
	v_xor_b32_e32 v7, v7, v4
	v_xor_b32_e32 v1, v1, v3
	v_cndmask_b32_e32 v7, -1, v7, vcc
	v_cndmask_b32_e32 v1, -1, v1, vcc
	v_and_b32_e32 v8, v7, v25
	v_and_b32_e32 v7, v1, v24
	v_cmp_eq_u64_e32 vcc, v[7:8], v[22:23]
	s_and_b64 exec, exec, vcc
	s_cbranch_execz .LBB69_129
; %bb.134:                              ;   in Loop: Header=BB69_132 Depth=2
	v_mov_b32_e32 v1, v15
	ds_write_b128 v15, v[1:4] offset:3072
	s_branch .LBB69_129
.LBB69_135:                             ;   in Loop: Header=BB69_132 Depth=2
	s_mov_b64 s[42:43], -1
                                        ; implicit-def: $vgpr45
	s_mov_b64 s[8:9], -1
	s_branch .LBB69_131
.LBB69_136:                             ;   in Loop: Header=BB69_6 Depth=1
	s_or_b64 exec, exec, s[16:17]
	s_andn2_b64 s[8:9], s[36:37], exec
	s_and_b64 s[16:17], s[46:47], exec
	s_or_b64 s[36:37], s[8:9], s[16:17]
.LBB69_137:                             ;   in Loop: Header=BB69_6 Depth=1
	s_or_b64 exec, exec, s[2:3]
	s_mov_b64 s[74:75], 0
	s_mov_b64 s[76:77], -1
.LBB69_138:                             ;   in Loop: Header=BB69_6 Depth=1
	s_orn2_b64 s[2:3], s[36:37], exec
.LBB69_139:                             ;   in Loop: Header=BB69_6 Depth=1
	s_or_b64 exec, exec, s[24:25]
	s_mov_b64 s[8:9], 0
	s_and_saveexec_b64 s[86:87], s[2:3]
	s_cbranch_execz .LBB69_232
; %bb.140:                              ;   in Loop: Header=BB69_6 Depth=1
	s_xor_b64 s[2:3], s[34:35], -1
	v_mov_b32_e32 v45, 1
	v_mov_b32_e32 v43, 1
	s_and_saveexec_b64 s[24:25], s[2:3]
	s_cbranch_execz .LBB69_149
; %bb.141:                              ;   in Loop: Header=BB69_6 Depth=1
	v_cmp_ge_u32_e32 vcc, s31, v44
	s_and_saveexec_b64 s[2:3], vcc
	s_xor_b64 s[2:3], exec, s[2:3]
	s_cbranch_execz .LBB69_146
; %bb.142:                              ;   in Loop: Header=BB69_6 Depth=1
	s_lshl_b64 s[8:9], 1, s11
	v_and_b32_e32 v1, s27, v23
	v_or_b32_e32 v23, s9, v1
	ds_read_b32 v1, v15 offset:4096
	v_and_b32_e32 v3, s26, v22
	v_or_b32_e32 v22, s8, v3
	v_or_b32_e32 v25, s23, v25
	;; [unrolled: 1-line block ×3, first 2 shown]
	s_waitcnt lgkmcnt(0)
	v_cmp_ne_u32_e32 vcc, 0, v1
	s_cbranch_vccnz .LBB69_146
; %bb.143:                              ;   in Loop: Header=BB69_6 Depth=1
	s_mov_b64 s[8:9], exec
	v_readlane_b32 s16, v47, 5
	v_readlane_b32 s17, v47, 6
	s_and_b64 s[16:17], s[8:9], s[16:17]
	s_mov_b64 exec, s[16:17]
; %bb.144:                              ;   in Loop: Header=BB69_6 Depth=1
	v_mov_b32_e32 v1, s31
	ds_write_b32 v15, v1 offset:4100
; %bb.145:                              ;   in Loop: Header=BB69_6 Depth=1
	s_or_b64 exec, exec, s[8:9]
	s_waitcnt lgkmcnt(0)
	s_barrier
.LBB69_146:                             ;   in Loop: Header=BB69_6 Depth=1
	s_or_saveexec_b64 s[2:3], s[2:3]
	s_mov_b64 s[8:9], 0
	v_mov_b32_e32 v43, 8
	s_xor_b64 exec, exec, s[2:3]
; %bb.147:                              ;   in Loop: Header=BB69_6 Depth=1
	s_mov_b64 s[8:9], exec
	v_subrev_u32_e32 v44, s31, v44
	v_mov_b32_e32 v43, 0
; %bb.148:                              ;   in Loop: Header=BB69_6 Depth=1
	s_or_b64 exec, exec, s[2:3]
	s_and_b64 s[8:9], s[8:9], exec
	v_mov_b32_e32 v45, v44
.LBB69_149:                             ;   in Loop: Header=BB69_6 Depth=1
	s_or_b64 exec, exec, s[24:25]
	s_mov_b64 s[2:3], -1
                                        ; implicit-def: $sgpr90_sgpr91
                                        ; implicit-def: $sgpr92_sgpr93
	s_and_saveexec_b64 s[88:89], s[8:9]
	s_cbranch_execz .LBB69_231
; %bb.150:                              ;   in Loop: Header=BB69_6 Depth=1
	s_cmp_eq_u32 s48, 1
	s_cselect_b64 s[2:3], -1, 0
	v_cmp_eq_u32_e32 vcc, 1, v45
	s_and_b64 s[34:35], s[2:3], vcc
	s_mov_b64 s[2:3], -1
                                        ; implicit-def: $sgpr92_sgpr93
                                        ; implicit-def: $sgpr90_sgpr91
	s_and_saveexec_b64 s[24:25], s[34:35]
	s_cbranch_execz .LBB69_178
; %bb.151:                              ;   in Loop: Header=BB69_6 Depth=1
	ds_read_b32 v1, v15 offset:4096
	s_waitcnt lgkmcnt(0)
	s_barrier
	v_readfirstlane_b32 s50, v1
	s_mov_b64 s[2:3], exec
	v_readlane_b32 s8, v47, 22
	v_readlane_b32 s9, v47, 23
	s_and_b64 s[8:9], s[2:3], s[8:9]
	s_mov_b64 exec, s[8:9]
; %bb.152:                              ;   in Loop: Header=BB69_6 Depth=1
	v_mov_b32_e32 v14, v15
	ds_write_b64 v32, v[14:15]
; %bb.153:                              ;   in Loop: Header=BB69_6 Depth=1
	s_or_b64 exec, exec, s[2:3]
	s_lshl_b64 s[2:3], 2, s11
	v_and_b32_e32 v1, s27, v23
	v_and_b32_e32 v3, s26, v22
	v_or_b32_e32 v23, s3, v1
	v_or_b32_e32 v22, s2, v3
	v_or_b32_e32 v25, s23, v25
	v_or_b32_e32 v24, s22, v24
	s_mov_b64 s[90:91], -1
	s_mov_b64 s[92:93], 0
	s_cmp_eq_u32 s50, 0
	s_mov_b64 s[36:37], 0
	s_mov_b64 s[46:47], -1
	s_waitcnt lgkmcnt(0)
	s_barrier
                                        ; implicit-def: $vgpr9_vgpr10
	s_cbranch_scc1 .LBB69_165
; %bb.154:                              ;   in Loop: Header=BB69_6 Depth=1
	s_add_i32 s2, s50, s4
	v_readlane_b32 s3, v47, 35
	s_mul_hi_u32 s3, s2, s3
	s_mul_i32 s3, s3, s44
	s_sub_i32 s3, s2, s3
	s_sub_i32 s8, s3, s44
	s_cmp_ge_u32 s3, s44
	s_cselect_b32 s3, s8, s3
	s_sub_i32 s8, s3, s44
	s_cmp_ge_u32 s3, s44
	s_cselect_b32 s3, s8, s3
	s_sub_i32 s51, s2, s3
	v_cmp_gt_u32_e32 vcc, s51, v0
	s_mov_b64 s[46:47], 0
                                        ; implicit-def: $vgpr9_vgpr10
	s_and_saveexec_b64 s[2:3], vcc
	s_cbranch_execz .LBB69_164
; %bb.155:                              ;   in Loop: Header=BB69_6 Depth=1
	s_mov_b64 s[16:17], 0
	v_mov_b32_e32 v14, v31
	v_mov_b32_e32 v44, v0
                                        ; implicit-def: $sgpr36_sgpr37
	s_branch .LBB69_159
.LBB69_156:                             ;   in Loop: Header=BB69_159 Depth=2
	s_or_b64 exec, exec, s[8:9]
	s_waitcnt lgkmcnt(0)
	s_barrier
	ds_read_b128 v[7:10], v15 offset:3072
	s_waitcnt lgkmcnt(0)
	s_barrier
	v_cmp_neq_f64_e32 vcc, 0, v[7:8]
	s_cbranch_vccnz .LBB69_162
; %bb.157:                              ;   in Loop: Header=BB69_159 Depth=2
	v_add_u32_e32 v44, s44, v44
	v_cmp_le_u32_e32 vcc, s51, v44
	v_add_u32_e32 v14, s10, v14
	s_mov_b64 s[8:9], 0
	s_orn2_b64 s[42:43], vcc, exec
.LBB69_158:                             ;   in Loop: Header=BB69_159 Depth=2
	s_and_b64 s[42:43], exec, s[42:43]
	s_or_b64 s[16:17], s[42:43], s[16:17]
	s_andn2_b64 s[36:37], s[36:37], exec
	s_and_b64 s[8:9], s[8:9], exec
	s_or_b64 s[36:37], s[36:37], s[8:9]
	s_andn2_b64 exec, exec, s[16:17]
	s_cbranch_execz .LBB69_163
.LBB69_159:                             ;   Parent Loop BB69_6 Depth=1
                                        ; =>  This Inner Loop Header: Depth=2
	v_cmp_gt_u32_e32 vcc, s50, v44
	s_and_saveexec_b64 s[8:9], vcc
	s_cbranch_execz .LBB69_156
; %bb.160:                              ;   in Loop: Header=BB69_159 Depth=2
	ds_read_b64 v[3:4], v14
	s_waitcnt lgkmcnt(0)
	v_cmp_o_f64_e32 vcc, v[3:4], v[3:4]
	v_ashrrev_i32_e32 v1, 31, v4
	v_or_b32_e32 v7, 0x80000000, v1
	v_xor_b32_e32 v7, v7, v4
	v_xor_b32_e32 v1, v1, v3
	v_cndmask_b32_e32 v7, -1, v7, vcc
	v_cndmask_b32_e32 v1, -1, v1, vcc
	v_and_b32_e32 v8, v7, v25
	v_and_b32_e32 v7, v1, v24
	v_cmp_eq_u64_e32 vcc, v[7:8], v[22:23]
	s_and_b64 exec, exec, vcc
	s_cbranch_execz .LBB69_156
; %bb.161:                              ;   in Loop: Header=BB69_159 Depth=2
	v_mov_b32_e32 v1, v15
	ds_write_b128 v15, v[1:4] offset:3072
	s_branch .LBB69_156
.LBB69_162:                             ;   in Loop: Header=BB69_159 Depth=2
	s_mov_b64 s[42:43], -1
                                        ; implicit-def: $vgpr44
                                        ; implicit-def: $vgpr14
	s_mov_b64 s[8:9], -1
	s_branch .LBB69_158
.LBB69_163:                             ;   in Loop: Header=BB69_6 Depth=1
	s_or_b64 exec, exec, s[16:17]
	s_and_b64 s[36:37], s[36:37], exec
.LBB69_164:                             ;   in Loop: Header=BB69_6 Depth=1
	s_or_b64 exec, exec, s[2:3]
.LBB69_165:                             ;   in Loop: Header=BB69_6 Depth=1
	s_and_b64 vcc, exec, s[46:47]
	s_cbranch_vccz .LBB69_177
; %bb.166:                              ;   in Loop: Header=BB69_6 Depth=1
                                        ; implicit-def: $vgpr9_vgpr10
	s_mov_b64 s[2:3], exec
	v_readlane_b32 s8, v47, 36
	v_readlane_b32 s9, v47, 37
	s_and_b64 s[8:9], s[2:3], s[8:9]
	s_mov_b64 exec, s[8:9]
	s_cbranch_execz .LBB69_176
; %bb.167:                              ;   in Loop: Header=BB69_6 Depth=1
	s_mov_b64 s[16:17], 0
	v_mov_b32_e32 v14, v13
	v_mov_b32_e32 v44, v0
                                        ; implicit-def: $sgpr46_sgpr47
	s_branch .LBB69_171
.LBB69_168:                             ;   in Loop: Header=BB69_171 Depth=2
	s_or_b64 exec, exec, s[8:9]
	s_waitcnt lgkmcnt(0)
	s_barrier
	ds_read_b128 v[7:10], v15 offset:3072
	s_waitcnt lgkmcnt(0)
	s_barrier
	v_cmp_eq_f64_e32 vcc, 0, v[7:8]
	s_cbranch_vccz .LBB69_174
; %bb.169:                              ;   in Loop: Header=BB69_171 Depth=2
	v_add_u32_e32 v44, s44, v44
	v_cmp_le_u32_e32 vcc, s14, v44
	v_add_u32_e32 v14, s45, v14
	s_mov_b64 s[8:9], 0
	s_orn2_b64 s[42:43], vcc, exec
.LBB69_170:                             ;   in Loop: Header=BB69_171 Depth=2
	s_and_b64 s[42:43], exec, s[42:43]
	s_or_b64 s[16:17], s[42:43], s[16:17]
	s_andn2_b64 s[42:43], s[46:47], exec
	s_and_b64 s[8:9], s[8:9], exec
	s_or_b64 s[46:47], s[42:43], s[8:9]
	s_andn2_b64 exec, exec, s[16:17]
	s_cbranch_execz .LBB69_175
.LBB69_171:                             ;   Parent Loop BB69_6 Depth=1
                                        ; =>  This Inner Loop Header: Depth=2
	v_cmp_gt_u32_e32 vcc, s28, v44
	s_and_saveexec_b64 s[8:9], vcc
	s_cbranch_execz .LBB69_168
; %bb.172:                              ;   in Loop: Header=BB69_171 Depth=2
	v_lshlrev_b64 v[3:4], 3, v[14:15]
	v_mov_b32_e32 v1, s38
	v_add_co_u32_e32 v3, vcc, s33, v3
	v_addc_co_u32_e32 v4, vcc, v1, v4, vcc
	global_load_dwordx2 v[3:4], v[3:4], off
	s_waitcnt vmcnt(0)
	v_cmp_o_f64_e32 vcc, v[3:4], v[3:4]
	v_ashrrev_i32_e32 v1, 31, v4
	v_or_b32_e32 v7, 0x80000000, v1
	v_xor_b32_e32 v7, v7, v4
	v_xor_b32_e32 v1, v1, v3
	v_cndmask_b32_e32 v7, -1, v7, vcc
	v_cndmask_b32_e32 v1, -1, v1, vcc
	v_and_b32_e32 v8, v7, v25
	v_and_b32_e32 v7, v1, v24
	v_cmp_eq_u64_e32 vcc, v[7:8], v[22:23]
	s_and_b64 exec, exec, vcc
	s_cbranch_execz .LBB69_168
; %bb.173:                              ;   in Loop: Header=BB69_171 Depth=2
	v_mov_b32_e32 v1, v15
	ds_write_b128 v15, v[1:4] offset:3072
	s_branch .LBB69_168
.LBB69_174:                             ;   in Loop: Header=BB69_171 Depth=2
	s_mov_b64 s[42:43], -1
                                        ; implicit-def: $vgpr44
	s_mov_b64 s[8:9], -1
	s_branch .LBB69_170
.LBB69_175:                             ;   in Loop: Header=BB69_6 Depth=1
	s_or_b64 exec, exec, s[16:17]
	s_andn2_b64 s[8:9], s[36:37], exec
	s_and_b64 s[16:17], s[46:47], exec
	s_or_b64 s[36:37], s[8:9], s[16:17]
.LBB69_176:                             ;   in Loop: Header=BB69_6 Depth=1
	s_or_b64 exec, exec, s[2:3]
	s_mov_b64 s[90:91], 0
	s_mov_b64 s[92:93], -1
.LBB69_177:                             ;   in Loop: Header=BB69_6 Depth=1
	s_orn2_b64 s[2:3], s[36:37], exec
.LBB69_178:                             ;   in Loop: Header=BB69_6 Depth=1
	s_or_b64 exec, exec, s[24:25]
	s_mov_b64 s[8:9], 0
	s_and_saveexec_b64 s[94:95], s[2:3]
	s_cbranch_execz .LBB69_230
; %bb.179:                              ;   in Loop: Header=BB69_6 Depth=1
	s_xor_b64 s[2:3], s[34:35], -1
	v_mov_b32_e32 v44, 1
	v_mov_b32_e32 v43, 1
	s_and_saveexec_b64 s[24:25], s[2:3]
	s_cbranch_execz .LBB69_188
; %bb.180:                              ;   in Loop: Header=BB69_6 Depth=1
	v_cmp_ge_u32_e32 vcc, s48, v45
	s_and_saveexec_b64 s[2:3], vcc
	s_xor_b64 s[2:3], exec, s[2:3]
	s_cbranch_execz .LBB69_185
; %bb.181:                              ;   in Loop: Header=BB69_6 Depth=1
	s_lshl_b64 s[8:9], 2, s11
	v_and_b32_e32 v1, s27, v23
	v_or_b32_e32 v23, s9, v1
	ds_read_b32 v1, v15 offset:4096
	v_and_b32_e32 v3, s26, v22
	v_or_b32_e32 v22, s8, v3
	v_or_b32_e32 v25, s23, v25
	;; [unrolled: 1-line block ×3, first 2 shown]
	s_waitcnt lgkmcnt(0)
	v_cmp_ne_u32_e32 vcc, 0, v1
	s_cbranch_vccnz .LBB69_185
; %bb.182:                              ;   in Loop: Header=BB69_6 Depth=1
	s_mov_b64 s[8:9], exec
	v_readlane_b32 s16, v47, 5
	v_readlane_b32 s17, v47, 6
	s_and_b64 s[16:17], s[8:9], s[16:17]
	s_mov_b64 exec, s[16:17]
; %bb.183:                              ;   in Loop: Header=BB69_6 Depth=1
	v_mov_b32_e32 v1, s48
	ds_write_b32 v15, v1 offset:4100
; %bb.184:                              ;   in Loop: Header=BB69_6 Depth=1
	s_or_b64 exec, exec, s[8:9]
	s_waitcnt lgkmcnt(0)
	s_barrier
.LBB69_185:                             ;   in Loop: Header=BB69_6 Depth=1
	s_or_saveexec_b64 s[2:3], s[2:3]
	s_mov_b64 s[8:9], 0
	v_mov_b32_e32 v43, 8
	s_xor_b64 exec, exec, s[2:3]
; %bb.186:                              ;   in Loop: Header=BB69_6 Depth=1
	s_mov_b64 s[8:9], exec
	v_subrev_u32_e32 v45, s48, v45
	v_mov_b32_e32 v43, 0
; %bb.187:                              ;   in Loop: Header=BB69_6 Depth=1
	s_or_b64 exec, exec, s[2:3]
	s_and_b64 s[8:9], s[8:9], exec
	v_mov_b32_e32 v44, v45
.LBB69_188:                             ;   in Loop: Header=BB69_6 Depth=1
	s_or_b64 exec, exec, s[24:25]
	s_mov_b64 s[2:3], -1
                                        ; implicit-def: $sgpr46_sgpr47
                                        ; implicit-def: $sgpr24_sgpr25
	s_and_saveexec_b64 s[34:35], s[8:9]
	s_cbranch_execz .LBB69_229
; %bb.189:                              ;   in Loop: Header=BB69_6 Depth=1
	s_cmp_eq_u32 s49, 1
	s_cselect_b64 s[2:3], -1, 0
	v_cmp_eq_u32_e32 vcc, 1, v44
	s_and_b64 s[42:43], s[2:3], vcc
	s_mov_b64 s[8:9], -1
                                        ; implicit-def: $sgpr46_sgpr47
                                        ; implicit-def: $sgpr24_sgpr25
	s_and_saveexec_b64 s[36:37], s[42:43]
	s_cbranch_execz .LBB69_217
; %bb.190:                              ;   in Loop: Header=BB69_6 Depth=1
	ds_read_b32 v1, v15 offset:4096
	s_waitcnt lgkmcnt(0)
	s_barrier
	v_readfirstlane_b32 s16, v1
	s_mov_b64 s[2:3], exec
	v_readlane_b32 s8, v47, 22
	v_readlane_b32 s9, v47, 23
	s_and_b64 s[8:9], s[2:3], s[8:9]
	s_mov_b64 exec, s[8:9]
; %bb.191:                              ;   in Loop: Header=BB69_6 Depth=1
	v_mov_b32_e32 v14, v15
	ds_write_b64 v32, v[14:15]
; %bb.192:                              ;   in Loop: Header=BB69_6 Depth=1
	s_or_b64 exec, exec, s[2:3]
	v_or_b32_e32 v23, s23, v23
	v_or_b32_e32 v22, s22, v22
	;; [unrolled: 1-line block ×4, first 2 shown]
	s_mov_b64 s[24:25], -1
	s_mov_b64 s[46:47], 0
	s_cmp_eq_u32 s16, 0
	s_mov_b64 s[50:51], 0
	s_mov_b64 s[2:3], -1
	s_waitcnt lgkmcnt(0)
	s_barrier
                                        ; implicit-def: $vgpr9_vgpr10
	s_cbranch_scc1 .LBB69_204
; %bb.193:                              ;   in Loop: Header=BB69_6 Depth=1
	s_add_i32 s2, s16, s4
	v_readlane_b32 s3, v47, 35
	s_mul_hi_u32 s3, s2, s3
	s_mul_i32 s3, s3, s44
	s_sub_i32 s3, s2, s3
	s_sub_i32 s8, s3, s44
	s_cmp_ge_u32 s3, s44
	s_cselect_b32 s3, s8, s3
	s_sub_i32 s8, s3, s44
	s_cmp_ge_u32 s3, s44
	s_cselect_b32 s3, s8, s3
	s_sub_i32 s17, s2, s3
	s_mov_b64 s[2:3], 0
	v_cmp_gt_u32_e32 vcc, s17, v0
                                        ; implicit-def: $vgpr9_vgpr10
	s_mov_b64 s[8:9], exec
	v_writelane_b32 v47, s8, 38
	v_writelane_b32 v47, s9, 39
	s_and_b64 s[8:9], s[8:9], vcc
	s_mov_b64 exec, s[8:9]
	s_cbranch_execz .LBB69_203
; %bb.194:                              ;   in Loop: Header=BB69_6 Depth=1
	v_writelane_b32 v47, s42, 40
	v_mov_b32_e32 v14, v31
	v_mov_b32_e32 v45, v0
	v_writelane_b32 v47, s43, 41
                                        ; implicit-def: $sgpr8_sgpr9
	s_branch .LBB69_198
.LBB69_195:                             ;   in Loop: Header=BB69_198 Depth=2
	s_or_b64 exec, exec, s[42:43]
	s_waitcnt lgkmcnt(0)
	s_barrier
	ds_read_b128 v[7:10], v15 offset:3072
	s_waitcnt lgkmcnt(0)
	s_barrier
	v_cmp_neq_f64_e32 vcc, 0, v[7:8]
	s_cbranch_vccnz .LBB69_201
; %bb.196:                              ;   in Loop: Header=BB69_198 Depth=2
	v_add_u32_e32 v45, s44, v45
	v_cmp_le_u32_e32 vcc, s17, v45
	v_add_u32_e32 v14, s10, v14
	s_mov_b64 s[42:43], 0
	s_orn2_b64 vcc, vcc, exec
.LBB69_197:                             ;   in Loop: Header=BB69_198 Depth=2
	s_and_b64 vcc, exec, vcc
	s_or_b64 s[50:51], vcc, s[50:51]
	s_andn2_b64 s[8:9], s[8:9], exec
	s_and_b64 s[42:43], s[42:43], exec
	s_or_b64 s[8:9], s[8:9], s[42:43]
	s_andn2_b64 exec, exec, s[50:51]
	s_cbranch_execz .LBB69_202
.LBB69_198:                             ;   Parent Loop BB69_6 Depth=1
                                        ; =>  This Inner Loop Header: Depth=2
	v_cmp_gt_u32_e32 vcc, s16, v45
	s_and_saveexec_b64 s[42:43], vcc
	s_cbranch_execz .LBB69_195
; %bb.199:                              ;   in Loop: Header=BB69_198 Depth=2
	ds_read_b64 v[3:4], v14
	s_waitcnt lgkmcnt(0)
	v_cmp_o_f64_e32 vcc, v[3:4], v[3:4]
	v_ashrrev_i32_e32 v1, 31, v4
	v_or_b32_e32 v7, 0x80000000, v1
	v_xor_b32_e32 v7, v7, v4
	v_xor_b32_e32 v1, v1, v3
	v_cndmask_b32_e32 v7, -1, v7, vcc
	v_cndmask_b32_e32 v1, -1, v1, vcc
	v_and_b32_e32 v8, v7, v25
	v_and_b32_e32 v7, v1, v24
	v_cmp_eq_u64_e32 vcc, v[7:8], v[22:23]
	s_and_b64 exec, exec, vcc
	s_cbranch_execz .LBB69_195
; %bb.200:                              ;   in Loop: Header=BB69_198 Depth=2
	v_mov_b32_e32 v1, v15
	ds_write_b128 v15, v[1:4] offset:3072
	s_branch .LBB69_195
.LBB69_201:                             ;   in Loop: Header=BB69_198 Depth=2
	s_mov_b64 vcc, -1
                                        ; implicit-def: $vgpr45
                                        ; implicit-def: $vgpr14
	s_mov_b64 s[42:43], -1
	s_branch .LBB69_197
.LBB69_202:                             ;   in Loop: Header=BB69_6 Depth=1
	s_or_b64 exec, exec, s[50:51]
	v_readlane_b32 s42, v47, 40
	s_and_b64 s[50:51], s[8:9], exec
	v_readlane_b32 s43, v47, 41
.LBB69_203:                             ;   in Loop: Header=BB69_6 Depth=1
	v_readlane_b32 s8, v47, 38
	v_readlane_b32 s9, v47, 39
	s_or_b64 exec, exec, s[8:9]
.LBB69_204:                             ;   in Loop: Header=BB69_6 Depth=1
	s_and_b64 vcc, exec, s[2:3]
	s_cbranch_vccz .LBB69_216
; %bb.205:                              ;   in Loop: Header=BB69_6 Depth=1
                                        ; implicit-def: $vgpr9_vgpr10
	s_mov_b64 s[2:3], exec
	v_readlane_b32 s8, v47, 36
	v_readlane_b32 s9, v47, 37
	s_and_b64 s[8:9], s[2:3], s[8:9]
	s_mov_b64 exec, s[8:9]
	s_cbranch_execz .LBB69_215
; %bb.206:                              ;   in Loop: Header=BB69_6 Depth=1
	s_mov_b64 s[46:47], s[42:43]
	s_mov_b64 s[16:17], 0
	v_mov_b32_e32 v14, v13
	v_mov_b32_e32 v45, v0
                                        ; implicit-def: $sgpr24_sgpr25
	s_branch .LBB69_210
.LBB69_207:                             ;   in Loop: Header=BB69_210 Depth=2
	s_or_b64 exec, exec, s[8:9]
	s_waitcnt lgkmcnt(0)
	s_barrier
	ds_read_b128 v[7:10], v15 offset:3072
	s_waitcnt lgkmcnt(0)
	s_barrier
	v_cmp_eq_f64_e32 vcc, 0, v[7:8]
	s_cbranch_vccz .LBB69_213
; %bb.208:                              ;   in Loop: Header=BB69_210 Depth=2
	v_add_u32_e32 v45, s44, v45
	v_cmp_le_u32_e32 vcc, s14, v45
	v_add_u32_e32 v14, s45, v14
	s_mov_b64 s[8:9], 0
	s_orn2_b64 s[42:43], vcc, exec
.LBB69_209:                             ;   in Loop: Header=BB69_210 Depth=2
	s_and_b64 s[42:43], exec, s[42:43]
	s_or_b64 s[16:17], s[42:43], s[16:17]
	s_andn2_b64 s[24:25], s[24:25], exec
	s_and_b64 s[8:9], s[8:9], exec
	s_or_b64 s[24:25], s[24:25], s[8:9]
	s_andn2_b64 exec, exec, s[16:17]
	s_cbranch_execz .LBB69_214
.LBB69_210:                             ;   Parent Loop BB69_6 Depth=1
                                        ; =>  This Inner Loop Header: Depth=2
	v_cmp_gt_u32_e32 vcc, s28, v45
	s_and_saveexec_b64 s[8:9], vcc
	s_cbranch_execz .LBB69_207
; %bb.211:                              ;   in Loop: Header=BB69_210 Depth=2
	v_lshlrev_b64 v[3:4], 3, v[14:15]
	v_mov_b32_e32 v1, s38
	v_add_co_u32_e32 v3, vcc, s33, v3
	v_addc_co_u32_e32 v4, vcc, v1, v4, vcc
	global_load_dwordx2 v[3:4], v[3:4], off
	s_waitcnt vmcnt(0)
	v_cmp_o_f64_e32 vcc, v[3:4], v[3:4]
	v_ashrrev_i32_e32 v1, 31, v4
	v_or_b32_e32 v7, 0x80000000, v1
	v_xor_b32_e32 v7, v7, v4
	v_xor_b32_e32 v1, v1, v3
	v_cndmask_b32_e32 v7, -1, v7, vcc
	v_cndmask_b32_e32 v1, -1, v1, vcc
	v_and_b32_e32 v8, v7, v25
	v_and_b32_e32 v7, v1, v24
	v_cmp_eq_u64_e32 vcc, v[7:8], v[22:23]
	s_and_b64 exec, exec, vcc
	s_cbranch_execz .LBB69_207
; %bb.212:                              ;   in Loop: Header=BB69_210 Depth=2
	v_mov_b32_e32 v1, v15
	ds_write_b128 v15, v[1:4] offset:3072
	s_branch .LBB69_207
.LBB69_213:                             ;   in Loop: Header=BB69_210 Depth=2
	s_mov_b64 s[42:43], -1
                                        ; implicit-def: $vgpr45
	s_mov_b64 s[8:9], -1
	s_branch .LBB69_209
.LBB69_214:                             ;   in Loop: Header=BB69_6 Depth=1
	s_or_b64 exec, exec, s[16:17]
	s_andn2_b64 s[8:9], s[50:51], exec
	s_and_b64 s[16:17], s[24:25], exec
	s_or_b64 s[50:51], s[8:9], s[16:17]
	s_mov_b64 s[42:43], s[46:47]
.LBB69_215:                             ;   in Loop: Header=BB69_6 Depth=1
	s_or_b64 exec, exec, s[2:3]
	s_mov_b64 s[24:25], 0
	s_mov_b64 s[46:47], -1
.LBB69_216:                             ;   in Loop: Header=BB69_6 Depth=1
	s_orn2_b64 s[8:9], s[50:51], exec
.LBB69_217:                             ;   in Loop: Header=BB69_6 Depth=1
	s_or_b64 exec, exec, s[36:37]
	s_mov_b64 s[16:17], 0
	s_and_saveexec_b64 s[2:3], s[8:9]
	s_cbranch_execz .LBB69_228
; %bb.218:                              ;   in Loop: Header=BB69_6 Depth=1
	s_xor_b64 s[16:17], s[42:43], -1
	v_mov_b32_e32 v43, 1
	v_mov_b32_e32 v1, 1
	s_and_saveexec_b64 s[8:9], s[16:17]
	s_cbranch_execz .LBB69_227
; %bb.219:                              ;   in Loop: Header=BB69_6 Depth=1
	v_cmp_ge_u32_e32 vcc, s49, v44
	s_and_saveexec_b64 s[16:17], vcc
	s_xor_b64 s[16:17], exec, s[16:17]
	s_cbranch_execz .LBB69_224
; %bb.220:                              ;   in Loop: Header=BB69_6 Depth=1
	ds_read_b32 v1, v15 offset:4096
	v_or_b32_e32 v23, s23, v23
	v_or_b32_e32 v22, s22, v22
	;; [unrolled: 1-line block ×4, first 2 shown]
	s_waitcnt lgkmcnt(0)
	v_cmp_ne_u32_e32 vcc, 0, v1
	s_cbranch_vccnz .LBB69_224
; %bb.221:                              ;   in Loop: Header=BB69_6 Depth=1
	s_mov_b64 s[36:37], exec
	v_readlane_b32 s42, v47, 5
	v_readlane_b32 s43, v47, 6
	s_and_b64 s[42:43], s[36:37], s[42:43]
	s_mov_b64 exec, s[42:43]
; %bb.222:                              ;   in Loop: Header=BB69_6 Depth=1
	v_mov_b32_e32 v1, s49
	ds_write_b32 v15, v1 offset:4100
; %bb.223:                              ;   in Loop: Header=BB69_6 Depth=1
	s_or_b64 exec, exec, s[36:37]
	s_waitcnt lgkmcnt(0)
	s_barrier
.LBB69_224:                             ;   in Loop: Header=BB69_6 Depth=1
	s_andn2_saveexec_b64 s[16:17], s[16:17]
; %bb.225:                              ;   in Loop: Header=BB69_6 Depth=1
	v_subrev_u32_e32 v44, s49, v44
; %bb.226:                              ;   in Loop: Header=BB69_6 Depth=1
	s_or_b64 exec, exec, s[16:17]
	v_mov_b32_e32 v43, 8
	v_mov_b32_e32 v1, v44
.LBB69_227:                             ;   in Loop: Header=BB69_6 Depth=1
	s_or_b64 exec, exec, s[8:9]
	s_mov_b64 s[16:17], exec
	v_mov_b32_e32 v44, v1
.LBB69_228:                             ;   in Loop: Header=BB69_6 Depth=1
	s_or_b64 exec, exec, s[2:3]
	s_orn2_b64 s[2:3], s[16:17], exec
.LBB69_229:                             ;   in Loop: Header=BB69_6 Depth=1
	s_or_b64 exec, exec, s[34:35]
	s_andn2_b64 s[8:9], s[92:93], exec
	s_and_b64 s[16:17], s[46:47], exec
	s_or_b64 s[92:93], s[8:9], s[16:17]
	s_andn2_b64 s[8:9], s[90:91], exec
	s_and_b64 s[16:17], s[24:25], exec
	s_or_b64 s[90:91], s[8:9], s[16:17]
	s_and_b64 s[8:9], s[2:3], exec
	v_mov_b32_e32 v45, v44
.LBB69_230:                             ;   in Loop: Header=BB69_6 Depth=1
	s_or_b64 exec, exec, s[94:95]
	s_orn2_b64 s[2:3], s[8:9], exec
.LBB69_231:                             ;   in Loop: Header=BB69_6 Depth=1
	s_or_b64 exec, exec, s[88:89]
	s_andn2_b64 s[8:9], s[76:77], exec
	s_and_b64 s[16:17], s[92:93], exec
	s_or_b64 s[76:77], s[8:9], s[16:17]
	s_andn2_b64 s[8:9], s[74:75], exec
	s_and_b64 s[16:17], s[90:91], exec
	s_or_b64 s[74:75], s[8:9], s[16:17]
	s_and_b64 s[8:9], s[2:3], exec
	v_mov_b32_e32 v44, v45
.LBB69_232:                             ;   in Loop: Header=BB69_6 Depth=1
	s_or_b64 exec, exec, s[86:87]
	s_orn2_b64 s[2:3], s[8:9], exec
.LBB69_233:                             ;   in Loop: Header=BB69_6 Depth=1
	s_or_b64 exec, exec, s[6:7]
	s_mov_b64 s[6:7], 0
	s_mov_b64 s[8:9], 0
	s_and_saveexec_b64 s[16:17], s[2:3]
	s_xor_b64 s[2:3], exec, s[16:17]
; %bb.234:                              ;   in Loop: Header=BB69_6 Depth=1
	v_cmp_eq_u32_e32 vcc, 8, v43
	v_cmp_ne_u32_e64 s[6:7], 8, v43
	s_and_b64 s[8:9], s[6:7], exec
	s_and_b64 s[6:7], vcc, exec
; %bb.235:                              ;   in Loop: Header=BB69_6 Depth=1
	s_or_b64 exec, exec, s[2:3]
	s_andn2_b64 s[2:3], s[80:81], exec
	s_and_b64 s[16:17], s[76:77], exec
	s_or_b64 s[80:81], s[2:3], s[16:17]
	s_andn2_b64 s[2:3], s[78:79], exec
	s_and_b64 s[16:17], s[74:75], exec
	s_or_b64 s[78:79], s[2:3], s[16:17]
	s_and_b64 s[74:75], s[8:9], exec
	s_and_b64 s[76:77], s[6:7], exec
.LBB69_236:                             ;   in Loop: Header=BB69_6 Depth=1
	s_or_b64 exec, exec, s[84:85]
.LBB69_237:                             ;   in Loop: Header=BB69_6 Depth=1
	s_and_b64 vcc, exec, s[82:83]
	s_cbranch_vccz .LBB69_251
; %bb.238:                              ;   in Loop: Header=BB69_6 Depth=1
	s_cmp_eq_u32 s49, 1
	s_cselect_b64 s[2:3], -1, 0
	s_and_b64 s[6:7], s[2:3], s[18:19]
	s_mov_b64 s[2:3], -1
                                        ; implicit-def: $sgpr18_sgpr19
                                        ; implicit-def: $sgpr20_sgpr21
	s_and_saveexec_b64 s[24:25], s[6:7]
	s_cbranch_execz .LBB69_267
; %bb.239:                              ;   in Loop: Header=BB69_6 Depth=1
	ds_read_b32 v1, v15 offset:4096
	s_waitcnt lgkmcnt(0)
	s_barrier
	v_readfirstlane_b32 s46, v1
	s_mov_b64 s[2:3], exec
	v_readlane_b32 s8, v47, 22
	v_readlane_b32 s9, v47, 23
	s_and_b64 s[8:9], s[2:3], s[8:9]
	s_mov_b64 exec, s[8:9]
; %bb.240:                              ;   in Loop: Header=BB69_6 Depth=1
	v_mov_b32_e32 v14, v15
	ds_write_b64 v32, v[14:15]
; %bb.241:                              ;   in Loop: Header=BB69_6 Depth=1
	s_or_b64 exec, exec, s[2:3]
	v_or_b32_e32 v19, s23, v19
	v_or_b32_e32 v18, s22, v18
	;; [unrolled: 1-line block ×4, first 2 shown]
	s_mov_b64 s[20:21], -1
	s_mov_b64 s[18:19], 0
	s_cmp_eq_u32 s46, 0
	s_mov_b64 s[34:35], 0
	s_mov_b64 s[2:3], -1
	s_waitcnt lgkmcnt(0)
	s_barrier
                                        ; implicit-def: $vgpr5_vgpr6
	s_cbranch_scc1 .LBB69_254
; %bb.242:                              ;   in Loop: Header=BB69_6 Depth=1
	s_add_i32 s2, s46, s4
	v_readlane_b32 s3, v47, 35
	s_mul_hi_u32 s3, s2, s3
	s_mul_i32 s3, s3, s44
	s_sub_i32 s3, s2, s3
	s_sub_i32 s8, s3, s44
	s_cmp_ge_u32 s3, s44
	s_cselect_b32 s3, s8, s3
	s_sub_i32 s8, s3, s44
	s_cmp_ge_u32 s3, s44
	s_cselect_b32 s3, s8, s3
	s_sub_i32 s47, s2, s3
	v_cmp_gt_u32_e32 vcc, s47, v0
	s_mov_b64 s[2:3], 0
                                        ; implicit-def: $vgpr5_vgpr6
	s_and_saveexec_b64 s[36:37], vcc
	s_cbranch_execz .LBB69_253
; %bb.243:                              ;   in Loop: Header=BB69_6 Depth=1
	s_mov_b64 s[16:17], 0
	v_mov_b32_e32 v7, v31
	v_mov_b32_e32 v8, v0
                                        ; implicit-def: $sgpr34_sgpr35
	s_branch .LBB69_247
.LBB69_244:                             ;   in Loop: Header=BB69_247 Depth=2
	s_or_b64 exec, exec, s[8:9]
	s_waitcnt lgkmcnt(0)
	s_barrier
	ds_read_b128 v[3:6], v15 offset:3072
	s_waitcnt lgkmcnt(0)
	s_barrier
	v_cmp_neq_f64_e32 vcc, 0, v[3:4]
	s_cbranch_vccnz .LBB69_250
; %bb.245:                              ;   in Loop: Header=BB69_247 Depth=2
	v_add_u32_e32 v8, s44, v8
	v_cmp_le_u32_e32 vcc, s47, v8
	v_add_u32_e32 v7, s10, v7
	s_mov_b64 s[8:9], 0
	s_orn2_b64 s[42:43], vcc, exec
.LBB69_246:                             ;   in Loop: Header=BB69_247 Depth=2
	s_and_b64 s[42:43], exec, s[42:43]
	s_or_b64 s[16:17], s[42:43], s[16:17]
	s_andn2_b64 s[34:35], s[34:35], exec
	s_and_b64 s[8:9], s[8:9], exec
	s_or_b64 s[34:35], s[34:35], s[8:9]
	s_andn2_b64 exec, exec, s[16:17]
	s_cbranch_execz .LBB69_252
.LBB69_247:                             ;   Parent Loop BB69_6 Depth=1
                                        ; =>  This Inner Loop Header: Depth=2
	v_cmp_gt_u32_e32 vcc, s46, v8
	s_and_saveexec_b64 s[8:9], vcc
	s_cbranch_execz .LBB69_244
; %bb.248:                              ;   in Loop: Header=BB69_247 Depth=2
	ds_read_b64 v[3:4], v7
	s_waitcnt lgkmcnt(0)
	v_cmp_o_f64_e32 vcc, v[3:4], v[3:4]
	v_ashrrev_i32_e32 v1, 31, v4
	v_or_b32_e32 v5, 0x80000000, v1
	v_xor_b32_e32 v5, v5, v4
	v_xor_b32_e32 v1, v1, v3
	v_cndmask_b32_e32 v5, -1, v5, vcc
	v_cndmask_b32_e32 v1, -1, v1, vcc
	v_and_b32_e32 v6, v5, v21
	v_and_b32_e32 v5, v1, v20
	v_cmp_eq_u64_e32 vcc, v[5:6], v[18:19]
	s_and_b64 exec, exec, vcc
	s_cbranch_execz .LBB69_244
; %bb.249:                              ;   in Loop: Header=BB69_247 Depth=2
	v_mov_b32_e32 v1, v15
	ds_write_b128 v15, v[1:4] offset:3072
	s_branch .LBB69_244
.LBB69_250:                             ;   in Loop: Header=BB69_247 Depth=2
	s_mov_b64 s[42:43], -1
                                        ; implicit-def: $vgpr8
                                        ; implicit-def: $vgpr7
	s_mov_b64 s[8:9], -1
	s_branch .LBB69_246
.LBB69_251:                             ;   in Loop: Header=BB69_6 Depth=1
	v_mov_b32_e32 v18, v22
	v_mov_b32_e32 v20, v24
	;; [unrolled: 1-line block ×3, first 2 shown]
	s_mov_b64 s[18:19], 0
	v_mov_b32_e32 v19, v23
	v_mov_b32_e32 v21, v25
	;; [unrolled: 1-line block ×3, first 2 shown]
	s_and_saveexec_b64 s[2:3], s[76:77]
	s_cbranch_execnz .LBB69_404
	s_branch .LBB69_405
.LBB69_252:                             ;   in Loop: Header=BB69_6 Depth=1
	s_or_b64 exec, exec, s[16:17]
	s_and_b64 s[34:35], s[34:35], exec
.LBB69_253:                             ;   in Loop: Header=BB69_6 Depth=1
	s_or_b64 exec, exec, s[36:37]
.LBB69_254:                             ;   in Loop: Header=BB69_6 Depth=1
	s_and_b64 vcc, exec, s[2:3]
	s_cbranch_vccz .LBB69_266
; %bb.255:                              ;   in Loop: Header=BB69_6 Depth=1
                                        ; implicit-def: $vgpr5_vgpr6
	s_mov_b64 s[2:3], exec
	v_readlane_b32 s8, v47, 36
	v_readlane_b32 s9, v47, 37
	s_and_b64 s[8:9], s[2:3], s[8:9]
	s_mov_b64 exec, s[8:9]
	s_cbranch_execz .LBB69_265
; %bb.256:                              ;   in Loop: Header=BB69_6 Depth=1
	s_mov_b64 s[18:19], 0
	v_mov_b32_e32 v14, v13
	v_mov_b32_e32 v7, v0
                                        ; implicit-def: $sgpr16_sgpr17
	s_branch .LBB69_260
.LBB69_257:                             ;   in Loop: Header=BB69_260 Depth=2
	s_or_b64 exec, exec, s[8:9]
	s_waitcnt lgkmcnt(0)
	s_barrier
	ds_read_b128 v[3:6], v15 offset:3072
	s_waitcnt lgkmcnt(0)
	s_barrier
	v_cmp_neq_f64_e32 vcc, 0, v[3:4]
	s_cbranch_vccnz .LBB69_263
; %bb.258:                              ;   in Loop: Header=BB69_260 Depth=2
	v_add_u32_e32 v7, s44, v7
	v_cmp_le_u32_e32 vcc, s14, v7
	v_add_u32_e32 v14, s45, v14
	s_mov_b64 s[8:9], 0
	s_orn2_b64 s[20:21], vcc, exec
.LBB69_259:                             ;   in Loop: Header=BB69_260 Depth=2
	s_and_b64 s[20:21], exec, s[20:21]
	s_or_b64 s[18:19], s[20:21], s[18:19]
	s_andn2_b64 s[16:17], s[16:17], exec
	s_and_b64 s[8:9], s[8:9], exec
	s_or_b64 s[16:17], s[16:17], s[8:9]
	s_andn2_b64 exec, exec, s[18:19]
	s_cbranch_execz .LBB69_264
.LBB69_260:                             ;   Parent Loop BB69_6 Depth=1
                                        ; =>  This Inner Loop Header: Depth=2
	v_cmp_gt_u32_e32 vcc, s28, v7
	s_and_saveexec_b64 s[8:9], vcc
	s_cbranch_execz .LBB69_257
; %bb.261:                              ;   in Loop: Header=BB69_260 Depth=2
	v_lshlrev_b64 v[3:4], 3, v[14:15]
	v_mov_b32_e32 v1, s38
	v_add_co_u32_e32 v3, vcc, s33, v3
	v_addc_co_u32_e32 v4, vcc, v1, v4, vcc
	global_load_dwordx2 v[3:4], v[3:4], off
	s_waitcnt vmcnt(0)
	v_cmp_o_f64_e32 vcc, v[3:4], v[3:4]
	v_ashrrev_i32_e32 v1, 31, v4
	v_or_b32_e32 v5, 0x80000000, v1
	v_xor_b32_e32 v5, v5, v4
	v_xor_b32_e32 v1, v1, v3
	v_cndmask_b32_e32 v5, -1, v5, vcc
	v_cndmask_b32_e32 v1, -1, v1, vcc
	v_and_b32_e32 v6, v5, v21
	v_and_b32_e32 v5, v1, v20
	v_cmp_eq_u64_e32 vcc, v[5:6], v[18:19]
	s_and_b64 exec, exec, vcc
	s_cbranch_execz .LBB69_257
; %bb.262:                              ;   in Loop: Header=BB69_260 Depth=2
	v_mov_b32_e32 v1, v15
	ds_write_b128 v15, v[1:4] offset:3072
	s_branch .LBB69_257
.LBB69_263:                             ;   in Loop: Header=BB69_260 Depth=2
	s_mov_b64 s[20:21], -1
                                        ; implicit-def: $vgpr7
	s_mov_b64 s[8:9], -1
	s_branch .LBB69_259
.LBB69_264:                             ;   in Loop: Header=BB69_6 Depth=1
	s_or_b64 exec, exec, s[18:19]
	s_andn2_b64 s[8:9], s[34:35], exec
	s_and_b64 s[16:17], s[16:17], exec
	s_or_b64 s[34:35], s[8:9], s[16:17]
.LBB69_265:                             ;   in Loop: Header=BB69_6 Depth=1
	s_or_b64 exec, exec, s[2:3]
	s_mov_b64 s[20:21], 0
	s_mov_b64 s[18:19], -1
.LBB69_266:                             ;   in Loop: Header=BB69_6 Depth=1
	s_orn2_b64 s[2:3], s[34:35], exec
.LBB69_267:                             ;   in Loop: Header=BB69_6 Depth=1
	s_or_b64 exec, exec, s[24:25]
                                        ; implicit-def: $vgpr44
                                        ; implicit-def: $vgpr43
	s_and_saveexec_b64 s[78:79], s[2:3]
	s_cbranch_execz .LBB69_403
; %bb.268:                              ;   in Loop: Header=BB69_6 Depth=1
	s_xor_b64 s[8:9], s[6:7], -1
	s_mov_b64 s[6:7], 0
	v_mov_b32_e32 v44, 1
	v_mov_b32_e32 v43, 1
	s_and_saveexec_b64 s[2:3], s[8:9]
	s_cbranch_execz .LBB69_277
; %bb.269:                              ;   in Loop: Header=BB69_6 Depth=1
	v_cmp_ge_u32_e32 vcc, s49, v42
	s_and_saveexec_b64 s[6:7], vcc
	s_xor_b64 s[6:7], exec, s[6:7]
	s_cbranch_execz .LBB69_274
; %bb.270:                              ;   in Loop: Header=BB69_6 Depth=1
	ds_read_b32 v1, v15 offset:4096
	v_or_b32_e32 v19, s23, v19
	v_or_b32_e32 v18, s22, v18
	;; [unrolled: 1-line block ×4, first 2 shown]
	s_waitcnt lgkmcnt(0)
	v_cmp_ne_u32_e32 vcc, 0, v1
	s_cbranch_vccnz .LBB69_274
; %bb.271:                              ;   in Loop: Header=BB69_6 Depth=1
	s_mov_b64 s[8:9], exec
	v_readlane_b32 s16, v47, 5
	v_readlane_b32 s17, v47, 6
	s_and_b64 s[16:17], s[8:9], s[16:17]
	s_mov_b64 exec, s[16:17]
; %bb.272:                              ;   in Loop: Header=BB69_6 Depth=1
	v_mov_b32_e32 v1, s49
	ds_write_b32 v15, v1 offset:4100
; %bb.273:                              ;   in Loop: Header=BB69_6 Depth=1
	s_or_b64 exec, exec, s[8:9]
	s_waitcnt lgkmcnt(0)
	s_barrier
.LBB69_274:                             ;   in Loop: Header=BB69_6 Depth=1
	s_or_saveexec_b64 s[6:7], s[6:7]
	s_mov_b64 s[8:9], 0
	v_mov_b32_e32 v43, 5
	s_xor_b64 exec, exec, s[6:7]
; %bb.275:                              ;   in Loop: Header=BB69_6 Depth=1
	v_subrev_u32_e32 v42, s49, v42
	v_mov_b32_e32 v43, 0
	s_mov_b64 s[8:9], exec
; %bb.276:                              ;   in Loop: Header=BB69_6 Depth=1
	s_or_b64 exec, exec, s[6:7]
	s_and_b64 s[6:7], s[8:9], exec
	v_mov_b32_e32 v44, v42
.LBB69_277:                             ;   in Loop: Header=BB69_6 Depth=1
	s_or_b64 exec, exec, s[2:3]
	s_mov_b64 s[2:3], -1
                                        ; implicit-def: $sgpr80_sgpr81
                                        ; implicit-def: $sgpr82_sgpr83
	s_and_saveexec_b64 s[8:9], s[6:7]
	s_xor_b64 s[6:7], exec, s[8:9]
	s_cbranch_execz .LBB69_400
; %bb.278:                              ;   in Loop: Header=BB69_6 Depth=1
	s_cmp_eq_u32 s48, 1
	s_cselect_b64 s[2:3], -1, 0
	v_cmp_eq_u32_e32 vcc, 1, v44
	s_and_b64 s[34:35], s[2:3], vcc
	s_mov_b64 s[2:3], -1
                                        ; implicit-def: $sgpr82_sgpr83
                                        ; implicit-def: $sgpr80_sgpr81
	s_and_saveexec_b64 s[24:25], s[34:35]
	s_cbranch_execz .LBB69_306
; %bb.279:                              ;   in Loop: Header=BB69_6 Depth=1
	ds_read_b32 v1, v15 offset:4096
	s_waitcnt lgkmcnt(0)
	s_barrier
	v_readfirstlane_b32 s49, v1
	s_mov_b64 s[2:3], exec
	v_readlane_b32 s8, v47, 22
	v_readlane_b32 s9, v47, 23
	s_and_b64 s[8:9], s[2:3], s[8:9]
	s_mov_b64 exec, s[8:9]
; %bb.280:                              ;   in Loop: Header=BB69_6 Depth=1
	v_mov_b32_e32 v14, v15
	ds_write_b64 v32, v[14:15]
; %bb.281:                              ;   in Loop: Header=BB69_6 Depth=1
	s_or_b64 exec, exec, s[2:3]
	s_lshl_b64 s[2:3], 2, s11
	v_and_b32_e32 v1, s27, v19
	v_and_b32_e32 v3, s26, v18
	v_or_b32_e32 v19, s3, v1
	v_or_b32_e32 v18, s2, v3
	;; [unrolled: 1-line block ×4, first 2 shown]
	s_mov_b64 s[80:81], -1
	s_mov_b64 s[82:83], 0
	s_cmp_eq_u32 s49, 0
	s_mov_b64 s[36:37], 0
	s_mov_b64 s[2:3], -1
	s_waitcnt lgkmcnt(0)
	s_barrier
                                        ; implicit-def: $vgpr5_vgpr6
	s_cbranch_scc1 .LBB69_293
; %bb.282:                              ;   in Loop: Header=BB69_6 Depth=1
	s_add_i32 s2, s49, s4
	v_readlane_b32 s3, v47, 35
	s_mul_hi_u32 s3, s2, s3
	s_mul_i32 s3, s3, s44
	s_sub_i32 s3, s2, s3
	s_sub_i32 s8, s3, s44
	s_cmp_ge_u32 s3, s44
	s_cselect_b32 s3, s8, s3
	s_sub_i32 s8, s3, s44
	s_cmp_ge_u32 s3, s44
	s_cselect_b32 s3, s8, s3
	s_sub_i32 s50, s2, s3
	v_cmp_gt_u32_e32 vcc, s50, v0
	s_mov_b64 s[2:3], 0
                                        ; implicit-def: $vgpr5_vgpr6
	s_and_saveexec_b64 s[46:47], vcc
	s_cbranch_execz .LBB69_292
; %bb.283:                              ;   in Loop: Header=BB69_6 Depth=1
	s_mov_b64 s[16:17], 0
	v_mov_b32_e32 v7, v31
	v_mov_b32_e32 v8, v0
                                        ; implicit-def: $sgpr36_sgpr37
	s_branch .LBB69_287
.LBB69_284:                             ;   in Loop: Header=BB69_287 Depth=2
	s_or_b64 exec, exec, s[8:9]
	s_waitcnt lgkmcnt(0)
	s_barrier
	ds_read_b128 v[3:6], v15 offset:3072
	s_waitcnt lgkmcnt(0)
	s_barrier
	v_cmp_neq_f64_e32 vcc, 0, v[3:4]
	s_cbranch_vccnz .LBB69_290
; %bb.285:                              ;   in Loop: Header=BB69_287 Depth=2
	v_add_u32_e32 v8, s44, v8
	v_cmp_le_u32_e32 vcc, s50, v8
	v_add_u32_e32 v7, s10, v7
	s_mov_b64 s[8:9], 0
	s_orn2_b64 s[42:43], vcc, exec
.LBB69_286:                             ;   in Loop: Header=BB69_287 Depth=2
	s_and_b64 s[42:43], exec, s[42:43]
	s_or_b64 s[16:17], s[42:43], s[16:17]
	s_andn2_b64 s[36:37], s[36:37], exec
	s_and_b64 s[8:9], s[8:9], exec
	s_or_b64 s[36:37], s[36:37], s[8:9]
	s_andn2_b64 exec, exec, s[16:17]
	s_cbranch_execz .LBB69_291
.LBB69_287:                             ;   Parent Loop BB69_6 Depth=1
                                        ; =>  This Inner Loop Header: Depth=2
	v_cmp_gt_u32_e32 vcc, s49, v8
	s_and_saveexec_b64 s[8:9], vcc
	s_cbranch_execz .LBB69_284
; %bb.288:                              ;   in Loop: Header=BB69_287 Depth=2
	ds_read_b64 v[3:4], v7
	s_waitcnt lgkmcnt(0)
	v_cmp_o_f64_e32 vcc, v[3:4], v[3:4]
	v_ashrrev_i32_e32 v1, 31, v4
	v_or_b32_e32 v5, 0x80000000, v1
	v_xor_b32_e32 v5, v5, v4
	v_xor_b32_e32 v1, v1, v3
	v_cndmask_b32_e32 v5, -1, v5, vcc
	v_cndmask_b32_e32 v1, -1, v1, vcc
	v_and_b32_e32 v6, v5, v21
	v_and_b32_e32 v5, v1, v20
	v_cmp_eq_u64_e32 vcc, v[5:6], v[18:19]
	s_and_b64 exec, exec, vcc
	s_cbranch_execz .LBB69_284
; %bb.289:                              ;   in Loop: Header=BB69_287 Depth=2
	v_mov_b32_e32 v1, v15
	ds_write_b128 v15, v[1:4] offset:3072
	s_branch .LBB69_284
.LBB69_290:                             ;   in Loop: Header=BB69_287 Depth=2
	s_mov_b64 s[42:43], -1
                                        ; implicit-def: $vgpr8
                                        ; implicit-def: $vgpr7
	s_mov_b64 s[8:9], -1
	s_branch .LBB69_286
.LBB69_291:                             ;   in Loop: Header=BB69_6 Depth=1
	s_or_b64 exec, exec, s[16:17]
	s_and_b64 s[36:37], s[36:37], exec
.LBB69_292:                             ;   in Loop: Header=BB69_6 Depth=1
	s_or_b64 exec, exec, s[46:47]
.LBB69_293:                             ;   in Loop: Header=BB69_6 Depth=1
	s_and_b64 vcc, exec, s[2:3]
	s_cbranch_vccz .LBB69_305
; %bb.294:                              ;   in Loop: Header=BB69_6 Depth=1
                                        ; implicit-def: $vgpr5_vgpr6
	s_mov_b64 s[2:3], exec
	v_readlane_b32 s8, v47, 36
	v_readlane_b32 s9, v47, 37
	s_and_b64 s[8:9], s[2:3], s[8:9]
	s_mov_b64 exec, s[8:9]
	s_cbranch_execz .LBB69_304
; %bb.295:                              ;   in Loop: Header=BB69_6 Depth=1
	s_mov_b64 s[16:17], 0
	v_mov_b32_e32 v14, v13
	v_mov_b32_e32 v7, v0
                                        ; implicit-def: $sgpr46_sgpr47
	s_branch .LBB69_299
.LBB69_296:                             ;   in Loop: Header=BB69_299 Depth=2
	s_or_b64 exec, exec, s[8:9]
	s_waitcnt lgkmcnt(0)
	s_barrier
	ds_read_b128 v[3:6], v15 offset:3072
	s_waitcnt lgkmcnt(0)
	s_barrier
	v_cmp_eq_f64_e32 vcc, 0, v[3:4]
	s_cbranch_vccz .LBB69_302
; %bb.297:                              ;   in Loop: Header=BB69_299 Depth=2
	v_add_u32_e32 v7, s44, v7
	v_cmp_le_u32_e32 vcc, s14, v7
	v_add_u32_e32 v14, s45, v14
	s_mov_b64 s[8:9], 0
	s_orn2_b64 s[42:43], vcc, exec
.LBB69_298:                             ;   in Loop: Header=BB69_299 Depth=2
	s_and_b64 s[42:43], exec, s[42:43]
	s_or_b64 s[16:17], s[42:43], s[16:17]
	s_andn2_b64 s[42:43], s[46:47], exec
	s_and_b64 s[8:9], s[8:9], exec
	s_or_b64 s[46:47], s[42:43], s[8:9]
	s_andn2_b64 exec, exec, s[16:17]
	s_cbranch_execz .LBB69_303
.LBB69_299:                             ;   Parent Loop BB69_6 Depth=1
                                        ; =>  This Inner Loop Header: Depth=2
	v_cmp_gt_u32_e32 vcc, s28, v7
	s_and_saveexec_b64 s[8:9], vcc
	s_cbranch_execz .LBB69_296
; %bb.300:                              ;   in Loop: Header=BB69_299 Depth=2
	v_lshlrev_b64 v[3:4], 3, v[14:15]
	v_mov_b32_e32 v1, s38
	v_add_co_u32_e32 v3, vcc, s33, v3
	v_addc_co_u32_e32 v4, vcc, v1, v4, vcc
	global_load_dwordx2 v[3:4], v[3:4], off
	s_waitcnt vmcnt(0)
	v_cmp_o_f64_e32 vcc, v[3:4], v[3:4]
	v_ashrrev_i32_e32 v1, 31, v4
	v_or_b32_e32 v5, 0x80000000, v1
	v_xor_b32_e32 v5, v5, v4
	v_xor_b32_e32 v1, v1, v3
	v_cndmask_b32_e32 v5, -1, v5, vcc
	v_cndmask_b32_e32 v1, -1, v1, vcc
	v_and_b32_e32 v6, v5, v21
	v_and_b32_e32 v5, v1, v20
	v_cmp_eq_u64_e32 vcc, v[5:6], v[18:19]
	s_and_b64 exec, exec, vcc
	s_cbranch_execz .LBB69_296
; %bb.301:                              ;   in Loop: Header=BB69_299 Depth=2
	v_mov_b32_e32 v1, v15
	ds_write_b128 v15, v[1:4] offset:3072
	s_branch .LBB69_296
.LBB69_302:                             ;   in Loop: Header=BB69_299 Depth=2
	s_mov_b64 s[42:43], -1
                                        ; implicit-def: $vgpr7
	s_mov_b64 s[8:9], -1
	s_branch .LBB69_298
.LBB69_303:                             ;   in Loop: Header=BB69_6 Depth=1
	s_or_b64 exec, exec, s[16:17]
	s_andn2_b64 s[8:9], s[36:37], exec
	s_and_b64 s[16:17], s[46:47], exec
	s_or_b64 s[36:37], s[8:9], s[16:17]
.LBB69_304:                             ;   in Loop: Header=BB69_6 Depth=1
	s_or_b64 exec, exec, s[2:3]
	s_mov_b64 s[80:81], 0
	s_mov_b64 s[82:83], -1
.LBB69_305:                             ;   in Loop: Header=BB69_6 Depth=1
	s_orn2_b64 s[2:3], s[36:37], exec
.LBB69_306:                             ;   in Loop: Header=BB69_6 Depth=1
	s_or_b64 exec, exec, s[24:25]
	s_mov_b64 s[8:9], 0
	s_and_saveexec_b64 s[84:85], s[2:3]
	s_cbranch_execz .LBB69_399
; %bb.307:                              ;   in Loop: Header=BB69_6 Depth=1
	s_xor_b64 s[2:3], s[34:35], -1
	v_mov_b32_e32 v7, 1
	v_mov_b32_e32 v43, 1
	s_and_saveexec_b64 s[24:25], s[2:3]
	s_cbranch_execz .LBB69_316
; %bb.308:                              ;   in Loop: Header=BB69_6 Depth=1
	v_cmp_ge_u32_e32 vcc, s48, v44
	s_and_saveexec_b64 s[2:3], vcc
	s_xor_b64 s[2:3], exec, s[2:3]
	s_cbranch_execz .LBB69_313
; %bb.309:                              ;   in Loop: Header=BB69_6 Depth=1
	s_lshl_b64 s[8:9], 2, s11
	v_and_b32_e32 v1, s27, v19
	v_or_b32_e32 v19, s9, v1
	ds_read_b32 v1, v15 offset:4096
	v_and_b32_e32 v3, s26, v18
	v_or_b32_e32 v18, s8, v3
	v_or_b32_e32 v21, s23, v21
	;; [unrolled: 1-line block ×3, first 2 shown]
	s_waitcnt lgkmcnt(0)
	v_cmp_ne_u32_e32 vcc, 0, v1
	s_cbranch_vccnz .LBB69_313
; %bb.310:                              ;   in Loop: Header=BB69_6 Depth=1
	s_mov_b64 s[8:9], exec
	v_readlane_b32 s16, v47, 5
	v_readlane_b32 s17, v47, 6
	s_and_b64 s[16:17], s[8:9], s[16:17]
	s_mov_b64 exec, s[16:17]
; %bb.311:                              ;   in Loop: Header=BB69_6 Depth=1
	v_mov_b32_e32 v1, s48
	ds_write_b32 v15, v1 offset:4100
; %bb.312:                              ;   in Loop: Header=BB69_6 Depth=1
	s_or_b64 exec, exec, s[8:9]
	s_waitcnt lgkmcnt(0)
	s_barrier
.LBB69_313:                             ;   in Loop: Header=BB69_6 Depth=1
	s_or_saveexec_b64 s[2:3], s[2:3]
	s_mov_b64 s[8:9], 0
	v_mov_b32_e32 v43, 5
	s_xor_b64 exec, exec, s[2:3]
; %bb.314:                              ;   in Loop: Header=BB69_6 Depth=1
	v_subrev_u32_e32 v44, s48, v44
	v_mov_b32_e32 v43, 0
	s_mov_b64 s[8:9], exec
; %bb.315:                              ;   in Loop: Header=BB69_6 Depth=1
	s_or_b64 exec, exec, s[2:3]
	s_and_b64 s[8:9], s[8:9], exec
	v_mov_b32_e32 v7, v44
.LBB69_316:                             ;   in Loop: Header=BB69_6 Depth=1
	s_or_b64 exec, exec, s[24:25]
	s_mov_b64 s[2:3], -1
                                        ; implicit-def: $sgpr88_sgpr89
                                        ; implicit-def: $sgpr90_sgpr91
	s_and_saveexec_b64 s[86:87], s[8:9]
	s_cbranch_execz .LBB69_398
; %bb.317:                              ;   in Loop: Header=BB69_6 Depth=1
	s_cmp_eq_u32 s31, 1
	s_cselect_b64 s[2:3], -1, 0
	v_cmp_eq_u32_e32 vcc, 1, v7
	s_and_b64 s[34:35], s[2:3], vcc
	s_mov_b64 s[2:3], -1
                                        ; implicit-def: $sgpr90_sgpr91
                                        ; implicit-def: $sgpr88_sgpr89
	s_and_saveexec_b64 s[24:25], s[34:35]
	s_cbranch_execz .LBB69_345
; %bb.318:                              ;   in Loop: Header=BB69_6 Depth=1
	ds_read_b32 v1, v15 offset:4096
	s_waitcnt lgkmcnt(0)
	s_barrier
	v_readfirstlane_b32 s48, v1
	s_mov_b64 s[2:3], exec
	v_readlane_b32 s8, v47, 22
	v_readlane_b32 s9, v47, 23
	s_and_b64 s[8:9], s[2:3], s[8:9]
	s_mov_b64 exec, s[8:9]
; %bb.319:                              ;   in Loop: Header=BB69_6 Depth=1
	v_mov_b32_e32 v14, v15
	ds_write_b64 v32, v[14:15]
; %bb.320:                              ;   in Loop: Header=BB69_6 Depth=1
	s_or_b64 exec, exec, s[2:3]
	s_lshl_b64 s[2:3], 1, s11
	v_and_b32_e32 v1, s27, v19
	v_and_b32_e32 v3, s26, v18
	v_or_b32_e32 v19, s3, v1
	v_or_b32_e32 v18, s2, v3
	;; [unrolled: 1-line block ×4, first 2 shown]
	s_mov_b64 s[88:89], -1
	s_mov_b64 s[90:91], 0
	s_cmp_eq_u32 s48, 0
	s_mov_b64 s[36:37], 0
	s_mov_b64 s[2:3], -1
	s_waitcnt lgkmcnt(0)
	s_barrier
                                        ; implicit-def: $vgpr5_vgpr6
	s_cbranch_scc1 .LBB69_332
; %bb.321:                              ;   in Loop: Header=BB69_6 Depth=1
	s_add_i32 s2, s48, s4
	v_readlane_b32 s3, v47, 35
	s_mul_hi_u32 s3, s2, s3
	s_mul_i32 s3, s3, s44
	s_sub_i32 s3, s2, s3
	s_sub_i32 s8, s3, s44
	s_cmp_ge_u32 s3, s44
	s_cselect_b32 s3, s8, s3
	s_sub_i32 s8, s3, s44
	s_cmp_ge_u32 s3, s44
	s_cselect_b32 s3, s8, s3
	s_sub_i32 s49, s2, s3
	v_cmp_gt_u32_e32 vcc, s49, v0
	s_mov_b64 s[2:3], 0
                                        ; implicit-def: $vgpr5_vgpr6
	s_and_saveexec_b64 s[46:47], vcc
	s_cbranch_execz .LBB69_331
; %bb.322:                              ;   in Loop: Header=BB69_6 Depth=1
	s_mov_b64 s[16:17], 0
	v_mov_b32_e32 v8, v31
	v_mov_b32_e32 v9, v0
                                        ; implicit-def: $sgpr36_sgpr37
	s_branch .LBB69_326
.LBB69_323:                             ;   in Loop: Header=BB69_326 Depth=2
	s_or_b64 exec, exec, s[8:9]
	s_waitcnt lgkmcnt(0)
	s_barrier
	ds_read_b128 v[3:6], v15 offset:3072
	s_waitcnt lgkmcnt(0)
	s_barrier
	v_cmp_neq_f64_e32 vcc, 0, v[3:4]
	s_cbranch_vccnz .LBB69_329
; %bb.324:                              ;   in Loop: Header=BB69_326 Depth=2
	v_add_u32_e32 v9, s44, v9
	v_cmp_le_u32_e32 vcc, s49, v9
	v_add_u32_e32 v8, s10, v8
	s_mov_b64 s[8:9], 0
	s_orn2_b64 s[42:43], vcc, exec
.LBB69_325:                             ;   in Loop: Header=BB69_326 Depth=2
	s_and_b64 s[42:43], exec, s[42:43]
	s_or_b64 s[16:17], s[42:43], s[16:17]
	s_andn2_b64 s[36:37], s[36:37], exec
	s_and_b64 s[8:9], s[8:9], exec
	s_or_b64 s[36:37], s[36:37], s[8:9]
	s_andn2_b64 exec, exec, s[16:17]
	s_cbranch_execz .LBB69_330
.LBB69_326:                             ;   Parent Loop BB69_6 Depth=1
                                        ; =>  This Inner Loop Header: Depth=2
	v_cmp_gt_u32_e32 vcc, s48, v9
	s_and_saveexec_b64 s[8:9], vcc
	s_cbranch_execz .LBB69_323
; %bb.327:                              ;   in Loop: Header=BB69_326 Depth=2
	ds_read_b64 v[3:4], v8
	s_waitcnt lgkmcnt(0)
	v_cmp_o_f64_e32 vcc, v[3:4], v[3:4]
	v_ashrrev_i32_e32 v1, 31, v4
	v_or_b32_e32 v5, 0x80000000, v1
	v_xor_b32_e32 v5, v5, v4
	v_xor_b32_e32 v1, v1, v3
	v_cndmask_b32_e32 v5, -1, v5, vcc
	v_cndmask_b32_e32 v1, -1, v1, vcc
	v_and_b32_e32 v6, v5, v21
	v_and_b32_e32 v5, v1, v20
	v_cmp_eq_u64_e32 vcc, v[5:6], v[18:19]
	s_and_b64 exec, exec, vcc
	s_cbranch_execz .LBB69_323
; %bb.328:                              ;   in Loop: Header=BB69_326 Depth=2
	v_mov_b32_e32 v1, v15
	ds_write_b128 v15, v[1:4] offset:3072
	s_branch .LBB69_323
.LBB69_329:                             ;   in Loop: Header=BB69_326 Depth=2
	s_mov_b64 s[42:43], -1
                                        ; implicit-def: $vgpr9
                                        ; implicit-def: $vgpr8
	s_mov_b64 s[8:9], -1
	s_branch .LBB69_325
.LBB69_330:                             ;   in Loop: Header=BB69_6 Depth=1
	s_or_b64 exec, exec, s[16:17]
	s_and_b64 s[36:37], s[36:37], exec
.LBB69_331:                             ;   in Loop: Header=BB69_6 Depth=1
	s_or_b64 exec, exec, s[46:47]
.LBB69_332:                             ;   in Loop: Header=BB69_6 Depth=1
	s_and_b64 vcc, exec, s[2:3]
	s_cbranch_vccz .LBB69_344
; %bb.333:                              ;   in Loop: Header=BB69_6 Depth=1
                                        ; implicit-def: $vgpr5_vgpr6
	s_mov_b64 s[2:3], exec
	v_readlane_b32 s8, v47, 36
	v_readlane_b32 s9, v47, 37
	s_and_b64 s[8:9], s[2:3], s[8:9]
	s_mov_b64 exec, s[8:9]
	s_cbranch_execz .LBB69_343
; %bb.334:                              ;   in Loop: Header=BB69_6 Depth=1
	s_mov_b64 s[16:17], 0
	v_mov_b32_e32 v14, v13
	v_mov_b32_e32 v8, v0
                                        ; implicit-def: $sgpr46_sgpr47
	s_branch .LBB69_338
.LBB69_335:                             ;   in Loop: Header=BB69_338 Depth=2
	s_or_b64 exec, exec, s[8:9]
	s_waitcnt lgkmcnt(0)
	s_barrier
	ds_read_b128 v[3:6], v15 offset:3072
	s_waitcnt lgkmcnt(0)
	s_barrier
	v_cmp_eq_f64_e32 vcc, 0, v[3:4]
	s_cbranch_vccz .LBB69_341
; %bb.336:                              ;   in Loop: Header=BB69_338 Depth=2
	v_add_u32_e32 v8, s44, v8
	v_cmp_le_u32_e32 vcc, s14, v8
	v_add_u32_e32 v14, s45, v14
	s_mov_b64 s[8:9], 0
	s_orn2_b64 s[42:43], vcc, exec
.LBB69_337:                             ;   in Loop: Header=BB69_338 Depth=2
	s_and_b64 s[42:43], exec, s[42:43]
	s_or_b64 s[16:17], s[42:43], s[16:17]
	s_andn2_b64 s[42:43], s[46:47], exec
	s_and_b64 s[8:9], s[8:9], exec
	s_or_b64 s[46:47], s[42:43], s[8:9]
	s_andn2_b64 exec, exec, s[16:17]
	s_cbranch_execz .LBB69_342
.LBB69_338:                             ;   Parent Loop BB69_6 Depth=1
                                        ; =>  This Inner Loop Header: Depth=2
	v_cmp_gt_u32_e32 vcc, s28, v8
	s_and_saveexec_b64 s[8:9], vcc
	s_cbranch_execz .LBB69_335
; %bb.339:                              ;   in Loop: Header=BB69_338 Depth=2
	v_lshlrev_b64 v[3:4], 3, v[14:15]
	v_mov_b32_e32 v1, s38
	v_add_co_u32_e32 v3, vcc, s33, v3
	v_addc_co_u32_e32 v4, vcc, v1, v4, vcc
	global_load_dwordx2 v[3:4], v[3:4], off
	s_waitcnt vmcnt(0)
	v_cmp_o_f64_e32 vcc, v[3:4], v[3:4]
	v_ashrrev_i32_e32 v1, 31, v4
	v_or_b32_e32 v5, 0x80000000, v1
	v_xor_b32_e32 v5, v5, v4
	v_xor_b32_e32 v1, v1, v3
	v_cndmask_b32_e32 v5, -1, v5, vcc
	v_cndmask_b32_e32 v1, -1, v1, vcc
	v_and_b32_e32 v6, v5, v21
	v_and_b32_e32 v5, v1, v20
	v_cmp_eq_u64_e32 vcc, v[5:6], v[18:19]
	s_and_b64 exec, exec, vcc
	s_cbranch_execz .LBB69_335
; %bb.340:                              ;   in Loop: Header=BB69_338 Depth=2
	v_mov_b32_e32 v1, v15
	ds_write_b128 v15, v[1:4] offset:3072
	s_branch .LBB69_335
.LBB69_341:                             ;   in Loop: Header=BB69_338 Depth=2
	s_mov_b64 s[42:43], -1
                                        ; implicit-def: $vgpr8
	s_mov_b64 s[8:9], -1
	s_branch .LBB69_337
.LBB69_342:                             ;   in Loop: Header=BB69_6 Depth=1
	s_or_b64 exec, exec, s[16:17]
	s_andn2_b64 s[8:9], s[36:37], exec
	s_and_b64 s[16:17], s[46:47], exec
	s_or_b64 s[36:37], s[8:9], s[16:17]
.LBB69_343:                             ;   in Loop: Header=BB69_6 Depth=1
	s_or_b64 exec, exec, s[2:3]
	s_mov_b64 s[88:89], 0
	s_mov_b64 s[90:91], -1
.LBB69_344:                             ;   in Loop: Header=BB69_6 Depth=1
	s_orn2_b64 s[2:3], s[36:37], exec
.LBB69_345:                             ;   in Loop: Header=BB69_6 Depth=1
	s_or_b64 exec, exec, s[24:25]
	s_mov_b64 s[8:9], 0
	s_and_saveexec_b64 s[92:93], s[2:3]
	s_cbranch_execz .LBB69_397
; %bb.346:                              ;   in Loop: Header=BB69_6 Depth=1
	s_xor_b64 s[2:3], s[34:35], -1
	v_mov_b32_e32 v8, 1
	v_mov_b32_e32 v43, 1
	s_and_saveexec_b64 s[24:25], s[2:3]
	s_cbranch_execz .LBB69_355
; %bb.347:                              ;   in Loop: Header=BB69_6 Depth=1
	v_cmp_ge_u32_e32 vcc, s31, v7
	s_and_saveexec_b64 s[2:3], vcc
	s_xor_b64 s[2:3], exec, s[2:3]
	s_cbranch_execz .LBB69_352
; %bb.348:                              ;   in Loop: Header=BB69_6 Depth=1
	s_lshl_b64 s[8:9], 1, s11
	v_and_b32_e32 v1, s27, v19
	v_or_b32_e32 v19, s9, v1
	ds_read_b32 v1, v15 offset:4096
	v_and_b32_e32 v3, s26, v18
	v_or_b32_e32 v18, s8, v3
	v_or_b32_e32 v21, s23, v21
	;; [unrolled: 1-line block ×3, first 2 shown]
	s_waitcnt lgkmcnt(0)
	v_cmp_ne_u32_e32 vcc, 0, v1
	s_cbranch_vccnz .LBB69_352
; %bb.349:                              ;   in Loop: Header=BB69_6 Depth=1
	s_mov_b64 s[8:9], exec
	v_readlane_b32 s16, v47, 5
	v_readlane_b32 s17, v47, 6
	s_and_b64 s[16:17], s[8:9], s[16:17]
	s_mov_b64 exec, s[16:17]
; %bb.350:                              ;   in Loop: Header=BB69_6 Depth=1
	v_mov_b32_e32 v1, s31
	ds_write_b32 v15, v1 offset:4100
; %bb.351:                              ;   in Loop: Header=BB69_6 Depth=1
	s_or_b64 exec, exec, s[8:9]
	s_waitcnt lgkmcnt(0)
	s_barrier
.LBB69_352:                             ;   in Loop: Header=BB69_6 Depth=1
	s_or_saveexec_b64 s[2:3], s[2:3]
	s_mov_b64 s[8:9], 0
	v_mov_b32_e32 v43, 5
	s_xor_b64 exec, exec, s[2:3]
; %bb.353:                              ;   in Loop: Header=BB69_6 Depth=1
	v_subrev_u32_e32 v7, s31, v7
	v_mov_b32_e32 v43, 0
	s_mov_b64 s[8:9], exec
; %bb.354:                              ;   in Loop: Header=BB69_6 Depth=1
	s_or_b64 exec, exec, s[2:3]
	s_and_b64 s[8:9], s[8:9], exec
	v_mov_b32_e32 v8, v7
.LBB69_355:                             ;   in Loop: Header=BB69_6 Depth=1
	s_or_b64 exec, exec, s[24:25]
	s_mov_b64 s[2:3], -1
                                        ; implicit-def: $sgpr24_sgpr25
                                        ; implicit-def: $sgpr36_sgpr37
	s_and_saveexec_b64 s[94:95], s[8:9]
	s_cbranch_execz .LBB69_396
; %bb.356:                              ;   in Loop: Header=BB69_6 Depth=1
	s_cmp_eq_u32 s30, 1
	s_cselect_b64 s[2:3], -1, 0
	v_cmp_eq_u32_e32 vcc, 1, v8
	s_and_b64 s[42:43], s[2:3], vcc
	s_mov_b64 s[8:9], -1
                                        ; implicit-def: $sgpr24_sgpr25
                                        ; implicit-def: $sgpr36_sgpr37
	s_and_saveexec_b64 s[46:47], s[42:43]
	s_cbranch_execz .LBB69_384
; %bb.357:                              ;   in Loop: Header=BB69_6 Depth=1
	ds_read_b32 v1, v15 offset:4096
	s_waitcnt lgkmcnt(0)
	s_barrier
	v_readfirstlane_b32 s31, v1
	s_mov_b64 s[2:3], exec
	v_readlane_b32 s8, v47, 22
	v_readlane_b32 s9, v47, 23
	s_and_b64 s[8:9], s[2:3], s[8:9]
	s_mov_b64 exec, s[8:9]
; %bb.358:                              ;   in Loop: Header=BB69_6 Depth=1
	v_mov_b32_e32 v14, v15
	ds_write_b64 v32, v[14:15]
; %bb.359:                              ;   in Loop: Header=BB69_6 Depth=1
	s_or_b64 exec, exec, s[2:3]
	v_and_b32_e32 v19, s27, v19
	v_and_b32_e32 v18, s26, v18
	v_or_b32_e32 v21, s23, v21
	v_or_b32_e32 v20, s22, v20
	s_mov_b64 s[36:37], -1
	s_mov_b64 s[24:25], 0
	s_cmp_eq_u32 s31, 0
	s_mov_b64 s[48:49], 0
	s_mov_b64 s[2:3], -1
	s_waitcnt lgkmcnt(0)
	s_barrier
                                        ; implicit-def: $vgpr5_vgpr6
	s_cbranch_scc1 .LBB69_371
; %bb.360:                              ;   in Loop: Header=BB69_6 Depth=1
	s_add_i32 s2, s31, s4
	v_readlane_b32 s3, v47, 35
	s_mul_hi_u32 s3, s2, s3
	s_mul_i32 s3, s3, s44
	s_sub_i32 s3, s2, s3
	s_sub_i32 s8, s3, s44
	s_cmp_ge_u32 s3, s44
	s_cselect_b32 s3, s8, s3
	s_sub_i32 s8, s3, s44
	s_cmp_ge_u32 s3, s44
	s_cselect_b32 s3, s8, s3
	s_sub_i32 s34, s2, s3
	v_cmp_gt_u32_e32 vcc, s34, v0
	s_mov_b64 s[2:3], 0
                                        ; implicit-def: $vgpr5_vgpr6
	s_and_saveexec_b64 s[50:51], vcc
	s_cbranch_execz .LBB69_370
; %bb.361:                              ;   in Loop: Header=BB69_6 Depth=1
	v_writelane_b32 v47, s42, 38
	s_mov_b64 s[16:17], 0
	v_mov_b32_e32 v7, v31
	v_mov_b32_e32 v9, v0
	v_writelane_b32 v47, s43, 39
                                        ; implicit-def: $sgpr48_sgpr49
	s_branch .LBB69_365
.LBB69_362:                             ;   in Loop: Header=BB69_365 Depth=2
	s_or_b64 exec, exec, s[8:9]
	s_waitcnt lgkmcnt(0)
	s_barrier
	ds_read_b128 v[3:6], v15 offset:3072
	s_waitcnt lgkmcnt(0)
	s_barrier
	v_cmp_neq_f64_e32 vcc, 0, v[3:4]
	s_cbranch_vccnz .LBB69_368
; %bb.363:                              ;   in Loop: Header=BB69_365 Depth=2
	v_add_u32_e32 v9, s44, v9
	v_cmp_le_u32_e32 vcc, s34, v9
	v_add_u32_e32 v7, s10, v7
	s_mov_b64 s[8:9], 0
	s_orn2_b64 s[42:43], vcc, exec
.LBB69_364:                             ;   in Loop: Header=BB69_365 Depth=2
	s_and_b64 s[42:43], exec, s[42:43]
	s_or_b64 s[16:17], s[42:43], s[16:17]
	s_andn2_b64 s[42:43], s[48:49], exec
	s_and_b64 s[8:9], s[8:9], exec
	s_or_b64 s[48:49], s[42:43], s[8:9]
	s_andn2_b64 exec, exec, s[16:17]
	s_cbranch_execz .LBB69_369
.LBB69_365:                             ;   Parent Loop BB69_6 Depth=1
                                        ; =>  This Inner Loop Header: Depth=2
	v_cmp_gt_u32_e32 vcc, s31, v9
	s_and_saveexec_b64 s[8:9], vcc
	s_cbranch_execz .LBB69_362
; %bb.366:                              ;   in Loop: Header=BB69_365 Depth=2
	ds_read_b64 v[3:4], v7
	s_waitcnt lgkmcnt(0)
	v_cmp_o_f64_e32 vcc, v[3:4], v[3:4]
	v_ashrrev_i32_e32 v1, 31, v4
	v_or_b32_e32 v5, 0x80000000, v1
	v_xor_b32_e32 v5, v5, v4
	v_xor_b32_e32 v1, v1, v3
	v_cndmask_b32_e32 v5, -1, v5, vcc
	v_cndmask_b32_e32 v1, -1, v1, vcc
	v_and_b32_e32 v6, v5, v21
	v_and_b32_e32 v5, v1, v20
	v_cmp_eq_u64_e32 vcc, v[5:6], v[18:19]
	s_and_b64 exec, exec, vcc
	s_cbranch_execz .LBB69_362
; %bb.367:                              ;   in Loop: Header=BB69_365 Depth=2
	v_mov_b32_e32 v1, v15
	ds_write_b128 v15, v[1:4] offset:3072
	s_branch .LBB69_362
.LBB69_368:                             ;   in Loop: Header=BB69_365 Depth=2
	s_mov_b64 s[42:43], -1
                                        ; implicit-def: $vgpr9
                                        ; implicit-def: $vgpr7
	s_mov_b64 s[8:9], -1
	s_branch .LBB69_364
.LBB69_369:                             ;   in Loop: Header=BB69_6 Depth=1
	s_or_b64 exec, exec, s[16:17]
	v_readlane_b32 s42, v47, 38
	s_and_b64 s[48:49], s[48:49], exec
	v_readlane_b32 s43, v47, 39
.LBB69_370:                             ;   in Loop: Header=BB69_6 Depth=1
	s_or_b64 exec, exec, s[50:51]
.LBB69_371:                             ;   in Loop: Header=BB69_6 Depth=1
	s_and_b64 vcc, exec, s[2:3]
	s_cbranch_vccz .LBB69_383
; %bb.372:                              ;   in Loop: Header=BB69_6 Depth=1
                                        ; implicit-def: $vgpr5_vgpr6
	s_mov_b64 s[2:3], exec
	v_readlane_b32 s8, v47, 36
	v_readlane_b32 s9, v47, 37
	s_and_b64 s[8:9], s[2:3], s[8:9]
	s_mov_b64 exec, s[8:9]
	s_cbranch_execz .LBB69_382
; %bb.373:                              ;   in Loop: Header=BB69_6 Depth=1
	s_mov_b64 s[16:17], 0
	v_mov_b32_e32 v14, v13
	v_mov_b32_e32 v7, v0
                                        ; implicit-def: $sgpr24_sgpr25
	s_branch .LBB69_377
.LBB69_374:                             ;   in Loop: Header=BB69_377 Depth=2
	s_or_b64 exec, exec, s[8:9]
	s_waitcnt lgkmcnt(0)
	s_barrier
	ds_read_b128 v[3:6], v15 offset:3072
	s_waitcnt lgkmcnt(0)
	s_barrier
	v_cmp_eq_f64_e32 vcc, 0, v[3:4]
	s_cbranch_vccz .LBB69_380
; %bb.375:                              ;   in Loop: Header=BB69_377 Depth=2
	v_add_u32_e32 v7, s44, v7
	v_cmp_le_u32_e32 vcc, s14, v7
	v_add_u32_e32 v14, s45, v14
	s_mov_b64 s[8:9], 0
	s_orn2_b64 s[36:37], vcc, exec
.LBB69_376:                             ;   in Loop: Header=BB69_377 Depth=2
	s_and_b64 s[34:35], exec, s[36:37]
	s_or_b64 s[16:17], s[34:35], s[16:17]
	s_andn2_b64 s[24:25], s[24:25], exec
	s_and_b64 s[8:9], s[8:9], exec
	s_or_b64 s[24:25], s[24:25], s[8:9]
	s_andn2_b64 exec, exec, s[16:17]
	s_cbranch_execz .LBB69_381
.LBB69_377:                             ;   Parent Loop BB69_6 Depth=1
                                        ; =>  This Inner Loop Header: Depth=2
	v_cmp_gt_u32_e32 vcc, s28, v7
	s_and_saveexec_b64 s[8:9], vcc
	s_cbranch_execz .LBB69_374
; %bb.378:                              ;   in Loop: Header=BB69_377 Depth=2
	v_lshlrev_b64 v[3:4], 3, v[14:15]
	v_mov_b32_e32 v1, s38
	v_add_co_u32_e32 v3, vcc, s33, v3
	v_addc_co_u32_e32 v4, vcc, v1, v4, vcc
	global_load_dwordx2 v[3:4], v[3:4], off
	s_waitcnt vmcnt(0)
	v_cmp_o_f64_e32 vcc, v[3:4], v[3:4]
	v_ashrrev_i32_e32 v1, 31, v4
	v_or_b32_e32 v5, 0x80000000, v1
	v_xor_b32_e32 v5, v5, v4
	v_xor_b32_e32 v1, v1, v3
	v_cndmask_b32_e32 v5, -1, v5, vcc
	v_cndmask_b32_e32 v1, -1, v1, vcc
	v_and_b32_e32 v6, v5, v21
	v_and_b32_e32 v5, v1, v20
	v_cmp_eq_u64_e32 vcc, v[5:6], v[18:19]
	s_and_b64 exec, exec, vcc
	s_cbranch_execz .LBB69_374
; %bb.379:                              ;   in Loop: Header=BB69_377 Depth=2
	v_mov_b32_e32 v1, v15
	ds_write_b128 v15, v[1:4] offset:3072
	s_branch .LBB69_374
.LBB69_380:                             ;   in Loop: Header=BB69_377 Depth=2
	s_mov_b64 s[36:37], -1
                                        ; implicit-def: $vgpr7
	s_mov_b64 s[8:9], -1
	s_branch .LBB69_376
.LBB69_381:                             ;   in Loop: Header=BB69_6 Depth=1
	s_or_b64 exec, exec, s[16:17]
	s_andn2_b64 s[8:9], s[48:49], exec
	s_and_b64 s[16:17], s[24:25], exec
	s_or_b64 s[48:49], s[8:9], s[16:17]
.LBB69_382:                             ;   in Loop: Header=BB69_6 Depth=1
	s_or_b64 exec, exec, s[2:3]
	s_mov_b64 s[36:37], 0
	s_mov_b64 s[24:25], -1
.LBB69_383:                             ;   in Loop: Header=BB69_6 Depth=1
	s_orn2_b64 s[8:9], s[48:49], exec
.LBB69_384:                             ;   in Loop: Header=BB69_6 Depth=1
	s_or_b64 exec, exec, s[46:47]
	s_mov_b64 s[16:17], 0
	s_and_saveexec_b64 s[2:3], s[8:9]
	s_cbranch_execz .LBB69_395
; %bb.385:                              ;   in Loop: Header=BB69_6 Depth=1
	s_xor_b64 s[16:17], s[42:43], -1
	v_mov_b32_e32 v43, 1
	v_mov_b32_e32 v1, 1
	s_and_saveexec_b64 s[8:9], s[16:17]
	s_cbranch_execz .LBB69_394
; %bb.386:                              ;   in Loop: Header=BB69_6 Depth=1
	v_cmp_ge_u32_e32 vcc, s30, v8
	s_and_saveexec_b64 s[16:17], vcc
	s_xor_b64 s[16:17], exec, s[16:17]
	s_cbranch_execz .LBB69_391
; %bb.387:                              ;   in Loop: Header=BB69_6 Depth=1
	ds_read_b32 v1, v15 offset:4096
	v_and_b32_e32 v19, s27, v19
	v_and_b32_e32 v18, s26, v18
	v_or_b32_e32 v21, s23, v21
	v_or_b32_e32 v20, s22, v20
	s_waitcnt lgkmcnt(0)
	v_cmp_ne_u32_e32 vcc, 0, v1
	s_cbranch_vccnz .LBB69_391
; %bb.388:                              ;   in Loop: Header=BB69_6 Depth=1
	s_mov_b64 s[22:23], exec
	v_readlane_b32 s26, v47, 5
	v_readlane_b32 s27, v47, 6
	s_and_b64 s[26:27], s[22:23], s[26:27]
	s_mov_b64 exec, s[26:27]
; %bb.389:                              ;   in Loop: Header=BB69_6 Depth=1
	v_mov_b32_e32 v1, s30
	ds_write_b32 v15, v1 offset:4100
; %bb.390:                              ;   in Loop: Header=BB69_6 Depth=1
	s_or_b64 exec, exec, s[22:23]
	s_waitcnt lgkmcnt(0)
	s_barrier
.LBB69_391:                             ;   in Loop: Header=BB69_6 Depth=1
	s_andn2_saveexec_b64 s[16:17], s[16:17]
; %bb.392:                              ;   in Loop: Header=BB69_6 Depth=1
	v_subrev_u32_e32 v8, s30, v8
; %bb.393:                              ;   in Loop: Header=BB69_6 Depth=1
	s_or_b64 exec, exec, s[16:17]
	v_mov_b32_e32 v43, 5
	v_mov_b32_e32 v1, v8
.LBB69_394:                             ;   in Loop: Header=BB69_6 Depth=1
	s_or_b64 exec, exec, s[8:9]
	s_mov_b64 s[16:17], exec
	v_mov_b32_e32 v8, v1
.LBB69_395:                             ;   in Loop: Header=BB69_6 Depth=1
	s_or_b64 exec, exec, s[2:3]
	s_orn2_b64 s[2:3], s[16:17], exec
.LBB69_396:                             ;   in Loop: Header=BB69_6 Depth=1
	s_or_b64 exec, exec, s[94:95]
	s_andn2_b64 s[8:9], s[90:91], exec
	s_and_b64 s[16:17], s[24:25], exec
	s_or_b64 s[90:91], s[8:9], s[16:17]
	s_andn2_b64 s[8:9], s[88:89], exec
	s_and_b64 s[16:17], s[36:37], exec
	s_or_b64 s[88:89], s[8:9], s[16:17]
	s_and_b64 s[8:9], s[2:3], exec
	v_mov_b32_e32 v7, v8
.LBB69_397:                             ;   in Loop: Header=BB69_6 Depth=1
	s_or_b64 exec, exec, s[92:93]
	s_orn2_b64 s[2:3], s[8:9], exec
.LBB69_398:                             ;   in Loop: Header=BB69_6 Depth=1
	s_or_b64 exec, exec, s[86:87]
	s_andn2_b64 s[8:9], s[82:83], exec
	s_and_b64 s[16:17], s[90:91], exec
	s_or_b64 s[82:83], s[8:9], s[16:17]
	s_andn2_b64 s[8:9], s[80:81], exec
	s_and_b64 s[16:17], s[88:89], exec
	s_or_b64 s[80:81], s[8:9], s[16:17]
	s_and_b64 s[8:9], s[2:3], exec
	v_mov_b32_e32 v44, v7
.LBB69_399:                             ;   in Loop: Header=BB69_6 Depth=1
	s_or_b64 exec, exec, s[84:85]
	s_orn2_b64 s[2:3], s[8:9], exec
.LBB69_400:                             ;   in Loop: Header=BB69_6 Depth=1
	s_or_b64 exec, exec, s[6:7]
	s_mov_b64 s[6:7], s[76:77]
	s_mov_b64 s[8:9], s[74:75]
	s_and_saveexec_b64 s[16:17], s[2:3]
; %bb.401:                              ;   in Loop: Header=BB69_6 Depth=1
	v_cmp_ne_u32_e64 s[6:7], 5, v43
	v_cmp_eq_u32_e32 vcc, 5, v43
	s_andn2_b64 s[2:3], s[74:75], exec
	s_and_b64 s[6:7], s[6:7], exec
	s_or_b64 s[8:9], s[2:3], s[6:7]
	s_andn2_b64 s[2:3], s[76:77], exec
	s_and_b64 s[6:7], vcc, exec
	s_or_b64 s[6:7], s[2:3], s[6:7]
; %bb.402:                              ;   in Loop: Header=BB69_6 Depth=1
	s_or_b64 exec, exec, s[16:17]
	s_andn2_b64 s[2:3], s[18:19], exec
	s_and_b64 s[16:17], s[82:83], exec
	s_or_b64 s[18:19], s[2:3], s[16:17]
	s_andn2_b64 s[2:3], s[20:21], exec
	s_and_b64 s[16:17], s[80:81], exec
	s_or_b64 s[20:21], s[2:3], s[16:17]
	;; [unrolled: 3-line block ×4, first 2 shown]
.LBB69_403:                             ;   in Loop: Header=BB69_6 Depth=1
	s_or_b64 exec, exec, s[78:79]
	s_mov_b64 s[78:79], 0
	s_mov_b64 s[80:81], 0
	s_and_saveexec_b64 s[2:3], s[76:77]
.LBB69_404:                             ;   in Loop: Header=BB69_6 Depth=1
	v_mov_b32_e32 v43, 0
	s_or_b64 s[74:75], s[74:75], exec
.LBB69_405:                             ;   in Loop: Header=BB69_6 Depth=1
	s_or_b64 exec, exec, s[2:3]
	s_andn2_b64 s[2:3], s[70:71], exec
	s_and_b64 s[8:9], s[18:19], exec
	s_or_b64 s[70:71], s[2:3], s[8:9]
	s_andn2_b64 s[2:3], s[68:69], exec
	s_and_b64 s[8:9], s[20:21], exec
	s_or_b64 s[68:69], s[2:3], s[8:9]
	;; [unrolled: 3-line block ×3, first 2 shown]
	s_andn2_b64 s[2:3], s[64:65], exec
	s_and_b64 s[8:9], s[78:79], exec
	s_mov_b64 s[6:7], -1
	s_andn2_b64 s[72:73], s[72:73], exec
	s_or_b64 s[64:65], s[2:3], s[8:9]
	v_mov_b32_e32 v42, v44
	s_and_saveexec_b64 s[2:3], s[74:75]
	s_xor_b64 s[2:3], exec, s[2:3]
	s_cbranch_execz .LBB69_5
; %bb.406:                              ;   in Loop: Header=BB69_6 Depth=1
	v_cmp_eq_u32_e32 vcc, 0, v43
	s_mov_b64 s[8:9], -1
	s_and_saveexec_b64 s[16:17], vcc
	s_cbranch_execz .LBB69_4
; %bb.407:                              ;   in Loop: Header=BB69_6 Depth=1
	s_xor_b32 s39, s39, 1
	s_add_i32 s18, s11, -2
	s_cmp_eq_u32 s11, 0
	s_cselect_b64 s[6:7], -1, 0
	s_xor_b64 s[8:9], exec, -1
	s_orn2_b64 s[6:7], s[6:7], exec
	s_mov_b32 s11, s18
	s_branch .LBB69_4
.LBB69_408:
	s_or_b64 exec, exec, s[52:53]
	s_xor_b64 s[6:7], s[62:63], -1
	s_xor_b64 s[14:15], s[60:61], -1
	;; [unrolled: 1-line block ×5, first 2 shown]
	s_mov_b64 s[8:9], 0
	s_and_saveexec_b64 s[10:11], s[4:5]
	s_xor_b64 s[10:11], exec, s[10:11]
	s_cbranch_execnz .LBB69_413
; %bb.409:
	s_andn2_saveexec_b64 s[0:1], s[10:11]
	s_cbranch_execnz .LBB69_432
.LBB69_410:
	s_or_b64 exec, exec, s[0:1]
	s_and_saveexec_b64 s[0:1], s[8:9]
.LBB69_411:
	; divergent unreachable
.LBB69_412:
	s_endpgm
.LBB69_413:
	s_and_saveexec_b64 s[4:5], s[12:13]
	s_xor_b64 s[12:13], exec, s[4:5]
	s_cbranch_execz .LBB69_430
; %bb.414:
	s_and_saveexec_b64 s[4:5], s[14:15]
	s_xor_b64 s[14:15], exec, s[4:5]
	s_cbranch_execz .LBB69_428
; %bb.415:
	;; [unrolled: 4-line block ×3, first 2 shown]
	s_and_saveexec_b64 s[4:5], s[2:3]
	s_xor_b64 s[2:3], exec, s[4:5]
; %bb.417:
	v_lshrrev_b32_e32 v1, 31, v19
	v_add_co_u32_e32 v1, vcc, -1, v1
	v_addc_co_u32_e64 v2, s[4:5], 0, -1, vcc
	v_or_b32_e32 v2, 0x80000000, v2
	v_xor_b32_e32 v6, v2, v19
	v_xor_b32_e32 v5, v1, v18
; %bb.418:
	s_or_b64 exec, exec, s[2:3]
	s_mov_b64 s[2:3], exec
	v_readlane_b32 s4, v47, 5
	v_readlane_b32 s5, v47, 6
	;; [unrolled: 1-line block ×3, first 2 shown]
	s_and_b64 s[4:5], s[2:3], s[4:5]
	v_readlane_b32 s47, v47, 9
	s_mov_b64 exec, s[4:5]
; %bb.419:
	v_mov_b32_e32 v1, 0
	ds_write_b32 v1, v1 offset:4108
; %bb.420:
	s_or_b64 exec, exec, s[2:3]
	v_mov_b32_e32 v7, 0
	v_mov_b32_e32 v8, 0
	s_waitcnt lgkmcnt(0)
	s_barrier
	s_mov_b64 s[2:3], exec
	v_readlane_b32 s4, v47, 18
	v_readlane_b32 s5, v47, 19
	s_and_b64 s[4:5], s[2:3], s[4:5]
	s_mov_b64 exec, s[4:5]
	s_cbranch_execz .LBB69_422
; %bb.421:
	global_load_dwordx2 v[7:8], v[11:12], off
.LBB69_422:
	s_or_b64 exec, exec, s[2:3]
	v_readlane_b32 s4, v47, 16
	v_readlane_b32 s5, v47, 17
	s_load_dword s2, s[4:5], 0x15c
	s_load_dword s3, s[4:5], 0x23c
	v_cmp_o_f64_e32 vcc, v[5:6], v[5:6]
	s_load_dword s34, s[4:5], 0x2a8
	s_load_dword s35, s[4:5], 0x1c8
	v_readlane_b32 s4, v47, 7
	s_add_i32 s36, s28, 63
	s_waitcnt lgkmcnt(0)
	s_mul_i32 s2, s2, s4
	s_mul_i32 s4, s3, s4
	s_mov_b32 s3, 0
	s_andn2_b32 s36, s36, 63
	s_lshl_b64 s[6:7], s[2:3], 3
	v_readlane_b32 s8, v47, 3
	v_ashrrev_i32_e32 v1, 31, v6
	v_readlane_b32 s9, v47, 4
	s_add_u32 s37, s8, s6
	s_mov_b32 s5, s3
	v_or_b32_e32 v2, 0x80000000, v1
	s_addc_u32 s39, s9, s7
	s_lshl_b64 s[2:3], s[4:5], 3
	v_readlane_b32 s4, v47, 0
	v_xor_b32_e32 v2, v2, v6
	v_xor_b32_e32 v1, v1, v5
	v_readlane_b32 s5, v47, 1
	s_add_u32 s40, s4, s2
	v_cndmask_b32_e32 v3, -1, v2, vcc
	v_cndmask_b32_e32 v2, -1, v1, vcc
	s_addc_u32 s41, s5, s3
	v_cmp_gt_u32_e32 vcc, s36, v0
	s_mov_b64 s[2:3], -1
	s_mov_b64 s[8:9], 0
	s_mov_b64 s[4:5], 0
	s_and_saveexec_b64 s[18:19], vcc
	s_cbranch_execnz .LBB69_433
; %bb.423:
	s_or_b64 exec, exec, s[18:19]
	s_and_saveexec_b64 s[6:7], s[2:3]
	s_cbranch_execnz .LBB69_450
.LBB69_424:
	s_or_b64 exec, exec, s[6:7]
	s_and_saveexec_b64 s[0:1], s[4:5]
	s_xor_b64 s[0:1], exec, s[0:1]
	s_cbranch_execnz .LBB69_475
.LBB69_425:
	s_or_b64 exec, exec, s[0:1]
	s_and_b64 s[8:9], s[8:9], exec
.LBB69_426:
	s_andn2_saveexec_b64 s[0:1], s[16:17]
	s_cbranch_execnz .LBB69_477
.LBB69_427:
	s_or_b64 exec, exec, s[0:1]
	s_and_b64 s[8:9], s[8:9], exec
.LBB69_428:
	s_andn2_saveexec_b64 s[0:1], s[14:15]
	s_cbranch_execnz .LBB69_476
.LBB69_429:
	s_or_b64 exec, exec, s[0:1]
	s_and_b64 s[8:9], s[8:9], exec
.LBB69_430:
	s_andn2_saveexec_b64 s[0:1], s[12:13]
	s_cbranch_execnz .LBB69_471
.LBB69_431:
	s_or_b64 exec, exec, s[0:1]
	s_and_b64 s[8:9], s[8:9], exec
	s_andn2_saveexec_b64 s[0:1], s[10:11]
	s_cbranch_execz .LBB69_410
.LBB69_432:
	s_or_b64 s[8:9], s[8:9], exec
	s_trap 2
	s_or_b64 exec, exec, s[0:1]
	s_and_saveexec_b64 s[0:1], s[8:9]
	s_cbranch_execnz .LBB69_411
	s_branch .LBB69_412
.LBB69_433:
	v_add_u32_e32 v1, s44, v0
	v_readlane_b32 s2, v47, 2
	v_mul_lo_u32 v4, s2, v1
	s_mov_b64 s[20:21], 0
	v_mov_b32_e32 v5, 0
	v_mov_b32_e32 v6, v0
                                        ; implicit-def: $sgpr22_sgpr23
                                        ; implicit-def: $vgpr13
	s_branch .LBB69_435
.LBB69_434:                             ;   in Loop: Header=BB69_435 Depth=1
	s_or_b64 exec, exec, s[24:25]
	s_xor_b64 s[4:5], s[6:7], -1
	s_and_b64 s[2:3], exec, s[2:3]
	s_or_b64 s[20:21], s[2:3], s[20:21]
	s_andn2_b64 s[2:3], s[22:23], exec
	s_and_b64 s[4:5], s[4:5], exec
	s_waitcnt vmcnt(0)
	v_mov_b32_e32 v7, v9
	s_or_b64 s[22:23], s[2:3], s[4:5]
	v_mov_b32_e32 v8, v10
	v_mov_b32_e32 v6, v1
	s_andn2_b64 exec, exec, s[20:21]
	s_cbranch_execz .LBB69_449
.LBB69_435:                             ; =>This Inner Loop Header: Depth=1
	v_add_u32_e32 v1, s44, v6
	v_mov_b32_e32 v9, 0
	v_mov_b32_e32 v10, 0
	v_cmp_gt_u32_e64 s[4:5], s28, v1
	s_and_saveexec_b64 s[2:3], s[4:5]
	s_cbranch_execz .LBB69_437
; %bb.436:                              ;   in Loop: Header=BB69_435 Depth=1
	v_lshlrev_b64 v[9:10], 3, v[4:5]
	v_mov_b32_e32 v14, s38
	v_add_co_u32_e64 v9, s[4:5], s33, v9
	v_addc_co_u32_e64 v10, s[4:5], v14, v10, s[4:5]
	global_load_dwordx2 v[9:10], v[9:10], off
.LBB69_437:                             ;   in Loop: Header=BB69_435 Depth=1
	s_or_b64 exec, exec, s[2:3]
	v_cmp_gt_u32_e64 s[4:5], s28, v6
	s_mov_b64 s[24:25], 0
	s_and_saveexec_b64 s[2:3], s[4:5]
	s_cbranch_execz .LBB69_439
; %bb.438:                              ;   in Loop: Header=BB69_435 Depth=1
	s_waitcnt vmcnt(0)
	v_cmp_o_f64_e64 s[4:5], v[7:8], v[7:8]
	v_ashrrev_i32_e32 v14, 31, v8
	v_or_b32_e32 v15, 0x80000000, v14
	v_xor_b32_e32 v15, v15, v8
	v_xor_b32_e32 v14, v14, v7
	v_cndmask_b32_e64 v15, -1, v15, s[4:5]
	v_cndmask_b32_e64 v14, -1, v14, s[4:5]
	v_cmp_gt_u64_e64 s[4:5], v[14:15], v[2:3]
	v_cndmask_b32_e64 v16, 0, 1, s[4:5]
	v_cmp_lt_u64_e64 s[4:5], v[14:15], v[2:3]
	v_cndmask_b32_e64 v14, 0, 1, s[4:5]
	v_cndmask_b32_e64 v14, v14, v16, s[46:47]
	v_and_b32_e32 v14, 1, v14
	v_cmp_eq_u32_e64 s[4:5], 1, v14
	s_and_b64 s[24:25], s[4:5], exec
.LBB69_439:                             ;   in Loop: Header=BB69_435 Depth=1
	s_or_b64 exec, exec, s[2:3]
	v_cndmask_b32_e64 v14, 0, 1, s[24:25]
	v_cmp_ne_u32_e64 s[4:5], 0, v14
	s_cmp_lg_u64 s[4:5], 0
	s_cselect_b64 s[2:3], -1, 0
	s_and_b64 s[6:7], s[0:1], s[2:3]
	s_and_saveexec_b64 s[2:3], s[6:7]
	s_cbranch_execz .LBB69_443
; %bb.440:                              ;   in Loop: Header=BB69_435 Depth=1
	s_mov_b64 s[30:31], exec
	s_waitcnt lgkmcnt(0)
	v_mbcnt_lo_u32_b32 v13, s30, 0
	v_mbcnt_hi_u32_b32 v13, s31, v13
	s_bcnt1_i32_b64 s42, s[4:5]
	v_cmp_eq_u32_e64 s[6:7], 0, v13
                                        ; implicit-def: $vgpr14
	s_and_saveexec_b64 s[26:27], s[6:7]
; %bb.441:                              ;   in Loop: Header=BB69_435 Depth=1
	s_bcnt1_i32_b64 s6, s[30:31]
	s_mul_i32 s6, s42, s6
	v_mov_b32_e32 v14, s6
	ds_add_rtn_u32 v14, v5, v14 offset:4108
; %bb.442:                              ;   in Loop: Header=BB69_435 Depth=1
	s_or_b64 exec, exec, s[26:27]
	s_waitcnt lgkmcnt(0)
	v_readfirstlane_b32 s6, v14
	v_mov_b32_e32 v14, s6
	v_mad_u32_u24 v13, s42, v13, v14
.LBB69_443:                             ;   in Loop: Header=BB69_435 Depth=1
	s_or_b64 exec, exec, s[2:3]
	s_waitcnt lgkmcnt(0)
	ds_bpermute_b32 v13, v26, v13
	s_mov_b64 s[2:3], -1
	s_mov_b64 s[26:27], -1
	s_and_saveexec_b64 s[6:7], s[24:25]
	s_cbranch_execz .LBB69_447
; %bb.444:                              ;   in Loop: Header=BB69_435 Depth=1
	v_and_b32_e32 v15, s4, v28
	v_and_b32_e32 v14, s5, v27
	v_bcnt_u32_b32 v15, v15, 0
	v_bcnt_u32_b32 v14, v14, v15
	s_waitcnt lgkmcnt(0)
	v_add_u32_e32 v14, v13, v14
	v_cmp_gt_u32_e64 s[4:5], s29, v14
	s_mov_b64 s[24:25], 0
	s_and_saveexec_b64 s[26:27], s[4:5]
	s_cbranch_execz .LBB69_446
; %bb.445:                              ;   in Loop: Header=BB69_435 Depth=1
	v_mul_lo_u32 v15, v14, s35
	v_mov_b32_e32 v16, v5
	v_mul_lo_u32 v14, v14, s34
	v_mov_b32_e32 v17, s39
	v_lshlrev_b64 v[15:16], 3, v[15:16]
	s_mov_b64 s[24:25], exec
	v_add_co_u32_e64 v15, s[4:5], s37, v15
	v_addc_co_u32_e64 v16, s[4:5], v17, v16, s[4:5]
	s_waitcnt vmcnt(0)
	global_store_dwordx2 v[15:16], v[7:8], off
	v_mov_b32_e32 v15, v5
	v_lshlrev_b64 v[14:15], 3, v[14:15]
	v_mov_b32_e32 v8, s41
	v_add_co_u32_e64 v14, s[4:5], s40, v14
	v_mov_b32_e32 v7, v5
	v_addc_co_u32_e64 v15, s[4:5], v8, v15, s[4:5]
	global_store_dwordx2 v[14:15], v[6:7], off
.LBB69_446:                             ;   in Loop: Header=BB69_435 Depth=1
	s_or_b64 exec, exec, s[26:27]
	s_orn2_b64 s[26:27], s[24:25], exec
.LBB69_447:                             ;   in Loop: Header=BB69_435 Depth=1
	s_or_b64 exec, exec, s[6:7]
	s_mov_b64 s[6:7], -1
	s_and_saveexec_b64 s[24:25], s[26:27]
	s_cbranch_execz .LBB69_434
; %bb.448:                              ;   in Loop: Header=BB69_435 Depth=1
	v_cmp_le_u32_e64 s[4:5], s36, v1
	v_add_u32_e32 v4, s45, v4
	s_xor_b64 s[6:7], exec, -1
	s_orn2_b64 s[2:3], s[4:5], exec
	s_branch .LBB69_434
.LBB69_449:
	s_or_b64 exec, exec, s[20:21]
	s_mov_b64 s[4:5], exec
	s_orn2_b64 s[2:3], s[22:23], exec
	s_or_b64 exec, exec, s[18:19]
	s_and_saveexec_b64 s[6:7], s[2:3]
	s_cbranch_execz .LBB69_424
.LBB69_450:
	s_waitcnt vmcnt(0)
	v_mov_b32_e32 v8, 0
	v_mov_b32_e32 v9, 0
	s_waitcnt lgkmcnt(0)
	s_barrier
	s_mov_b64 s[2:3], exec
	v_readlane_b32 s8, v47, 18
	v_readlane_b32 s9, v47, 19
	s_and_b64 s[8:9], s[2:3], s[8:9]
	s_mov_b64 exec, s[8:9]
	s_cbranch_execz .LBB69_452
; %bb.451:
	global_load_dwordx2 v[8:9], v[11:12], off
.LBB69_452:
	s_or_b64 exec, exec, s[2:3]
	s_mov_b64 s[2:3], 0
	s_and_saveexec_b64 s[8:9], vcc
	s_cbranch_execz .LBB69_474
; %bb.453:
	v_add_u32_e32 v1, s44, v0
	v_readlane_b32 s2, v47, 2
	v_mul_lo_u32 v4, s2, v1
	s_mov_b64 s[18:19], 0
	v_mov_b32_e32 v5, 0
                                        ; implicit-def: $sgpr20_sgpr21
                                        ; implicit-def: $vgpr11
	s_branch .LBB69_456
.LBB69_454:                             ;   in Loop: Header=BB69_456 Depth=1
	s_or_b64 exec, exec, s[24:25]
	s_orn2_b64 s[26:27], s[30:31], exec
	s_orn2_b64 s[24:25], s[22:23], exec
.LBB69_455:                             ;   in Loop: Header=BB69_456 Depth=1
	s_or_b64 exec, exec, s[2:3]
	s_xor_b64 s[2:3], s[26:27], -1
	s_and_b64 s[22:23], exec, s[24:25]
	s_or_b64 s[18:19], s[22:23], s[18:19]
	s_andn2_b64 s[20:21], s[20:21], exec
	s_and_b64 s[2:3], s[2:3], exec
	s_waitcnt vmcnt(0)
	v_mov_b32_e32 v9, v7
	s_or_b64 s[20:21], s[20:21], s[2:3]
	v_mov_b32_e32 v0, v10
	v_mov_b32_e32 v8, v6
	s_andn2_b64 exec, exec, s[18:19]
	s_cbranch_execz .LBB69_472
.LBB69_456:                             ; =>This Inner Loop Header: Depth=1
	v_add_u32_e32 v10, s44, v0
	v_mov_b32_e32 v6, 0
	v_mov_b32_e32 v7, 0
	v_cmp_gt_u32_e32 vcc, s28, v10
	s_and_saveexec_b64 s[2:3], vcc
	s_cbranch_execz .LBB69_458
; %bb.457:                              ;   in Loop: Header=BB69_456 Depth=1
	v_lshlrev_b64 v[6:7], 3, v[4:5]
	v_mov_b32_e32 v1, s38
	v_add_co_u32_e32 v6, vcc, s33, v6
	v_addc_co_u32_e32 v7, vcc, v1, v7, vcc
	global_load_dwordx2 v[6:7], v[6:7], off
.LBB69_458:                             ;   in Loop: Header=BB69_456 Depth=1
	s_or_b64 exec, exec, s[2:3]
	v_cmp_gt_u32_e32 vcc, s28, v0
	s_mov_b64 s[22:23], 0
	s_and_saveexec_b64 s[2:3], vcc
	s_cbranch_execz .LBB69_460
; %bb.459:                              ;   in Loop: Header=BB69_456 Depth=1
	s_waitcnt vmcnt(0)
	v_cmp_o_f64_e32 vcc, v[8:9], v[8:9]
	v_ashrrev_i32_e32 v1, 31, v9
	v_or_b32_e32 v12, 0x80000000, v1
	v_xor_b32_e32 v12, v12, v9
	v_xor_b32_e32 v1, v1, v8
	v_cndmask_b32_e32 v13, -1, v12, vcc
	v_cndmask_b32_e32 v12, -1, v1, vcc
	v_cmp_eq_u64_e32 vcc, v[12:13], v[2:3]
	s_and_b64 s[22:23], vcc, exec
.LBB69_460:                             ;   in Loop: Header=BB69_456 Depth=1
	s_or_b64 exec, exec, s[2:3]
	v_cndmask_b32_e64 v1, 0, 1, s[22:23]
	v_cmp_ne_u32_e32 vcc, 0, v1
	s_cmp_lg_u64 vcc, 0
	s_cselect_b64 s[2:3], -1, 0
	s_and_b64 s[2:3], s[0:1], s[2:3]
	s_and_saveexec_b64 s[24:25], s[2:3]
	s_cbranch_execz .LBB69_464
; %bb.461:                              ;   in Loop: Header=BB69_456 Depth=1
	s_mov_b64 s[30:31], exec
	v_mbcnt_lo_u32_b32 v1, s30, 0
	v_mbcnt_hi_u32_b32 v1, s31, v1
	s_bcnt1_i32_b64 s42, vcc
	v_cmp_eq_u32_e64 s[2:3], 0, v1
                                        ; implicit-def: $vgpr11
	s_and_saveexec_b64 s[26:27], s[2:3]
; %bb.462:                              ;   in Loop: Header=BB69_456 Depth=1
	s_bcnt1_i32_b64 s2, s[30:31]
	s_mul_i32 s2, s42, s2
	v_mov_b32_e32 v11, s2
	ds_add_rtn_u32 v11, v5, v11 offset:4108
; %bb.463:                              ;   in Loop: Header=BB69_456 Depth=1
	s_or_b64 exec, exec, s[26:27]
	s_waitcnt lgkmcnt(0)
	v_readfirstlane_b32 s2, v11
	v_mov_b32_e32 v11, s2
	v_mad_u32_u24 v11, s42, v1, v11
.LBB69_464:                             ;   in Loop: Header=BB69_456 Depth=1
	s_or_b64 exec, exec, s[24:25]
	ds_bpermute_b32 v11, v26, v11
	s_cmp_eq_u64 vcc, 0
	s_cselect_b64 s[26:27], -1, 0
	s_mov_b64 s[24:25], -1
	s_waitcnt lgkmcnt(0)
	v_cmp_gt_u32_e64 s[2:3], s29, v11
	s_or_b64 s[30:31], s[26:27], s[2:3]
	s_mov_b64 s[26:27], -1
	s_and_saveexec_b64 s[2:3], s[30:31]
	s_cbranch_execz .LBB69_455
; %bb.465:                              ;   in Loop: Header=BB69_456 Depth=1
	v_and_b32_e32 v12, vcc_lo, v28
	v_and_b32_e32 v1, vcc_hi, v27
	v_bcnt_u32_b32 v12, v12, 0
	v_bcnt_u32_b32 v1, v1, v12
	v_sub_u32_e32 v12, s29, v11
	v_cmp_gt_u32_e32 vcc, v12, v1
	s_and_b64 s[42:43], s[22:23], vcc
	s_mov_b64 s[22:23], -1
	s_mov_b64 s[30:31], -1
	s_and_saveexec_b64 s[24:25], s[42:43]
	s_cbranch_execz .LBB69_469
; %bb.466:                              ;   in Loop: Header=BB69_456 Depth=1
	v_add_u32_e32 v1, v11, v1
	v_cmp_gt_u32_e32 vcc, s29, v1
	s_mov_b64 s[26:27], 0
	s_and_saveexec_b64 s[30:31], vcc
	s_cbranch_execz .LBB69_468
; %bb.467:                              ;   in Loop: Header=BB69_456 Depth=1
	v_mul_lo_u32 v12, v1, s35
	v_mov_b32_e32 v13, v5
	v_mul_lo_u32 v14, v1, s34
	v_mov_b32_e32 v1, s39
	v_lshlrev_b64 v[12:13], 3, v[12:13]
	v_mov_b32_e32 v15, v5
	v_add_co_u32_e32 v12, vcc, s37, v12
	v_addc_co_u32_e32 v13, vcc, v1, v13, vcc
	s_waitcnt vmcnt(0)
	global_store_dwordx2 v[12:13], v[8:9], off
	v_lshlrev_b64 v[8:9], 3, v[14:15]
	v_mov_b32_e32 v12, s41
	v_add_co_u32_e32 v8, vcc, s40, v8
	s_mov_b64 s[26:27], exec
	v_mov_b32_e32 v1, v5
	v_addc_co_u32_e32 v9, vcc, v12, v9, vcc
	global_store_dwordx2 v[8:9], v[0:1], off
.LBB69_468:                             ;   in Loop: Header=BB69_456 Depth=1
	s_or_b64 exec, exec, s[30:31]
	s_xor_b64 s[30:31], exec, -1
	s_orn2_b64 s[26:27], s[26:27], exec
.LBB69_469:                             ;   in Loop: Header=BB69_456 Depth=1
	s_or_b64 exec, exec, s[24:25]
	s_and_saveexec_b64 s[24:25], s[26:27]
	s_cbranch_execz .LBB69_454
; %bb.470:                              ;   in Loop: Header=BB69_456 Depth=1
	v_cmp_le_u32_e32 vcc, s36, v10
	v_add_u32_e32 v4, s45, v4
	s_or_b64 s[30:31], s[30:31], exec
	s_orn2_b64 s[22:23], vcc, exec
	s_branch .LBB69_454
.LBB69_471:
	s_or_b64 s[8:9], s[8:9], exec
	s_trap 2
	s_branch .LBB69_431
.LBB69_472:
	s_or_b64 exec, exec, s[18:19]
	s_mov_b64 s[0:1], 0
	s_and_saveexec_b64 s[2:3], s[20:21]
	s_xor_b64 s[2:3], exec, s[2:3]
	s_cbranch_execnz .LBB69_478
.LBB69_473:
	s_or_b64 exec, exec, s[2:3]
	s_and_b64 s[2:3], s[0:1], exec
.LBB69_474:
	s_or_b64 exec, exec, s[8:9]
	s_and_b64 s[8:9], s[2:3], exec
	s_andn2_b64 s[4:5], s[4:5], exec
	s_or_b64 exec, exec, s[6:7]
	s_and_saveexec_b64 s[0:1], s[4:5]
	s_xor_b64 s[0:1], exec, s[0:1]
	s_cbranch_execz .LBB69_425
.LBB69_475:
	s_trap 2
	s_or_b64 s[8:9], s[8:9], exec
	s_branch .LBB69_425
.LBB69_476:
	s_or_b64 s[8:9], s[8:9], exec
	s_trap 2
	s_branch .LBB69_429
.LBB69_477:
	s_trap 2
	s_or_b64 s[8:9], s[8:9], exec
	s_branch .LBB69_427
.LBB69_478:
	s_mov_b64 s[0:1], exec
	s_trap 2
	s_branch .LBB69_473
	.section	.rodata,"a",@progbits
	.p2align	6, 0x0
	.amdhsa_kernel _ZN2at6native6sbtopk10gatherTopKIdjLi1ELb0EEEvNS_4cuda6detail10TensorInfoIKT_T0_EES8_S8_bS8_S8_NS5_IS6_S8_EES8_NS5_IlS8_EES8_PS6_
		.amdhsa_group_segment_fixed_size 4112
		.amdhsa_private_segment_fixed_size 0
		.amdhsa_kernarg_size 952
		.amdhsa_user_sgpr_count 6
		.amdhsa_user_sgpr_private_segment_buffer 1
		.amdhsa_user_sgpr_dispatch_ptr 0
		.amdhsa_user_sgpr_queue_ptr 0
		.amdhsa_user_sgpr_kernarg_segment_ptr 1
		.amdhsa_user_sgpr_dispatch_id 0
		.amdhsa_user_sgpr_flat_scratch_init 0
		.amdhsa_user_sgpr_private_segment_size 0
		.amdhsa_uses_dynamic_stack 0
		.amdhsa_system_sgpr_private_segment_wavefront_offset 0
		.amdhsa_system_sgpr_workgroup_id_x 1
		.amdhsa_system_sgpr_workgroup_id_y 1
		.amdhsa_system_sgpr_workgroup_id_z 1
		.amdhsa_system_sgpr_workgroup_info 0
		.amdhsa_system_vgpr_workitem_id 0
		.amdhsa_next_free_vgpr 48
		.amdhsa_next_free_sgpr 96
		.amdhsa_reserve_vcc 1
		.amdhsa_reserve_flat_scratch 0
		.amdhsa_float_round_mode_32 0
		.amdhsa_float_round_mode_16_64 0
		.amdhsa_float_denorm_mode_32 3
		.amdhsa_float_denorm_mode_16_64 3
		.amdhsa_dx10_clamp 1
		.amdhsa_ieee_mode 1
		.amdhsa_fp16_overflow 0
		.amdhsa_exception_fp_ieee_invalid_op 0
		.amdhsa_exception_fp_denorm_src 0
		.amdhsa_exception_fp_ieee_div_zero 0
		.amdhsa_exception_fp_ieee_overflow 0
		.amdhsa_exception_fp_ieee_underflow 0
		.amdhsa_exception_fp_ieee_inexact 0
		.amdhsa_exception_int_div_zero 0
	.end_amdhsa_kernel
	.section	.text._ZN2at6native6sbtopk10gatherTopKIdjLi1ELb0EEEvNS_4cuda6detail10TensorInfoIKT_T0_EES8_S8_bS8_S8_NS5_IS6_S8_EES8_NS5_IlS8_EES8_PS6_,"axG",@progbits,_ZN2at6native6sbtopk10gatherTopKIdjLi1ELb0EEEvNS_4cuda6detail10TensorInfoIKT_T0_EES8_S8_bS8_S8_NS5_IS6_S8_EES8_NS5_IlS8_EES8_PS6_,comdat
.Lfunc_end69:
	.size	_ZN2at6native6sbtopk10gatherTopKIdjLi1ELb0EEEvNS_4cuda6detail10TensorInfoIKT_T0_EES8_S8_bS8_S8_NS5_IS6_S8_EES8_NS5_IlS8_EES8_PS6_, .Lfunc_end69-_ZN2at6native6sbtopk10gatherTopKIdjLi1ELb0EEEvNS_4cuda6detail10TensorInfoIKT_T0_EES8_S8_bS8_S8_NS5_IS6_S8_EES8_NS5_IlS8_EES8_PS6_
                                        ; -- End function
	.set _ZN2at6native6sbtopk10gatherTopKIdjLi1ELb0EEEvNS_4cuda6detail10TensorInfoIKT_T0_EES8_S8_bS8_S8_NS5_IS6_S8_EES8_NS5_IlS8_EES8_PS6_.num_vgpr, 48
	.set _ZN2at6native6sbtopk10gatherTopKIdjLi1ELb0EEEvNS_4cuda6detail10TensorInfoIKT_T0_EES8_S8_bS8_S8_NS5_IS6_S8_EES8_NS5_IlS8_EES8_PS6_.num_agpr, 0
	.set _ZN2at6native6sbtopk10gatherTopKIdjLi1ELb0EEEvNS_4cuda6detail10TensorInfoIKT_T0_EES8_S8_bS8_S8_NS5_IS6_S8_EES8_NS5_IlS8_EES8_PS6_.numbered_sgpr, 96
	.set _ZN2at6native6sbtopk10gatherTopKIdjLi1ELb0EEEvNS_4cuda6detail10TensorInfoIKT_T0_EES8_S8_bS8_S8_NS5_IS6_S8_EES8_NS5_IlS8_EES8_PS6_.num_named_barrier, 0
	.set _ZN2at6native6sbtopk10gatherTopKIdjLi1ELb0EEEvNS_4cuda6detail10TensorInfoIKT_T0_EES8_S8_bS8_S8_NS5_IS6_S8_EES8_NS5_IlS8_EES8_PS6_.private_seg_size, 0
	.set _ZN2at6native6sbtopk10gatherTopKIdjLi1ELb0EEEvNS_4cuda6detail10TensorInfoIKT_T0_EES8_S8_bS8_S8_NS5_IS6_S8_EES8_NS5_IlS8_EES8_PS6_.uses_vcc, 1
	.set _ZN2at6native6sbtopk10gatherTopKIdjLi1ELb0EEEvNS_4cuda6detail10TensorInfoIKT_T0_EES8_S8_bS8_S8_NS5_IS6_S8_EES8_NS5_IlS8_EES8_PS6_.uses_flat_scratch, 0
	.set _ZN2at6native6sbtopk10gatherTopKIdjLi1ELb0EEEvNS_4cuda6detail10TensorInfoIKT_T0_EES8_S8_bS8_S8_NS5_IS6_S8_EES8_NS5_IlS8_EES8_PS6_.has_dyn_sized_stack, 0
	.set _ZN2at6native6sbtopk10gatherTopKIdjLi1ELb0EEEvNS_4cuda6detail10TensorInfoIKT_T0_EES8_S8_bS8_S8_NS5_IS6_S8_EES8_NS5_IlS8_EES8_PS6_.has_recursion, 0
	.set _ZN2at6native6sbtopk10gatherTopKIdjLi1ELb0EEEvNS_4cuda6detail10TensorInfoIKT_T0_EES8_S8_bS8_S8_NS5_IS6_S8_EES8_NS5_IlS8_EES8_PS6_.has_indirect_call, 0
	.section	.AMDGPU.csdata,"",@progbits
; Kernel info:
; codeLenInByte = 15568
; TotalNumSgprs: 100
; NumVgprs: 48
; ScratchSize: 0
; MemoryBound: 0
; FloatMode: 240
; IeeeMode: 1
; LDSByteSize: 4112 bytes/workgroup (compile time only)
; SGPRBlocks: 12
; VGPRBlocks: 11
; NumSGPRsForWavesPerEU: 100
; NumVGPRsForWavesPerEU: 48
; Occupancy: 5
; WaveLimiterHint : 1
; COMPUTE_PGM_RSRC2:SCRATCH_EN: 0
; COMPUTE_PGM_RSRC2:USER_SGPR: 6
; COMPUTE_PGM_RSRC2:TRAP_HANDLER: 0
; COMPUTE_PGM_RSRC2:TGID_X_EN: 1
; COMPUTE_PGM_RSRC2:TGID_Y_EN: 1
; COMPUTE_PGM_RSRC2:TGID_Z_EN: 1
; COMPUTE_PGM_RSRC2:TIDIG_COMP_CNT: 0
	.section	.text._ZN2at6native6mbtopk23computeBlockDigitCountsIdjmLi2EEEvNS_4cuda6detail10TensorInfoIKT_T0_EEjPjjS8_iijT1_PSB_Ps,"axG",@progbits,_ZN2at6native6mbtopk23computeBlockDigitCountsIdjmLi2EEEvNS_4cuda6detail10TensorInfoIKT_T0_EEjPjjS8_iijT1_PSB_Ps,comdat
	.protected	_ZN2at6native6mbtopk23computeBlockDigitCountsIdjmLi2EEEvNS_4cuda6detail10TensorInfoIKT_T0_EEjPjjS8_iijT1_PSB_Ps ; -- Begin function _ZN2at6native6mbtopk23computeBlockDigitCountsIdjmLi2EEEvNS_4cuda6detail10TensorInfoIKT_T0_EEjPjjS8_iijT1_PSB_Ps
	.globl	_ZN2at6native6mbtopk23computeBlockDigitCountsIdjmLi2EEEvNS_4cuda6detail10TensorInfoIKT_T0_EEjPjjS8_iijT1_PSB_Ps
	.p2align	8
	.type	_ZN2at6native6mbtopk23computeBlockDigitCountsIdjmLi2EEEvNS_4cuda6detail10TensorInfoIKT_T0_EEjPjjS8_iijT1_PSB_Ps,@function
_ZN2at6native6mbtopk23computeBlockDigitCountsIdjmLi2EEEvNS_4cuda6detail10TensorInfoIKT_T0_EEjPjjS8_iijT1_PSB_Ps: ; @_ZN2at6native6mbtopk23computeBlockDigitCountsIdjmLi2EEEvNS_4cuda6detail10TensorInfoIKT_T0_EEjPjjS8_iijT1_PSB_Ps
; %bb.0:
	s_load_dword s17, s[4:5], 0xf8
	s_load_dwordx4 s[12:15], s[4:5], 0xe8
	s_load_dwordx2 s[0:1], s[4:5], 0x118
	s_waitcnt lgkmcnt(0)
	v_cvt_f32_u32_e32 v1, s17
	s_sub_i32 s2, 0, s17
	s_mul_i32 s1, s1, s8
	s_add_i32 s1, s1, s7
	v_rcp_iflag_f32_e32 v1, v1
	s_mul_i32 s16, s1, s0
	s_add_i32 s16, s16, s6
	v_mul_f32_e32 v1, 0x4f7ffffe, v1
	v_cvt_u32_f32_e32 v1, v1
	v_readfirstlane_b32 s0, v1
	s_mul_i32 s2, s2, s0
	s_mul_hi_u32 s1, s0, s2
	s_add_i32 s0, s0, s1
	s_mul_hi_u32 s0, s16, s0
	s_mul_i32 s1, s0, s17
	s_sub_i32 s1, s16, s1
	s_add_i32 s2, s0, 1
	s_sub_i32 s3, s1, s17
	s_cmp_ge_u32 s1, s17
	s_cselect_b32 s0, s2, s0
	s_cselect_b32 s1, s3, s1
	s_add_i32 s2, s0, 1
	s_cmp_ge_u32 s1, s17
	s_cselect_b32 s0, s2, s0
	s_cmp_ge_u32 s0, s12
	s_mov_b32 s1, 0
	s_cbranch_scc1 .LBB70_21
; %bb.1:
	s_load_dword s18, s[4:5], 0xc
	s_load_dwordx4 s[8:11], s[4:5], 0x100
	s_load_dwordx2 s[2:3], s[4:5], 0x110
	s_lshl_b64 s[6:7], s[0:1], 3
	s_movk_i32 s1, 0x100
	s_waitcnt lgkmcnt(0)
	v_cvt_f32_u32_e32 v1, s18
	s_add_u32 s10, s10, s6
	v_cmp_gt_u32_e32 vcc, s1, v0
	s_addc_u32 s11, s11, s7
	v_rcp_iflag_f32_e32 v1, v1
	v_lshlrev_b32_e32 v5, 2, v0
	v_mul_f32_e32 v1, 0x4f7ffffe, v1
	v_cvt_u32_f32_e32 v1, v1
	v_readfirstlane_b32 s20, v1
	s_and_saveexec_b64 s[6:7], vcc
; %bb.2:
	v_mov_b32_e32 v1, 0
	ds_write_b32 v5, v1
; %bb.3:
	s_or_b64 exec, exec, s[6:7]
	s_load_dword s12, s[4:5], 0xd8
	s_mul_i32 s1, s0, s17
	s_sub_i32 s1, s16, s1
	s_add_i32 s21, s1, 1
	s_mul_i32 s1, s15, s1
	s_lshl_b32 s19, s1, 8
	s_waitcnt lgkmcnt(0)
	s_sub_i32 s1, s12, s19
	s_add_u32 s6, s1, 0xff
	s_addc_u32 s7, 0, 0
	s_lshr_b64 s[6:7], s[6:7], 8
	s_cmp_lt_u32 s21, s17
	s_cselect_b32 s15, s15, s6
	s_cmp_lt_i32 s15, 1
	s_mov_b32 s1, 0
	s_barrier
	s_cbranch_scc1 .LBB70_19
; %bb.4:
	s_sub_i32 s6, 0, s18
	s_mul_i32 s6, s6, s20
	s_mul_hi_u32 s6, s20, s6
	s_add_i32 s17, s20, s6
	s_load_dwordx2 s[20:21], s[4:5], 0x6c
	s_load_dwordx2 s[22:23], s[4:5], 0x0
	;; [unrolled: 1-line block ×3, first 2 shown]
	s_mul_hi_u32 s4, s0, s17
	s_mul_i32 s5, s4, s18
	s_sub_i32 s5, s0, s5
	s_add_i32 s10, s4, 1
	s_sub_i32 s11, s5, s18
	s_cmp_ge_u32 s5, s18
	s_cselect_b32 s4, s10, s4
	s_cselect_b32 s5, s11, s5
	s_add_i32 s10, s4, 1
	s_cmp_ge_u32 s5, s18
	s_cselect_b32 s4, s10, s4
	s_mul_i32 s5, s4, s18
	s_sub_i32 s0, s0, s5
	s_waitcnt lgkmcnt(0)
	s_mul_i32 s0, s0, s21
	s_mul_i32 s4, s4, s20
	s_add_i32 s0, s4, s0
	s_lshl_b64 s[4:5], s[0:1], 3
	s_add_u32 s11, s22, s4
	s_addc_u32 s17, s23, s5
	s_and_b32 s10, s14, 0xff
	s_cmp_eq_u32 s15, 1
	v_add_u32_e32 v6, s19, v0
	s_cbranch_scc1 .LBB70_14
; %bb.5:
	v_add_u32_e32 v1, 0x100, v6
	v_mul_lo_u32 v7, s13, v1
	v_mul_lo_u32 v8, s13, v6
	s_and_b32 s14, s15, 0x7ffffffe
	s_lshl_b32 s18, s13, 9
	s_mov_b32 s19, 0
	v_mov_b32_e32 v2, 0
	v_mov_b32_e32 v9, 1
	;; [unrolled: 1-line block ×4, first 2 shown]
	s_mov_b32 s20, 0
	s_branch .LBB70_7
.LBB70_6:                               ;   in Loop: Header=BB70_7 Depth=1
	s_or_b64 exec, exec, s[4:5]
	s_add_i32 s20, s20, 2
	s_add_i32 s19, s19, s18
	s_cmp_eq_u32 s14, s20
	v_add_u32_e32 v11, 0x200, v11
	s_cbranch_scc1 .LBB70_13
.LBB70_7:                               ; =>This Inner Loop Header: Depth=1
	v_cmp_gt_u32_e64 s[0:1], s12, v11
	s_and_saveexec_b64 s[4:5], s[0:1]
	s_cbranch_execz .LBB70_10
; %bb.8:                                ;   in Loop: Header=BB70_7 Depth=1
	v_add_u32_e32 v1, s19, v8
	v_lshlrev_b64 v[3:4], 3, v[1:2]
	v_mov_b32_e32 v1, s17
	v_add_co_u32_e64 v3, s[0:1], s11, v3
	v_addc_co_u32_e64 v4, s[0:1], v1, v4, s[0:1]
	global_load_dwordx2 v[3:4], v[3:4], off
	s_waitcnt vmcnt(0)
	v_cmp_o_f64_e64 s[0:1], v[3:4], v[3:4]
	v_ashrrev_i32_e32 v1, 31, v4
	v_or_b32_e32 v12, 0x80000000, v1
	v_xor_b32_e32 v12, v12, v4
	v_xor_b32_e32 v1, v1, v3
	v_cndmask_b32_e64 v4, -1, v12, s[0:1]
	v_cndmask_b32_e64 v3, -1, v1, s[0:1]
	v_xor_b32_e32 v12, s7, v4
	v_xor_b32_e32 v1, s6, v3
	v_and_b32_e32 v13, s9, v12
	v_and_b32_e32 v12, s8, v1
	v_cmp_eq_u64_e64 s[0:1], 0, v[12:13]
	s_and_b64 exec, exec, s[0:1]
; %bb.9:                                ;   in Loop: Header=BB70_7 Depth=1
	v_lshrrev_b64 v[3:4], s10, v[3:4]
	v_lshlrev_b32_sdwa v1, v10, v3 dst_sel:DWORD dst_unused:UNUSED_PAD src0_sel:DWORD src1_sel:BYTE_0
	ds_add_u32 v1, v9
.LBB70_10:                              ;   in Loop: Header=BB70_7 Depth=1
	s_or_b64 exec, exec, s[4:5]
	v_add_u32_e32 v1, 0x100, v11
	v_cmp_gt_u32_e64 s[0:1], s12, v1
	s_and_saveexec_b64 s[4:5], s[0:1]
	s_cbranch_execz .LBB70_6
; %bb.11:                               ;   in Loop: Header=BB70_7 Depth=1
	v_add_u32_e32 v1, s19, v7
	v_lshlrev_b64 v[3:4], 3, v[1:2]
	v_mov_b32_e32 v1, s17
	v_add_co_u32_e64 v3, s[0:1], s11, v3
	v_addc_co_u32_e64 v4, s[0:1], v1, v4, s[0:1]
	global_load_dwordx2 v[3:4], v[3:4], off
	s_waitcnt vmcnt(0)
	v_cmp_o_f64_e64 s[0:1], v[3:4], v[3:4]
	v_ashrrev_i32_e32 v1, 31, v4
	v_or_b32_e32 v12, 0x80000000, v1
	v_xor_b32_e32 v12, v12, v4
	v_xor_b32_e32 v1, v1, v3
	v_cndmask_b32_e64 v4, -1, v12, s[0:1]
	v_cndmask_b32_e64 v3, -1, v1, s[0:1]
	v_xor_b32_e32 v12, s7, v4
	v_xor_b32_e32 v1, s6, v3
	v_and_b32_e32 v13, s9, v12
	v_and_b32_e32 v12, s8, v1
	v_cmp_eq_u64_e64 s[0:1], 0, v[12:13]
	s_and_b64 exec, exec, s[0:1]
	s_cbranch_execz .LBB70_6
; %bb.12:                               ;   in Loop: Header=BB70_7 Depth=1
	v_lshrrev_b64 v[3:4], s10, v[3:4]
	v_lshlrev_b32_sdwa v1, v10, v3 dst_sel:DWORD dst_unused:UNUSED_PAD src0_sel:DWORD src1_sel:BYTE_0
	ds_add_u32 v1, v9
	s_branch .LBB70_6
.LBB70_13:
	s_lshl_b32 s1, s14, 8
.LBB70_14:
	s_bitcmp0_b32 s15, 0
	s_cbranch_scc1 .LBB70_19
; %bb.15:
	v_add_u32_e32 v1, s1, v6
	v_cmp_gt_u32_e64 s[0:1], s12, v1
	s_and_saveexec_b64 s[4:5], s[0:1]
	s_cbranch_execz .LBB70_18
; %bb.16:
	v_mul_lo_u32 v1, v1, s13
	v_mov_b32_e32 v2, 0
	v_mov_b32_e32 v3, s17
	v_lshlrev_b64 v[1:2], 3, v[1:2]
	v_add_co_u32_e64 v1, s[0:1], s11, v1
	v_addc_co_u32_e64 v2, s[0:1], v3, v2, s[0:1]
	global_load_dwordx2 v[1:2], v[1:2], off
	s_waitcnt vmcnt(0)
	v_cmp_o_f64_e64 s[0:1], v[1:2], v[1:2]
	v_ashrrev_i32_e32 v3, 31, v2
	v_or_b32_e32 v4, 0x80000000, v3
	v_xor_b32_e32 v4, v4, v2
	v_xor_b32_e32 v1, v3, v1
	v_cndmask_b32_e64 v2, -1, v4, s[0:1]
	v_cndmask_b32_e64 v1, -1, v1, s[0:1]
	v_xor_b32_e32 v3, s7, v2
	v_xor_b32_e32 v6, s6, v1
	v_and_b32_e32 v4, s9, v3
	v_and_b32_e32 v3, s8, v6
	v_cmp_eq_u64_e64 s[0:1], 0, v[3:4]
	s_and_b64 exec, exec, s[0:1]
	s_cbranch_execz .LBB70_18
; %bb.17:
	v_lshrrev_b64 v[1:2], s10, v[1:2]
	v_mov_b32_e32 v2, 2
	v_lshlrev_b32_sdwa v1, v2, v1 dst_sel:DWORD dst_unused:UNUSED_PAD src0_sel:DWORD src1_sel:BYTE_0
	v_mov_b32_e32 v2, 1
	ds_add_u32 v1, v2
.LBB70_18:
	s_or_b64 exec, exec, s[4:5]
.LBB70_19:
	s_waitcnt lgkmcnt(0)
	s_barrier
	s_and_saveexec_b64 s[0:1], vcc
	s_cbranch_execz .LBB70_21
; %bb.20:
	v_lshl_or_b32 v0, s16, 8, v0
	v_mov_b32_e32 v1, 0
	ds_read_b32 v3, v5
	v_lshlrev_b64 v[0:1], 1, v[0:1]
	v_mov_b32_e32 v2, s3
	v_add_co_u32_e32 v0, vcc, s2, v0
	v_addc_co_u32_e32 v1, vcc, v2, v1, vcc
	s_waitcnt lgkmcnt(0)
	global_store_short v[0:1], v3, off
.LBB70_21:
	s_endpgm
	.section	.rodata,"a",@progbits
	.p2align	6, 0x0
	.amdhsa_kernel _ZN2at6native6mbtopk23computeBlockDigitCountsIdjmLi2EEEvNS_4cuda6detail10TensorInfoIKT_T0_EEjPjjS8_iijT1_PSB_Ps
		.amdhsa_group_segment_fixed_size 1024
		.amdhsa_private_segment_fixed_size 0
		.amdhsa_kernarg_size 536
		.amdhsa_user_sgpr_count 6
		.amdhsa_user_sgpr_private_segment_buffer 1
		.amdhsa_user_sgpr_dispatch_ptr 0
		.amdhsa_user_sgpr_queue_ptr 0
		.amdhsa_user_sgpr_kernarg_segment_ptr 1
		.amdhsa_user_sgpr_dispatch_id 0
		.amdhsa_user_sgpr_flat_scratch_init 0
		.amdhsa_user_sgpr_private_segment_size 0
		.amdhsa_uses_dynamic_stack 0
		.amdhsa_system_sgpr_private_segment_wavefront_offset 0
		.amdhsa_system_sgpr_workgroup_id_x 1
		.amdhsa_system_sgpr_workgroup_id_y 1
		.amdhsa_system_sgpr_workgroup_id_z 1
		.amdhsa_system_sgpr_workgroup_info 0
		.amdhsa_system_vgpr_workitem_id 0
		.amdhsa_next_free_vgpr 14
		.amdhsa_next_free_sgpr 24
		.amdhsa_reserve_vcc 1
		.amdhsa_reserve_flat_scratch 0
		.amdhsa_float_round_mode_32 0
		.amdhsa_float_round_mode_16_64 0
		.amdhsa_float_denorm_mode_32 3
		.amdhsa_float_denorm_mode_16_64 3
		.amdhsa_dx10_clamp 1
		.amdhsa_ieee_mode 1
		.amdhsa_fp16_overflow 0
		.amdhsa_exception_fp_ieee_invalid_op 0
		.amdhsa_exception_fp_denorm_src 0
		.amdhsa_exception_fp_ieee_div_zero 0
		.amdhsa_exception_fp_ieee_overflow 0
		.amdhsa_exception_fp_ieee_underflow 0
		.amdhsa_exception_fp_ieee_inexact 0
		.amdhsa_exception_int_div_zero 0
	.end_amdhsa_kernel
	.section	.text._ZN2at6native6mbtopk23computeBlockDigitCountsIdjmLi2EEEvNS_4cuda6detail10TensorInfoIKT_T0_EEjPjjS8_iijT1_PSB_Ps,"axG",@progbits,_ZN2at6native6mbtopk23computeBlockDigitCountsIdjmLi2EEEvNS_4cuda6detail10TensorInfoIKT_T0_EEjPjjS8_iijT1_PSB_Ps,comdat
.Lfunc_end70:
	.size	_ZN2at6native6mbtopk23computeBlockDigitCountsIdjmLi2EEEvNS_4cuda6detail10TensorInfoIKT_T0_EEjPjjS8_iijT1_PSB_Ps, .Lfunc_end70-_ZN2at6native6mbtopk23computeBlockDigitCountsIdjmLi2EEEvNS_4cuda6detail10TensorInfoIKT_T0_EEjPjjS8_iijT1_PSB_Ps
                                        ; -- End function
	.set _ZN2at6native6mbtopk23computeBlockDigitCountsIdjmLi2EEEvNS_4cuda6detail10TensorInfoIKT_T0_EEjPjjS8_iijT1_PSB_Ps.num_vgpr, 14
	.set _ZN2at6native6mbtopk23computeBlockDigitCountsIdjmLi2EEEvNS_4cuda6detail10TensorInfoIKT_T0_EEjPjjS8_iijT1_PSB_Ps.num_agpr, 0
	.set _ZN2at6native6mbtopk23computeBlockDigitCountsIdjmLi2EEEvNS_4cuda6detail10TensorInfoIKT_T0_EEjPjjS8_iijT1_PSB_Ps.numbered_sgpr, 24
	.set _ZN2at6native6mbtopk23computeBlockDigitCountsIdjmLi2EEEvNS_4cuda6detail10TensorInfoIKT_T0_EEjPjjS8_iijT1_PSB_Ps.num_named_barrier, 0
	.set _ZN2at6native6mbtopk23computeBlockDigitCountsIdjmLi2EEEvNS_4cuda6detail10TensorInfoIKT_T0_EEjPjjS8_iijT1_PSB_Ps.private_seg_size, 0
	.set _ZN2at6native6mbtopk23computeBlockDigitCountsIdjmLi2EEEvNS_4cuda6detail10TensorInfoIKT_T0_EEjPjjS8_iijT1_PSB_Ps.uses_vcc, 1
	.set _ZN2at6native6mbtopk23computeBlockDigitCountsIdjmLi2EEEvNS_4cuda6detail10TensorInfoIKT_T0_EEjPjjS8_iijT1_PSB_Ps.uses_flat_scratch, 0
	.set _ZN2at6native6mbtopk23computeBlockDigitCountsIdjmLi2EEEvNS_4cuda6detail10TensorInfoIKT_T0_EEjPjjS8_iijT1_PSB_Ps.has_dyn_sized_stack, 0
	.set _ZN2at6native6mbtopk23computeBlockDigitCountsIdjmLi2EEEvNS_4cuda6detail10TensorInfoIKT_T0_EEjPjjS8_iijT1_PSB_Ps.has_recursion, 0
	.set _ZN2at6native6mbtopk23computeBlockDigitCountsIdjmLi2EEEvNS_4cuda6detail10TensorInfoIKT_T0_EEjPjjS8_iijT1_PSB_Ps.has_indirect_call, 0
	.section	.AMDGPU.csdata,"",@progbits
; Kernel info:
; codeLenInByte = 1144
; TotalNumSgprs: 28
; NumVgprs: 14
; ScratchSize: 0
; MemoryBound: 0
; FloatMode: 240
; IeeeMode: 1
; LDSByteSize: 1024 bytes/workgroup (compile time only)
; SGPRBlocks: 3
; VGPRBlocks: 3
; NumSGPRsForWavesPerEU: 28
; NumVGPRsForWavesPerEU: 14
; Occupancy: 10
; WaveLimiterHint : 1
; COMPUTE_PGM_RSRC2:SCRATCH_EN: 0
; COMPUTE_PGM_RSRC2:USER_SGPR: 6
; COMPUTE_PGM_RSRC2:TRAP_HANDLER: 0
; COMPUTE_PGM_RSRC2:TGID_X_EN: 1
; COMPUTE_PGM_RSRC2:TGID_Y_EN: 1
; COMPUTE_PGM_RSRC2:TGID_Z_EN: 1
; COMPUTE_PGM_RSRC2:TIDIG_COMP_CNT: 0
	.section	.text._ZN2at6native6mbtopk10gatherTopKIdjLi2EEEvNS_4cuda6detail10TensorInfoIKT_T0_EES8_S8_bjS8_NS5_IS6_S8_EES8_NS5_IlS8_EES8_jjPS6_PjSD_j,"axG",@progbits,_ZN2at6native6mbtopk10gatherTopKIdjLi2EEEvNS_4cuda6detail10TensorInfoIKT_T0_EES8_S8_bjS8_NS5_IS6_S8_EES8_NS5_IlS8_EES8_jjPS6_PjSD_j,comdat
	.protected	_ZN2at6native6mbtopk10gatherTopKIdjLi2EEEvNS_4cuda6detail10TensorInfoIKT_T0_EES8_S8_bjS8_NS5_IS6_S8_EES8_NS5_IlS8_EES8_jjPS6_PjSD_j ; -- Begin function _ZN2at6native6mbtopk10gatherTopKIdjLi2EEEvNS_4cuda6detail10TensorInfoIKT_T0_EES8_S8_bjS8_NS5_IS6_S8_EES8_NS5_IlS8_EES8_jjPS6_PjSD_j
	.globl	_ZN2at6native6mbtopk10gatherTopKIdjLi2EEEvNS_4cuda6detail10TensorInfoIKT_T0_EES8_S8_bjS8_NS5_IS6_S8_EES8_NS5_IlS8_EES8_jjPS6_PjSD_j
	.p2align	8
	.type	_ZN2at6native6mbtopk10gatherTopKIdjLi2EEEvNS_4cuda6detail10TensorInfoIKT_T0_EES8_S8_bjS8_NS5_IS6_S8_EES8_NS5_IlS8_EES8_jjPS6_PjSD_j,@function
_ZN2at6native6mbtopk10gatherTopKIdjLi2EEEvNS_4cuda6detail10TensorInfoIKT_T0_EES8_S8_bjS8_NS5_IS6_S8_EES8_NS5_IlS8_EES8_jjPS6_PjSD_j: ; @_ZN2at6native6mbtopk10gatherTopKIdjLi2EEEvNS_4cuda6detail10TensorInfoIKT_T0_EES8_S8_bjS8_NS5_IS6_S8_EES8_NS5_IlS8_EES8_jjPS6_PjSD_j
; %bb.0:
	s_load_dwordx2 s[0:1], s[4:5], 0x2d8
	s_load_dword s2, s[4:5], 0x2d0
	s_waitcnt lgkmcnt(0)
	s_mul_i32 s1, s1, s8
	s_add_i32 s1, s1, s7
	s_mul_i32 s0, s1, s0
	s_add_i32 s0, s0, s6
	s_cmp_ge_u32 s0, s2
	s_cbranch_scc1 .LBB71_40
; %bb.1:
	s_load_dwordx8 s[8:15], s[4:5], 0x2a8
	s_load_dwordx2 s[20:21], s[4:5], 0x23c
	s_load_dword s33, s[4:5], 0x1dc
	s_load_dwordx2 s[6:7], s[4:5], 0x1d0
	s_load_dwordx2 s[28:29], s[4:5], 0x15c
	s_load_dword s42, s[4:5], 0xfc
	s_load_dwordx2 s[22:23], s[4:5], 0xf0
	s_load_dwordx2 s[30:31], s[4:5], 0x6c
	;; [unrolled: 1-line block ×3, first 2 shown]
	s_load_dword s43, s[4:5], 0xc
	s_mov_b32 s27, 0
	s_waitcnt lgkmcnt(0)
	v_cvt_f32_u32_e32 v1, s10
	s_sub_i32 s1, 0, s10
	v_cvt_f32_u32_e32 v2, s43
	v_rcp_iflag_f32_e32 v1, v1
	v_mul_f32_e32 v1, 0x4f7ffffe, v1
	v_cvt_u32_f32_e32 v1, v1
	v_readfirstlane_b32 s2, v1
	s_mul_i32 s1, s1, s2
	s_mul_hi_u32 s1, s2, s1
	s_add_i32 s2, s2, s1
	v_rcp_iflag_f32_e32 v1, v2
	s_mul_hi_u32 s1, s0, s2
	s_mul_i32 s2, s1, s10
	s_sub_i32 s2, s0, s2
	s_add_i32 s3, s1, 1
	s_sub_i32 s11, s2, s10
	v_mul_f32_e32 v1, 0x4f7ffffe, v1
	s_cmp_ge_u32 s2, s10
	v_cvt_u32_f32_e32 v1, v1
	v_cvt_f32_u32_e32 v2, s42
	s_cselect_b32 s1, s3, s1
	s_cselect_b32 s2, s11, s2
	s_add_i32 s3, s1, 1
	s_cmp_ge_u32 s2, s10
	s_cselect_b32 s26, s3, s1
	v_readfirstlane_b32 s1, v1
	v_rcp_iflag_f32_e32 v1, v2
	v_cvt_f32_u32_e32 v2, s33
	s_mul_i32 s16, s26, s10
	s_sub_i32 s11, s0, s16
	v_mul_f32_e32 v1, 0x4f7ffffe, v1
	s_sub_i32 s0, 0, s43
	v_cvt_u32_f32_e32 v1, v1
	v_rcp_iflag_f32_e32 v2, v2
	s_mul_i32 s0, s0, s1
	s_mul_hi_u32 s0, s1, s0
	s_add_i32 s1, s1, s0
	s_mul_hi_u32 s45, s26, s1
	v_readfirstlane_b32 s1, v1
	v_mul_f32_e32 v1, 0x4f7ffffe, v2
	v_cvt_u32_f32_e32 v1, v1
	s_sub_i32 s0, 0, s42
	s_mul_i32 s0, s0, s1
	s_mul_hi_u32 s0, s1, s0
	s_add_i32 s2, s1, s0
	s_sub_i32 s0, 0, s33
	v_readfirstlane_b32 s1, v1
	s_mul_i32 s0, s0, s1
	s_mul_hi_u32 s0, s1, s0
	s_add_i32 s3, s1, s0
	s_lshl_b64 s[0:1], s[26:27], 3
	s_add_u32 s0, s12, s0
	s_addc_u32 s1, s13, s1
	s_load_dwordx2 s[34:35], s[0:1], 0x0
	s_mul_hi_u32 s46, s26, s2
	s_mul_hi_u32 s44, s26, s3
	v_cmp_ne_u32_e64 s[0:1], 0, v0
	v_cmp_eq_u32_e64 s[2:3], 0, v0
	s_and_saveexec_b64 s[12:13], s[2:3]
	s_cbranch_execz .LBB71_17
; %bb.2:
	s_load_dwordx2 s[36:37], s[4:5], 0x2c8
	s_mov_b32 s17, s27
	s_lshl_b64 s[38:39], s[16:17], 2
	s_add_u32 s16, s14, s38
	s_addc_u32 s17, s15, s39
	s_waitcnt lgkmcnt(0)
	s_add_u32 s18, s36, s38
	s_addc_u32 s19, s37, s39
	s_cmp_lt_u32 s10, 4
	s_cbranch_scc1 .LBB71_14
; %bb.3:
	s_mov_b32 s47, s27
	s_mov_b32 s48, s27
	;; [unrolled: 1-line block ×3, first 2 shown]
.LBB71_4:                               ; =>This Inner Loop Header: Depth=1
	s_add_u32 s40, s14, s38
	s_addc_u32 s41, s15, s39
	s_load_dwordx4 s[16:19], s[40:41], 0x0
	s_add_u32 s40, s36, s38
	s_addc_u32 s41, s37, s39
	s_cmp_ge_u32 s49, s11
	s_cbranch_scc0 .LBB71_11
; %bb.5:                                ;   in Loop: Header=BB71_4 Depth=1
	s_add_i32 s50, s49, 1
	s_cmp_ge_u32 s50, s11
	s_cbranch_scc0 .LBB71_12
.LBB71_6:                               ;   in Loop: Header=BB71_4 Depth=1
	s_add_i32 s50, s50, 1
	s_cmp_ge_u32 s50, s11
	s_cbranch_scc0 .LBB71_13
.LBB71_7:                               ;   in Loop: Header=BB71_4 Depth=1
	s_add_i32 s50, s50, 1
	s_cmp_ge_u32 s50, s11
	s_cbranch_scc1 .LBB71_9
.LBB71_8:                               ;   in Loop: Header=BB71_4 Depth=1
	s_load_dword s40, s[40:41], 0xc
	s_waitcnt lgkmcnt(0)
	s_add_i32 s27, s27, s19
	s_add_i32 s47, s40, s47
.LBB71_9:                               ;   in Loop: Header=BB71_4 Depth=1
	s_waitcnt lgkmcnt(0)
	s_add_i32 s16, s16, s48
	s_add_i32 s16, s16, s17
	s_add_i32 s16, s16, s18
	s_add_i32 s48, s16, s19
	s_add_u32 s14, s14, 16
	s_addc_u32 s15, s15, 0
	s_add_u32 s36, s36, 16
	s_addc_u32 s37, s37, 0
	s_add_i32 s41, s50, 4
	s_add_u32 s18, s36, s38
	s_addc_u32 s19, s37, s39
	s_add_u32 s16, s14, s38
	s_addc_u32 s17, s15, s39
	s_add_i32 s40, s50, 1
	s_cmp_ge_u32 s41, s10
	s_cbranch_scc1 .LBB71_15
; %bb.10:                               ;   in Loop: Header=BB71_4 Depth=1
	s_mov_b32 s49, s40
	s_branch .LBB71_4
.LBB71_11:                              ;   in Loop: Header=BB71_4 Depth=1
	s_load_dword s50, s[40:41], 0x0
	s_waitcnt lgkmcnt(0)
	s_add_i32 s27, s16, s27
	s_add_i32 s47, s50, s47
	;; [unrolled: 1-line block ×3, first 2 shown]
	s_cmp_ge_u32 s50, s11
	s_cbranch_scc1 .LBB71_6
.LBB71_12:                              ;   in Loop: Header=BB71_4 Depth=1
	s_load_dword s51, s[40:41], 0x4
	s_waitcnt lgkmcnt(0)
	s_add_i32 s27, s27, s17
	s_add_i32 s47, s51, s47
	s_add_i32 s50, s50, 1
	s_cmp_ge_u32 s50, s11
	s_cbranch_scc1 .LBB71_7
.LBB71_13:                              ;   in Loop: Header=BB71_4 Depth=1
	s_load_dword s51, s[40:41], 0x8
	s_waitcnt lgkmcnt(0)
	s_add_i32 s27, s27, s18
	s_add_i32 s47, s51, s47
	;; [unrolled: 1-line block ×3, first 2 shown]
	s_cmp_ge_u32 s50, s11
	s_cbranch_scc0 .LBB71_8
	s_branch .LBB71_9
.LBB71_14:
	s_mov_b32 s47, 0
	s_mov_b32 s48, 0
	;; [unrolled: 1-line block ×3, first 2 shown]
	s_cmp_ge_u32 s14, s10
	s_cbranch_scc0 .LBB71_38
	s_branch .LBB71_16
.LBB71_15:
	s_add_i32 s14, s49, 4
	s_cmp_ge_u32 s14, s10
	s_cbranch_scc0 .LBB71_38
.LBB71_16:
	v_mov_b32_e32 v1, s47
	v_mov_b32_e32 v2, s48
	;; [unrolled: 1-line block ×4, first 2 shown]
	ds_write_b96 v4, v[1:3] offset:1056
.LBB71_17:
	s_or_b64 exec, exec, s[12:13]
	s_load_dwordx4 s[12:15], s[4:5], 0xd8
	s_waitcnt lgkmcnt(0)
	s_mul_i32 s15, s9, s11
	s_lshl_b32 s15, s15, 8
	s_add_i32 s18, s11, 1
	s_mov_b32 s11, 0
	s_sub_i32 s16, s12, s15
	s_add_u32 s16, s16, 0xff
	s_addc_u32 s17, 0, 0
	s_lshr_b64 s[16:17], s[16:17], 8
	s_cmp_lt_u32 s18, s10
	s_cselect_b32 s9, s9, s16
	s_cmp_eq_u32 s9, 0
	s_barrier
	s_cbranch_scc1 .LBB71_40
; %bb.18:
	s_mul_i32 s10, s45, s43
	s_sub_i32 s10, s26, s10
	s_add_i32 s16, s45, 1
	s_sub_i32 s17, s10, s43
	s_cmp_ge_u32 s10, s43
	s_cselect_b32 s16, s16, s45
	s_cselect_b32 s10, s17, s10
	s_add_i32 s17, s16, 1
	s_cmp_ge_u32 s10, s43
	s_cselect_b32 s10, s17, s16
	s_mul_i32 s16, s10, s43
	s_sub_i32 s16, s26, s16
	s_mul_i32 s16, s16, s31
	s_mul_i32 s10, s10, s30
	s_add_i32 s10, s10, s16
	s_mul_i32 s16, s46, s42
	s_sub_i32 s16, s26, s16
	s_add_i32 s17, s46, 1
	s_sub_i32 s18, s16, s42
	s_cmp_ge_u32 s16, s42
	s_cselect_b32 s17, s17, s46
	s_cselect_b32 s16, s18, s16
	s_add_i32 s18, s17, 1
	s_cmp_ge_u32 s16, s42
	s_cselect_b32 s16, s18, s17
	s_mul_i32 s17, s16, s42
	s_sub_i32 s17, s26, s17
	s_mul_i32 s17, s17, s29
	s_mul_i32 s16, s16, s28
	s_add_i32 s18, s16, s17
	;; [unrolled: 15-line block ×3, first 2 shown]
	s_lshl_b64 s[16:17], s[10:11], 3
	s_add_u32 s16, s24, s16
	s_mov_b32 s19, s11
	s_addc_u32 s17, s25, s17
	s_lshl_b64 s[18:19], s[18:19], 3
	s_add_u32 s18, s22, s18
	s_addc_u32 s19, s23, s19
	v_cmp_o_f64_e64 s[22:23], s[34:35], s[34:35]
	v_mov_b32_e32 v5, 0
	s_mov_b32 s21, s11
	ds_read_b96 v[1:3], v5 offset:1056
	s_lshl_b64 s[10:11], s[20:21], 3
	s_add_u32 s20, s6, s10
	s_addc_u32 s21, s7, s11
	s_ashr_i32 s6, s35, 31
	s_or_b32 s7, s6, 0x80000000
	s_xor_b64 s[6:7], s[6:7], s[34:35]
	s_waitcnt lgkmcnt(0)
	v_add_u32_e32 v2, v1, v2
	v_lshrrev_b32_e32 v1, 3, v0
	s_and_b64 s[10:11], s[22:23], exec
	v_and_b32_e32 v1, 28, v1
	s_cselect_b32 s11, s7, -1
	s_cselect_b32 s10, s6, -1
	s_bitcmp1_b32 s14, 0
	s_load_dword s14, s[4:5], 0xe8
	s_load_dword s22, s[4:5], 0x1c8
	v_lshl_add_u32 v8, v0, 2, v1
	v_lshrrev_b32_e32 v1, 1, v0
	v_and_b32_e32 v9, 0x7c, v1
	v_add_u32_e32 v1, -1, v0
	v_lshrrev_b32_e32 v4, 3, v1
	v_cmp_gt_u32_e64 s[4:5], 64, v0
	v_lshlrev_b32_e32 v10, 4, v0
	v_and_b32_e32 v4, 0x1ffffffc, v4
	v_add_u32_e32 v0, s15, v0
	v_lshl_add_u32 v11, v1, 2, v4
	s_waitcnt lgkmcnt(0)
	v_mul_lo_u32 v4, s14, v0
	v_mbcnt_lo_u32_b32 v1, -1, 0
	s_cselect_b64 s[6:7], -1, 0
	s_lshl_b32 s23, s14, 8
	v_mbcnt_hi_u32_b32 v12, -1, v1
                                        ; implicit-def: $vgpr6_vgpr7
	s_branch .LBB71_21
.LBB71_19:                              ;   in Loop: Header=BB71_21 Depth=1
	s_or_b64 exec, exec, s[14:15]
	v_add_u32_e32 v2, v15, v2
.LBB71_20:                              ;   in Loop: Header=BB71_21 Depth=1
	s_add_i32 s9, s9, -1
	v_add_u32_e32 v3, v14, v3
	v_add_u32_e32 v4, s23, v4
	s_cmp_lg_u32 s9, 0
	v_add_u32_e32 v0, 0x100, v0
	s_cbranch_scc0 .LBB71_40
.LBB71_21:                              ; =>This Inner Loop Header: Depth=1
	v_cmp_gt_u32_e32 vcc, s12, v0
	v_mov_b32_e32 v1, 0
	v_mov_b32_e32 v13, 0
	s_and_saveexec_b64 s[14:15], vcc
	s_cbranch_execz .LBB71_23
; %bb.22:                               ;   in Loop: Header=BB71_21 Depth=1
	v_lshlrev_b64 v[6:7], 3, v[4:5]
	v_mov_b32_e32 v1, s17
	v_add_co_u32_e32 v6, vcc, s16, v6
	v_addc_co_u32_e32 v7, vcc, v1, v7, vcc
	global_load_dwordx2 v[6:7], v[6:7], off
	s_waitcnt vmcnt(0)
	v_cmp_o_f64_e32 vcc, v[6:7], v[6:7]
	v_ashrrev_i32_e32 v1, 31, v7
	v_or_b32_e32 v13, 0x80000000, v1
	v_xor_b32_e32 v13, v13, v7
	v_xor_b32_e32 v1, v1, v6
	v_cndmask_b32_e32 v14, -1, v13, vcc
	v_cndmask_b32_e32 v13, -1, v1, vcc
	v_cmp_lt_u64_e32 vcc, s[10:11], v[13:14]
	v_cndmask_b32_e64 v1, 0, 1, vcc
	v_cmp_gt_u64_e32 vcc, s[10:11], v[13:14]
	v_cndmask_b32_e64 v15, 0, 1, vcc
	v_cmp_eq_u64_e32 vcc, s[10:11], v[13:14]
	v_cndmask_b32_e64 v1, v15, v1, s[6:7]
	v_and_b32_e32 v1, 1, v1
	v_cndmask_b32_e64 v13, 0, 1, vcc
.LBB71_23:                              ;   in Loop: Header=BB71_21 Depth=1
	s_or_b64 exec, exec, s[14:15]
	ds_write_b32 v8, v1
	s_waitcnt vmcnt(0) lgkmcnt(0)
	s_barrier
	s_and_saveexec_b64 s[14:15], s[4:5]
	s_cbranch_execz .LBB71_25
; %bb.24:                               ;   in Loop: Header=BB71_21 Depth=1
	v_add_u32_e32 v18, v9, v10
	ds_read2_b32 v[14:15], v18 offset1:1
	ds_read2_b32 v[16:17], v18 offset0:2 offset1:3
	v_and_b32_e32 v19, 15, v12
	v_cmp_ne_u32_e32 vcc, 0, v19
	s_waitcnt lgkmcnt(1)
	v_add_u32_e32 v15, v15, v14
	s_waitcnt lgkmcnt(0)
	v_add3_u32 v15, v15, v16, v17
	v_bfe_i32 v17, v12, 4, 1
	; wave barrier
	s_nop 0
	v_mov_b32_dpp v16, v15 row_shr:1 row_mask:0xf bank_mask:0xf
	v_cndmask_b32_e32 v16, 0, v16, vcc
	v_add_u32_e32 v15, v16, v15
	v_cmp_lt_u32_e32 vcc, 1, v19
	s_nop 0
	v_mov_b32_dpp v16, v15 row_shr:2 row_mask:0xf bank_mask:0xf
	v_cndmask_b32_e32 v16, 0, v16, vcc
	v_add_u32_e32 v15, v15, v16
	v_cmp_lt_u32_e32 vcc, 3, v19
	;; [unrolled: 5-line block ×4, first 2 shown]
	s_nop 0
	v_mov_b32_dpp v16, v15 row_bcast:15 row_mask:0xf bank_mask:0xf
	v_and_b32_e32 v16, v17, v16
	v_add_u32_e32 v15, v15, v16
	v_and_b32_e32 v17, 64, v12
	s_nop 0
	v_mov_b32_dpp v16, v15 row_bcast:31 row_mask:0xf bank_mask:0xf
	v_cndmask_b32_e32 v16, 0, v16, vcc
	v_add_u32_e32 v15, v15, v16
	v_add_u32_e32 v16, -1, v12
	v_cmp_lt_i32_e32 vcc, v16, v17
	v_cndmask_b32_e32 v16, v16, v12, vcc
	v_lshlrev_b32_e32 v16, 2, v16
	ds_bpermute_b32 v15, v16, v15
	s_waitcnt lgkmcnt(0)
	v_add_u32_e32 v14, v15, v14
	v_cndmask_b32_e64 v16, v14, v1, s[2:3]
	ds_write_b32 v18, v16
	; wave barrier
	ds_read2_b32 v[14:15], v18 offset0:1 offset1:2
	ds_read_b32 v17, v18 offset:12
	s_waitcnt lgkmcnt(1)
	v_add_u32_e32 v14, v14, v16
	v_add_u32_e32 v15, v15, v14
	ds_write2_b32 v18, v14, v15 offset0:1 offset1:2
	s_waitcnt lgkmcnt(1)
	v_add_u32_e32 v14, v17, v15
	ds_write_b32 v18, v14 offset:12
.LBB71_25:                              ;   in Loop: Header=BB71_21 Depth=1
	s_or_b64 exec, exec, s[14:15]
	v_mov_b32_e32 v15, 0
	s_waitcnt lgkmcnt(0)
	s_barrier
	s_and_saveexec_b64 s[14:15], s[0:1]
; %bb.26:                               ;   in Loop: Header=BB71_21 Depth=1
	ds_read_b32 v15, v11
; %bb.27:                               ;   in Loop: Header=BB71_21 Depth=1
	s_or_b64 exec, exec, s[14:15]
	ds_read_b32 v14, v5 offset:1048
	v_cmp_ne_u32_e32 vcc, 0, v1
	s_waitcnt lgkmcnt(0)
	s_barrier
	s_and_saveexec_b64 s[14:15], vcc
	s_cbranch_execz .LBB71_29
; %bb.28:                               ;   in Loop: Header=BB71_21 Depth=1
	v_add_u32_e32 v1, v15, v3
	v_mul_lo_u32 v15, v1, s22
	v_mov_b32_e32 v16, v5
	v_mov_b32_e32 v17, s19
	;; [unrolled: 1-line block ×3, first 2 shown]
	v_lshlrev_b64 v[15:16], 3, v[15:16]
	v_add_co_u32_e32 v15, vcc, s18, v15
	v_addc_co_u32_e32 v16, vcc, v17, v16, vcc
	v_mul_lo_u32 v17, v1, s8
	global_store_dwordx2 v[15:16], v[6:7], off
	v_mov_b32_e32 v1, v5
	v_lshlrev_b64 v[15:16], 3, v[17:18]
	v_mov_b32_e32 v17, s21
	v_add_co_u32_e32 v15, vcc, s20, v15
	v_addc_co_u32_e32 v16, vcc, v17, v16, vcc
	global_store_dwordx2 v[15:16], v[0:1], off
.LBB71_29:                              ;   in Loop: Header=BB71_21 Depth=1
	s_or_b64 exec, exec, s[14:15]
	v_cmp_le_u32_e32 vcc, s13, v2
	s_cbranch_vccnz .LBB71_20
; %bb.30:                               ;   in Loop: Header=BB71_21 Depth=1
	ds_write_b32 v8, v13
	s_waitcnt vmcnt(0) lgkmcnt(0)
	s_barrier
	s_and_saveexec_b64 s[14:15], s[4:5]
	s_cbranch_execz .LBB71_32
; %bb.31:                               ;   in Loop: Header=BB71_21 Depth=1
	v_add_u32_e32 v1, v9, v10
	ds_read2_b32 v[15:16], v1 offset1:1
	ds_read2_b32 v[17:18], v1 offset0:2 offset1:3
	v_and_b32_e32 v19, 15, v12
	v_cmp_ne_u32_e32 vcc, 0, v19
	s_waitcnt lgkmcnt(1)
	v_add_u32_e32 v16, v16, v15
	s_waitcnt lgkmcnt(0)
	v_add3_u32 v16, v16, v17, v18
	v_bfe_i32 v18, v12, 4, 1
	; wave barrier
	s_nop 0
	v_mov_b32_dpp v17, v16 row_shr:1 row_mask:0xf bank_mask:0xf
	v_cndmask_b32_e32 v17, 0, v17, vcc
	v_add_u32_e32 v16, v17, v16
	v_cmp_lt_u32_e32 vcc, 1, v19
	s_nop 0
	v_mov_b32_dpp v17, v16 row_shr:2 row_mask:0xf bank_mask:0xf
	v_cndmask_b32_e32 v17, 0, v17, vcc
	v_add_u32_e32 v16, v16, v17
	v_cmp_lt_u32_e32 vcc, 3, v19
	s_nop 0
	v_mov_b32_dpp v17, v16 row_shr:4 row_mask:0xf bank_mask:0xf
	v_cndmask_b32_e32 v17, 0, v17, vcc
	v_add_u32_e32 v16, v16, v17
	v_cmp_lt_u32_e32 vcc, 7, v19
	s_nop 0
	v_mov_b32_dpp v17, v16 row_shr:8 row_mask:0xf bank_mask:0xf
	v_cndmask_b32_e32 v17, 0, v17, vcc
	v_add_u32_e32 v16, v16, v17
	v_cmp_lt_u32_e32 vcc, 31, v12
	s_nop 0
	v_mov_b32_dpp v17, v16 row_bcast:15 row_mask:0xf bank_mask:0xf
	v_and_b32_e32 v17, v18, v17
	v_add_u32_e32 v16, v16, v17
	v_and_b32_e32 v18, 64, v12
	s_nop 0
	v_mov_b32_dpp v17, v16 row_bcast:31 row_mask:0xf bank_mask:0xf
	v_cndmask_b32_e32 v17, 0, v17, vcc
	v_add_u32_e32 v16, v16, v17
	v_add_u32_e32 v17, -1, v12
	v_cmp_lt_i32_e32 vcc, v17, v18
	v_cndmask_b32_e32 v17, v17, v12, vcc
	v_lshlrev_b32_e32 v17, 2, v17
	ds_bpermute_b32 v16, v17, v16
	s_waitcnt lgkmcnt(0)
	v_add_u32_e32 v15, v16, v15
	v_cndmask_b32_e64 v17, v15, v13, s[2:3]
	ds_write_b32 v1, v17
	; wave barrier
	ds_read2_b32 v[15:16], v1 offset0:1 offset1:2
	ds_read_b32 v18, v1 offset:12
	s_waitcnt lgkmcnt(1)
	v_add_u32_e32 v15, v15, v17
	v_add_u32_e32 v16, v16, v15
	ds_write2_b32 v1, v15, v16 offset0:1 offset1:2
	s_waitcnt lgkmcnt(1)
	v_add_u32_e32 v15, v18, v16
	ds_write_b32 v1, v15 offset:12
.LBB71_32:                              ;   in Loop: Header=BB71_21 Depth=1
	s_or_b64 exec, exec, s[14:15]
	v_mov_b32_e32 v1, 0
	s_waitcnt lgkmcnt(0)
	s_barrier
	s_and_saveexec_b64 s[14:15], s[0:1]
; %bb.33:                               ;   in Loop: Header=BB71_21 Depth=1
	ds_read_b32 v1, v11
; %bb.34:                               ;   in Loop: Header=BB71_21 Depth=1
	s_or_b64 exec, exec, s[14:15]
	ds_read_b32 v15, v5 offset:1048
	v_cmp_ne_u32_e32 vcc, 0, v13
	s_waitcnt lgkmcnt(0)
	s_barrier
	s_and_saveexec_b64 s[14:15], vcc
	s_cbranch_execz .LBB71_19
; %bb.35:                               ;   in Loop: Header=BB71_21 Depth=1
	v_add_u32_e32 v1, v1, v2
	v_cmp_gt_u32_e32 vcc, s13, v1
	s_and_b64 exec, exec, vcc
	s_cbranch_execz .LBB71_19
; %bb.36:                               ;   in Loop: Header=BB71_21 Depth=1
	v_mul_lo_u32 v16, v1, s22
	v_mov_b32_e32 v17, v5
	v_mul_lo_u32 v18, v1, s8
	v_mov_b32_e32 v13, s19
	v_lshlrev_b64 v[16:17], 3, v[16:17]
	v_mov_b32_e32 v19, v5
	v_add_co_u32_e32 v16, vcc, s18, v16
	v_addc_co_u32_e32 v17, vcc, v13, v17, vcc
	global_store_dwordx2 v[16:17], v[6:7], off
	v_lshlrev_b64 v[16:17], 3, v[18:19]
	v_mov_b32_e32 v13, s21
	v_add_co_u32_e32 v16, vcc, s20, v16
	v_mov_b32_e32 v1, v5
	v_addc_co_u32_e32 v17, vcc, v13, v17, vcc
	global_store_dwordx2 v[16:17], v[0:1], off
	s_branch .LBB71_19
.LBB71_37:                              ;   in Loop: Header=BB71_38 Depth=1
	s_add_u32 s16, s16, 4
	s_addc_u32 s17, s17, 0
	s_waitcnt lgkmcnt(0)
	s_add_i32 s48, s15, s48
	s_add_u32 s18, s18, 4
	s_addc_u32 s19, s19, 0
	s_add_i32 s14, s14, 1
	s_cmp_lt_u32 s14, s10
	s_cbranch_scc0 .LBB71_16
.LBB71_38:                              ; =>This Inner Loop Header: Depth=1
	s_load_dword s15, s[16:17], 0x0
	s_cmp_ge_u32 s14, s11
	s_cbranch_scc1 .LBB71_37
; %bb.39:                               ;   in Loop: Header=BB71_38 Depth=1
	s_load_dword s36, s[18:19], 0x0
	s_waitcnt lgkmcnt(0)
	s_add_i32 s27, s15, s27
	s_add_i32 s47, s36, s47
	s_branch .LBB71_37
.LBB71_40:
	s_endpgm
	.section	.rodata,"a",@progbits
	.p2align	6, 0x0
	.amdhsa_kernel _ZN2at6native6mbtopk10gatherTopKIdjLi2EEEvNS_4cuda6detail10TensorInfoIKT_T0_EES8_S8_bjS8_NS5_IS6_S8_EES8_NS5_IlS8_EES8_jjPS6_PjSD_j
		.amdhsa_group_segment_fixed_size 1068
		.amdhsa_private_segment_fixed_size 0
		.amdhsa_kernarg_size 984
		.amdhsa_user_sgpr_count 6
		.amdhsa_user_sgpr_private_segment_buffer 1
		.amdhsa_user_sgpr_dispatch_ptr 0
		.amdhsa_user_sgpr_queue_ptr 0
		.amdhsa_user_sgpr_kernarg_segment_ptr 1
		.amdhsa_user_sgpr_dispatch_id 0
		.amdhsa_user_sgpr_flat_scratch_init 0
		.amdhsa_user_sgpr_private_segment_size 0
		.amdhsa_uses_dynamic_stack 0
		.amdhsa_system_sgpr_private_segment_wavefront_offset 0
		.amdhsa_system_sgpr_workgroup_id_x 1
		.amdhsa_system_sgpr_workgroup_id_y 1
		.amdhsa_system_sgpr_workgroup_id_z 1
		.amdhsa_system_sgpr_workgroup_info 0
		.amdhsa_system_vgpr_workitem_id 0
		.amdhsa_next_free_vgpr 20
		.amdhsa_next_free_sgpr 52
		.amdhsa_reserve_vcc 1
		.amdhsa_reserve_flat_scratch 0
		.amdhsa_float_round_mode_32 0
		.amdhsa_float_round_mode_16_64 0
		.amdhsa_float_denorm_mode_32 3
		.amdhsa_float_denorm_mode_16_64 3
		.amdhsa_dx10_clamp 1
		.amdhsa_ieee_mode 1
		.amdhsa_fp16_overflow 0
		.amdhsa_exception_fp_ieee_invalid_op 0
		.amdhsa_exception_fp_denorm_src 0
		.amdhsa_exception_fp_ieee_div_zero 0
		.amdhsa_exception_fp_ieee_overflow 0
		.amdhsa_exception_fp_ieee_underflow 0
		.amdhsa_exception_fp_ieee_inexact 0
		.amdhsa_exception_int_div_zero 0
	.end_amdhsa_kernel
	.section	.text._ZN2at6native6mbtopk10gatherTopKIdjLi2EEEvNS_4cuda6detail10TensorInfoIKT_T0_EES8_S8_bjS8_NS5_IS6_S8_EES8_NS5_IlS8_EES8_jjPS6_PjSD_j,"axG",@progbits,_ZN2at6native6mbtopk10gatherTopKIdjLi2EEEvNS_4cuda6detail10TensorInfoIKT_T0_EES8_S8_bjS8_NS5_IS6_S8_EES8_NS5_IlS8_EES8_jjPS6_PjSD_j,comdat
.Lfunc_end71:
	.size	_ZN2at6native6mbtopk10gatherTopKIdjLi2EEEvNS_4cuda6detail10TensorInfoIKT_T0_EES8_S8_bjS8_NS5_IS6_S8_EES8_NS5_IlS8_EES8_jjPS6_PjSD_j, .Lfunc_end71-_ZN2at6native6mbtopk10gatherTopKIdjLi2EEEvNS_4cuda6detail10TensorInfoIKT_T0_EES8_S8_bjS8_NS5_IS6_S8_EES8_NS5_IlS8_EES8_jjPS6_PjSD_j
                                        ; -- End function
	.set _ZN2at6native6mbtopk10gatherTopKIdjLi2EEEvNS_4cuda6detail10TensorInfoIKT_T0_EES8_S8_bjS8_NS5_IS6_S8_EES8_NS5_IlS8_EES8_jjPS6_PjSD_j.num_vgpr, 20
	.set _ZN2at6native6mbtopk10gatherTopKIdjLi2EEEvNS_4cuda6detail10TensorInfoIKT_T0_EES8_S8_bjS8_NS5_IS6_S8_EES8_NS5_IlS8_EES8_jjPS6_PjSD_j.num_agpr, 0
	.set _ZN2at6native6mbtopk10gatherTopKIdjLi2EEEvNS_4cuda6detail10TensorInfoIKT_T0_EES8_S8_bjS8_NS5_IS6_S8_EES8_NS5_IlS8_EES8_jjPS6_PjSD_j.numbered_sgpr, 52
	.set _ZN2at6native6mbtopk10gatherTopKIdjLi2EEEvNS_4cuda6detail10TensorInfoIKT_T0_EES8_S8_bjS8_NS5_IS6_S8_EES8_NS5_IlS8_EES8_jjPS6_PjSD_j.num_named_barrier, 0
	.set _ZN2at6native6mbtopk10gatherTopKIdjLi2EEEvNS_4cuda6detail10TensorInfoIKT_T0_EES8_S8_bjS8_NS5_IS6_S8_EES8_NS5_IlS8_EES8_jjPS6_PjSD_j.private_seg_size, 0
	.set _ZN2at6native6mbtopk10gatherTopKIdjLi2EEEvNS_4cuda6detail10TensorInfoIKT_T0_EES8_S8_bjS8_NS5_IS6_S8_EES8_NS5_IlS8_EES8_jjPS6_PjSD_j.uses_vcc, 1
	.set _ZN2at6native6mbtopk10gatherTopKIdjLi2EEEvNS_4cuda6detail10TensorInfoIKT_T0_EES8_S8_bjS8_NS5_IS6_S8_EES8_NS5_IlS8_EES8_jjPS6_PjSD_j.uses_flat_scratch, 0
	.set _ZN2at6native6mbtopk10gatherTopKIdjLi2EEEvNS_4cuda6detail10TensorInfoIKT_T0_EES8_S8_bjS8_NS5_IS6_S8_EES8_NS5_IlS8_EES8_jjPS6_PjSD_j.has_dyn_sized_stack, 0
	.set _ZN2at6native6mbtopk10gatherTopKIdjLi2EEEvNS_4cuda6detail10TensorInfoIKT_T0_EES8_S8_bjS8_NS5_IS6_S8_EES8_NS5_IlS8_EES8_jjPS6_PjSD_j.has_recursion, 0
	.set _ZN2at6native6mbtopk10gatherTopKIdjLi2EEEvNS_4cuda6detail10TensorInfoIKT_T0_EES8_S8_bjS8_NS5_IS6_S8_EES8_NS5_IlS8_EES8_jjPS6_PjSD_j.has_indirect_call, 0
	.section	.AMDGPU.csdata,"",@progbits
; Kernel info:
; codeLenInByte = 2476
; TotalNumSgprs: 56
; NumVgprs: 20
; ScratchSize: 0
; MemoryBound: 0
; FloatMode: 240
; IeeeMode: 1
; LDSByteSize: 1068 bytes/workgroup (compile time only)
; SGPRBlocks: 6
; VGPRBlocks: 4
; NumSGPRsForWavesPerEU: 56
; NumVGPRsForWavesPerEU: 20
; Occupancy: 10
; WaveLimiterHint : 1
; COMPUTE_PGM_RSRC2:SCRATCH_EN: 0
; COMPUTE_PGM_RSRC2:USER_SGPR: 6
; COMPUTE_PGM_RSRC2:TRAP_HANDLER: 0
; COMPUTE_PGM_RSRC2:TGID_X_EN: 1
; COMPUTE_PGM_RSRC2:TGID_Y_EN: 1
; COMPUTE_PGM_RSRC2:TGID_Z_EN: 1
; COMPUTE_PGM_RSRC2:TIDIG_COMP_CNT: 0
	.section	.text._ZN2at6native6sbtopk10gatherTopKIdjLi2ELb0EEEvNS_4cuda6detail10TensorInfoIKT_T0_EES8_S8_bS8_S8_NS5_IS6_S8_EES8_NS5_IlS8_EES8_PS6_,"axG",@progbits,_ZN2at6native6sbtopk10gatherTopKIdjLi2ELb0EEEvNS_4cuda6detail10TensorInfoIKT_T0_EES8_S8_bS8_S8_NS5_IS6_S8_EES8_NS5_IlS8_EES8_PS6_,comdat
	.protected	_ZN2at6native6sbtopk10gatherTopKIdjLi2ELb0EEEvNS_4cuda6detail10TensorInfoIKT_T0_EES8_S8_bS8_S8_NS5_IS6_S8_EES8_NS5_IlS8_EES8_PS6_ ; -- Begin function _ZN2at6native6sbtopk10gatherTopKIdjLi2ELb0EEEvNS_4cuda6detail10TensorInfoIKT_T0_EES8_S8_bS8_S8_NS5_IS6_S8_EES8_NS5_IlS8_EES8_PS6_
	.globl	_ZN2at6native6sbtopk10gatherTopKIdjLi2ELb0EEEvNS_4cuda6detail10TensorInfoIKT_T0_EES8_S8_bS8_S8_NS5_IS6_S8_EES8_NS5_IlS8_EES8_PS6_
	.p2align	8
	.type	_ZN2at6native6sbtopk10gatherTopKIdjLi2ELb0EEEvNS_4cuda6detail10TensorInfoIKT_T0_EES8_S8_bS8_S8_NS5_IS6_S8_EES8_NS5_IlS8_EES8_PS6_,@function
_ZN2at6native6sbtopk10gatherTopKIdjLi2ELb0EEEvNS_4cuda6detail10TensorInfoIKT_T0_EES8_S8_bS8_S8_NS5_IS6_S8_EES8_NS5_IlS8_EES8_PS6_: ; @_ZN2at6native6sbtopk10gatherTopKIdjLi2ELb0EEEvNS_4cuda6detail10TensorInfoIKT_T0_EES8_S8_bS8_S8_NS5_IS6_S8_EES8_NS5_IlS8_EES8_PS6_
; %bb.0:
	s_load_dwordx2 s[14:15], s[4:5], 0x2b8
	s_load_dwordx4 s[28:31], s[4:5], 0xd8
	s_mov_b64 s[16:17], s[4:5]
	s_add_u32 s12, s16, 0x2b8
	s_addc_u32 s13, s17, 0
	s_waitcnt lgkmcnt(0)
	s_mul_i32 s0, s15, s8
	s_add_i32 s0, s0, s7
	s_mul_i32 s0, s0, s14
	s_add_i32 s15, s0, s6
	s_cmp_ge_u32 s15, s31
	s_cbranch_scc1 .LBB72_412
; %bb.1:
	s_load_dword s4, s[16:17], 0xc
	s_load_dword s0, s[16:17], 0xe8
	s_load_dwordx2 s[8:9], s[16:17], 0x23c
                                        ; implicit-def: $vgpr47 : SGPR spill to VGPR lane
	s_mov_b32 s41, 0
	s_waitcnt lgkmcnt(0)
	v_cvt_f32_u32_e32 v1, s4
	v_writelane_b32 v47, s0, 0
	s_load_dwordx2 s[2:3], s[16:17], 0x6c
	s_load_dwordx2 s[0:1], s[16:17], 0x0
	s_load_dword s10, s[16:17], 0x1dc
	s_load_dword s11, s[16:17], 0xfc
	v_writelane_b32 v47, s8, 1
	v_writelane_b32 v47, s9, 2
	s_load_dwordx2 s[8:9], s[16:17], 0x1d0
	v_rcp_iflag_f32_e32 v1, v1
	s_waitcnt lgkmcnt(0)
	v_cvt_f32_u32_e32 v2, s11
	s_sub_i32 s5, 0, s4
	v_writelane_b32 v47, s8, 3
	v_mul_f32_e32 v1, 0x4f7ffffe, v1
	v_writelane_b32 v47, s9, 4
	s_load_dwordx2 s[8:9], s[16:17], 0x15c
	v_cvt_u32_f32_e32 v1, v1
	v_rcp_iflag_f32_e32 v2, v2
	v_readfirstlane_b32 s7, v1
	v_mul_f32_e32 v1, 0x4f7ffffe, v2
	v_cvt_f32_u32_e32 v2, s10
	s_waitcnt lgkmcnt(0)
	v_writelane_b32 v47, s8, 5
	v_writelane_b32 v47, s9, 6
	s_load_dwordx2 s[8:9], s[16:17], 0xf0
	v_cvt_u32_f32_e32 v1, v1
	v_rcp_iflag_f32_e32 v2, v2
	s_mul_i32 s5, s5, s7
	s_mul_hi_u32 s5, s7, s5
	s_waitcnt lgkmcnt(0)
	v_writelane_b32 v47, s8, 7
	s_add_i32 s7, s7, s5
	v_writelane_b32 v47, s9, 8
	s_mul_hi_u32 s5, s15, s7
	s_sub_i32 s7, 0, s11
	v_readfirstlane_b32 s8, v1
	v_mul_f32_e32 v1, 0x4f7ffffe, v2
	s_mul_i32 s7, s7, s8
	v_cvt_u32_f32_e32 v1, v1
	s_mul_hi_u32 s7, s8, s7
	s_add_i32 s8, s8, s7
	v_writelane_b32 v47, s11, 9
	s_mul_hi_u32 s7, s15, s8
	v_writelane_b32 v47, s7, 10
	s_sub_i32 s7, 0, s10
	v_readfirstlane_b32 s8, v1
	s_mul_i32 s7, s7, s8
	s_mul_hi_u32 s7, s8, s7
	s_add_i32 s8, s8, s7
	v_writelane_b32 v47, s10, 11
	s_mul_hi_u32 s7, s15, s8
	v_writelane_b32 v47, s7, 12
	v_cmp_eq_u32_e64 s[10:11], 0, v0
	s_mov_b64 s[8:9], exec
	v_writelane_b32 v47, s10, 13
	v_writelane_b32 v47, s11, 14
	s_and_b64 s[10:11], s[8:9], s[10:11]
	s_mov_b64 exec, s[10:11]
; %bb.2:
	v_mov_b32_e32 v1, 0
	v_mov_b32_e32 v2, s28
	;; [unrolled: 1-line block ×3, first 2 shown]
	ds_write_b96 v1, v[1:3] offset:4096
; %bb.3:
	s_or_b64 exec, exec, s[8:9]
	s_mul_i32 s7, s5, s4
	s_sub_i32 s7, s15, s7
	s_add_i32 s8, s5, 1
	s_sub_i32 s9, s7, s4
	s_cmp_ge_u32 s7, s4
	s_cselect_b32 s5, s8, s5
	s_cselect_b32 s7, s9, s7
	s_add_i32 s8, s5, 1
	s_cmp_ge_u32 s7, s4
	s_cselect_b32 s5, s8, s5
	s_mul_i32 s4, s5, s4
	s_sub_i32 s4, s15, s4
	s_mul_i32 s4, s4, s3
	s_mul_i32 s2, s5, s2
	s_add_i32 s40, s2, s4
	s_lshl_b64 s[2:3], s[40:41], 3
	s_add_u32 s33, s0, s2
	s_waitcnt lgkmcnt(0)
	s_barrier
	s_load_dword s0, s[12:13], 0xc
	s_addc_u32 s40, s1, s3
	s_bitcmp1_b32 s30, 0
	v_writelane_b32 v47, s15, 15
	s_cselect_b64 s[2:3], -1, 0
	v_mbcnt_lo_u32_b32 v1, -1, 0
	v_writelane_b32 v47, s2, 16
	v_mbcnt_hi_u32_b32 v30, -1, v1
	v_writelane_b32 v47, s3, 17
	s_xor_b64 s[30:31], s[2:3], -1
	s_waitcnt lgkmcnt(0)
	s_and_b32 s46, s0, 0xffff
	v_cmp_gt_u32_e32 vcc, 64, v0
	v_cmp_gt_i32_e64 s[2:3], 4, v30
	s_lshl_b32 s15, s46, 2
	s_bfe_u32 s4, s0, 0xa0006
	s_and_b64 s[42:43], vcc, s[2:3]
	s_cmpk_gt_u32 s28, 0x180
	s_cselect_b64 s[2:3], -1, 0
	v_writelane_b32 v47, s2, 18
	v_writelane_b32 v47, s3, 19
	;; [unrolled: 1-line block ×3, first 2 shown]
	s_load_dword s7, s[16:17], 0xe8
	v_mov_b32_e32 v15, 0
	v_mov_b32_e32 v14, v15
	v_writelane_b32 v47, s17, 21
	v_cmp_gt_u32_e64 s[2:3], s28, v0
	s_waitcnt lgkmcnt(0)
	v_mul_lo_u32 v13, s7, v0
	v_writelane_b32 v47, s2, 22
	v_mov_b32_e32 v3, s40
	s_cmp_gt_u32 s46, 63
	v_lshlrev_b64 v[1:2], 3, v[13:14]
	v_writelane_b32 v47, s3, 23
	v_add_co_u32_e32 v11, vcc, s33, v1
	v_addc_co_u32_e32 v12, vcc, v3, v2, vcc
	s_cselect_b64 s[2:3], -1, 0
	v_lshlrev_b64 v[2:3], v30, -1
	v_writelane_b32 v47, s2, 24
	v_writelane_b32 v47, s3, 25
	v_cmp_gt_u32_e64 s[2:3], 2, v0
	v_not_b32_e32 v28, v2
	v_lshrrev_b32_e32 v2, 2, v0
	v_writelane_b32 v47, s2, 26
	v_and_b32_e32 v2, 0xf0, v2
	v_writelane_b32 v47, s3, 27
	s_add_i32 s2, s46, -1
	v_or_b32_e32 v33, 0xc00, v2
	v_cvt_f32_u32_e32 v2, s15
	v_writelane_b32 v47, s2, 28
	s_add_i32 s2, s2, s28
	s_cmp_lt_u32 s6, s14
	s_cselect_b32 s3, 12, 18
	s_add_u32 s8, s12, s3
	v_rcp_iflag_f32_e32 v2, v2
	s_addc_u32 s9, s13, 0
	s_add_i32 s3, s4, -1
	s_bfe_u32 s5, s46, 0x30006
	s_and_b32 s3, s3, 0xffff
	v_writelane_b32 v47, s8, 29
	s_cmp_gt_u32 s3, 6
	v_writelane_b32 v47, s9, 30
	s_cselect_b64 s[8:9], -1, 0
	v_mul_f32_e32 v2, 0x4f7ffffe, v2
	v_writelane_b32 v47, s8, 31
	s_and_b32 s14, s4, 0x3f8
	v_cvt_u32_f32_e32 v2, v2
	v_writelane_b32 v47, s9, 32
	s_cmp_lg_u32 s5, 0
	v_writelane_b32 v47, s5, 33
	s_cselect_b64 s[4:5], -1, 0
	v_writelane_b32 v47, s4, 34
	v_writelane_b32 v47, s5, 35
	s_sub_i32 s3, 0, s15
	v_readfirstlane_b32 s4, v2
	s_mul_i32 s3, s3, s4
	s_mul_hi_u32 s3, s4, s3
	s_add_i32 s3, s4, s3
	v_writelane_b32 v47, s3, 36
	s_mul_hi_u32 s3, s28, s3
	s_mul_i32 s3, s3, s15
	v_cvt_f32_u32_e32 v2, s46
	s_sub_i32 s3, s28, s3
	s_sub_i32 s4, s3, s15
	s_cmp_ge_u32 s3, s15
	s_cselect_b32 s3, s4, s3
	v_rcp_iflag_f32_e32 v4, v2
	s_sub_i32 s4, s3, s15
	s_cmp_ge_u32 s3, s15
	s_cselect_b32 s3, s4, s3
	v_lshlrev_b32_e32 v29, 2, v0
	s_sub_i32 s13, s28, s3
	v_mul_f32_e32 v4, 0x4f7ffffe, v4
	v_cmp_gt_u32_e64 s[4:5], s13, v29
	v_cvt_u32_f32_e32 v4, v4
	v_add_u32_e32 v34, s13, v0
	v_writelane_b32 v47, s4, 37
	v_writelane_b32 v47, s5, 38
	v_cmp_gt_u32_e64 s[4:5], s28, v34
	v_writelane_b32 v47, s4, 39
	v_writelane_b32 v47, s5, 40
	s_sub_i32 s4, 0, s46
	v_readfirstlane_b32 s5, v4
	s_mul_i32 s4, s4, s5
	v_mul_lo_u32 v14, v34, s7
	s_mul_hi_u32 s4, s5, s4
	s_add_i32 s4, s5, s4
	v_writelane_b32 v47, s4, 41
	s_mul_hi_u32 s4, s2, s4
	s_mul_i32 s4, s4, s46
	v_not_b32_e32 v27, v3
	v_lshlrev_b64 v[2:3], 3, v[14:15]
	s_sub_i32 s4, s2, s4
	s_sub_i32 s5, s4, s46
	v_add_co_u32_e32 v16, vcc, s33, v2
	s_cmp_ge_u32 s4, s46
	v_mul_lo_u32 v2, s7, v29
	s_cselect_b32 s4, s5, s4
	s_sub_i32 s5, s4, s46
	s_cmp_ge_u32 s4, s46
	s_cselect_b32 s4, s5, s4
	v_add_u32_e32 v35, s7, v2
	v_or_b32_e32 v2, 2, v29
	s_sub_i32 s48, s2, s4
	v_mul_lo_u32 v36, s7, v2
	v_or_b32_e32 v2, 3, v29
	s_add_i32 s2, s46, s28
	v_mul_lo_u32 v37, s7, v2
	v_add_u32_e32 v2, s2, v0
	v_subrev_u32_e32 v2, s3, v2
	v_mul_lo_u32 v39, s7, v2
	v_mov_b32_e32 v5, s40
	v_lshlrev_b32_e32 v31, 3, v0
	v_lshlrev_b32_e32 v1, 2, v30
	v_addc_co_u32_e32 v17, vcc, v5, v3, vcc
	v_cmp_gt_u32_e64 s[4:5], s48, v0
	s_mul_i32 s47, s7, s46
	v_mov_b32_e32 v18, 0
	v_mov_b32_e32 v20, 0
	;; [unrolled: 1-line block ×3, first 2 shown]
	v_cmp_eq_u32_e64 s[0:1], 0, v30
	v_add_u32_e32 v32, 0xc00, v31
	v_and_b32_e32 v26, 0x100, v1
	v_writelane_b32 v47, s4, 42
	s_lshl_b32 s49, s47, 2
	v_lshlrev_b32_e32 v38, 2, v13
	v_lshlrev_b32_e32 v40, 5, v0
	s_lshl_b32 s12, s46, 5
	s_lshl_b32 s10, s46, 3
	v_or_b32_e32 v41, 0xc00, v1
	s_mov_b32 s11, 62
	s_mov_b64 s[54:55], 0
	v_mov_b32_e32 v42, s29
	v_mov_b32_e32 v19, 0
	;; [unrolled: 1-line block ×5, first 2 shown]
	v_writelane_b32 v47, s5, 43
                                        ; implicit-def: $sgpr56_sgpr57
                                        ; implicit-def: $sgpr58_sgpr59
                                        ; implicit-def: $sgpr62_sgpr63
                                        ; implicit-def: $sgpr64_sgpr65
                                        ; implicit-def: $sgpr60_sgpr61
                                        ; implicit-def: $sgpr66_sgpr67
                                        ; implicit-def: $sgpr68_sgpr69
                                        ; implicit-def: $sgpr70_sgpr71
                                        ; implicit-def: $sgpr72_sgpr73
                                        ; implicit-def: $sgpr74_sgpr75
	s_branch .LBB72_6
.LBB72_4:                               ;   in Loop: Header=BB72_6 Depth=1
	s_or_b64 exec, exec, s[16:17]
	s_andn2_b64 s[4:5], s[74:75], exec
	s_and_b64 s[8:9], s[8:9], exec
	s_or_b64 s[74:75], s[4:5], s[8:9]
	s_andn2_b64 s[72:73], s[72:73], exec
	s_andn2_b64 s[70:71], s[70:71], exec
	;; [unrolled: 1-line block ×4, first 2 shown]
	s_orn2_b64 s[6:7], s[6:7], exec
	v_mov_b32_e32 v42, v44
.LBB72_5:                               ;   in Loop: Header=BB72_6 Depth=1
	s_or_b64 exec, exec, s[2:3]
	s_and_b64 s[2:3], exec, s[6:7]
	s_or_b64 s[54:55], s[2:3], s[54:55]
	s_andn2_b64 s[2:3], s[60:61], exec
	s_and_b64 s[4:5], s[74:75], exec
	s_or_b64 s[60:61], s[2:3], s[4:5]
	s_andn2_b64 s[2:3], s[64:65], exec
	s_and_b64 s[4:5], s[72:73], exec
	;; [unrolled: 3-line block ×5, first 2 shown]
	s_or_b64 s[56:57], s[2:3], s[4:5]
	s_andn2_b64 exec, exec, s[54:55]
	s_cbranch_execz .LBB72_408
.LBB72_6:                               ; =>This Loop Header: Depth=1
                                        ;     Child Loop BB72_12 Depth 2
                                        ;     Child Loop BB72_25 Depth 2
	;; [unrolled: 1-line block ×24, first 2 shown]
	ds_read_b64 v[3:4], v15 offset:4096
	s_waitcnt lgkmcnt(0)
	v_readfirstlane_b32 s4, v3
	s_cmp_lg_u32 s4, 0
	s_cbranch_scc1 .LBB72_33
; %bb.7:                                ;   in Loop: Header=BB72_6 Depth=1
	v_readlane_b32 s2, v47, 18
	v_readlane_b32 s3, v47, 19
	s_and_b64 vcc, exec, s[2:3]
	s_cbranch_vccz .LBB72_20
; %bb.8:                                ;   in Loop: Header=BB72_6 Depth=1
	s_movk_i32 s2, 0x181
	v_cmp_gt_u32_e32 vcc, s2, v4
	s_mov_b64 s[20:21], 0
	s_mov_b64 s[2:3], 0
	s_cbranch_vccz .LBB72_21
; %bb.9:                                ;   in Loop: Header=BB72_6 Depth=1
	s_mov_b64 s[2:3], exec
	v_readlane_b32 s4, v47, 22
	v_readlane_b32 s5, v47, 23
	s_and_b64 s[4:5], s[2:3], s[4:5]
	s_mov_b64 exec, s[4:5]
	s_cbranch_execz .LBB72_82
; %bb.10:                               ;   in Loop: Header=BB72_6 Depth=1
	v_readlane_b32 s4, v47, 29
	v_readlane_b32 s5, v47, 30
	s_nop 4
	global_load_ushort v1, v15, s[4:5]
	global_load_dwordx2 v[3:4], v[11:12], off
	v_readlane_b32 s4, v47, 20
	v_readlane_b32 s5, v47, 21
	s_load_dword s4, s[4:5], 0xe8
	s_mov_b64 s[22:23], 0
	v_mov_b32_e32 v10, v0
	s_waitcnt vmcnt(1)
	v_add_u32_e32 v7, v0, v1
	s_waitcnt lgkmcnt(0)
	v_mul_lo_u32 v14, s4, v7
	v_mul_lo_u32 v9, s4, v1
	s_branch .LBB72_12
.LBB72_11:                              ;   in Loop: Header=BB72_12 Depth=2
	s_or_b64 exec, exec, s[6:7]
	v_mov_b32_e32 v3, v7
	v_add_u32_e32 v14, v14, v9
	v_mov_b32_e32 v4, v8
	s_andn2_b64 exec, exec, s[22:23]
	s_cbranch_execz .LBB72_82
.LBB72_12:                              ;   Parent Loop BB72_6 Depth=1
                                        ; =>  This Inner Loop Header: Depth=2
	v_add_u32_e32 v10, v10, v1
	v_mov_b32_e32 v7, 0
	v_cmp_gt_u32_e64 s[6:7], s28, v10
	v_mov_b32_e32 v8, 0
	v_cmp_le_u32_e32 vcc, s28, v10
	s_and_saveexec_b64 s[8:9], s[6:7]
	s_cbranch_execz .LBB72_14
; %bb.13:                               ;   in Loop: Header=BB72_12 Depth=2
	v_lshlrev_b64 v[7:8], 3, v[14:15]
	s_waitcnt lgkmcnt(0)
	v_mov_b32_e32 v22, s40
	v_add_co_u32_e64 v7, s[6:7], s33, v7
	v_addc_co_u32_e64 v8, s[6:7], v22, v8, s[6:7]
	global_load_dwordx2 v[7:8], v[7:8], off
.LBB72_14:                              ;   in Loop: Header=BB72_12 Depth=2
	s_or_b64 exec, exec, s[8:9]
	s_waitcnt vmcnt(0)
	v_cmp_o_f64_e64 s[6:7], v[3:4], v[3:4]
	s_waitcnt lgkmcnt(0)
	v_ashrrev_i32_e32 v22, 31, v4
	v_or_b32_e32 v23, 0x80000000, v22
	v_xor_b32_e32 v23, v23, v4
	v_xor_b32_e32 v22, v22, v3
	v_cndmask_b32_e64 v23, -1, v23, s[6:7]
	v_cndmask_b32_e64 v22, -1, v22, s[6:7]
	v_and_b32_e32 v23, v23, v21
	v_and_b32_e32 v22, v22, v20
	v_cmp_eq_u64_e64 s[18:19], v[22:23], v[18:19]
	v_mov_b32_e32 v22, 0
	s_cmp_lg_u64 s[18:19], 0
	s_cselect_b64 s[4:5], -1, 0
	s_and_b64 s[4:5], s[0:1], s[4:5]
	s_and_saveexec_b64 s[8:9], s[4:5]
	s_cbranch_execz .LBB72_18
; %bb.15:                               ;   in Loop: Header=BB72_12 Depth=2
	s_mov_b64 s[24:25], exec
	v_mbcnt_lo_u32_b32 v22, s24, 0
	v_mbcnt_hi_u32_b32 v22, s25, v22
	s_bcnt1_i32_b64 s4, s[18:19]
	v_cmp_eq_u32_e64 s[6:7], 0, v22
                                        ; implicit-def: $vgpr23
	s_and_saveexec_b64 s[16:17], s[6:7]
; %bb.16:                               ;   in Loop: Header=BB72_12 Depth=2
	s_bcnt1_i32_b64 s5, s[24:25]
	s_mul_i32 s5, s4, s5
	v_mov_b32_e32 v23, s5
	ds_add_rtn_u32 v23, v15, v23 offset:4104
; %bb.17:                               ;   in Loop: Header=BB72_12 Depth=2
	s_or_b64 exec, exec, s[16:17]
	s_waitcnt lgkmcnt(0)
	v_readfirstlane_b32 s5, v23
	v_mov_b32_e32 v23, s5
	v_mad_u32_u24 v22, s4, v22, v23
.LBB72_18:                              ;   in Loop: Header=BB72_12 Depth=2
	s_or_b64 exec, exec, s[8:9]
	ds_bpermute_b32 v22, v26, v22
	s_and_b64 s[4:5], exec, vcc
	s_or_b64 s[22:23], s[4:5], s[22:23]
	s_and_saveexec_b64 s[6:7], s[18:19]
	s_cbranch_execz .LBB72_11
; %bb.19:                               ;   in Loop: Header=BB72_12 Depth=2
	v_and_b32_e32 v24, s18, v28
	v_and_b32_e32 v23, s19, v27
	v_bcnt_u32_b32 v24, v24, 0
	v_bcnt_u32_b32 v23, v23, v24
	v_lshlrev_b32_e32 v23, 3, v23
	s_waitcnt lgkmcnt(0)
	v_lshl_add_u32 v22, v22, 3, v23
	ds_write_b64 v22, v[3:4]
	s_branch .LBB72_11
.LBB72_20:                              ;   in Loop: Header=BB72_6 Depth=1
	s_mov_b64 s[20:21], -1
	s_mov_b64 s[2:3], 0
.LBB72_21:                              ;   in Loop: Header=BB72_6 Depth=1
	s_and_b64 vcc, exec, s[20:21]
	s_cbranch_vccz .LBB72_31
.LBB72_22:                              ;   in Loop: Header=BB72_6 Depth=1
	s_mov_b64 s[2:3], exec
	v_readlane_b32 s4, v47, 22
	v_readlane_b32 s5, v47, 23
	s_and_b64 s[4:5], s[2:3], s[4:5]
	s_mov_b64 exec, s[4:5]
	s_cbranch_execz .LBB72_28
; %bb.23:                               ;   in Loop: Header=BB72_6 Depth=1
	v_readlane_b32 s4, v47, 29
	v_readlane_b32 s5, v47, 30
	s_nop 4
	global_load_ushort v1, v15, s[4:5]
	global_load_dwordx2 v[3:4], v[11:12], off
	v_mov_b32_e32 v9, v0
	s_waitcnt vmcnt(1)
	v_add_u32_e32 v7, v0, v1
	v_cmp_gt_u32_e32 vcc, s28, v7
	s_and_saveexec_b64 s[6:7], vcc
	s_cbranch_execz .LBB72_27
; %bb.24:                               ;   in Loop: Header=BB72_6 Depth=1
	v_readlane_b32 s4, v47, 20
	v_readlane_b32 s5, v47, 21
	s_load_dword s4, s[4:5], 0xe8
	v_lshlrev_b32_e32 v10, 3, v1
	s_mov_b64 s[8:9], 0
	v_mov_b32_e32 v23, v31
	v_mov_b32_e32 v9, v0
	s_waitcnt lgkmcnt(0)
	v_mul_lo_u32 v14, s4, v7
	v_mul_lo_u32 v22, s4, v1
.LBB72_25:                              ;   Parent Loop BB72_6 Depth=1
                                        ; =>  This Inner Loop Header: Depth=2
	v_lshlrev_b64 v[7:8], 3, v[14:15]
	v_mov_b32_e32 v24, s40
	v_add_co_u32_e32 v7, vcc, s33, v7
	v_addc_co_u32_e32 v8, vcc, v24, v8, vcc
	global_load_dwordx2 v[7:8], v[7:8], off
	v_add_u32_e32 v9, v9, v1
	s_waitcnt vmcnt(1)
	ds_write_b64 v23, v[3:4]
	v_add_u32_e32 v3, v1, v9
	v_cmp_le_u32_e32 vcc, s28, v3
	v_add_u32_e32 v23, v23, v10
	v_add_u32_e32 v14, v14, v22
	s_or_b64 s[8:9], vcc, s[8:9]
	s_waitcnt vmcnt(0)
	v_mov_b32_e32 v3, v7
	v_mov_b32_e32 v4, v8
	s_andn2_b64 exec, exec, s[8:9]
	s_cbranch_execnz .LBB72_25
; %bb.26:                               ;   in Loop: Header=BB72_6 Depth=1
	s_or_b64 exec, exec, s[8:9]
	v_mov_b32_e32 v3, v7
	v_mov_b32_e32 v4, v8
.LBB72_27:                              ;   in Loop: Header=BB72_6 Depth=1
	s_or_b64 exec, exec, s[6:7]
	v_lshlrev_b32_e32 v1, 3, v9
	s_waitcnt vmcnt(0)
	ds_write_b64 v1, v[3:4]
.LBB72_28:                              ;   in Loop: Header=BB72_6 Depth=1
	s_or_b64 exec, exec, s[2:3]
	s_waitcnt lgkmcnt(0)
	s_barrier
	s_mov_b64 s[2:3], exec
	v_readlane_b32 s4, v47, 13
	v_readlane_b32 s5, v47, 14
	s_and_b64 s[4:5], s[2:3], s[4:5]
	s_mov_b64 exec, s[4:5]
; %bb.29:                               ;   in Loop: Header=BB72_6 Depth=1
	v_mov_b32_e32 v1, s28
	ds_write_b32 v15, v1 offset:4096
; %bb.30:                               ;   in Loop: Header=BB72_6 Depth=1
	s_or_b64 exec, exec, s[2:3]
	s_mov_b64 s[2:3], -1
	s_waitcnt lgkmcnt(0)
	s_barrier
.LBB72_31:                              ;   in Loop: Header=BB72_6 Depth=1
	s_mov_b32 s4, 0
	s_and_b64 vcc, exec, s[2:3]
	s_cbranch_vccz .LBB72_33
; %bb.32:                               ;   in Loop: Header=BB72_6 Depth=1
	ds_read_b32 v1, v15 offset:4096
	s_waitcnt lgkmcnt(0)
	v_readfirstlane_b32 s4, v1
.LBB72_33:                              ;   in Loop: Header=BB72_6 Depth=1
	s_cmp_lt_i32 s4, 1
	s_mov_b64 s[2:3], -1
                                        ; implicit-def: $vgpr7
	s_cbranch_scc1 .LBB72_43
; %bb.34:                               ;   in Loop: Header=BB72_6 Depth=1
	s_and_b64 vcc, exec, s[2:3]
	s_cbranch_vccnz .LBB72_54
.LBB72_35:                              ;   in Loop: Header=BB72_6 Depth=1
	s_lshl_b32 s4, s41, 6
	s_and_saveexec_b64 s[2:3], s[0:1]
.LBB72_36:                              ;   in Loop: Header=BB72_6 Depth=1
	v_lshl_add_u32 v1, s4, 2, v33
	ds_write_b128 v1, v[7:10]
.LBB72_37:                              ;   in Loop: Header=BB72_6 Depth=1
	s_or_b64 exec, exec, s[2:3]
	s_waitcnt lgkmcnt(0)
	s_barrier
	s_and_saveexec_b64 s[2:3], s[42:43]
	s_cbranch_execz .LBB72_68
; %bb.38:                               ;   in Loop: Header=BB72_6 Depth=1
	v_readlane_b32 s6, v47, 24
	v_readlane_b32 s7, v47, 25
	s_andn2_b64 vcc, exec, s[6:7]
	v_mov_b32_e32 v1, 0
	s_cbranch_vccnz .LBB72_67
; %bb.39:                               ;   in Loop: Header=BB72_6 Depth=1
	v_readlane_b32 s6, v47, 31
	v_readlane_b32 s7, v47, 32
	s_andn2_b64 vcc, exec, s[6:7]
	s_cbranch_vccnz .LBB72_63
; %bb.40:                               ;   in Loop: Header=BB72_6 Depth=1
	v_lshl_add_u32 v3, s41, 8, v41
	s_mov_b32 s5, 0
	v_mov_b32_e32 v1, 0
.LBB72_41:                              ;   Parent Loop BB72_6 Depth=1
                                        ; =>  This Inner Loop Header: Depth=2
	ds_read2_b32 v[7:8], v3 offset1:4
	ds_read2_b32 v[9:10], v3 offset0:8 offset1:12
	ds_read2_b32 v[22:23], v3 offset0:16 offset1:20
	;; [unrolled: 1-line block ×3, first 2 shown]
	s_add_i32 s5, s5, 8
	s_waitcnt lgkmcnt(3)
	v_add3_u32 v1, v7, v1, v8
	s_waitcnt lgkmcnt(2)
	v_add3_u32 v1, v9, v1, v10
	;; [unrolled: 2-line block ×3, first 2 shown]
	v_add_u32_e32 v3, 0x80, v3
	s_cmp_eq_u32 s14, s5
	s_waitcnt lgkmcnt(0)
	v_add3_u32 v1, v24, v1, v25
	s_cbranch_scc0 .LBB72_41
; %bb.42:                               ;   in Loop: Header=BB72_6 Depth=1
	s_mov_b32 s5, s14
	s_branch .LBB72_64
.LBB72_43:                              ;   in Loop: Header=BB72_6 Depth=1
	v_mov_b32_e32 v7, 0
	v_mov_b32_e32 v8, 0
	;; [unrolled: 1-line block ×4, first 2 shown]
	s_mov_b64 s[76:77], exec
	v_readlane_b32 s2, v47, 37
	v_readlane_b32 s3, v47, 38
	s_and_b64 s[2:3], s[76:77], s[2:3]
	s_mov_b64 exec, s[2:3]
	s_cbranch_execz .LBB72_47
; %bb.44:                               ;   in Loop: Header=BB72_6 Depth=1
	s_mov_b32 s2, 0
	s_mov_b64 s[78:79], 0
	s_mov_b32 s3, 0
	s_mov_b32 s5, 0
	;; [unrolled: 1-line block ×4, first 2 shown]
	v_mov_b32_e32 v1, v29
.LBB72_45:                              ;   Parent Loop BB72_6 Depth=1
                                        ; =>  This Inner Loop Header: Depth=2
	v_add_u32_e32 v14, s2, v38
	v_lshlrev_b64 v[3:4], 3, v[14:15]
	v_mov_b32_e32 v24, s40
	v_add_co_u32_e32 v3, vcc, s33, v3
	v_addc_co_u32_e32 v4, vcc, v24, v4, vcc
	global_load_dwordx2 v[3:4], v[3:4], off
	v_add_u32_e32 v14, s2, v35
	v_lshlrev_b64 v[7:8], 3, v[14:15]
	v_add_u32_e32 v14, s2, v36
	v_add_co_u32_e32 v7, vcc, s33, v7
	v_addc_co_u32_e32 v8, vcc, v24, v8, vcc
	global_load_dwordx2 v[7:8], v[7:8], off
	v_lshlrev_b64 v[9:10], 3, v[14:15]
	v_add_u32_e32 v14, s2, v37
	v_add_co_u32_e32 v9, vcc, s33, v9
	v_addc_co_u32_e32 v10, vcc, v24, v10, vcc
	global_load_dwordx2 v[9:10], v[9:10], off
	;; [unrolled: 5-line block ×3, first 2 shown]
	s_add_i32 s2, s2, s49
	s_waitcnt vmcnt(3)
	v_cmp_o_f64_e32 vcc, v[3:4], v[3:4]
	v_ashrrev_i32_e32 v14, 31, v4
	v_or_b32_e32 v24, 0x80000000, v14
	v_xor_b32_e32 v4, v24, v4
	v_xor_b32_e32 v3, v14, v3
	s_waitcnt vmcnt(2)
	v_ashrrev_i32_e32 v14, 31, v8
	v_cndmask_b32_e32 v4, -1, v4, vcc
	v_cndmask_b32_e32 v3, -1, v3, vcc
	v_cmp_o_f64_e32 vcc, v[7:8], v[7:8]
	v_or_b32_e32 v24, 0x80000000, v14
	v_xor_b32_e32 v8, v24, v8
	v_xor_b32_e32 v7, v14, v7
	v_cndmask_b32_e32 v25, -1, v8, vcc
	v_cndmask_b32_e32 v24, -1, v7, vcc
	s_waitcnt vmcnt(1)
	v_cmp_o_f64_e32 vcc, v[9:10], v[9:10]
	v_ashrrev_i32_e32 v7, 31, v10
	v_or_b32_e32 v8, 0x80000000, v7
	v_xor_b32_e32 v8, v8, v10
	v_xor_b32_e32 v7, v7, v9
	v_cndmask_b32_e32 v10, -1, v8, vcc
	v_cndmask_b32_e32 v9, -1, v7, vcc
	s_waitcnt vmcnt(0)
	v_cmp_o_f64_e32 vcc, v[22:23], v[22:23]
	v_ashrrev_i32_e32 v7, 31, v23
	v_or_b32_e32 v8, 0x80000000, v7
	v_xor_b32_e32 v8, v8, v23
	v_xor_b32_e32 v7, v7, v22
	v_and_b32_e32 v23, v4, v21
	v_and_b32_e32 v22, v3, v20
	v_lshrrev_b64 v[3:4], s11, v[3:4]
	v_cndmask_b32_e32 v8, -1, v8, vcc
	v_and_b32_e32 v14, 3, v3
	v_lshrrev_b64 v[3:4], s11, v[24:25]
	v_cndmask_b32_e32 v7, -1, v7, vcc
	v_cmp_eq_u64_e32 vcc, v[22:23], v[18:19]
	v_and_b32_e32 v23, v25, v21
	v_and_b32_e32 v22, v24, v20
	v_cmp_eq_u64_e64 s[6:7], 0, v[14:15]
	v_cmp_eq_u64_e64 s[18:19], v[22:23], v[18:19]
	v_and_b32_e32 v23, v10, v21
	v_and_b32_e32 v22, v9, v20
	;; [unrolled: 1-line block ×3, first 2 shown]
	v_mov_b32_e32 v4, v15
	v_lshrrev_b64 v[9:10], s11, v[9:10]
	s_and_b64 s[16:17], vcc, s[6:7]
	v_cmp_eq_u64_e64 s[6:7], 0, v[3:4]
	v_cmp_eq_u64_e64 s[20:21], v[22:23], v[18:19]
	v_and_b32_e32 v23, v8, v21
	v_and_b32_e32 v22, v7, v20
	v_and_b32_e32 v9, 3, v9
	v_mov_b32_e32 v10, v15
	v_lshrrev_b64 v[7:8], s11, v[7:8]
	s_and_b64 s[24:25], s[18:19], s[6:7]
	v_cmp_eq_u64_e64 s[6:7], 0, v[9:10]
	v_and_b32_e32 v7, 3, v7
	v_mov_b32_e32 v8, v15
	v_cmp_eq_u64_e64 s[22:23], v[22:23], v[18:19]
	s_and_b64 s[26:27], s[20:21], s[6:7]
	v_cmp_eq_u64_e64 s[6:7], 0, v[7:8]
	v_cndmask_b32_e64 v22, 0, 1, s[16:17]
	s_and_b64 s[34:35], s[22:23], s[6:7]
	v_cmp_ne_u32_e64 s[6:7], 0, v22
	v_cndmask_b32_e64 v22, 0, 1, s[24:25]
	s_bcnt1_i32_b64 s16, s[6:7]
	v_cmp_ne_u32_e64 s[6:7], 0, v22
	v_cndmask_b32_e64 v22, 0, 1, s[26:27]
	s_bcnt1_i32_b64 s17, s[6:7]
	;; [unrolled: 3-line block ×3, first 2 shown]
	v_cmp_ne_u32_e64 s[6:7], 0, v22
	s_bcnt1_i32_b64 s6, s[6:7]
	s_add_i32 s7, s9, s16
	s_add_i32 s7, s7, s17
	;; [unrolled: 1-line block ×4, first 2 shown]
	v_cmp_eq_u64_e64 s[6:7], 1, v[14:15]
	s_and_b64 s[16:17], vcc, s[6:7]
	v_cmp_eq_u64_e64 s[6:7], 1, v[3:4]
	v_cndmask_b32_e64 v22, 0, 1, s[16:17]
	s_and_b64 s[24:25], s[18:19], s[6:7]
	v_cmp_eq_u64_e64 s[6:7], 1, v[9:10]
	s_and_b64 s[26:27], s[20:21], s[6:7]
	v_cmp_eq_u64_e64 s[6:7], 1, v[7:8]
	s_and_b64 s[34:35], s[22:23], s[6:7]
	v_cmp_ne_u32_e64 s[6:7], 0, v22
	v_cndmask_b32_e64 v22, 0, 1, s[24:25]
	s_bcnt1_i32_b64 s16, s[6:7]
	v_cmp_ne_u32_e64 s[6:7], 0, v22
	v_cndmask_b32_e64 v22, 0, 1, s[26:27]
	s_bcnt1_i32_b64 s17, s[6:7]
	;; [unrolled: 3-line block ×3, first 2 shown]
	v_cmp_ne_u32_e64 s[6:7], 0, v22
	s_bcnt1_i32_b64 s6, s[6:7]
	s_add_i32 s7, s8, s16
	s_add_i32 s7, s7, s17
	;; [unrolled: 1-line block ×4, first 2 shown]
	v_cmp_eq_u64_e64 s[6:7], 2, v[14:15]
	s_and_b64 s[16:17], vcc, s[6:7]
	v_cmp_eq_u64_e64 s[6:7], 2, v[3:4]
	v_cndmask_b32_e64 v22, 0, 1, s[16:17]
	s_and_b64 s[24:25], s[18:19], s[6:7]
	v_cmp_eq_u64_e64 s[6:7], 2, v[9:10]
	s_and_b64 s[26:27], s[20:21], s[6:7]
	v_cmp_eq_u64_e64 s[6:7], 2, v[7:8]
	s_and_b64 s[34:35], s[22:23], s[6:7]
	v_cmp_ne_u32_e64 s[6:7], 0, v22
	v_cndmask_b32_e64 v22, 0, 1, s[24:25]
	s_bcnt1_i32_b64 s16, s[6:7]
	v_cmp_ne_u32_e64 s[6:7], 0, v22
	v_cndmask_b32_e64 v22, 0, 1, s[26:27]
	s_bcnt1_i32_b64 s17, s[6:7]
	v_cmp_ne_u32_e64 s[6:7], 0, v22
	v_cndmask_b32_e64 v22, 0, 1, s[34:35]
	s_add_i32 s5, s5, s16
	s_bcnt1_i32_b64 s24, s[6:7]
	v_cmp_ne_u32_e64 s[6:7], 0, v22
	s_add_i32 s5, s5, s17
	s_bcnt1_i32_b64 s6, s[6:7]
	s_add_i32 s5, s5, s24
	s_add_i32 s5, s5, s6
	v_cmp_eq_u64_e64 s[6:7], 3, v[14:15]
	s_and_b64 s[6:7], vcc, s[6:7]
	v_cmp_eq_u64_e32 vcc, 3, v[3:4]
	v_cndmask_b32_e64 v3, 0, 1, s[6:7]
	s_and_b64 s[16:17], s[18:19], vcc
	v_cmp_eq_u64_e32 vcc, 3, v[9:10]
	v_mov_b32_e32 v9, s5
	s_and_b64 s[18:19], s[20:21], vcc
	v_cmp_eq_u64_e32 vcc, 3, v[7:8]
	v_mov_b32_e32 v7, s9
	s_and_b64 s[20:21], s[22:23], vcc
	v_cmp_ne_u32_e32 vcc, 0, v3
	v_cndmask_b32_e64 v3, 0, 1, s[16:17]
	s_bcnt1_i32_b64 s6, vcc
	v_cmp_ne_u32_e32 vcc, 0, v3
	v_cndmask_b32_e64 v3, 0, 1, s[18:19]
	s_bcnt1_i32_b64 s7, vcc
	v_cmp_ne_u32_e32 vcc, 0, v3
	v_cndmask_b32_e64 v3, 0, 1, s[20:21]
	s_add_i32 s3, s3, s6
	s_bcnt1_i32_b64 s16, vcc
	v_cmp_ne_u32_e32 vcc, 0, v3
	s_add_i32 s3, s3, s7
	s_bcnt1_i32_b64 s17, vcc
	s_add_i32 s3, s3, s16
	s_add_i32 s3, s3, s17
	v_cmp_le_u32_e32 vcc, s13, v1
	s_or_b64 s[78:79], vcc, s[78:79]
	v_mov_b32_e32 v8, s8
	v_mov_b32_e32 v10, s3
	s_andn2_b64 exec, exec, s[78:79]
	s_cbranch_execnz .LBB72_45
; %bb.46:                               ;   in Loop: Header=BB72_6 Depth=1
	s_or_b64 exec, exec, s[78:79]
.LBB72_47:                              ;   in Loop: Header=BB72_6 Depth=1
	s_or_b64 exec, exec, s[76:77]
	s_mov_b64 s[2:3], exec
	v_readlane_b32 s6, v47, 39
	v_readlane_b32 s7, v47, 40
	s_and_b64 s[6:7], s[2:3], s[6:7]
	s_mov_b64 exec, s[6:7]
	s_cbranch_execz .LBB72_53
; %bb.48:                               ;   in Loop: Header=BB72_6 Depth=1
	global_load_dwordx2 v[24:25], v[16:17], off
	s_mov_b64 s[16:17], 0
	v_mov_b32_e32 v3, v39
	v_mov_b32_e32 v1, v34
	s_branch .LBB72_50
.LBB72_49:                              ;   in Loop: Header=BB72_50 Depth=2
	s_or_b64 exec, exec, s[8:9]
	s_waitcnt vmcnt(0)
	v_cmp_o_f64_e64 s[6:7], v[24:25], v[24:25]
	v_ashrrev_i32_e32 v4, 31, v25
	v_or_b32_e32 v14, 0x80000000, v4
	v_xor_b32_e32 v14, v14, v25
	v_xor_b32_e32 v4, v4, v24
	s_and_b64 s[8:9], exec, vcc
	s_or_b64 s[16:17], s[8:9], s[16:17]
	v_add_u32_e32 v3, s47, v3
	v_cndmask_b32_e64 v25, -1, v14, s[6:7]
	v_cndmask_b32_e64 v24, -1, v4, s[6:7]
	v_and_b32_e32 v44, v25, v21
	v_and_b32_e32 v43, v24, v20
	v_lshrrev_b64 v[24:25], s11, v[24:25]
	v_cmp_eq_u64_e32 vcc, v[43:44], v[18:19]
	v_and_b32_e32 v14, 3, v24
	v_cmp_eq_u64_e64 s[6:7], 0, v[14:15]
	v_mov_b32_e32 v25, v23
	s_and_b64 s[6:7], vcc, s[6:7]
	v_cndmask_b32_e64 v4, 0, 1, s[6:7]
	v_cmp_ne_u32_e64 s[6:7], 0, v4
	s_bcnt1_i32_b64 s5, s[6:7]
	v_cmp_eq_u64_e64 s[6:7], 1, v[14:15]
	v_add_u32_e32 v7, s5, v7
	s_and_b64 s[6:7], vcc, s[6:7]
	v_cndmask_b32_e64 v4, 0, 1, s[6:7]
	v_cmp_ne_u32_e64 s[6:7], 0, v4
	s_bcnt1_i32_b64 s5, s[6:7]
	v_cmp_eq_u64_e64 s[6:7], 2, v[14:15]
	v_add_u32_e32 v8, s5, v8
	;; [unrolled: 6-line block ×3, first 2 shown]
	s_and_b64 s[6:7], vcc, s[6:7]
	v_cndmask_b32_e64 v4, 0, 1, s[6:7]
	v_cmp_ne_u32_e32 vcc, 0, v4
	s_bcnt1_i32_b64 s5, vcc
	v_add_u32_e32 v10, s5, v10
	v_mov_b32_e32 v24, v22
	s_andn2_b64 exec, exec, s[16:17]
	s_cbranch_execz .LBB72_52
.LBB72_50:                              ;   Parent Loop BB72_6 Depth=1
                                        ; =>  This Inner Loop Header: Depth=2
	v_add_u32_e32 v1, s46, v1
	v_mov_b32_e32 v22, 0
	v_cmp_gt_u32_e64 s[6:7], s28, v1
	v_mov_b32_e32 v23, 0
	v_cmp_le_u32_e32 vcc, s28, v1
	s_and_saveexec_b64 s[8:9], s[6:7]
	s_cbranch_execz .LBB72_49
; %bb.51:                               ;   in Loop: Header=BB72_50 Depth=2
	v_mov_b32_e32 v4, v15
	v_lshlrev_b64 v[22:23], 3, v[3:4]
	v_mov_b32_e32 v4, s40
	v_add_co_u32_e64 v22, s[6:7], s33, v22
	v_addc_co_u32_e64 v23, s[6:7], v4, v23, s[6:7]
	global_load_dwordx2 v[22:23], v[22:23], off
	s_branch .LBB72_49
.LBB72_52:                              ;   in Loop: Header=BB72_6 Depth=1
	s_or_b64 exec, exec, s[16:17]
.LBB72_53:                              ;   in Loop: Header=BB72_6 Depth=1
	s_or_b64 exec, exec, s[2:3]
	s_branch .LBB72_35
.LBB72_54:                              ;   in Loop: Header=BB72_6 Depth=1
	v_readlane_b32 s2, v47, 36
	s_mul_hi_u32 s2, s4, s2
	s_mul_i32 s2, s2, s15
	s_sub_i32 s2, s4, s2
	s_sub_i32 s3, s2, s15
	s_cmp_ge_u32 s2, s15
	s_cselect_b32 s2, s3, s2
	s_sub_i32 s3, s2, s15
	s_cmp_ge_u32 s2, s15
	s_cselect_b32 s2, s3, s2
	s_sub_i32 s2, s4, s2
	v_cmp_gt_u32_e32 vcc, s2, v29
	v_mov_b32_e32 v7, 0
	v_mov_b32_e32 v8, 0
	;; [unrolled: 1-line block ×4, first 2 shown]
	s_and_saveexec_b64 s[76:77], vcc
	s_cbranch_execz .LBB72_58
; %bb.55:                               ;   in Loop: Header=BB72_6 Depth=1
	s_mov_b32 s3, 0
	s_mov_b64 s[78:79], 0
	v_mov_b32_e32 v1, v40
	s_mov_b32 s5, 0
	s_mov_b32 s8, 0
	s_mov_b32 s9, 0
	v_mov_b32_e32 v22, v29
.LBB72_56:                              ;   Parent Loop BB72_6 Depth=1
                                        ; =>  This Inner Loop Header: Depth=2
	ds_read_b128 v[7:10], v1
	ds_read_b128 v[43:46], v1 offset:16
	v_add_u32_e32 v22, s15, v22
	v_add_u32_e32 v1, s12, v1
	s_waitcnt lgkmcnt(1)
	v_cmp_o_f64_e32 vcc, v[7:8], v[7:8]
	v_ashrrev_i32_e32 v3, 31, v8
	v_or_b32_e32 v4, 0x80000000, v3
	v_xor_b32_e32 v4, v4, v8
	v_xor_b32_e32 v3, v3, v7
	v_ashrrev_i32_e32 v7, 31, v10
	v_or_b32_e32 v8, 0x80000000, v7
	v_xor_b32_e32 v8, v8, v10
	v_cndmask_b32_e32 v4, -1, v4, vcc
	v_cndmask_b32_e32 v3, -1, v3, vcc
	v_cmp_o_f64_e32 vcc, v[9:10], v[9:10]
	v_xor_b32_e32 v7, v7, v9
	v_cndmask_b32_e32 v24, -1, v8, vcc
	v_cndmask_b32_e32 v23, -1, v7, vcc
	s_waitcnt lgkmcnt(0)
	v_cmp_o_f64_e32 vcc, v[43:44], v[43:44]
	v_ashrrev_i32_e32 v7, 31, v44
	v_or_b32_e32 v8, 0x80000000, v7
	v_xor_b32_e32 v8, v8, v44
	v_xor_b32_e32 v7, v7, v43
	v_and_b32_e32 v44, v4, v21
	v_and_b32_e32 v43, v3, v20
	v_lshrrev_b64 v[3:4], s11, v[3:4]
	v_cndmask_b32_e32 v10, -1, v8, vcc
	v_cndmask_b32_e32 v9, -1, v7, vcc
	v_cmp_o_f64_e32 vcc, v[45:46], v[45:46]
	v_ashrrev_i32_e32 v7, 31, v46
	v_or_b32_e32 v8, 0x80000000, v7
	v_xor_b32_e32 v8, v8, v46
	v_xor_b32_e32 v7, v7, v45
	v_and_b32_e32 v14, 3, v3
	v_lshrrev_b64 v[3:4], s11, v[23:24]
	v_cmp_eq_u64_e64 s[6:7], 0, v[14:15]
	v_cndmask_b32_e32 v8, -1, v8, vcc
	v_cndmask_b32_e32 v7, -1, v7, vcc
	v_cmp_eq_u64_e32 vcc, v[43:44], v[18:19]
	v_and_b32_e32 v44, v24, v21
	v_and_b32_e32 v43, v23, v20
	v_cmp_eq_u64_e64 s[18:19], v[43:44], v[18:19]
	v_and_b32_e32 v44, v10, v21
	v_and_b32_e32 v43, v9, v20
	;; [unrolled: 1-line block ×3, first 2 shown]
	v_mov_b32_e32 v4, v15
	v_lshrrev_b64 v[9:10], s11, v[9:10]
	s_and_b64 s[16:17], vcc, s[6:7]
	v_cmp_eq_u64_e64 s[6:7], 0, v[3:4]
	v_cmp_eq_u64_e64 s[20:21], v[43:44], v[18:19]
	v_and_b32_e32 v44, v8, v21
	v_and_b32_e32 v43, v7, v20
	;; [unrolled: 1-line block ×3, first 2 shown]
	v_mov_b32_e32 v10, v15
	v_lshrrev_b64 v[7:8], s11, v[7:8]
	s_and_b64 s[24:25], s[18:19], s[6:7]
	v_cmp_eq_u64_e64 s[6:7], 0, v[9:10]
	v_and_b32_e32 v7, 3, v7
	v_mov_b32_e32 v8, v15
	v_cmp_eq_u64_e64 s[22:23], v[43:44], v[18:19]
	s_and_b64 s[26:27], s[20:21], s[6:7]
	v_cmp_eq_u64_e64 s[6:7], 0, v[7:8]
	v_cndmask_b32_e64 v23, 0, 1, s[16:17]
	s_and_b64 s[34:35], s[22:23], s[6:7]
	v_cmp_ne_u32_e64 s[6:7], 0, v23
	v_cndmask_b32_e64 v23, 0, 1, s[24:25]
	s_bcnt1_i32_b64 s16, s[6:7]
	v_cmp_ne_u32_e64 s[6:7], 0, v23
	v_cndmask_b32_e64 v23, 0, 1, s[26:27]
	s_bcnt1_i32_b64 s17, s[6:7]
	;; [unrolled: 3-line block ×3, first 2 shown]
	v_cmp_ne_u32_e64 s[6:7], 0, v23
	s_bcnt1_i32_b64 s6, s[6:7]
	s_add_i32 s7, s9, s16
	s_add_i32 s7, s7, s17
	;; [unrolled: 1-line block ×4, first 2 shown]
	v_cmp_eq_u64_e64 s[6:7], 1, v[14:15]
	s_and_b64 s[16:17], vcc, s[6:7]
	v_cmp_eq_u64_e64 s[6:7], 1, v[3:4]
	v_cndmask_b32_e64 v23, 0, 1, s[16:17]
	s_and_b64 s[24:25], s[18:19], s[6:7]
	v_cmp_eq_u64_e64 s[6:7], 1, v[9:10]
	s_and_b64 s[26:27], s[20:21], s[6:7]
	v_cmp_eq_u64_e64 s[6:7], 1, v[7:8]
	s_and_b64 s[34:35], s[22:23], s[6:7]
	v_cmp_ne_u32_e64 s[6:7], 0, v23
	v_cndmask_b32_e64 v23, 0, 1, s[24:25]
	s_bcnt1_i32_b64 s16, s[6:7]
	v_cmp_ne_u32_e64 s[6:7], 0, v23
	v_cndmask_b32_e64 v23, 0, 1, s[26:27]
	s_bcnt1_i32_b64 s17, s[6:7]
	;; [unrolled: 3-line block ×3, first 2 shown]
	v_cmp_ne_u32_e64 s[6:7], 0, v23
	s_bcnt1_i32_b64 s6, s[6:7]
	s_add_i32 s7, s8, s16
	s_add_i32 s7, s7, s17
	;; [unrolled: 1-line block ×4, first 2 shown]
	v_cmp_eq_u64_e64 s[6:7], 2, v[14:15]
	s_and_b64 s[16:17], vcc, s[6:7]
	v_cmp_eq_u64_e64 s[6:7], 2, v[3:4]
	v_cndmask_b32_e64 v23, 0, 1, s[16:17]
	s_and_b64 s[24:25], s[18:19], s[6:7]
	v_cmp_eq_u64_e64 s[6:7], 2, v[9:10]
	s_and_b64 s[26:27], s[20:21], s[6:7]
	v_cmp_eq_u64_e64 s[6:7], 2, v[7:8]
	s_and_b64 s[34:35], s[22:23], s[6:7]
	v_cmp_ne_u32_e64 s[6:7], 0, v23
	v_cndmask_b32_e64 v23, 0, 1, s[24:25]
	s_bcnt1_i32_b64 s16, s[6:7]
	v_cmp_ne_u32_e64 s[6:7], 0, v23
	v_cndmask_b32_e64 v23, 0, 1, s[26:27]
	s_bcnt1_i32_b64 s17, s[6:7]
	v_cmp_ne_u32_e64 s[6:7], 0, v23
	v_cndmask_b32_e64 v23, 0, 1, s[34:35]
	s_add_i32 s5, s5, s16
	s_bcnt1_i32_b64 s24, s[6:7]
	v_cmp_ne_u32_e64 s[6:7], 0, v23
	s_add_i32 s5, s5, s17
	s_bcnt1_i32_b64 s6, s[6:7]
	s_add_i32 s5, s5, s24
	s_add_i32 s5, s5, s6
	v_cmp_eq_u64_e64 s[6:7], 3, v[14:15]
	s_and_b64 s[6:7], vcc, s[6:7]
	v_cmp_eq_u64_e32 vcc, 3, v[3:4]
	v_cndmask_b32_e64 v3, 0, 1, s[6:7]
	s_and_b64 s[16:17], s[18:19], vcc
	v_cmp_eq_u64_e32 vcc, 3, v[9:10]
	v_mov_b32_e32 v9, s5
	s_and_b64 s[18:19], s[20:21], vcc
	v_cmp_eq_u64_e32 vcc, 3, v[7:8]
	v_mov_b32_e32 v7, s9
	s_and_b64 s[20:21], s[22:23], vcc
	v_cmp_ne_u32_e32 vcc, 0, v3
	v_cndmask_b32_e64 v3, 0, 1, s[16:17]
	s_bcnt1_i32_b64 s6, vcc
	v_cmp_ne_u32_e32 vcc, 0, v3
	v_cndmask_b32_e64 v3, 0, 1, s[18:19]
	s_bcnt1_i32_b64 s7, vcc
	v_cmp_ne_u32_e32 vcc, 0, v3
	v_cndmask_b32_e64 v3, 0, 1, s[20:21]
	s_add_i32 s3, s3, s6
	s_bcnt1_i32_b64 s16, vcc
	v_cmp_ne_u32_e32 vcc, 0, v3
	s_add_i32 s3, s3, s7
	s_bcnt1_i32_b64 s17, vcc
	s_add_i32 s3, s3, s16
	s_add_i32 s3, s3, s17
	v_cmp_le_u32_e32 vcc, s2, v22
	s_or_b64 s[78:79], vcc, s[78:79]
	v_mov_b32_e32 v8, s8
	v_mov_b32_e32 v10, s3
	s_andn2_b64 exec, exec, s[78:79]
	s_cbranch_execnz .LBB72_56
; %bb.57:                               ;   in Loop: Header=BB72_6 Depth=1
	s_or_b64 exec, exec, s[78:79]
.LBB72_58:                              ;   in Loop: Header=BB72_6 Depth=1
	s_or_b64 exec, exec, s[76:77]
	v_add_u32_e32 v1, s2, v0
	v_cmp_gt_u32_e32 vcc, s4, v1
	s_and_saveexec_b64 s[18:19], vcc
	s_cbranch_execz .LBB72_62
; %bb.59:                               ;   in Loop: Header=BB72_6 Depth=1
	v_lshlrev_b32_e32 v3, 3, v1
	s_mov_b64 s[20:21], 0
.LBB72_60:                              ;   Parent Loop BB72_6 Depth=1
                                        ; =>  This Inner Loop Header: Depth=2
	ds_read_b64 v[22:23], v3
	v_add_u32_e32 v1, s46, v1
	v_add_u32_e32 v3, s10, v3
	s_waitcnt lgkmcnt(0)
	v_cmp_o_f64_e32 vcc, v[22:23], v[22:23]
	v_ashrrev_i32_e32 v4, 31, v23
	v_or_b32_e32 v14, 0x80000000, v4
	v_xor_b32_e32 v14, v14, v23
	v_xor_b32_e32 v4, v4, v22
	v_cndmask_b32_e32 v23, -1, v14, vcc
	v_cndmask_b32_e32 v22, -1, v4, vcc
	v_and_b32_e32 v25, v23, v21
	v_and_b32_e32 v24, v22, v20
	v_lshrrev_b64 v[22:23], s11, v[22:23]
	v_cmp_eq_u64_e32 vcc, v[24:25], v[18:19]
	v_and_b32_e32 v14, 3, v22
	v_cmp_eq_u64_e64 s[6:7], 0, v[14:15]
	s_and_b64 s[2:3], vcc, s[6:7]
	v_cndmask_b32_e64 v4, 0, 1, s[2:3]
	v_cmp_ne_u32_e64 s[6:7], 0, v4
	s_bcnt1_i32_b64 s2, s[6:7]
	v_cmp_eq_u64_e64 s[6:7], 1, v[14:15]
	v_add_u32_e32 v7, s2, v7
	s_and_b64 s[2:3], vcc, s[6:7]
	v_cndmask_b32_e64 v4, 0, 1, s[2:3]
	v_cmp_ne_u32_e64 s[6:7], 0, v4
	s_bcnt1_i32_b64 s2, s[6:7]
	v_cmp_eq_u64_e64 s[6:7], 2, v[14:15]
	v_add_u32_e32 v8, s2, v8
	;; [unrolled: 6-line block ×3, first 2 shown]
	s_and_b64 s[2:3], vcc, s[6:7]
	v_cndmask_b32_e64 v4, 0, 1, s[2:3]
	v_cmp_ne_u32_e32 vcc, 0, v4
	s_bcnt1_i32_b64 s2, vcc
	v_cmp_le_u32_e32 vcc, s4, v1
	v_add_u32_e32 v10, s2, v10
	s_or_b64 s[20:21], vcc, s[20:21]
	s_andn2_b64 exec, exec, s[20:21]
	s_cbranch_execnz .LBB72_60
; %bb.61:                               ;   in Loop: Header=BB72_6 Depth=1
	s_or_b64 exec, exec, s[20:21]
.LBB72_62:                              ;   in Loop: Header=BB72_6 Depth=1
	s_or_b64 exec, exec, s[18:19]
	s_lshl_b32 s4, s41, 6
	s_and_saveexec_b64 s[2:3], s[0:1]
	s_cbranch_execnz .LBB72_36
	s_branch .LBB72_37
.LBB72_63:                              ;   in Loop: Header=BB72_6 Depth=1
	v_mov_b32_e32 v1, 0
	s_mov_b32 s5, 0
.LBB72_64:                              ;   in Loop: Header=BB72_6 Depth=1
	v_readlane_b32 s6, v47, 34
	v_readlane_b32 s7, v47, 35
	s_andn2_b64 vcc, exec, s[6:7]
	s_cbranch_vccnz .LBB72_67
; %bb.65:                               ;   in Loop: Header=BB72_6 Depth=1
	s_lshl_b32 s6, s41, 8
	s_lshl_b32 s5, s5, 4
	s_add_i32 s6, s6, s5
	v_add_u32_e32 v3, s6, v41
	v_readlane_b32 s5, v47, 33
.LBB72_66:                              ;   Parent Loop BB72_6 Depth=1
                                        ; =>  This Inner Loop Header: Depth=2
	ds_read_b32 v4, v3
	s_add_i32 s5, s5, -1
	v_add_u32_e32 v3, 16, v3
	s_cmp_lg_u32 s5, 0
	s_waitcnt lgkmcnt(0)
	v_add_u32_e32 v1, v4, v1
	s_cbranch_scc1 .LBB72_66
.LBB72_67:                              ;   in Loop: Header=BB72_6 Depth=1
	v_add_lshl_u32 v3, s4, v30, 2
	ds_write_b32 v3, v1 offset:3072
.LBB72_68:                              ;   in Loop: Header=BB72_6 Depth=1
	s_or_b64 exec, exec, s[2:3]
	s_lshl_b32 s2, s4, 2
	v_mov_b32_e32 v1, s2
	s_waitcnt lgkmcnt(0)
	s_barrier
	ds_read_b128 v[7:10], v1 offset:3072
	s_lshl_b64 s[22:23], 3, s11
	s_not_b64 s[76:77], s[22:23]
	v_cmp_eq_u32_e64 s[18:19], 1, v42
	s_mov_b64 s[86:87], -1
	s_waitcnt lgkmcnt(0)
	v_readfirstlane_b32 s4, v7
	v_readfirstlane_b32 s5, v8
	;; [unrolled: 1-line block ×4, first 2 shown]
	s_mov_b64 s[20:21], 0
	s_andn2_b64 vcc, exec, s[30:31]
	s_mov_b64 s[80:81], 0
	s_mov_b64 s[78:79], 0
                                        ; implicit-def: $sgpr82_sgpr83
                                        ; implicit-def: $sgpr84_sgpr85
                                        ; implicit-def: $vgpr44
                                        ; implicit-def: $vgpr43
                                        ; implicit-def: $vgpr22_vgpr23
                                        ; implicit-def: $vgpr24_vgpr25
                                        ; implicit-def: $vgpr9_vgpr10
	s_cbranch_vccnz .LBB72_237
; %bb.69:                               ;   in Loop: Header=BB72_6 Depth=1
	s_cmp_eq_u32 s4, 1
	s_cselect_b64 s[2:3], -1, 0
	v_mov_b32_e32 v23, v19
	v_mov_b32_e32 v25, v21
	;; [unrolled: 1-line block ×3, first 2 shown]
	s_and_b64 s[6:7], s[2:3], s[18:19]
	s_mov_b64 s[2:3], -1
	v_mov_b32_e32 v22, v18
	v_mov_b32_e32 v24, v20
	;; [unrolled: 1-line block ×3, first 2 shown]
                                        ; implicit-def: $sgpr84_sgpr85
                                        ; implicit-def: $sgpr82_sgpr83
	s_and_saveexec_b64 s[24:25], s[6:7]
	s_cbranch_execz .LBB72_100
; %bb.70:                               ;   in Loop: Header=BB72_6 Depth=1
	ds_read_b32 v1, v15 offset:4096
	s_waitcnt lgkmcnt(0)
	s_barrier
	v_readfirstlane_b32 s38, v1
	s_mov_b64 s[2:3], exec
	v_readlane_b32 s8, v47, 26
	v_readlane_b32 s9, v47, 27
	s_and_b64 s[8:9], s[2:3], s[8:9]
	s_mov_b64 exec, s[8:9]
; %bb.71:                               ;   in Loop: Header=BB72_6 Depth=1
	v_mov_b32_e32 v14, v15
	ds_write_b64 v32, v[14:15]
; %bb.72:                               ;   in Loop: Header=BB72_6 Depth=1
	s_or_b64 exec, exec, s[2:3]
	v_and_b32_e32 v23, s77, v19
	v_and_b32_e32 v22, s76, v18
	v_or_b32_e32 v25, s23, v21
	v_or_b32_e32 v24, s22, v20
	s_mov_b64 s[82:83], -1
	s_mov_b64 s[84:85], 0
	s_cmp_eq_u32 s38, 0
	s_mov_b64 s[26:27], 0
	s_mov_b64 s[34:35], -1
	s_waitcnt lgkmcnt(0)
	s_barrier
                                        ; implicit-def: $vgpr9_vgpr10
	s_cbranch_scc1 .LBB72_87
; %bb.73:                               ;   in Loop: Header=BB72_6 Depth=1
	v_readlane_b32 s2, v47, 28
	s_add_i32 s2, s38, s2
	v_readlane_b32 s3, v47, 41
	s_mul_hi_u32 s3, s2, s3
	s_mul_i32 s3, s3, s46
	s_sub_i32 s3, s2, s3
	s_sub_i32 s8, s3, s46
	s_cmp_ge_u32 s3, s46
	s_cselect_b32 s3, s8, s3
	s_sub_i32 s8, s3, s46
	s_cmp_ge_u32 s3, s46
	s_cselect_b32 s3, s8, s3
	s_sub_i32 s39, s2, s3
	v_cmp_gt_u32_e32 vcc, s39, v0
	s_mov_b64 s[34:35], 0
                                        ; implicit-def: $vgpr9_vgpr10
	s_and_saveexec_b64 s[2:3], vcc
	s_cbranch_execz .LBB72_86
; %bb.74:                               ;   in Loop: Header=BB72_6 Depth=1
	s_mov_b64 s[16:17], 0
	v_mov_b32_e32 v14, v31
	v_mov_b32_e32 v43, v0
                                        ; implicit-def: $sgpr8_sgpr9
	s_branch .LBB72_78
.LBB72_75:                              ;   in Loop: Header=BB72_78 Depth=2
	s_or_b64 exec, exec, s[26:27]
	s_waitcnt lgkmcnt(0)
	s_barrier
	ds_read_b128 v[7:10], v15 offset:3072
	s_waitcnt lgkmcnt(0)
	s_barrier
	v_cmp_neq_f64_e32 vcc, 0, v[7:8]
	s_cbranch_vccnz .LBB72_81
; %bb.76:                               ;   in Loop: Header=BB72_78 Depth=2
	v_add_u32_e32 v43, s46, v43
	v_cmp_le_u32_e32 vcc, s39, v43
	v_add_u32_e32 v14, s10, v14
	s_mov_b64 s[26:27], 0
	s_orn2_b64 s[36:37], vcc, exec
.LBB72_77:                              ;   in Loop: Header=BB72_78 Depth=2
	s_and_b64 s[36:37], exec, s[36:37]
	s_or_b64 s[16:17], s[36:37], s[16:17]
	s_andn2_b64 s[8:9], s[8:9], exec
	s_and_b64 s[26:27], s[26:27], exec
	s_or_b64 s[8:9], s[8:9], s[26:27]
	s_andn2_b64 exec, exec, s[16:17]
	s_cbranch_execz .LBB72_85
.LBB72_78:                              ;   Parent Loop BB72_6 Depth=1
                                        ; =>  This Inner Loop Header: Depth=2
	v_cmp_gt_u32_e32 vcc, s38, v43
	s_and_saveexec_b64 s[26:27], vcc
	s_cbranch_execz .LBB72_75
; %bb.79:                               ;   in Loop: Header=BB72_78 Depth=2
	ds_read_b64 v[3:4], v14
	s_waitcnt lgkmcnt(0)
	v_cmp_o_f64_e32 vcc, v[3:4], v[3:4]
	v_ashrrev_i32_e32 v1, 31, v4
	v_or_b32_e32 v7, 0x80000000, v1
	v_xor_b32_e32 v7, v7, v4
	v_xor_b32_e32 v1, v1, v3
	v_cndmask_b32_e32 v7, -1, v7, vcc
	v_cndmask_b32_e32 v1, -1, v1, vcc
	v_and_b32_e32 v8, v7, v25
	v_and_b32_e32 v7, v1, v24
	v_cmp_eq_u64_e32 vcc, v[7:8], v[22:23]
	s_and_b64 exec, exec, vcc
	s_cbranch_execz .LBB72_75
; %bb.80:                               ;   in Loop: Header=BB72_78 Depth=2
	v_mov_b32_e32 v1, v15
	ds_write_b128 v15, v[1:4] offset:3072
	s_branch .LBB72_75
.LBB72_81:                              ;   in Loop: Header=BB72_78 Depth=2
	s_mov_b64 s[36:37], -1
                                        ; implicit-def: $vgpr43
                                        ; implicit-def: $vgpr14
	s_mov_b64 s[26:27], -1
	s_branch .LBB72_77
.LBB72_82:                              ;   in Loop: Header=BB72_6 Depth=1
	s_or_b64 exec, exec, s[2:3]
	s_waitcnt lgkmcnt(0)
	s_barrier
	s_mov_b64 s[2:3], exec
	v_readlane_b32 s4, v47, 13
	v_readlane_b32 s5, v47, 14
	s_and_b64 s[4:5], s[2:3], s[4:5]
	s_mov_b64 exec, s[4:5]
	s_cbranch_execz .LBB72_84
; %bb.83:                               ;   in Loop: Header=BB72_6 Depth=1
	ds_read_b32 v1, v15 offset:4104
	s_waitcnt lgkmcnt(0)
	ds_write_b32 v15, v1 offset:4096
.LBB72_84:                              ;   in Loop: Header=BB72_6 Depth=1
	s_or_b64 exec, exec, s[2:3]
	s_waitcnt lgkmcnt(0)
	s_barrier
	s_mov_b64 s[2:3], -1
	s_and_b64 vcc, exec, s[20:21]
	s_cbranch_vccnz .LBB72_22
	s_branch .LBB72_31
.LBB72_85:                              ;   in Loop: Header=BB72_6 Depth=1
	s_or_b64 exec, exec, s[16:17]
	s_and_b64 s[26:27], s[8:9], exec
.LBB72_86:                              ;   in Loop: Header=BB72_6 Depth=1
	s_or_b64 exec, exec, s[2:3]
.LBB72_87:                              ;   in Loop: Header=BB72_6 Depth=1
	s_and_b64 vcc, exec, s[34:35]
	s_cbranch_vccz .LBB72_99
; %bb.88:                               ;   in Loop: Header=BB72_6 Depth=1
                                        ; implicit-def: $vgpr9_vgpr10
	s_mov_b64 s[2:3], exec
	v_readlane_b32 s8, v47, 42
	v_readlane_b32 s9, v47, 43
	s_and_b64 s[8:9], s[2:3], s[8:9]
	s_mov_b64 exec, s[8:9]
	s_cbranch_execz .LBB72_98
; %bb.89:                               ;   in Loop: Header=BB72_6 Depth=1
	s_mov_b64 s[34:35], 0
	v_mov_b32_e32 v14, v13
	v_mov_b32_e32 v43, v0
                                        ; implicit-def: $sgpr16_sgpr17
	s_branch .LBB72_93
.LBB72_90:                              ;   in Loop: Header=BB72_93 Depth=2
	s_or_b64 exec, exec, s[8:9]
	s_waitcnt lgkmcnt(0)
	s_barrier
	ds_read_b128 v[7:10], v15 offset:3072
	s_waitcnt lgkmcnt(0)
	s_barrier
	v_cmp_neq_f64_e32 vcc, 0, v[7:8]
	s_cbranch_vccnz .LBB72_96
; %bb.91:                               ;   in Loop: Header=BB72_93 Depth=2
	v_add_u32_e32 v43, s46, v43
	v_cmp_le_u32_e32 vcc, s48, v43
	v_add_u32_e32 v14, s47, v14
	s_mov_b64 s[8:9], 0
	s_orn2_b64 s[36:37], vcc, exec
.LBB72_92:                              ;   in Loop: Header=BB72_93 Depth=2
	s_and_b64 s[36:37], exec, s[36:37]
	s_or_b64 s[34:35], s[36:37], s[34:35]
	s_andn2_b64 s[16:17], s[16:17], exec
	s_and_b64 s[8:9], s[8:9], exec
	s_or_b64 s[16:17], s[16:17], s[8:9]
	s_andn2_b64 exec, exec, s[34:35]
	s_cbranch_execz .LBB72_97
.LBB72_93:                              ;   Parent Loop BB72_6 Depth=1
                                        ; =>  This Inner Loop Header: Depth=2
	v_cmp_gt_u32_e32 vcc, s28, v43
	s_and_saveexec_b64 s[8:9], vcc
	s_cbranch_execz .LBB72_90
; %bb.94:                               ;   in Loop: Header=BB72_93 Depth=2
	v_lshlrev_b64 v[3:4], 3, v[14:15]
	v_mov_b32_e32 v1, s40
	v_add_co_u32_e32 v3, vcc, s33, v3
	v_addc_co_u32_e32 v4, vcc, v1, v4, vcc
	global_load_dwordx2 v[3:4], v[3:4], off
	s_waitcnt vmcnt(0)
	v_cmp_o_f64_e32 vcc, v[3:4], v[3:4]
	v_ashrrev_i32_e32 v1, 31, v4
	v_or_b32_e32 v7, 0x80000000, v1
	v_xor_b32_e32 v7, v7, v4
	v_xor_b32_e32 v1, v1, v3
	v_cndmask_b32_e32 v7, -1, v7, vcc
	v_cndmask_b32_e32 v1, -1, v1, vcc
	v_and_b32_e32 v8, v7, v25
	v_and_b32_e32 v7, v1, v24
	v_cmp_eq_u64_e32 vcc, v[7:8], v[22:23]
	s_and_b64 exec, exec, vcc
	s_cbranch_execz .LBB72_90
; %bb.95:                               ;   in Loop: Header=BB72_93 Depth=2
	v_mov_b32_e32 v1, v15
	ds_write_b128 v15, v[1:4] offset:3072
	s_branch .LBB72_90
.LBB72_96:                              ;   in Loop: Header=BB72_93 Depth=2
	s_mov_b64 s[36:37], -1
                                        ; implicit-def: $vgpr43
	s_mov_b64 s[8:9], -1
	s_branch .LBB72_92
.LBB72_97:                              ;   in Loop: Header=BB72_6 Depth=1
	s_or_b64 exec, exec, s[34:35]
	s_andn2_b64 s[8:9], s[26:27], exec
	s_and_b64 s[16:17], s[16:17], exec
	s_or_b64 s[26:27], s[8:9], s[16:17]
.LBB72_98:                              ;   in Loop: Header=BB72_6 Depth=1
	s_or_b64 exec, exec, s[2:3]
	s_mov_b64 s[82:83], 0
	s_mov_b64 s[84:85], -1
.LBB72_99:                              ;   in Loop: Header=BB72_6 Depth=1
	s_orn2_b64 s[2:3], s[26:27], exec
.LBB72_100:                             ;   in Loop: Header=BB72_6 Depth=1
	s_or_b64 exec, exec, s[24:25]
	s_mov_b64 s[86:87], 0
	s_mov_b64 s[80:81], 0
	;; [unrolled: 1-line block ×3, first 2 shown]
                                        ; implicit-def: $vgpr44
                                        ; implicit-def: $vgpr43
	s_and_saveexec_b64 s[88:89], s[2:3]
	s_cbranch_execz .LBB72_236
; %bb.101:                              ;   in Loop: Header=BB72_6 Depth=1
	s_xor_b64 s[8:9], s[6:7], -1
	s_mov_b64 s[6:7], 0
	v_mov_b32_e32 v44, 1
	v_mov_b32_e32 v43, 1
	s_and_saveexec_b64 s[2:3], s[8:9]
	s_cbranch_execz .LBB72_110
; %bb.102:                              ;   in Loop: Header=BB72_6 Depth=1
	v_cmp_ge_u32_e32 vcc, s4, v42
	s_and_saveexec_b64 s[6:7], vcc
	s_xor_b64 s[6:7], exec, s[6:7]
	s_cbranch_execz .LBB72_107
; %bb.103:                              ;   in Loop: Header=BB72_6 Depth=1
	ds_read_b32 v1, v15 offset:4096
	v_and_b32_e32 v23, s77, v23
	v_and_b32_e32 v22, s76, v22
	v_or_b32_e32 v25, s23, v25
	v_or_b32_e32 v24, s22, v24
	s_waitcnt lgkmcnt(0)
	v_cmp_ne_u32_e32 vcc, 0, v1
	s_cbranch_vccnz .LBB72_107
; %bb.104:                              ;   in Loop: Header=BB72_6 Depth=1
	s_mov_b64 s[8:9], exec
	v_readlane_b32 s16, v47, 13
	v_readlane_b32 s17, v47, 14
	s_and_b64 s[16:17], s[8:9], s[16:17]
	s_mov_b64 exec, s[16:17]
; %bb.105:                              ;   in Loop: Header=BB72_6 Depth=1
	v_mov_b32_e32 v1, s4
	ds_write_b32 v15, v1 offset:4100
; %bb.106:                              ;   in Loop: Header=BB72_6 Depth=1
	s_or_b64 exec, exec, s[8:9]
	s_waitcnt lgkmcnt(0)
	s_barrier
.LBB72_107:                             ;   in Loop: Header=BB72_6 Depth=1
	s_or_saveexec_b64 s[6:7], s[6:7]
	s_mov_b64 s[8:9], 0
	v_mov_b32_e32 v43, 8
	v_mov_b32_e32 v44, v42
	s_xor_b64 exec, exec, s[6:7]
; %bb.108:                              ;   in Loop: Header=BB72_6 Depth=1
	s_mov_b64 s[8:9], exec
	v_subrev_u32_e32 v44, s4, v42
	v_mov_b32_e32 v43, 0
; %bb.109:                              ;   in Loop: Header=BB72_6 Depth=1
	s_or_b64 exec, exec, s[6:7]
	s_and_b64 s[6:7], s[8:9], exec
.LBB72_110:                             ;   in Loop: Header=BB72_6 Depth=1
	s_or_b64 exec, exec, s[2:3]
	s_mov_b64 s[2:3], -1
                                        ; implicit-def: $sgpr78_sgpr79
                                        ; implicit-def: $sgpr80_sgpr81
	s_and_saveexec_b64 s[8:9], s[6:7]
	s_xor_b64 s[6:7], exec, s[8:9]
	s_cbranch_execz .LBB72_233
; %bb.111:                              ;   in Loop: Header=BB72_6 Depth=1
	s_cmp_eq_u32 s5, 1
	s_cselect_b64 s[2:3], -1, 0
	v_cmp_eq_u32_e32 vcc, 1, v44
	s_and_b64 s[26:27], s[2:3], vcc
	s_mov_b64 s[2:3], -1
                                        ; implicit-def: $sgpr80_sgpr81
                                        ; implicit-def: $sgpr78_sgpr79
	s_and_saveexec_b64 s[24:25], s[26:27]
	s_cbranch_execz .LBB72_139
; %bb.112:                              ;   in Loop: Header=BB72_6 Depth=1
	ds_read_b32 v1, v15 offset:4096
	s_waitcnt lgkmcnt(0)
	s_barrier
	v_readfirstlane_b32 s44, v1
	s_mov_b64 s[2:3], exec
	v_readlane_b32 s8, v47, 26
	v_readlane_b32 s9, v47, 27
	s_and_b64 s[8:9], s[2:3], s[8:9]
	s_mov_b64 exec, s[8:9]
; %bb.113:                              ;   in Loop: Header=BB72_6 Depth=1
	v_mov_b32_e32 v14, v15
	ds_write_b64 v32, v[14:15]
; %bb.114:                              ;   in Loop: Header=BB72_6 Depth=1
	s_or_b64 exec, exec, s[2:3]
	s_lshl_b64 s[2:3], 1, s11
	v_and_b32_e32 v1, s77, v23
	v_and_b32_e32 v3, s76, v22
	v_or_b32_e32 v23, s3, v1
	v_or_b32_e32 v22, s2, v3
	;; [unrolled: 1-line block ×4, first 2 shown]
	s_mov_b64 s[78:79], -1
	s_mov_b64 s[80:81], 0
	s_cmp_eq_u32 s44, 0
	s_mov_b64 s[34:35], 0
	s_mov_b64 s[36:37], -1
	s_waitcnt lgkmcnt(0)
	s_barrier
                                        ; implicit-def: $vgpr9_vgpr10
	s_cbranch_scc1 .LBB72_126
; %bb.115:                              ;   in Loop: Header=BB72_6 Depth=1
	v_readlane_b32 s2, v47, 28
	s_add_i32 s2, s44, s2
	v_readlane_b32 s3, v47, 41
	s_mul_hi_u32 s3, s2, s3
	s_mul_i32 s3, s3, s46
	s_sub_i32 s3, s2, s3
	s_sub_i32 s8, s3, s46
	s_cmp_ge_u32 s3, s46
	s_cselect_b32 s3, s8, s3
	s_sub_i32 s8, s3, s46
	s_cmp_ge_u32 s3, s46
	s_cselect_b32 s3, s8, s3
	s_sub_i32 s45, s2, s3
	v_cmp_gt_u32_e32 vcc, s45, v0
	s_mov_b64 s[36:37], 0
                                        ; implicit-def: $vgpr9_vgpr10
	s_and_saveexec_b64 s[2:3], vcc
	s_cbranch_execz .LBB72_125
; %bb.116:                              ;   in Loop: Header=BB72_6 Depth=1
	s_mov_b64 s[16:17], 0
	v_mov_b32_e32 v14, v31
	v_mov_b32_e32 v45, v0
                                        ; implicit-def: $sgpr34_sgpr35
	s_branch .LBB72_120
.LBB72_117:                             ;   in Loop: Header=BB72_120 Depth=2
	s_or_b64 exec, exec, s[8:9]
	s_waitcnt lgkmcnt(0)
	s_barrier
	ds_read_b128 v[7:10], v15 offset:3072
	s_waitcnt lgkmcnt(0)
	s_barrier
	v_cmp_neq_f64_e32 vcc, 0, v[7:8]
	s_cbranch_vccnz .LBB72_123
; %bb.118:                              ;   in Loop: Header=BB72_120 Depth=2
	v_add_u32_e32 v45, s46, v45
	v_cmp_le_u32_e32 vcc, s45, v45
	v_add_u32_e32 v14, s10, v14
	s_mov_b64 s[8:9], 0
	s_orn2_b64 s[38:39], vcc, exec
.LBB72_119:                             ;   in Loop: Header=BB72_120 Depth=2
	s_and_b64 s[38:39], exec, s[38:39]
	s_or_b64 s[16:17], s[38:39], s[16:17]
	s_andn2_b64 s[34:35], s[34:35], exec
	s_and_b64 s[8:9], s[8:9], exec
	s_or_b64 s[34:35], s[34:35], s[8:9]
	s_andn2_b64 exec, exec, s[16:17]
	s_cbranch_execz .LBB72_124
.LBB72_120:                             ;   Parent Loop BB72_6 Depth=1
                                        ; =>  This Inner Loop Header: Depth=2
	v_cmp_gt_u32_e32 vcc, s44, v45
	s_and_saveexec_b64 s[8:9], vcc
	s_cbranch_execz .LBB72_117
; %bb.121:                              ;   in Loop: Header=BB72_120 Depth=2
	ds_read_b64 v[3:4], v14
	s_waitcnt lgkmcnt(0)
	v_cmp_o_f64_e32 vcc, v[3:4], v[3:4]
	v_ashrrev_i32_e32 v1, 31, v4
	v_or_b32_e32 v7, 0x80000000, v1
	v_xor_b32_e32 v7, v7, v4
	v_xor_b32_e32 v1, v1, v3
	v_cndmask_b32_e32 v7, -1, v7, vcc
	v_cndmask_b32_e32 v1, -1, v1, vcc
	v_and_b32_e32 v8, v7, v25
	v_and_b32_e32 v7, v1, v24
	v_cmp_eq_u64_e32 vcc, v[7:8], v[22:23]
	s_and_b64 exec, exec, vcc
	s_cbranch_execz .LBB72_117
; %bb.122:                              ;   in Loop: Header=BB72_120 Depth=2
	v_mov_b32_e32 v1, v15
	ds_write_b128 v15, v[1:4] offset:3072
	s_branch .LBB72_117
.LBB72_123:                             ;   in Loop: Header=BB72_120 Depth=2
	s_mov_b64 s[38:39], -1
                                        ; implicit-def: $vgpr45
                                        ; implicit-def: $vgpr14
	s_mov_b64 s[8:9], -1
	s_branch .LBB72_119
.LBB72_124:                             ;   in Loop: Header=BB72_6 Depth=1
	s_or_b64 exec, exec, s[16:17]
	s_and_b64 s[34:35], s[34:35], exec
.LBB72_125:                             ;   in Loop: Header=BB72_6 Depth=1
	s_or_b64 exec, exec, s[2:3]
.LBB72_126:                             ;   in Loop: Header=BB72_6 Depth=1
	s_and_b64 vcc, exec, s[36:37]
	s_cbranch_vccz .LBB72_138
; %bb.127:                              ;   in Loop: Header=BB72_6 Depth=1
                                        ; implicit-def: $vgpr9_vgpr10
	s_mov_b64 s[2:3], exec
	v_readlane_b32 s8, v47, 42
	v_readlane_b32 s9, v47, 43
	s_and_b64 s[8:9], s[2:3], s[8:9]
	s_mov_b64 exec, s[8:9]
	s_cbranch_execz .LBB72_137
; %bb.128:                              ;   in Loop: Header=BB72_6 Depth=1
	s_mov_b64 s[16:17], 0
	v_mov_b32_e32 v14, v13
	v_mov_b32_e32 v45, v0
                                        ; implicit-def: $sgpr36_sgpr37
	s_branch .LBB72_132
.LBB72_129:                             ;   in Loop: Header=BB72_132 Depth=2
	s_or_b64 exec, exec, s[8:9]
	s_waitcnt lgkmcnt(0)
	s_barrier
	ds_read_b128 v[7:10], v15 offset:3072
	s_waitcnt lgkmcnt(0)
	s_barrier
	v_cmp_eq_f64_e32 vcc, 0, v[7:8]
	s_cbranch_vccz .LBB72_135
; %bb.130:                              ;   in Loop: Header=BB72_132 Depth=2
	v_add_u32_e32 v45, s46, v45
	v_cmp_le_u32_e32 vcc, s48, v45
	v_add_u32_e32 v14, s47, v14
	s_mov_b64 s[8:9], 0
	s_orn2_b64 s[38:39], vcc, exec
.LBB72_131:                             ;   in Loop: Header=BB72_132 Depth=2
	s_and_b64 s[38:39], exec, s[38:39]
	s_or_b64 s[16:17], s[38:39], s[16:17]
	s_andn2_b64 s[36:37], s[36:37], exec
	s_and_b64 s[8:9], s[8:9], exec
	s_or_b64 s[36:37], s[36:37], s[8:9]
	s_andn2_b64 exec, exec, s[16:17]
	s_cbranch_execz .LBB72_136
.LBB72_132:                             ;   Parent Loop BB72_6 Depth=1
                                        ; =>  This Inner Loop Header: Depth=2
	v_cmp_gt_u32_e32 vcc, s28, v45
	s_and_saveexec_b64 s[8:9], vcc
	s_cbranch_execz .LBB72_129
; %bb.133:                              ;   in Loop: Header=BB72_132 Depth=2
	v_lshlrev_b64 v[3:4], 3, v[14:15]
	v_mov_b32_e32 v1, s40
	v_add_co_u32_e32 v3, vcc, s33, v3
	v_addc_co_u32_e32 v4, vcc, v1, v4, vcc
	global_load_dwordx2 v[3:4], v[3:4], off
	s_waitcnt vmcnt(0)
	v_cmp_o_f64_e32 vcc, v[3:4], v[3:4]
	v_ashrrev_i32_e32 v1, 31, v4
	v_or_b32_e32 v7, 0x80000000, v1
	v_xor_b32_e32 v7, v7, v4
	v_xor_b32_e32 v1, v1, v3
	v_cndmask_b32_e32 v7, -1, v7, vcc
	v_cndmask_b32_e32 v1, -1, v1, vcc
	v_and_b32_e32 v8, v7, v25
	v_and_b32_e32 v7, v1, v24
	v_cmp_eq_u64_e32 vcc, v[7:8], v[22:23]
	s_and_b64 exec, exec, vcc
	s_cbranch_execz .LBB72_129
; %bb.134:                              ;   in Loop: Header=BB72_132 Depth=2
	v_mov_b32_e32 v1, v15
	ds_write_b128 v15, v[1:4] offset:3072
	s_branch .LBB72_129
.LBB72_135:                             ;   in Loop: Header=BB72_132 Depth=2
	s_mov_b64 s[38:39], -1
                                        ; implicit-def: $vgpr45
	s_mov_b64 s[8:9], -1
	s_branch .LBB72_131
.LBB72_136:                             ;   in Loop: Header=BB72_6 Depth=1
	s_or_b64 exec, exec, s[16:17]
	s_andn2_b64 s[8:9], s[34:35], exec
	s_and_b64 s[16:17], s[36:37], exec
	s_or_b64 s[34:35], s[8:9], s[16:17]
.LBB72_137:                             ;   in Loop: Header=BB72_6 Depth=1
	s_or_b64 exec, exec, s[2:3]
	s_mov_b64 s[78:79], 0
	s_mov_b64 s[80:81], -1
.LBB72_138:                             ;   in Loop: Header=BB72_6 Depth=1
	s_orn2_b64 s[2:3], s[34:35], exec
.LBB72_139:                             ;   in Loop: Header=BB72_6 Depth=1
	s_or_b64 exec, exec, s[24:25]
	s_mov_b64 s[8:9], 0
	s_and_saveexec_b64 s[90:91], s[2:3]
	s_cbranch_execz .LBB72_232
; %bb.140:                              ;   in Loop: Header=BB72_6 Depth=1
	s_xor_b64 s[2:3], s[26:27], -1
	v_mov_b32_e32 v45, 1
	v_mov_b32_e32 v43, 1
	s_and_saveexec_b64 s[24:25], s[2:3]
	s_cbranch_execz .LBB72_149
; %bb.141:                              ;   in Loop: Header=BB72_6 Depth=1
	v_cmp_ge_u32_e32 vcc, s5, v44
	s_and_saveexec_b64 s[2:3], vcc
	s_xor_b64 s[2:3], exec, s[2:3]
	s_cbranch_execz .LBB72_146
; %bb.142:                              ;   in Loop: Header=BB72_6 Depth=1
	s_lshl_b64 s[8:9], 1, s11
	v_and_b32_e32 v1, s77, v23
	v_or_b32_e32 v23, s9, v1
	ds_read_b32 v1, v15 offset:4096
	v_and_b32_e32 v3, s76, v22
	v_or_b32_e32 v22, s8, v3
	v_or_b32_e32 v25, s23, v25
	v_or_b32_e32 v24, s22, v24
	s_waitcnt lgkmcnt(0)
	v_cmp_ne_u32_e32 vcc, 0, v1
	s_cbranch_vccnz .LBB72_146
; %bb.143:                              ;   in Loop: Header=BB72_6 Depth=1
	s_mov_b64 s[8:9], exec
	v_readlane_b32 s16, v47, 13
	v_readlane_b32 s17, v47, 14
	s_and_b64 s[16:17], s[8:9], s[16:17]
	s_mov_b64 exec, s[16:17]
; %bb.144:                              ;   in Loop: Header=BB72_6 Depth=1
	v_mov_b32_e32 v1, s5
	ds_write_b32 v15, v1 offset:4100
; %bb.145:                              ;   in Loop: Header=BB72_6 Depth=1
	s_or_b64 exec, exec, s[8:9]
	s_waitcnt lgkmcnt(0)
	s_barrier
.LBB72_146:                             ;   in Loop: Header=BB72_6 Depth=1
	s_or_saveexec_b64 s[2:3], s[2:3]
	s_mov_b64 s[8:9], 0
	v_mov_b32_e32 v43, 8
	s_xor_b64 exec, exec, s[2:3]
; %bb.147:                              ;   in Loop: Header=BB72_6 Depth=1
	s_mov_b64 s[8:9], exec
	v_subrev_u32_e32 v44, s5, v44
	v_mov_b32_e32 v43, 0
; %bb.148:                              ;   in Loop: Header=BB72_6 Depth=1
	s_or_b64 exec, exec, s[2:3]
	s_and_b64 s[8:9], s[8:9], exec
	v_mov_b32_e32 v45, v44
.LBB72_149:                             ;   in Loop: Header=BB72_6 Depth=1
	s_or_b64 exec, exec, s[24:25]
	s_mov_b64 s[2:3], -1
                                        ; implicit-def: $sgpr94_sgpr95
                                        ; implicit-def: $sgpr26_sgpr27
	s_and_saveexec_b64 s[92:93], s[8:9]
	s_cbranch_execz .LBB72_231
; %bb.150:                              ;   in Loop: Header=BB72_6 Depth=1
	s_cmp_eq_u32 s50, 1
	s_cselect_b64 s[2:3], -1, 0
	v_cmp_eq_u32_e32 vcc, 1, v45
	s_and_b64 s[36:37], s[2:3], vcc
	s_mov_b64 s[2:3], -1
                                        ; implicit-def: $sgpr26_sgpr27
                                        ; implicit-def: $sgpr94_sgpr95
	s_and_saveexec_b64 s[24:25], s[36:37]
	s_cbranch_execz .LBB72_178
; %bb.151:                              ;   in Loop: Header=BB72_6 Depth=1
	ds_read_b32 v1, v15 offset:4096
	s_waitcnt lgkmcnt(0)
	s_barrier
	v_readfirstlane_b32 s52, v1
	s_mov_b64 s[2:3], exec
	v_readlane_b32 s8, v47, 26
	v_readlane_b32 s9, v47, 27
	s_and_b64 s[8:9], s[2:3], s[8:9]
	s_mov_b64 exec, s[8:9]
; %bb.152:                              ;   in Loop: Header=BB72_6 Depth=1
	v_mov_b32_e32 v14, v15
	ds_write_b64 v32, v[14:15]
; %bb.153:                              ;   in Loop: Header=BB72_6 Depth=1
	s_or_b64 exec, exec, s[2:3]
	s_lshl_b64 s[2:3], 2, s11
	v_and_b32_e32 v1, s77, v23
	v_and_b32_e32 v3, s76, v22
	v_or_b32_e32 v23, s3, v1
	v_or_b32_e32 v22, s2, v3
	v_or_b32_e32 v25, s23, v25
	v_or_b32_e32 v24, s22, v24
	s_mov_b64 s[94:95], -1
	s_mov_b64 s[26:27], 0
	s_cmp_eq_u32 s52, 0
	s_mov_b64 s[34:35], 0
	s_mov_b64 s[38:39], -1
	s_waitcnt lgkmcnt(0)
	s_barrier
                                        ; implicit-def: $vgpr9_vgpr10
	s_cbranch_scc1 .LBB72_165
; %bb.154:                              ;   in Loop: Header=BB72_6 Depth=1
	v_readlane_b32 s2, v47, 28
	s_add_i32 s2, s52, s2
	v_readlane_b32 s3, v47, 41
	s_mul_hi_u32 s3, s2, s3
	s_mul_i32 s3, s3, s46
	s_sub_i32 s3, s2, s3
	s_sub_i32 s8, s3, s46
	s_cmp_ge_u32 s3, s46
	s_cselect_b32 s3, s8, s3
	s_sub_i32 s8, s3, s46
	s_cmp_ge_u32 s3, s46
	s_cselect_b32 s3, s8, s3
	s_sub_i32 s53, s2, s3
	v_cmp_gt_u32_e32 vcc, s53, v0
	s_mov_b64 s[38:39], 0
                                        ; implicit-def: $vgpr9_vgpr10
	s_and_saveexec_b64 s[2:3], vcc
	s_cbranch_execz .LBB72_164
; %bb.155:                              ;   in Loop: Header=BB72_6 Depth=1
	s_mov_b64 s[16:17], 0
	v_mov_b32_e32 v14, v31
	v_mov_b32_e32 v44, v0
                                        ; implicit-def: $sgpr34_sgpr35
	s_branch .LBB72_159
.LBB72_156:                             ;   in Loop: Header=BB72_159 Depth=2
	s_or_b64 exec, exec, s[8:9]
	s_waitcnt lgkmcnt(0)
	s_barrier
	ds_read_b128 v[7:10], v15 offset:3072
	s_waitcnt lgkmcnt(0)
	s_barrier
	v_cmp_neq_f64_e32 vcc, 0, v[7:8]
	s_cbranch_vccnz .LBB72_162
; %bb.157:                              ;   in Loop: Header=BB72_159 Depth=2
	v_add_u32_e32 v44, s46, v44
	v_cmp_le_u32_e32 vcc, s53, v44
	v_add_u32_e32 v14, s10, v14
	s_mov_b64 s[8:9], 0
	s_orn2_b64 s[44:45], vcc, exec
.LBB72_158:                             ;   in Loop: Header=BB72_159 Depth=2
	s_and_b64 s[44:45], exec, s[44:45]
	s_or_b64 s[16:17], s[44:45], s[16:17]
	s_andn2_b64 s[34:35], s[34:35], exec
	s_and_b64 s[8:9], s[8:9], exec
	s_or_b64 s[34:35], s[34:35], s[8:9]
	s_andn2_b64 exec, exec, s[16:17]
	s_cbranch_execz .LBB72_163
.LBB72_159:                             ;   Parent Loop BB72_6 Depth=1
                                        ; =>  This Inner Loop Header: Depth=2
	v_cmp_gt_u32_e32 vcc, s52, v44
	s_and_saveexec_b64 s[8:9], vcc
	s_cbranch_execz .LBB72_156
; %bb.160:                              ;   in Loop: Header=BB72_159 Depth=2
	ds_read_b64 v[3:4], v14
	s_waitcnt lgkmcnt(0)
	v_cmp_o_f64_e32 vcc, v[3:4], v[3:4]
	v_ashrrev_i32_e32 v1, 31, v4
	v_or_b32_e32 v7, 0x80000000, v1
	v_xor_b32_e32 v7, v7, v4
	v_xor_b32_e32 v1, v1, v3
	v_cndmask_b32_e32 v7, -1, v7, vcc
	v_cndmask_b32_e32 v1, -1, v1, vcc
	v_and_b32_e32 v8, v7, v25
	v_and_b32_e32 v7, v1, v24
	v_cmp_eq_u64_e32 vcc, v[7:8], v[22:23]
	s_and_b64 exec, exec, vcc
	s_cbranch_execz .LBB72_156
; %bb.161:                              ;   in Loop: Header=BB72_159 Depth=2
	v_mov_b32_e32 v1, v15
	ds_write_b128 v15, v[1:4] offset:3072
	s_branch .LBB72_156
.LBB72_162:                             ;   in Loop: Header=BB72_159 Depth=2
	s_mov_b64 s[44:45], -1
                                        ; implicit-def: $vgpr44
                                        ; implicit-def: $vgpr14
	s_mov_b64 s[8:9], -1
	s_branch .LBB72_158
.LBB72_163:                             ;   in Loop: Header=BB72_6 Depth=1
	s_or_b64 exec, exec, s[16:17]
	s_and_b64 s[34:35], s[34:35], exec
.LBB72_164:                             ;   in Loop: Header=BB72_6 Depth=1
	s_or_b64 exec, exec, s[2:3]
.LBB72_165:                             ;   in Loop: Header=BB72_6 Depth=1
	s_and_b64 vcc, exec, s[38:39]
	s_cbranch_vccz .LBB72_177
; %bb.166:                              ;   in Loop: Header=BB72_6 Depth=1
                                        ; implicit-def: $vgpr9_vgpr10
	s_mov_b64 s[2:3], exec
	v_readlane_b32 s8, v47, 42
	v_readlane_b32 s9, v47, 43
	s_and_b64 s[8:9], s[2:3], s[8:9]
	s_mov_b64 exec, s[8:9]
	s_cbranch_execz .LBB72_176
; %bb.167:                              ;   in Loop: Header=BB72_6 Depth=1
	s_mov_b64 s[16:17], 0
	v_mov_b32_e32 v14, v13
	v_mov_b32_e32 v44, v0
                                        ; implicit-def: $sgpr26_sgpr27
	s_branch .LBB72_171
.LBB72_168:                             ;   in Loop: Header=BB72_171 Depth=2
	s_or_b64 exec, exec, s[8:9]
	s_waitcnt lgkmcnt(0)
	s_barrier
	ds_read_b128 v[7:10], v15 offset:3072
	s_waitcnt lgkmcnt(0)
	s_barrier
	v_cmp_eq_f64_e32 vcc, 0, v[7:8]
	s_cbranch_vccz .LBB72_174
; %bb.169:                              ;   in Loop: Header=BB72_171 Depth=2
	v_add_u32_e32 v44, s46, v44
	v_cmp_le_u32_e32 vcc, s48, v44
	v_add_u32_e32 v14, s47, v14
	s_mov_b64 s[8:9], 0
	s_orn2_b64 s[38:39], vcc, exec
.LBB72_170:                             ;   in Loop: Header=BB72_171 Depth=2
	s_and_b64 s[38:39], exec, s[38:39]
	s_or_b64 s[16:17], s[38:39], s[16:17]
	s_andn2_b64 s[26:27], s[26:27], exec
	s_and_b64 s[8:9], s[8:9], exec
	s_or_b64 s[26:27], s[26:27], s[8:9]
	s_andn2_b64 exec, exec, s[16:17]
	s_cbranch_execz .LBB72_175
.LBB72_171:                             ;   Parent Loop BB72_6 Depth=1
                                        ; =>  This Inner Loop Header: Depth=2
	v_cmp_gt_u32_e32 vcc, s28, v44
	s_and_saveexec_b64 s[8:9], vcc
	s_cbranch_execz .LBB72_168
; %bb.172:                              ;   in Loop: Header=BB72_171 Depth=2
	v_lshlrev_b64 v[3:4], 3, v[14:15]
	v_mov_b32_e32 v1, s40
	v_add_co_u32_e32 v3, vcc, s33, v3
	v_addc_co_u32_e32 v4, vcc, v1, v4, vcc
	global_load_dwordx2 v[3:4], v[3:4], off
	s_waitcnt vmcnt(0)
	v_cmp_o_f64_e32 vcc, v[3:4], v[3:4]
	v_ashrrev_i32_e32 v1, 31, v4
	v_or_b32_e32 v7, 0x80000000, v1
	v_xor_b32_e32 v7, v7, v4
	v_xor_b32_e32 v1, v1, v3
	v_cndmask_b32_e32 v7, -1, v7, vcc
	v_cndmask_b32_e32 v1, -1, v1, vcc
	v_and_b32_e32 v8, v7, v25
	v_and_b32_e32 v7, v1, v24
	v_cmp_eq_u64_e32 vcc, v[7:8], v[22:23]
	s_and_b64 exec, exec, vcc
	s_cbranch_execz .LBB72_168
; %bb.173:                              ;   in Loop: Header=BB72_171 Depth=2
	v_mov_b32_e32 v1, v15
	ds_write_b128 v15, v[1:4] offset:3072
	s_branch .LBB72_168
.LBB72_174:                             ;   in Loop: Header=BB72_171 Depth=2
	s_mov_b64 s[38:39], -1
                                        ; implicit-def: $vgpr44
	s_mov_b64 s[8:9], -1
	s_branch .LBB72_170
.LBB72_175:                             ;   in Loop: Header=BB72_6 Depth=1
	s_or_b64 exec, exec, s[16:17]
	s_andn2_b64 s[8:9], s[34:35], exec
	s_and_b64 s[16:17], s[26:27], exec
	s_or_b64 s[34:35], s[8:9], s[16:17]
.LBB72_176:                             ;   in Loop: Header=BB72_6 Depth=1
	s_or_b64 exec, exec, s[2:3]
	s_mov_b64 s[94:95], 0
	s_mov_b64 s[26:27], -1
.LBB72_177:                             ;   in Loop: Header=BB72_6 Depth=1
	s_orn2_b64 s[2:3], s[34:35], exec
.LBB72_178:                             ;   in Loop: Header=BB72_6 Depth=1
	s_or_b64 exec, exec, s[24:25]
	s_mov_b64 s[8:9], 0
	s_and_saveexec_b64 s[34:35], s[2:3]
	s_cbranch_execz .LBB72_230
; %bb.179:                              ;   in Loop: Header=BB72_6 Depth=1
	s_xor_b64 s[2:3], s[36:37], -1
	v_mov_b32_e32 v44, 1
	v_mov_b32_e32 v43, 1
	s_and_saveexec_b64 s[24:25], s[2:3]
	s_cbranch_execz .LBB72_188
; %bb.180:                              ;   in Loop: Header=BB72_6 Depth=1
	v_cmp_ge_u32_e32 vcc, s50, v45
	s_and_saveexec_b64 s[2:3], vcc
	s_xor_b64 s[2:3], exec, s[2:3]
	s_cbranch_execz .LBB72_185
; %bb.181:                              ;   in Loop: Header=BB72_6 Depth=1
	s_lshl_b64 s[8:9], 2, s11
	v_and_b32_e32 v1, s77, v23
	v_or_b32_e32 v23, s9, v1
	ds_read_b32 v1, v15 offset:4096
	v_and_b32_e32 v3, s76, v22
	v_or_b32_e32 v22, s8, v3
	v_or_b32_e32 v25, s23, v25
	;; [unrolled: 1-line block ×3, first 2 shown]
	s_waitcnt lgkmcnt(0)
	v_cmp_ne_u32_e32 vcc, 0, v1
	s_cbranch_vccnz .LBB72_185
; %bb.182:                              ;   in Loop: Header=BB72_6 Depth=1
	s_mov_b64 s[8:9], exec
	v_readlane_b32 s16, v47, 13
	v_readlane_b32 s17, v47, 14
	s_and_b64 s[16:17], s[8:9], s[16:17]
	s_mov_b64 exec, s[16:17]
; %bb.183:                              ;   in Loop: Header=BB72_6 Depth=1
	v_mov_b32_e32 v1, s50
	ds_write_b32 v15, v1 offset:4100
; %bb.184:                              ;   in Loop: Header=BB72_6 Depth=1
	s_or_b64 exec, exec, s[8:9]
	s_waitcnt lgkmcnt(0)
	s_barrier
.LBB72_185:                             ;   in Loop: Header=BB72_6 Depth=1
	s_or_saveexec_b64 s[2:3], s[2:3]
	s_mov_b64 s[8:9], 0
	v_mov_b32_e32 v43, 8
	s_xor_b64 exec, exec, s[2:3]
; %bb.186:                              ;   in Loop: Header=BB72_6 Depth=1
	s_mov_b64 s[8:9], exec
	v_subrev_u32_e32 v45, s50, v45
	v_mov_b32_e32 v43, 0
; %bb.187:                              ;   in Loop: Header=BB72_6 Depth=1
	s_or_b64 exec, exec, s[2:3]
	s_and_b64 s[8:9], s[8:9], exec
	v_mov_b32_e32 v44, v45
.LBB72_188:                             ;   in Loop: Header=BB72_6 Depth=1
	s_or_b64 exec, exec, s[24:25]
	s_mov_b64 s[2:3], -1
                                        ; implicit-def: $sgpr24_sgpr25
                                        ; implicit-def: $sgpr52_sgpr53
	s_and_saveexec_b64 s[36:37], s[8:9]
	s_cbranch_execz .LBB72_229
; %bb.189:                              ;   in Loop: Header=BB72_6 Depth=1
	s_cmp_eq_u32 s51, 1
	s_cselect_b64 s[2:3], -1, 0
	v_cmp_eq_u32_e32 vcc, 1, v44
	s_and_b64 s[44:45], s[2:3], vcc
	s_mov_b64 s[8:9], -1
                                        ; implicit-def: $sgpr24_sgpr25
                                        ; implicit-def: $sgpr52_sgpr53
	s_and_saveexec_b64 s[38:39], s[44:45]
	s_cbranch_execz .LBB72_217
; %bb.190:                              ;   in Loop: Header=BB72_6 Depth=1
	ds_read_b32 v1, v15 offset:4096
	s_waitcnt lgkmcnt(0)
	s_barrier
	v_readfirstlane_b32 s16, v1
	s_mov_b64 s[2:3], exec
	v_readlane_b32 s8, v47, 26
	v_readlane_b32 s9, v47, 27
	s_and_b64 s[8:9], s[2:3], s[8:9]
	s_mov_b64 exec, s[8:9]
; %bb.191:                              ;   in Loop: Header=BB72_6 Depth=1
	v_mov_b32_e32 v14, v15
	ds_write_b64 v32, v[14:15]
; %bb.192:                              ;   in Loop: Header=BB72_6 Depth=1
	s_or_b64 exec, exec, s[2:3]
	s_mov_b64 s[2:3], -1
	v_writelane_b32 v47, s2, 44
	v_or_b32_e32 v23, s23, v23
	v_or_b32_e32 v22, s22, v22
	;; [unrolled: 1-line block ×4, first 2 shown]
	v_writelane_b32 v47, s3, 45
	s_mov_b64 s[24:25], 0
	s_cmp_eq_u32 s16, 0
	s_mov_b64 s[52:53], 0
	s_mov_b64 s[2:3], -1
	s_waitcnt lgkmcnt(0)
	s_barrier
                                        ; implicit-def: $vgpr9_vgpr10
	s_cbranch_scc1 .LBB72_204
; %bb.193:                              ;   in Loop: Header=BB72_6 Depth=1
	v_readlane_b32 s2, v47, 28
	s_add_i32 s2, s16, s2
	v_readlane_b32 s3, v47, 41
	s_mul_hi_u32 s3, s2, s3
	s_mul_i32 s3, s3, s46
	s_sub_i32 s3, s2, s3
	s_sub_i32 s8, s3, s46
	s_cmp_ge_u32 s3, s46
	s_cselect_b32 s3, s8, s3
	s_sub_i32 s8, s3, s46
	s_cmp_ge_u32 s3, s46
	s_cselect_b32 s3, s8, s3
	s_sub_i32 s17, s2, s3
	s_mov_b64 s[2:3], 0
	v_cmp_gt_u32_e32 vcc, s17, v0
                                        ; implicit-def: $vgpr9_vgpr10
	s_mov_b64 s[8:9], exec
	v_writelane_b32 v47, s8, 46
	v_writelane_b32 v47, s9, 47
	s_and_b64 s[8:9], s[8:9], vcc
	s_mov_b64 exec, s[8:9]
	s_cbranch_execz .LBB72_203
; %bb.194:                              ;   in Loop: Header=BB72_6 Depth=1
	v_writelane_b32 v47, s44, 48
	v_mov_b32_e32 v14, v31
	v_mov_b32_e32 v45, v0
	v_writelane_b32 v47, s45, 49
                                        ; implicit-def: $sgpr8_sgpr9
	s_branch .LBB72_198
.LBB72_195:                             ;   in Loop: Header=BB72_198 Depth=2
	s_or_b64 exec, exec, s[44:45]
	s_waitcnt lgkmcnt(0)
	s_barrier
	ds_read_b128 v[7:10], v15 offset:3072
	s_waitcnt lgkmcnt(0)
	s_barrier
	v_cmp_neq_f64_e32 vcc, 0, v[7:8]
	s_cbranch_vccnz .LBB72_201
; %bb.196:                              ;   in Loop: Header=BB72_198 Depth=2
	v_add_u32_e32 v45, s46, v45
	v_cmp_le_u32_e32 vcc, s17, v45
	v_add_u32_e32 v14, s10, v14
	s_mov_b64 s[44:45], 0
	s_orn2_b64 vcc, vcc, exec
.LBB72_197:                             ;   in Loop: Header=BB72_198 Depth=2
	s_and_b64 vcc, exec, vcc
	s_or_b64 s[52:53], vcc, s[52:53]
	s_andn2_b64 s[8:9], s[8:9], exec
	s_and_b64 s[44:45], s[44:45], exec
	s_or_b64 s[8:9], s[8:9], s[44:45]
	s_andn2_b64 exec, exec, s[52:53]
	s_cbranch_execz .LBB72_202
.LBB72_198:                             ;   Parent Loop BB72_6 Depth=1
                                        ; =>  This Inner Loop Header: Depth=2
	v_cmp_gt_u32_e32 vcc, s16, v45
	s_and_saveexec_b64 s[44:45], vcc
	s_cbranch_execz .LBB72_195
; %bb.199:                              ;   in Loop: Header=BB72_198 Depth=2
	ds_read_b64 v[3:4], v14
	s_waitcnt lgkmcnt(0)
	v_cmp_o_f64_e32 vcc, v[3:4], v[3:4]
	v_ashrrev_i32_e32 v1, 31, v4
	v_or_b32_e32 v7, 0x80000000, v1
	v_xor_b32_e32 v7, v7, v4
	v_xor_b32_e32 v1, v1, v3
	v_cndmask_b32_e32 v7, -1, v7, vcc
	v_cndmask_b32_e32 v1, -1, v1, vcc
	v_and_b32_e32 v8, v7, v25
	v_and_b32_e32 v7, v1, v24
	v_cmp_eq_u64_e32 vcc, v[7:8], v[22:23]
	s_and_b64 exec, exec, vcc
	s_cbranch_execz .LBB72_195
; %bb.200:                              ;   in Loop: Header=BB72_198 Depth=2
	v_mov_b32_e32 v1, v15
	ds_write_b128 v15, v[1:4] offset:3072
	s_branch .LBB72_195
.LBB72_201:                             ;   in Loop: Header=BB72_198 Depth=2
	s_mov_b64 vcc, -1
                                        ; implicit-def: $vgpr45
                                        ; implicit-def: $vgpr14
	s_mov_b64 s[44:45], -1
	s_branch .LBB72_197
.LBB72_202:                             ;   in Loop: Header=BB72_6 Depth=1
	s_or_b64 exec, exec, s[52:53]
	v_readlane_b32 s44, v47, 48
	s_and_b64 s[52:53], s[8:9], exec
	v_readlane_b32 s45, v47, 49
.LBB72_203:                             ;   in Loop: Header=BB72_6 Depth=1
	v_readlane_b32 s8, v47, 46
	v_readlane_b32 s9, v47, 47
	s_or_b64 exec, exec, s[8:9]
.LBB72_204:                             ;   in Loop: Header=BB72_6 Depth=1
	s_and_b64 vcc, exec, s[2:3]
	s_cbranch_vccz .LBB72_216
; %bb.205:                              ;   in Loop: Header=BB72_6 Depth=1
                                        ; implicit-def: $vgpr9_vgpr10
	s_mov_b64 s[2:3], exec
	v_readlane_b32 s8, v47, 42
	v_readlane_b32 s9, v47, 43
	s_and_b64 s[8:9], s[2:3], s[8:9]
	s_mov_b64 exec, s[8:9]
	s_cbranch_execz .LBB72_215
; %bb.206:                              ;   in Loop: Header=BB72_6 Depth=1
	v_writelane_b32 v47, s44, 48
	s_mov_b64 s[16:17], 0
	v_mov_b32_e32 v14, v13
	v_mov_b32_e32 v45, v0
	v_writelane_b32 v47, s45, 49
                                        ; implicit-def: $sgpr24_sgpr25
	s_branch .LBB72_210
.LBB72_207:                             ;   in Loop: Header=BB72_210 Depth=2
	s_or_b64 exec, exec, s[8:9]
	s_waitcnt lgkmcnt(0)
	s_barrier
	ds_read_b128 v[7:10], v15 offset:3072
	s_waitcnt lgkmcnt(0)
	s_barrier
	v_cmp_eq_f64_e32 vcc, 0, v[7:8]
	s_cbranch_vccz .LBB72_213
; %bb.208:                              ;   in Loop: Header=BB72_210 Depth=2
	v_add_u32_e32 v45, s46, v45
	v_cmp_le_u32_e32 vcc, s48, v45
	v_add_u32_e32 v14, s47, v14
	s_mov_b64 s[8:9], 0
	s_orn2_b64 s[44:45], vcc, exec
.LBB72_209:                             ;   in Loop: Header=BB72_210 Depth=2
	s_and_b64 s[44:45], exec, s[44:45]
	s_or_b64 s[16:17], s[44:45], s[16:17]
	s_andn2_b64 s[24:25], s[24:25], exec
	s_and_b64 s[8:9], s[8:9], exec
	s_or_b64 s[24:25], s[24:25], s[8:9]
	s_andn2_b64 exec, exec, s[16:17]
	s_cbranch_execz .LBB72_214
.LBB72_210:                             ;   Parent Loop BB72_6 Depth=1
                                        ; =>  This Inner Loop Header: Depth=2
	v_cmp_gt_u32_e32 vcc, s28, v45
	s_and_saveexec_b64 s[8:9], vcc
	s_cbranch_execz .LBB72_207
; %bb.211:                              ;   in Loop: Header=BB72_210 Depth=2
	v_lshlrev_b64 v[3:4], 3, v[14:15]
	v_mov_b32_e32 v1, s40
	v_add_co_u32_e32 v3, vcc, s33, v3
	v_addc_co_u32_e32 v4, vcc, v1, v4, vcc
	global_load_dwordx2 v[3:4], v[3:4], off
	s_waitcnt vmcnt(0)
	v_cmp_o_f64_e32 vcc, v[3:4], v[3:4]
	v_ashrrev_i32_e32 v1, 31, v4
	v_or_b32_e32 v7, 0x80000000, v1
	v_xor_b32_e32 v7, v7, v4
	v_xor_b32_e32 v1, v1, v3
	v_cndmask_b32_e32 v7, -1, v7, vcc
	v_cndmask_b32_e32 v1, -1, v1, vcc
	v_and_b32_e32 v8, v7, v25
	v_and_b32_e32 v7, v1, v24
	v_cmp_eq_u64_e32 vcc, v[7:8], v[22:23]
	s_and_b64 exec, exec, vcc
	s_cbranch_execz .LBB72_207
; %bb.212:                              ;   in Loop: Header=BB72_210 Depth=2
	v_mov_b32_e32 v1, v15
	ds_write_b128 v15, v[1:4] offset:3072
	s_branch .LBB72_207
.LBB72_213:                             ;   in Loop: Header=BB72_210 Depth=2
	s_mov_b64 s[44:45], -1
                                        ; implicit-def: $vgpr45
	s_mov_b64 s[8:9], -1
	s_branch .LBB72_209
.LBB72_214:                             ;   in Loop: Header=BB72_6 Depth=1
	s_or_b64 exec, exec, s[16:17]
	s_andn2_b64 s[8:9], s[52:53], exec
	s_and_b64 s[16:17], s[24:25], exec
	v_readlane_b32 s44, v47, 48
	s_or_b64 s[52:53], s[8:9], s[16:17]
	v_readlane_b32 s45, v47, 49
.LBB72_215:                             ;   in Loop: Header=BB72_6 Depth=1
	s_or_b64 exec, exec, s[2:3]
	s_mov_b64 s[2:3], 0
	v_writelane_b32 v47, s2, 44
	v_writelane_b32 v47, s3, 45
	s_mov_b64 s[24:25], -1
.LBB72_216:                             ;   in Loop: Header=BB72_6 Depth=1
	s_orn2_b64 s[8:9], s[52:53], exec
	v_readlane_b32 s52, v47, 44
	v_readlane_b32 s53, v47, 45
.LBB72_217:                             ;   in Loop: Header=BB72_6 Depth=1
	s_or_b64 exec, exec, s[38:39]
	s_mov_b64 s[16:17], 0
	s_and_saveexec_b64 s[2:3], s[8:9]
	s_cbranch_execz .LBB72_228
; %bb.218:                              ;   in Loop: Header=BB72_6 Depth=1
	s_xor_b64 s[16:17], s[44:45], -1
	v_mov_b32_e32 v43, 1
	v_mov_b32_e32 v1, 1
	s_and_saveexec_b64 s[8:9], s[16:17]
	s_cbranch_execz .LBB72_227
; %bb.219:                              ;   in Loop: Header=BB72_6 Depth=1
	v_cmp_ge_u32_e32 vcc, s51, v44
	s_and_saveexec_b64 s[16:17], vcc
	s_xor_b64 s[16:17], exec, s[16:17]
	s_cbranch_execz .LBB72_224
; %bb.220:                              ;   in Loop: Header=BB72_6 Depth=1
	ds_read_b32 v1, v15 offset:4096
	v_or_b32_e32 v23, s23, v23
	v_or_b32_e32 v22, s22, v22
	;; [unrolled: 1-line block ×4, first 2 shown]
	s_waitcnt lgkmcnt(0)
	v_cmp_ne_u32_e32 vcc, 0, v1
	s_cbranch_vccnz .LBB72_224
; %bb.221:                              ;   in Loop: Header=BB72_6 Depth=1
	s_mov_b64 s[44:45], exec
	v_readlane_b32 s38, v47, 13
	v_readlane_b32 s39, v47, 14
	s_and_b64 s[38:39], s[44:45], s[38:39]
	s_mov_b64 exec, s[38:39]
; %bb.222:                              ;   in Loop: Header=BB72_6 Depth=1
	v_mov_b32_e32 v1, s51
	ds_write_b32 v15, v1 offset:4100
; %bb.223:                              ;   in Loop: Header=BB72_6 Depth=1
	s_or_b64 exec, exec, s[44:45]
	s_waitcnt lgkmcnt(0)
	s_barrier
.LBB72_224:                             ;   in Loop: Header=BB72_6 Depth=1
	s_andn2_saveexec_b64 s[16:17], s[16:17]
; %bb.225:                              ;   in Loop: Header=BB72_6 Depth=1
	v_subrev_u32_e32 v44, s51, v44
; %bb.226:                              ;   in Loop: Header=BB72_6 Depth=1
	s_or_b64 exec, exec, s[16:17]
	v_mov_b32_e32 v43, 8
	v_mov_b32_e32 v1, v44
.LBB72_227:                             ;   in Loop: Header=BB72_6 Depth=1
	s_or_b64 exec, exec, s[8:9]
	s_mov_b64 s[16:17], exec
	v_mov_b32_e32 v44, v1
.LBB72_228:                             ;   in Loop: Header=BB72_6 Depth=1
	s_or_b64 exec, exec, s[2:3]
	s_orn2_b64 s[2:3], s[16:17], exec
.LBB72_229:                             ;   in Loop: Header=BB72_6 Depth=1
	s_or_b64 exec, exec, s[36:37]
	s_andn2_b64 s[8:9], s[26:27], exec
	s_and_b64 s[16:17], s[24:25], exec
	s_or_b64 s[26:27], s[8:9], s[16:17]
	s_andn2_b64 s[8:9], s[94:95], exec
	s_and_b64 s[16:17], s[52:53], exec
	s_or_b64 s[94:95], s[8:9], s[16:17]
	s_and_b64 s[8:9], s[2:3], exec
	v_mov_b32_e32 v45, v44
.LBB72_230:                             ;   in Loop: Header=BB72_6 Depth=1
	s_or_b64 exec, exec, s[34:35]
	s_orn2_b64 s[2:3], s[8:9], exec
.LBB72_231:                             ;   in Loop: Header=BB72_6 Depth=1
	s_or_b64 exec, exec, s[92:93]
	s_andn2_b64 s[8:9], s[80:81], exec
	s_and_b64 s[16:17], s[26:27], exec
	s_or_b64 s[80:81], s[8:9], s[16:17]
	s_andn2_b64 s[8:9], s[78:79], exec
	s_and_b64 s[16:17], s[94:95], exec
	s_or_b64 s[78:79], s[8:9], s[16:17]
	s_and_b64 s[8:9], s[2:3], exec
	v_mov_b32_e32 v44, v45
.LBB72_232:                             ;   in Loop: Header=BB72_6 Depth=1
	s_or_b64 exec, exec, s[90:91]
	s_orn2_b64 s[2:3], s[8:9], exec
.LBB72_233:                             ;   in Loop: Header=BB72_6 Depth=1
	s_or_b64 exec, exec, s[6:7]
	s_mov_b64 s[6:7], 0
	s_mov_b64 s[8:9], 0
	s_and_saveexec_b64 s[16:17], s[2:3]
	s_xor_b64 s[2:3], exec, s[16:17]
; %bb.234:                              ;   in Loop: Header=BB72_6 Depth=1
	v_cmp_eq_u32_e32 vcc, 8, v43
	v_cmp_ne_u32_e64 s[6:7], 8, v43
	s_and_b64 s[8:9], s[6:7], exec
	s_and_b64 s[6:7], vcc, exec
; %bb.235:                              ;   in Loop: Header=BB72_6 Depth=1
	s_or_b64 exec, exec, s[2:3]
	s_andn2_b64 s[2:3], s[84:85], exec
	s_and_b64 s[16:17], s[80:81], exec
	s_or_b64 s[84:85], s[2:3], s[16:17]
	s_andn2_b64 s[2:3], s[82:83], exec
	s_and_b64 s[16:17], s[78:79], exec
	s_or_b64 s[82:83], s[2:3], s[16:17]
	s_and_b64 s[78:79], s[8:9], exec
	s_and_b64 s[80:81], s[6:7], exec
.LBB72_236:                             ;   in Loop: Header=BB72_6 Depth=1
	s_or_b64 exec, exec, s[88:89]
.LBB72_237:                             ;   in Loop: Header=BB72_6 Depth=1
	s_and_b64 vcc, exec, s[86:87]
	s_cbranch_vccz .LBB72_251
; %bb.238:                              ;   in Loop: Header=BB72_6 Depth=1
	s_cmp_eq_u32 s51, 1
	s_cselect_b64 s[2:3], -1, 0
	s_and_b64 s[6:7], s[2:3], s[18:19]
	s_mov_b64 s[2:3], -1
                                        ; implicit-def: $sgpr18_sgpr19
                                        ; implicit-def: $sgpr20_sgpr21
	s_and_saveexec_b64 s[24:25], s[6:7]
	s_cbranch_execz .LBB72_267
; %bb.239:                              ;   in Loop: Header=BB72_6 Depth=1
	ds_read_b32 v1, v15 offset:4096
	s_waitcnt lgkmcnt(0)
	s_barrier
	v_readfirstlane_b32 s38, v1
	s_mov_b64 s[2:3], exec
	v_readlane_b32 s8, v47, 26
	v_readlane_b32 s9, v47, 27
	s_and_b64 s[8:9], s[2:3], s[8:9]
	s_mov_b64 exec, s[8:9]
; %bb.240:                              ;   in Loop: Header=BB72_6 Depth=1
	v_mov_b32_e32 v14, v15
	ds_write_b64 v32, v[14:15]
; %bb.241:                              ;   in Loop: Header=BB72_6 Depth=1
	s_or_b64 exec, exec, s[2:3]
	v_or_b32_e32 v19, s23, v19
	v_or_b32_e32 v18, s22, v18
	;; [unrolled: 1-line block ×4, first 2 shown]
	s_mov_b64 s[20:21], -1
	s_mov_b64 s[18:19], 0
	s_cmp_eq_u32 s38, 0
	s_mov_b64 s[26:27], 0
	s_mov_b64 s[2:3], -1
	s_waitcnt lgkmcnt(0)
	s_barrier
                                        ; implicit-def: $vgpr5_vgpr6
	s_cbranch_scc1 .LBB72_254
; %bb.242:                              ;   in Loop: Header=BB72_6 Depth=1
	v_readlane_b32 s2, v47, 28
	s_add_i32 s2, s38, s2
	v_readlane_b32 s3, v47, 41
	s_mul_hi_u32 s3, s2, s3
	s_mul_i32 s3, s3, s46
	s_sub_i32 s3, s2, s3
	s_sub_i32 s8, s3, s46
	s_cmp_ge_u32 s3, s46
	s_cselect_b32 s3, s8, s3
	s_sub_i32 s8, s3, s46
	s_cmp_ge_u32 s3, s46
	s_cselect_b32 s3, s8, s3
	s_sub_i32 s39, s2, s3
	v_cmp_gt_u32_e32 vcc, s39, v0
	s_mov_b64 s[2:3], 0
                                        ; implicit-def: $vgpr5_vgpr6
	s_and_saveexec_b64 s[34:35], vcc
	s_cbranch_execz .LBB72_253
; %bb.243:                              ;   in Loop: Header=BB72_6 Depth=1
	s_mov_b64 s[16:17], 0
	v_mov_b32_e32 v7, v31
	v_mov_b32_e32 v8, v0
                                        ; implicit-def: $sgpr26_sgpr27
	s_branch .LBB72_247
.LBB72_244:                             ;   in Loop: Header=BB72_247 Depth=2
	s_or_b64 exec, exec, s[8:9]
	s_waitcnt lgkmcnt(0)
	s_barrier
	ds_read_b128 v[3:6], v15 offset:3072
	s_waitcnt lgkmcnt(0)
	s_barrier
	v_cmp_neq_f64_e32 vcc, 0, v[3:4]
	s_cbranch_vccnz .LBB72_250
; %bb.245:                              ;   in Loop: Header=BB72_247 Depth=2
	v_add_u32_e32 v8, s46, v8
	v_cmp_le_u32_e32 vcc, s39, v8
	v_add_u32_e32 v7, s10, v7
	s_mov_b64 s[8:9], 0
	s_orn2_b64 s[36:37], vcc, exec
.LBB72_246:                             ;   in Loop: Header=BB72_247 Depth=2
	s_and_b64 s[36:37], exec, s[36:37]
	s_or_b64 s[16:17], s[36:37], s[16:17]
	s_andn2_b64 s[26:27], s[26:27], exec
	s_and_b64 s[8:9], s[8:9], exec
	s_or_b64 s[26:27], s[26:27], s[8:9]
	s_andn2_b64 exec, exec, s[16:17]
	s_cbranch_execz .LBB72_252
.LBB72_247:                             ;   Parent Loop BB72_6 Depth=1
                                        ; =>  This Inner Loop Header: Depth=2
	v_cmp_gt_u32_e32 vcc, s38, v8
	s_and_saveexec_b64 s[8:9], vcc
	s_cbranch_execz .LBB72_244
; %bb.248:                              ;   in Loop: Header=BB72_247 Depth=2
	ds_read_b64 v[3:4], v7
	s_waitcnt lgkmcnt(0)
	v_cmp_o_f64_e32 vcc, v[3:4], v[3:4]
	v_ashrrev_i32_e32 v1, 31, v4
	v_or_b32_e32 v5, 0x80000000, v1
	v_xor_b32_e32 v5, v5, v4
	v_xor_b32_e32 v1, v1, v3
	v_cndmask_b32_e32 v5, -1, v5, vcc
	v_cndmask_b32_e32 v1, -1, v1, vcc
	v_and_b32_e32 v6, v5, v21
	v_and_b32_e32 v5, v1, v20
	v_cmp_eq_u64_e32 vcc, v[5:6], v[18:19]
	s_and_b64 exec, exec, vcc
	s_cbranch_execz .LBB72_244
; %bb.249:                              ;   in Loop: Header=BB72_247 Depth=2
	v_mov_b32_e32 v1, v15
	ds_write_b128 v15, v[1:4] offset:3072
	s_branch .LBB72_244
.LBB72_250:                             ;   in Loop: Header=BB72_247 Depth=2
	s_mov_b64 s[36:37], -1
                                        ; implicit-def: $vgpr8
                                        ; implicit-def: $vgpr7
	s_mov_b64 s[8:9], -1
	s_branch .LBB72_246
.LBB72_251:                             ;   in Loop: Header=BB72_6 Depth=1
	v_mov_b32_e32 v18, v22
	v_mov_b32_e32 v20, v24
	;; [unrolled: 1-line block ×3, first 2 shown]
	s_mov_b64 s[18:19], 0
	v_mov_b32_e32 v19, v23
	v_mov_b32_e32 v21, v25
	;; [unrolled: 1-line block ×3, first 2 shown]
	s_and_saveexec_b64 s[2:3], s[80:81]
	s_cbranch_execnz .LBB72_404
	s_branch .LBB72_405
.LBB72_252:                             ;   in Loop: Header=BB72_6 Depth=1
	s_or_b64 exec, exec, s[16:17]
	s_and_b64 s[26:27], s[26:27], exec
.LBB72_253:                             ;   in Loop: Header=BB72_6 Depth=1
	s_or_b64 exec, exec, s[34:35]
.LBB72_254:                             ;   in Loop: Header=BB72_6 Depth=1
	s_and_b64 vcc, exec, s[2:3]
	s_cbranch_vccz .LBB72_266
; %bb.255:                              ;   in Loop: Header=BB72_6 Depth=1
                                        ; implicit-def: $vgpr5_vgpr6
	s_mov_b64 s[2:3], exec
	v_readlane_b32 s8, v47, 42
	v_readlane_b32 s9, v47, 43
	s_and_b64 s[8:9], s[2:3], s[8:9]
	s_mov_b64 exec, s[8:9]
	s_cbranch_execz .LBB72_265
; %bb.256:                              ;   in Loop: Header=BB72_6 Depth=1
	s_mov_b64 s[18:19], 0
	v_mov_b32_e32 v14, v13
	v_mov_b32_e32 v7, v0
                                        ; implicit-def: $sgpr16_sgpr17
	s_branch .LBB72_260
.LBB72_257:                             ;   in Loop: Header=BB72_260 Depth=2
	s_or_b64 exec, exec, s[8:9]
	s_waitcnt lgkmcnt(0)
	s_barrier
	ds_read_b128 v[3:6], v15 offset:3072
	s_waitcnt lgkmcnt(0)
	s_barrier
	v_cmp_neq_f64_e32 vcc, 0, v[3:4]
	s_cbranch_vccnz .LBB72_263
; %bb.258:                              ;   in Loop: Header=BB72_260 Depth=2
	v_add_u32_e32 v7, s46, v7
	v_cmp_le_u32_e32 vcc, s48, v7
	v_add_u32_e32 v14, s47, v14
	s_mov_b64 s[8:9], 0
	s_orn2_b64 s[20:21], vcc, exec
.LBB72_259:                             ;   in Loop: Header=BB72_260 Depth=2
	s_and_b64 s[20:21], exec, s[20:21]
	s_or_b64 s[18:19], s[20:21], s[18:19]
	s_andn2_b64 s[16:17], s[16:17], exec
	s_and_b64 s[8:9], s[8:9], exec
	s_or_b64 s[16:17], s[16:17], s[8:9]
	s_andn2_b64 exec, exec, s[18:19]
	s_cbranch_execz .LBB72_264
.LBB72_260:                             ;   Parent Loop BB72_6 Depth=1
                                        ; =>  This Inner Loop Header: Depth=2
	v_cmp_gt_u32_e32 vcc, s28, v7
	s_and_saveexec_b64 s[8:9], vcc
	s_cbranch_execz .LBB72_257
; %bb.261:                              ;   in Loop: Header=BB72_260 Depth=2
	v_lshlrev_b64 v[3:4], 3, v[14:15]
	v_mov_b32_e32 v1, s40
	v_add_co_u32_e32 v3, vcc, s33, v3
	v_addc_co_u32_e32 v4, vcc, v1, v4, vcc
	global_load_dwordx2 v[3:4], v[3:4], off
	s_waitcnt vmcnt(0)
	v_cmp_o_f64_e32 vcc, v[3:4], v[3:4]
	v_ashrrev_i32_e32 v1, 31, v4
	v_or_b32_e32 v5, 0x80000000, v1
	v_xor_b32_e32 v5, v5, v4
	v_xor_b32_e32 v1, v1, v3
	v_cndmask_b32_e32 v5, -1, v5, vcc
	v_cndmask_b32_e32 v1, -1, v1, vcc
	v_and_b32_e32 v6, v5, v21
	v_and_b32_e32 v5, v1, v20
	v_cmp_eq_u64_e32 vcc, v[5:6], v[18:19]
	s_and_b64 exec, exec, vcc
	s_cbranch_execz .LBB72_257
; %bb.262:                              ;   in Loop: Header=BB72_260 Depth=2
	v_mov_b32_e32 v1, v15
	ds_write_b128 v15, v[1:4] offset:3072
	s_branch .LBB72_257
.LBB72_263:                             ;   in Loop: Header=BB72_260 Depth=2
	s_mov_b64 s[20:21], -1
                                        ; implicit-def: $vgpr7
	s_mov_b64 s[8:9], -1
	s_branch .LBB72_259
.LBB72_264:                             ;   in Loop: Header=BB72_6 Depth=1
	s_or_b64 exec, exec, s[18:19]
	s_andn2_b64 s[8:9], s[26:27], exec
	s_and_b64 s[16:17], s[16:17], exec
	s_or_b64 s[26:27], s[8:9], s[16:17]
.LBB72_265:                             ;   in Loop: Header=BB72_6 Depth=1
	s_or_b64 exec, exec, s[2:3]
	s_mov_b64 s[20:21], 0
	s_mov_b64 s[18:19], -1
.LBB72_266:                             ;   in Loop: Header=BB72_6 Depth=1
	s_orn2_b64 s[2:3], s[26:27], exec
.LBB72_267:                             ;   in Loop: Header=BB72_6 Depth=1
	s_or_b64 exec, exec, s[24:25]
                                        ; implicit-def: $vgpr44
                                        ; implicit-def: $vgpr43
	s_and_saveexec_b64 s[82:83], s[2:3]
	s_cbranch_execz .LBB72_403
; %bb.268:                              ;   in Loop: Header=BB72_6 Depth=1
	s_xor_b64 s[8:9], s[6:7], -1
	s_mov_b64 s[6:7], 0
	v_mov_b32_e32 v44, 1
	v_mov_b32_e32 v43, 1
	s_and_saveexec_b64 s[2:3], s[8:9]
	s_cbranch_execz .LBB72_277
; %bb.269:                              ;   in Loop: Header=BB72_6 Depth=1
	v_cmp_ge_u32_e32 vcc, s51, v42
	s_and_saveexec_b64 s[6:7], vcc
	s_xor_b64 s[6:7], exec, s[6:7]
	s_cbranch_execz .LBB72_274
; %bb.270:                              ;   in Loop: Header=BB72_6 Depth=1
	ds_read_b32 v1, v15 offset:4096
	v_or_b32_e32 v19, s23, v19
	v_or_b32_e32 v18, s22, v18
	;; [unrolled: 1-line block ×4, first 2 shown]
	s_waitcnt lgkmcnt(0)
	v_cmp_ne_u32_e32 vcc, 0, v1
	s_cbranch_vccnz .LBB72_274
; %bb.271:                              ;   in Loop: Header=BB72_6 Depth=1
	s_mov_b64 s[8:9], exec
	v_readlane_b32 s16, v47, 13
	v_readlane_b32 s17, v47, 14
	s_and_b64 s[16:17], s[8:9], s[16:17]
	s_mov_b64 exec, s[16:17]
; %bb.272:                              ;   in Loop: Header=BB72_6 Depth=1
	v_mov_b32_e32 v1, s51
	ds_write_b32 v15, v1 offset:4100
; %bb.273:                              ;   in Loop: Header=BB72_6 Depth=1
	s_or_b64 exec, exec, s[8:9]
	s_waitcnt lgkmcnt(0)
	s_barrier
.LBB72_274:                             ;   in Loop: Header=BB72_6 Depth=1
	s_or_saveexec_b64 s[6:7], s[6:7]
	s_mov_b64 s[8:9], 0
	v_mov_b32_e32 v43, 5
	s_xor_b64 exec, exec, s[6:7]
; %bb.275:                              ;   in Loop: Header=BB72_6 Depth=1
	v_subrev_u32_e32 v42, s51, v42
	v_mov_b32_e32 v43, 0
	s_mov_b64 s[8:9], exec
; %bb.276:                              ;   in Loop: Header=BB72_6 Depth=1
	s_or_b64 exec, exec, s[6:7]
	s_and_b64 s[6:7], s[8:9], exec
	v_mov_b32_e32 v44, v42
.LBB72_277:                             ;   in Loop: Header=BB72_6 Depth=1
	s_or_b64 exec, exec, s[2:3]
	s_mov_b64 s[2:3], -1
                                        ; implicit-def: $sgpr84_sgpr85
                                        ; implicit-def: $sgpr86_sgpr87
	s_and_saveexec_b64 s[8:9], s[6:7]
	s_xor_b64 s[6:7], exec, s[8:9]
	s_cbranch_execz .LBB72_400
; %bb.278:                              ;   in Loop: Header=BB72_6 Depth=1
	s_cmp_eq_u32 s50, 1
	s_cselect_b64 s[2:3], -1, 0
	v_cmp_eq_u32_e32 vcc, 1, v44
	s_and_b64 s[26:27], s[2:3], vcc
	s_mov_b64 s[2:3], -1
                                        ; implicit-def: $sgpr86_sgpr87
                                        ; implicit-def: $sgpr84_sgpr85
	s_and_saveexec_b64 s[24:25], s[26:27]
	s_cbranch_execz .LBB72_306
; %bb.279:                              ;   in Loop: Header=BB72_6 Depth=1
	ds_read_b32 v1, v15 offset:4096
	s_waitcnt lgkmcnt(0)
	s_barrier
	v_readfirstlane_b32 s44, v1
	s_mov_b64 s[2:3], exec
	v_readlane_b32 s8, v47, 26
	v_readlane_b32 s9, v47, 27
	s_and_b64 s[8:9], s[2:3], s[8:9]
	s_mov_b64 exec, s[8:9]
; %bb.280:                              ;   in Loop: Header=BB72_6 Depth=1
	v_mov_b32_e32 v14, v15
	ds_write_b64 v32, v[14:15]
; %bb.281:                              ;   in Loop: Header=BB72_6 Depth=1
	s_or_b64 exec, exec, s[2:3]
	s_lshl_b64 s[2:3], 2, s11
	v_and_b32_e32 v1, s77, v19
	v_and_b32_e32 v3, s76, v18
	v_or_b32_e32 v19, s3, v1
	v_or_b32_e32 v18, s2, v3
	;; [unrolled: 1-line block ×4, first 2 shown]
	s_mov_b64 s[84:85], -1
	s_mov_b64 s[86:87], 0
	s_cmp_eq_u32 s44, 0
	s_mov_b64 s[34:35], 0
	s_mov_b64 s[2:3], -1
	s_waitcnt lgkmcnt(0)
	s_barrier
                                        ; implicit-def: $vgpr5_vgpr6
	s_cbranch_scc1 .LBB72_293
; %bb.282:                              ;   in Loop: Header=BB72_6 Depth=1
	v_readlane_b32 s2, v47, 28
	s_add_i32 s2, s44, s2
	v_readlane_b32 s3, v47, 41
	s_mul_hi_u32 s3, s2, s3
	s_mul_i32 s3, s3, s46
	s_sub_i32 s3, s2, s3
	s_sub_i32 s8, s3, s46
	s_cmp_ge_u32 s3, s46
	s_cselect_b32 s3, s8, s3
	s_sub_i32 s8, s3, s46
	s_cmp_ge_u32 s3, s46
	s_cselect_b32 s3, s8, s3
	s_sub_i32 s45, s2, s3
	v_cmp_gt_u32_e32 vcc, s45, v0
	s_mov_b64 s[2:3], 0
                                        ; implicit-def: $vgpr5_vgpr6
	s_and_saveexec_b64 s[36:37], vcc
	s_cbranch_execz .LBB72_292
; %bb.283:                              ;   in Loop: Header=BB72_6 Depth=1
	s_mov_b64 s[16:17], 0
	v_mov_b32_e32 v7, v31
	v_mov_b32_e32 v8, v0
                                        ; implicit-def: $sgpr34_sgpr35
	s_branch .LBB72_287
.LBB72_284:                             ;   in Loop: Header=BB72_287 Depth=2
	s_or_b64 exec, exec, s[8:9]
	s_waitcnt lgkmcnt(0)
	s_barrier
	ds_read_b128 v[3:6], v15 offset:3072
	s_waitcnt lgkmcnt(0)
	s_barrier
	v_cmp_neq_f64_e32 vcc, 0, v[3:4]
	s_cbranch_vccnz .LBB72_290
; %bb.285:                              ;   in Loop: Header=BB72_287 Depth=2
	v_add_u32_e32 v8, s46, v8
	v_cmp_le_u32_e32 vcc, s45, v8
	v_add_u32_e32 v7, s10, v7
	s_mov_b64 s[8:9], 0
	s_orn2_b64 s[38:39], vcc, exec
.LBB72_286:                             ;   in Loop: Header=BB72_287 Depth=2
	s_and_b64 s[38:39], exec, s[38:39]
	s_or_b64 s[16:17], s[38:39], s[16:17]
	s_andn2_b64 s[34:35], s[34:35], exec
	s_and_b64 s[8:9], s[8:9], exec
	s_or_b64 s[34:35], s[34:35], s[8:9]
	s_andn2_b64 exec, exec, s[16:17]
	s_cbranch_execz .LBB72_291
.LBB72_287:                             ;   Parent Loop BB72_6 Depth=1
                                        ; =>  This Inner Loop Header: Depth=2
	v_cmp_gt_u32_e32 vcc, s44, v8
	s_and_saveexec_b64 s[8:9], vcc
	s_cbranch_execz .LBB72_284
; %bb.288:                              ;   in Loop: Header=BB72_287 Depth=2
	ds_read_b64 v[3:4], v7
	s_waitcnt lgkmcnt(0)
	v_cmp_o_f64_e32 vcc, v[3:4], v[3:4]
	v_ashrrev_i32_e32 v1, 31, v4
	v_or_b32_e32 v5, 0x80000000, v1
	v_xor_b32_e32 v5, v5, v4
	v_xor_b32_e32 v1, v1, v3
	v_cndmask_b32_e32 v5, -1, v5, vcc
	v_cndmask_b32_e32 v1, -1, v1, vcc
	v_and_b32_e32 v6, v5, v21
	v_and_b32_e32 v5, v1, v20
	v_cmp_eq_u64_e32 vcc, v[5:6], v[18:19]
	s_and_b64 exec, exec, vcc
	s_cbranch_execz .LBB72_284
; %bb.289:                              ;   in Loop: Header=BB72_287 Depth=2
	v_mov_b32_e32 v1, v15
	ds_write_b128 v15, v[1:4] offset:3072
	s_branch .LBB72_284
.LBB72_290:                             ;   in Loop: Header=BB72_287 Depth=2
	s_mov_b64 s[38:39], -1
                                        ; implicit-def: $vgpr8
                                        ; implicit-def: $vgpr7
	s_mov_b64 s[8:9], -1
	s_branch .LBB72_286
.LBB72_291:                             ;   in Loop: Header=BB72_6 Depth=1
	s_or_b64 exec, exec, s[16:17]
	s_and_b64 s[34:35], s[34:35], exec
.LBB72_292:                             ;   in Loop: Header=BB72_6 Depth=1
	s_or_b64 exec, exec, s[36:37]
.LBB72_293:                             ;   in Loop: Header=BB72_6 Depth=1
	s_and_b64 vcc, exec, s[2:3]
	s_cbranch_vccz .LBB72_305
; %bb.294:                              ;   in Loop: Header=BB72_6 Depth=1
                                        ; implicit-def: $vgpr5_vgpr6
	s_mov_b64 s[2:3], exec
	v_readlane_b32 s8, v47, 42
	v_readlane_b32 s9, v47, 43
	s_and_b64 s[8:9], s[2:3], s[8:9]
	s_mov_b64 exec, s[8:9]
	s_cbranch_execz .LBB72_304
; %bb.295:                              ;   in Loop: Header=BB72_6 Depth=1
	s_mov_b64 s[16:17], 0
	v_mov_b32_e32 v14, v13
	v_mov_b32_e32 v7, v0
                                        ; implicit-def: $sgpr36_sgpr37
	s_branch .LBB72_299
.LBB72_296:                             ;   in Loop: Header=BB72_299 Depth=2
	s_or_b64 exec, exec, s[8:9]
	s_waitcnt lgkmcnt(0)
	s_barrier
	ds_read_b128 v[3:6], v15 offset:3072
	s_waitcnt lgkmcnt(0)
	s_barrier
	v_cmp_eq_f64_e32 vcc, 0, v[3:4]
	s_cbranch_vccz .LBB72_302
; %bb.297:                              ;   in Loop: Header=BB72_299 Depth=2
	v_add_u32_e32 v7, s46, v7
	v_cmp_le_u32_e32 vcc, s48, v7
	v_add_u32_e32 v14, s47, v14
	s_mov_b64 s[8:9], 0
	s_orn2_b64 s[38:39], vcc, exec
.LBB72_298:                             ;   in Loop: Header=BB72_299 Depth=2
	s_and_b64 s[38:39], exec, s[38:39]
	s_or_b64 s[16:17], s[38:39], s[16:17]
	s_andn2_b64 s[36:37], s[36:37], exec
	s_and_b64 s[8:9], s[8:9], exec
	s_or_b64 s[36:37], s[36:37], s[8:9]
	s_andn2_b64 exec, exec, s[16:17]
	s_cbranch_execz .LBB72_303
.LBB72_299:                             ;   Parent Loop BB72_6 Depth=1
                                        ; =>  This Inner Loop Header: Depth=2
	v_cmp_gt_u32_e32 vcc, s28, v7
	s_and_saveexec_b64 s[8:9], vcc
	s_cbranch_execz .LBB72_296
; %bb.300:                              ;   in Loop: Header=BB72_299 Depth=2
	v_lshlrev_b64 v[3:4], 3, v[14:15]
	v_mov_b32_e32 v1, s40
	v_add_co_u32_e32 v3, vcc, s33, v3
	v_addc_co_u32_e32 v4, vcc, v1, v4, vcc
	global_load_dwordx2 v[3:4], v[3:4], off
	s_waitcnt vmcnt(0)
	v_cmp_o_f64_e32 vcc, v[3:4], v[3:4]
	v_ashrrev_i32_e32 v1, 31, v4
	v_or_b32_e32 v5, 0x80000000, v1
	v_xor_b32_e32 v5, v5, v4
	v_xor_b32_e32 v1, v1, v3
	v_cndmask_b32_e32 v5, -1, v5, vcc
	v_cndmask_b32_e32 v1, -1, v1, vcc
	v_and_b32_e32 v6, v5, v21
	v_and_b32_e32 v5, v1, v20
	v_cmp_eq_u64_e32 vcc, v[5:6], v[18:19]
	s_and_b64 exec, exec, vcc
	s_cbranch_execz .LBB72_296
; %bb.301:                              ;   in Loop: Header=BB72_299 Depth=2
	v_mov_b32_e32 v1, v15
	ds_write_b128 v15, v[1:4] offset:3072
	s_branch .LBB72_296
.LBB72_302:                             ;   in Loop: Header=BB72_299 Depth=2
	s_mov_b64 s[38:39], -1
                                        ; implicit-def: $vgpr7
	s_mov_b64 s[8:9], -1
	s_branch .LBB72_298
.LBB72_303:                             ;   in Loop: Header=BB72_6 Depth=1
	s_or_b64 exec, exec, s[16:17]
	s_andn2_b64 s[8:9], s[34:35], exec
	s_and_b64 s[16:17], s[36:37], exec
	s_or_b64 s[34:35], s[8:9], s[16:17]
.LBB72_304:                             ;   in Loop: Header=BB72_6 Depth=1
	s_or_b64 exec, exec, s[2:3]
	s_mov_b64 s[84:85], 0
	s_mov_b64 s[86:87], -1
.LBB72_305:                             ;   in Loop: Header=BB72_6 Depth=1
	s_orn2_b64 s[2:3], s[34:35], exec
.LBB72_306:                             ;   in Loop: Header=BB72_6 Depth=1
	s_or_b64 exec, exec, s[24:25]
	s_mov_b64 s[8:9], 0
	s_and_saveexec_b64 s[88:89], s[2:3]
	s_cbranch_execz .LBB72_399
; %bb.307:                              ;   in Loop: Header=BB72_6 Depth=1
	s_xor_b64 s[2:3], s[26:27], -1
	v_mov_b32_e32 v7, 1
	v_mov_b32_e32 v43, 1
	s_and_saveexec_b64 s[24:25], s[2:3]
	s_cbranch_execz .LBB72_316
; %bb.308:                              ;   in Loop: Header=BB72_6 Depth=1
	v_cmp_ge_u32_e32 vcc, s50, v44
	s_and_saveexec_b64 s[2:3], vcc
	s_xor_b64 s[2:3], exec, s[2:3]
	s_cbranch_execz .LBB72_313
; %bb.309:                              ;   in Loop: Header=BB72_6 Depth=1
	s_lshl_b64 s[8:9], 2, s11
	v_and_b32_e32 v1, s77, v19
	v_or_b32_e32 v19, s9, v1
	ds_read_b32 v1, v15 offset:4096
	v_and_b32_e32 v3, s76, v18
	v_or_b32_e32 v18, s8, v3
	v_or_b32_e32 v21, s23, v21
	;; [unrolled: 1-line block ×3, first 2 shown]
	s_waitcnt lgkmcnt(0)
	v_cmp_ne_u32_e32 vcc, 0, v1
	s_cbranch_vccnz .LBB72_313
; %bb.310:                              ;   in Loop: Header=BB72_6 Depth=1
	s_mov_b64 s[8:9], exec
	v_readlane_b32 s16, v47, 13
	v_readlane_b32 s17, v47, 14
	s_and_b64 s[16:17], s[8:9], s[16:17]
	s_mov_b64 exec, s[16:17]
; %bb.311:                              ;   in Loop: Header=BB72_6 Depth=1
	v_mov_b32_e32 v1, s50
	ds_write_b32 v15, v1 offset:4100
; %bb.312:                              ;   in Loop: Header=BB72_6 Depth=1
	s_or_b64 exec, exec, s[8:9]
	s_waitcnt lgkmcnt(0)
	s_barrier
.LBB72_313:                             ;   in Loop: Header=BB72_6 Depth=1
	s_or_saveexec_b64 s[2:3], s[2:3]
	s_mov_b64 s[8:9], 0
	v_mov_b32_e32 v43, 5
	s_xor_b64 exec, exec, s[2:3]
; %bb.314:                              ;   in Loop: Header=BB72_6 Depth=1
	v_subrev_u32_e32 v44, s50, v44
	v_mov_b32_e32 v43, 0
	s_mov_b64 s[8:9], exec
; %bb.315:                              ;   in Loop: Header=BB72_6 Depth=1
	s_or_b64 exec, exec, s[2:3]
	s_and_b64 s[8:9], s[8:9], exec
	v_mov_b32_e32 v7, v44
.LBB72_316:                             ;   in Loop: Header=BB72_6 Depth=1
	s_or_b64 exec, exec, s[24:25]
	s_mov_b64 s[2:3], -1
                                        ; implicit-def: $sgpr92_sgpr93
                                        ; implicit-def: $sgpr94_sgpr95
	s_and_saveexec_b64 s[90:91], s[8:9]
	s_cbranch_execz .LBB72_398
; %bb.317:                              ;   in Loop: Header=BB72_6 Depth=1
	s_cmp_eq_u32 s5, 1
	s_cselect_b64 s[2:3], -1, 0
	v_cmp_eq_u32_e32 vcc, 1, v7
	s_and_b64 s[34:35], s[2:3], vcc
	s_mov_b64 s[2:3], -1
                                        ; implicit-def: $sgpr94_sgpr95
                                        ; implicit-def: $sgpr92_sgpr93
	s_and_saveexec_b64 s[24:25], s[34:35]
	s_cbranch_execz .LBB72_345
; %bb.318:                              ;   in Loop: Header=BB72_6 Depth=1
	ds_read_b32 v1, v15 offset:4096
	s_waitcnt lgkmcnt(0)
	s_barrier
	v_readfirstlane_b32 s44, v1
	s_mov_b64 s[2:3], exec
	v_readlane_b32 s8, v47, 26
	v_readlane_b32 s9, v47, 27
	s_and_b64 s[8:9], s[2:3], s[8:9]
	s_mov_b64 exec, s[8:9]
; %bb.319:                              ;   in Loop: Header=BB72_6 Depth=1
	v_mov_b32_e32 v14, v15
	ds_write_b64 v32, v[14:15]
; %bb.320:                              ;   in Loop: Header=BB72_6 Depth=1
	s_or_b64 exec, exec, s[2:3]
	s_lshl_b64 s[2:3], 1, s11
	v_and_b32_e32 v1, s77, v19
	v_and_b32_e32 v3, s76, v18
	v_or_b32_e32 v19, s3, v1
	v_or_b32_e32 v18, s2, v3
	;; [unrolled: 1-line block ×4, first 2 shown]
	s_mov_b64 s[92:93], -1
	s_mov_b64 s[94:95], 0
	s_cmp_eq_u32 s44, 0
	s_mov_b64 s[26:27], 0
	s_mov_b64 s[2:3], -1
	s_waitcnt lgkmcnt(0)
	s_barrier
                                        ; implicit-def: $vgpr5_vgpr6
	s_cbranch_scc1 .LBB72_332
; %bb.321:                              ;   in Loop: Header=BB72_6 Depth=1
	v_readlane_b32 s2, v47, 28
	s_add_i32 s2, s44, s2
	v_readlane_b32 s3, v47, 41
	s_mul_hi_u32 s3, s2, s3
	s_mul_i32 s3, s3, s46
	s_sub_i32 s3, s2, s3
	s_sub_i32 s8, s3, s46
	s_cmp_ge_u32 s3, s46
	s_cselect_b32 s3, s8, s3
	s_sub_i32 s8, s3, s46
	s_cmp_ge_u32 s3, s46
	s_cselect_b32 s3, s8, s3
	s_sub_i32 s45, s2, s3
	v_cmp_gt_u32_e32 vcc, s45, v0
	s_mov_b64 s[2:3], 0
                                        ; implicit-def: $vgpr5_vgpr6
	s_and_saveexec_b64 s[36:37], vcc
	s_cbranch_execz .LBB72_331
; %bb.322:                              ;   in Loop: Header=BB72_6 Depth=1
	s_mov_b64 s[16:17], 0
	v_mov_b32_e32 v8, v31
	v_mov_b32_e32 v9, v0
                                        ; implicit-def: $sgpr26_sgpr27
	s_branch .LBB72_326
.LBB72_323:                             ;   in Loop: Header=BB72_326 Depth=2
	s_or_b64 exec, exec, s[8:9]
	s_waitcnt lgkmcnt(0)
	s_barrier
	ds_read_b128 v[3:6], v15 offset:3072
	s_waitcnt lgkmcnt(0)
	s_barrier
	v_cmp_neq_f64_e32 vcc, 0, v[3:4]
	s_cbranch_vccnz .LBB72_329
; %bb.324:                              ;   in Loop: Header=BB72_326 Depth=2
	v_add_u32_e32 v9, s46, v9
	v_cmp_le_u32_e32 vcc, s45, v9
	v_add_u32_e32 v8, s10, v8
	s_mov_b64 s[8:9], 0
	s_orn2_b64 s[38:39], vcc, exec
.LBB72_325:                             ;   in Loop: Header=BB72_326 Depth=2
	s_and_b64 s[38:39], exec, s[38:39]
	s_or_b64 s[16:17], s[38:39], s[16:17]
	s_andn2_b64 s[26:27], s[26:27], exec
	s_and_b64 s[8:9], s[8:9], exec
	s_or_b64 s[26:27], s[26:27], s[8:9]
	s_andn2_b64 exec, exec, s[16:17]
	s_cbranch_execz .LBB72_330
.LBB72_326:                             ;   Parent Loop BB72_6 Depth=1
                                        ; =>  This Inner Loop Header: Depth=2
	v_cmp_gt_u32_e32 vcc, s44, v9
	s_and_saveexec_b64 s[8:9], vcc
	s_cbranch_execz .LBB72_323
; %bb.327:                              ;   in Loop: Header=BB72_326 Depth=2
	ds_read_b64 v[3:4], v8
	s_waitcnt lgkmcnt(0)
	v_cmp_o_f64_e32 vcc, v[3:4], v[3:4]
	v_ashrrev_i32_e32 v1, 31, v4
	v_or_b32_e32 v5, 0x80000000, v1
	v_xor_b32_e32 v5, v5, v4
	v_xor_b32_e32 v1, v1, v3
	v_cndmask_b32_e32 v5, -1, v5, vcc
	v_cndmask_b32_e32 v1, -1, v1, vcc
	v_and_b32_e32 v6, v5, v21
	v_and_b32_e32 v5, v1, v20
	v_cmp_eq_u64_e32 vcc, v[5:6], v[18:19]
	s_and_b64 exec, exec, vcc
	s_cbranch_execz .LBB72_323
; %bb.328:                              ;   in Loop: Header=BB72_326 Depth=2
	v_mov_b32_e32 v1, v15
	ds_write_b128 v15, v[1:4] offset:3072
	s_branch .LBB72_323
.LBB72_329:                             ;   in Loop: Header=BB72_326 Depth=2
	s_mov_b64 s[38:39], -1
                                        ; implicit-def: $vgpr9
                                        ; implicit-def: $vgpr8
	s_mov_b64 s[8:9], -1
	s_branch .LBB72_325
.LBB72_330:                             ;   in Loop: Header=BB72_6 Depth=1
	s_or_b64 exec, exec, s[16:17]
	s_and_b64 s[26:27], s[26:27], exec
.LBB72_331:                             ;   in Loop: Header=BB72_6 Depth=1
	s_or_b64 exec, exec, s[36:37]
.LBB72_332:                             ;   in Loop: Header=BB72_6 Depth=1
	s_and_b64 vcc, exec, s[2:3]
	s_cbranch_vccz .LBB72_344
; %bb.333:                              ;   in Loop: Header=BB72_6 Depth=1
                                        ; implicit-def: $vgpr5_vgpr6
	s_mov_b64 s[2:3], exec
	v_readlane_b32 s8, v47, 42
	v_readlane_b32 s9, v47, 43
	s_and_b64 s[8:9], s[2:3], s[8:9]
	s_mov_b64 exec, s[8:9]
	s_cbranch_execz .LBB72_343
; %bb.334:                              ;   in Loop: Header=BB72_6 Depth=1
	s_mov_b64 s[16:17], 0
	v_mov_b32_e32 v14, v13
	v_mov_b32_e32 v8, v0
                                        ; implicit-def: $sgpr36_sgpr37
	s_branch .LBB72_338
.LBB72_335:                             ;   in Loop: Header=BB72_338 Depth=2
	s_or_b64 exec, exec, s[8:9]
	s_waitcnt lgkmcnt(0)
	s_barrier
	ds_read_b128 v[3:6], v15 offset:3072
	s_waitcnt lgkmcnt(0)
	s_barrier
	v_cmp_eq_f64_e32 vcc, 0, v[3:4]
	s_cbranch_vccz .LBB72_341
; %bb.336:                              ;   in Loop: Header=BB72_338 Depth=2
	v_add_u32_e32 v8, s46, v8
	v_cmp_le_u32_e32 vcc, s48, v8
	v_add_u32_e32 v14, s47, v14
	s_mov_b64 s[8:9], 0
	s_orn2_b64 s[38:39], vcc, exec
.LBB72_337:                             ;   in Loop: Header=BB72_338 Depth=2
	s_and_b64 s[38:39], exec, s[38:39]
	s_or_b64 s[16:17], s[38:39], s[16:17]
	s_andn2_b64 s[36:37], s[36:37], exec
	s_and_b64 s[8:9], s[8:9], exec
	s_or_b64 s[36:37], s[36:37], s[8:9]
	s_andn2_b64 exec, exec, s[16:17]
	s_cbranch_execz .LBB72_342
.LBB72_338:                             ;   Parent Loop BB72_6 Depth=1
                                        ; =>  This Inner Loop Header: Depth=2
	v_cmp_gt_u32_e32 vcc, s28, v8
	s_and_saveexec_b64 s[8:9], vcc
	s_cbranch_execz .LBB72_335
; %bb.339:                              ;   in Loop: Header=BB72_338 Depth=2
	v_lshlrev_b64 v[3:4], 3, v[14:15]
	v_mov_b32_e32 v1, s40
	v_add_co_u32_e32 v3, vcc, s33, v3
	v_addc_co_u32_e32 v4, vcc, v1, v4, vcc
	global_load_dwordx2 v[3:4], v[3:4], off
	s_waitcnt vmcnt(0)
	v_cmp_o_f64_e32 vcc, v[3:4], v[3:4]
	v_ashrrev_i32_e32 v1, 31, v4
	v_or_b32_e32 v5, 0x80000000, v1
	v_xor_b32_e32 v5, v5, v4
	v_xor_b32_e32 v1, v1, v3
	v_cndmask_b32_e32 v5, -1, v5, vcc
	v_cndmask_b32_e32 v1, -1, v1, vcc
	v_and_b32_e32 v6, v5, v21
	v_and_b32_e32 v5, v1, v20
	v_cmp_eq_u64_e32 vcc, v[5:6], v[18:19]
	s_and_b64 exec, exec, vcc
	s_cbranch_execz .LBB72_335
; %bb.340:                              ;   in Loop: Header=BB72_338 Depth=2
	v_mov_b32_e32 v1, v15
	ds_write_b128 v15, v[1:4] offset:3072
	s_branch .LBB72_335
.LBB72_341:                             ;   in Loop: Header=BB72_338 Depth=2
	s_mov_b64 s[38:39], -1
                                        ; implicit-def: $vgpr8
	s_mov_b64 s[8:9], -1
	s_branch .LBB72_337
.LBB72_342:                             ;   in Loop: Header=BB72_6 Depth=1
	s_or_b64 exec, exec, s[16:17]
	s_andn2_b64 s[8:9], s[26:27], exec
	s_and_b64 s[16:17], s[36:37], exec
	s_or_b64 s[26:27], s[8:9], s[16:17]
.LBB72_343:                             ;   in Loop: Header=BB72_6 Depth=1
	s_or_b64 exec, exec, s[2:3]
	s_mov_b64 s[92:93], 0
	s_mov_b64 s[94:95], -1
.LBB72_344:                             ;   in Loop: Header=BB72_6 Depth=1
	s_orn2_b64 s[2:3], s[26:27], exec
.LBB72_345:                             ;   in Loop: Header=BB72_6 Depth=1
	s_or_b64 exec, exec, s[24:25]
	s_mov_b64 s[8:9], 0
	s_and_saveexec_b64 s[26:27], s[2:3]
	s_cbranch_execz .LBB72_397
; %bb.346:                              ;   in Loop: Header=BB72_6 Depth=1
	s_xor_b64 s[2:3], s[34:35], -1
	v_mov_b32_e32 v8, 1
	v_mov_b32_e32 v43, 1
	s_and_saveexec_b64 s[24:25], s[2:3]
	s_cbranch_execz .LBB72_355
; %bb.347:                              ;   in Loop: Header=BB72_6 Depth=1
	v_cmp_ge_u32_e32 vcc, s5, v7
	s_and_saveexec_b64 s[2:3], vcc
	s_xor_b64 s[2:3], exec, s[2:3]
	s_cbranch_execz .LBB72_352
; %bb.348:                              ;   in Loop: Header=BB72_6 Depth=1
	s_lshl_b64 s[8:9], 1, s11
	v_and_b32_e32 v1, s77, v19
	v_or_b32_e32 v19, s9, v1
	ds_read_b32 v1, v15 offset:4096
	v_and_b32_e32 v3, s76, v18
	v_or_b32_e32 v18, s8, v3
	v_or_b32_e32 v21, s23, v21
	;; [unrolled: 1-line block ×3, first 2 shown]
	s_waitcnt lgkmcnt(0)
	v_cmp_ne_u32_e32 vcc, 0, v1
	s_cbranch_vccnz .LBB72_352
; %bb.349:                              ;   in Loop: Header=BB72_6 Depth=1
	s_mov_b64 s[8:9], exec
	v_readlane_b32 s16, v47, 13
	v_readlane_b32 s17, v47, 14
	s_and_b64 s[16:17], s[8:9], s[16:17]
	s_mov_b64 exec, s[16:17]
; %bb.350:                              ;   in Loop: Header=BB72_6 Depth=1
	v_mov_b32_e32 v1, s5
	ds_write_b32 v15, v1 offset:4100
; %bb.351:                              ;   in Loop: Header=BB72_6 Depth=1
	s_or_b64 exec, exec, s[8:9]
	s_waitcnt lgkmcnt(0)
	s_barrier
.LBB72_352:                             ;   in Loop: Header=BB72_6 Depth=1
	s_or_saveexec_b64 s[2:3], s[2:3]
	s_mov_b64 s[8:9], 0
	v_mov_b32_e32 v43, 5
	s_xor_b64 exec, exec, s[2:3]
; %bb.353:                              ;   in Loop: Header=BB72_6 Depth=1
	v_subrev_u32_e32 v7, s5, v7
	v_mov_b32_e32 v43, 0
	s_mov_b64 s[8:9], exec
; %bb.354:                              ;   in Loop: Header=BB72_6 Depth=1
	s_or_b64 exec, exec, s[2:3]
	s_and_b64 s[8:9], s[8:9], exec
	v_mov_b32_e32 v8, v7
.LBB72_355:                             ;   in Loop: Header=BB72_6 Depth=1
	s_or_b64 exec, exec, s[24:25]
	s_mov_b64 s[2:3], -1
                                        ; implicit-def: $sgpr24_sgpr25
                                        ; implicit-def: $sgpr38_sgpr39
	s_and_saveexec_b64 s[34:35], s[8:9]
	s_cbranch_execz .LBB72_396
; %bb.356:                              ;   in Loop: Header=BB72_6 Depth=1
	s_cmp_eq_u32 s4, 1
	s_cselect_b64 s[2:3], -1, 0
	v_cmp_eq_u32_e32 vcc, 1, v8
	s_and_b64 s[44:45], s[2:3], vcc
	s_mov_b64 s[8:9], -1
                                        ; implicit-def: $sgpr24_sgpr25
                                        ; implicit-def: $sgpr38_sgpr39
	s_and_saveexec_b64 s[36:37], s[44:45]
	s_cbranch_execz .LBB72_384
; %bb.357:                              ;   in Loop: Header=BB72_6 Depth=1
	ds_read_b32 v1, v15 offset:4096
	s_waitcnt lgkmcnt(0)
	s_barrier
	v_readfirstlane_b32 s5, v1
	s_mov_b64 s[2:3], exec
	v_readlane_b32 s8, v47, 26
	v_readlane_b32 s9, v47, 27
	s_and_b64 s[8:9], s[2:3], s[8:9]
	s_mov_b64 exec, s[8:9]
; %bb.358:                              ;   in Loop: Header=BB72_6 Depth=1
	v_mov_b32_e32 v14, v15
	ds_write_b64 v32, v[14:15]
; %bb.359:                              ;   in Loop: Header=BB72_6 Depth=1
	s_or_b64 exec, exec, s[2:3]
	v_and_b32_e32 v19, s77, v19
	v_and_b32_e32 v18, s76, v18
	v_or_b32_e32 v21, s23, v21
	v_or_b32_e32 v20, s22, v20
	s_mov_b64 s[38:39], -1
	s_mov_b64 s[24:25], 0
	s_cmp_eq_u32 s5, 0
	s_mov_b64 s[50:51], 0
	s_mov_b64 s[2:3], -1
	s_waitcnt lgkmcnt(0)
	s_barrier
                                        ; implicit-def: $vgpr5_vgpr6
	s_cbranch_scc1 .LBB72_371
; %bb.360:                              ;   in Loop: Header=BB72_6 Depth=1
	v_readlane_b32 s2, v47, 28
	s_add_i32 s2, s5, s2
	v_readlane_b32 s3, v47, 41
	s_mul_hi_u32 s3, s2, s3
	s_mul_i32 s3, s3, s46
	s_sub_i32 s3, s2, s3
	s_sub_i32 s8, s3, s46
	s_cmp_ge_u32 s3, s46
	s_cselect_b32 s3, s8, s3
	s_sub_i32 s8, s3, s46
	s_cmp_ge_u32 s3, s46
	s_cselect_b32 s3, s8, s3
	s_sub_i32 s52, s2, s3
	s_mov_b64 s[2:3], 0
	v_cmp_gt_u32_e32 vcc, s52, v0
                                        ; implicit-def: $vgpr5_vgpr6
	s_mov_b64 s[8:9], exec
	v_writelane_b32 v47, s8, 44
	v_writelane_b32 v47, s9, 45
	s_and_b64 s[8:9], s[8:9], vcc
	s_mov_b64 exec, s[8:9]
	s_cbranch_execz .LBB72_370
; %bb.361:                              ;   in Loop: Header=BB72_6 Depth=1
	v_writelane_b32 v47, s44, 46
	s_mov_b64 s[16:17], 0
	v_mov_b32_e32 v7, v31
	v_mov_b32_e32 v9, v0
	v_writelane_b32 v47, s45, 47
                                        ; implicit-def: $sgpr50_sgpr51
	s_branch .LBB72_365
.LBB72_362:                             ;   in Loop: Header=BB72_365 Depth=2
	s_or_b64 exec, exec, s[8:9]
	s_waitcnt lgkmcnt(0)
	s_barrier
	ds_read_b128 v[3:6], v15 offset:3072
	s_waitcnt lgkmcnt(0)
	s_barrier
	v_cmp_neq_f64_e32 vcc, 0, v[3:4]
	s_cbranch_vccnz .LBB72_368
; %bb.363:                              ;   in Loop: Header=BB72_365 Depth=2
	v_add_u32_e32 v9, s46, v9
	v_cmp_le_u32_e32 vcc, s52, v9
	v_add_u32_e32 v7, s10, v7
	s_mov_b64 s[8:9], 0
	s_orn2_b64 s[44:45], vcc, exec
.LBB72_364:                             ;   in Loop: Header=BB72_365 Depth=2
	s_and_b64 s[44:45], exec, s[44:45]
	s_or_b64 s[16:17], s[44:45], s[16:17]
	s_andn2_b64 s[44:45], s[50:51], exec
	s_and_b64 s[8:9], s[8:9], exec
	s_or_b64 s[50:51], s[44:45], s[8:9]
	s_andn2_b64 exec, exec, s[16:17]
	s_cbranch_execz .LBB72_369
.LBB72_365:                             ;   Parent Loop BB72_6 Depth=1
                                        ; =>  This Inner Loop Header: Depth=2
	v_cmp_gt_u32_e32 vcc, s5, v9
	s_and_saveexec_b64 s[8:9], vcc
	s_cbranch_execz .LBB72_362
; %bb.366:                              ;   in Loop: Header=BB72_365 Depth=2
	ds_read_b64 v[3:4], v7
	s_waitcnt lgkmcnt(0)
	v_cmp_o_f64_e32 vcc, v[3:4], v[3:4]
	v_ashrrev_i32_e32 v1, 31, v4
	v_or_b32_e32 v5, 0x80000000, v1
	v_xor_b32_e32 v5, v5, v4
	v_xor_b32_e32 v1, v1, v3
	v_cndmask_b32_e32 v5, -1, v5, vcc
	v_cndmask_b32_e32 v1, -1, v1, vcc
	v_and_b32_e32 v6, v5, v21
	v_and_b32_e32 v5, v1, v20
	v_cmp_eq_u64_e32 vcc, v[5:6], v[18:19]
	s_and_b64 exec, exec, vcc
	s_cbranch_execz .LBB72_362
; %bb.367:                              ;   in Loop: Header=BB72_365 Depth=2
	v_mov_b32_e32 v1, v15
	ds_write_b128 v15, v[1:4] offset:3072
	s_branch .LBB72_362
.LBB72_368:                             ;   in Loop: Header=BB72_365 Depth=2
	s_mov_b64 s[44:45], -1
                                        ; implicit-def: $vgpr9
                                        ; implicit-def: $vgpr7
	s_mov_b64 s[8:9], -1
	s_branch .LBB72_364
.LBB72_369:                             ;   in Loop: Header=BB72_6 Depth=1
	s_or_b64 exec, exec, s[16:17]
	v_readlane_b32 s44, v47, 46
	s_and_b64 s[50:51], s[50:51], exec
	v_readlane_b32 s45, v47, 47
.LBB72_370:                             ;   in Loop: Header=BB72_6 Depth=1
	v_readlane_b32 s8, v47, 44
	v_readlane_b32 s9, v47, 45
	s_or_b64 exec, exec, s[8:9]
.LBB72_371:                             ;   in Loop: Header=BB72_6 Depth=1
	s_and_b64 vcc, exec, s[2:3]
	s_cbranch_vccz .LBB72_383
; %bb.372:                              ;   in Loop: Header=BB72_6 Depth=1
                                        ; implicit-def: $vgpr5_vgpr6
	s_mov_b64 s[2:3], exec
	v_readlane_b32 s8, v47, 42
	v_readlane_b32 s9, v47, 43
	s_and_b64 s[8:9], s[2:3], s[8:9]
	s_mov_b64 exec, s[8:9]
	s_cbranch_execz .LBB72_382
; %bb.373:                              ;   in Loop: Header=BB72_6 Depth=1
	s_mov_b64 s[16:17], 0
	v_mov_b32_e32 v14, v13
	v_mov_b32_e32 v7, v0
                                        ; implicit-def: $sgpr24_sgpr25
	s_branch .LBB72_377
.LBB72_374:                             ;   in Loop: Header=BB72_377 Depth=2
	s_or_b64 exec, exec, s[8:9]
	s_waitcnt lgkmcnt(0)
	s_barrier
	ds_read_b128 v[3:6], v15 offset:3072
	s_waitcnt lgkmcnt(0)
	s_barrier
	v_cmp_eq_f64_e32 vcc, 0, v[3:4]
	s_cbranch_vccz .LBB72_380
; %bb.375:                              ;   in Loop: Header=BB72_377 Depth=2
	v_add_u32_e32 v7, s46, v7
	v_cmp_le_u32_e32 vcc, s48, v7
	v_add_u32_e32 v14, s47, v14
	s_mov_b64 s[8:9], 0
	s_orn2_b64 s[38:39], vcc, exec
.LBB72_376:                             ;   in Loop: Header=BB72_377 Depth=2
	s_and_b64 s[38:39], exec, s[38:39]
	s_or_b64 s[16:17], s[38:39], s[16:17]
	s_andn2_b64 s[24:25], s[24:25], exec
	s_and_b64 s[8:9], s[8:9], exec
	s_or_b64 s[24:25], s[24:25], s[8:9]
	s_andn2_b64 exec, exec, s[16:17]
	s_cbranch_execz .LBB72_381
.LBB72_377:                             ;   Parent Loop BB72_6 Depth=1
                                        ; =>  This Inner Loop Header: Depth=2
	v_cmp_gt_u32_e32 vcc, s28, v7
	s_and_saveexec_b64 s[8:9], vcc
	s_cbranch_execz .LBB72_374
; %bb.378:                              ;   in Loop: Header=BB72_377 Depth=2
	v_lshlrev_b64 v[3:4], 3, v[14:15]
	v_mov_b32_e32 v1, s40
	v_add_co_u32_e32 v3, vcc, s33, v3
	v_addc_co_u32_e32 v4, vcc, v1, v4, vcc
	global_load_dwordx2 v[3:4], v[3:4], off
	s_waitcnt vmcnt(0)
	v_cmp_o_f64_e32 vcc, v[3:4], v[3:4]
	v_ashrrev_i32_e32 v1, 31, v4
	v_or_b32_e32 v5, 0x80000000, v1
	v_xor_b32_e32 v5, v5, v4
	v_xor_b32_e32 v1, v1, v3
	v_cndmask_b32_e32 v5, -1, v5, vcc
	v_cndmask_b32_e32 v1, -1, v1, vcc
	v_and_b32_e32 v6, v5, v21
	v_and_b32_e32 v5, v1, v20
	v_cmp_eq_u64_e32 vcc, v[5:6], v[18:19]
	s_and_b64 exec, exec, vcc
	s_cbranch_execz .LBB72_374
; %bb.379:                              ;   in Loop: Header=BB72_377 Depth=2
	v_mov_b32_e32 v1, v15
	ds_write_b128 v15, v[1:4] offset:3072
	s_branch .LBB72_374
.LBB72_380:                             ;   in Loop: Header=BB72_377 Depth=2
	s_mov_b64 s[38:39], -1
                                        ; implicit-def: $vgpr7
	s_mov_b64 s[8:9], -1
	s_branch .LBB72_376
.LBB72_381:                             ;   in Loop: Header=BB72_6 Depth=1
	s_or_b64 exec, exec, s[16:17]
	s_andn2_b64 s[8:9], s[50:51], exec
	s_and_b64 s[16:17], s[24:25], exec
	s_or_b64 s[50:51], s[8:9], s[16:17]
.LBB72_382:                             ;   in Loop: Header=BB72_6 Depth=1
	s_or_b64 exec, exec, s[2:3]
	s_mov_b64 s[38:39], 0
	s_mov_b64 s[24:25], -1
.LBB72_383:                             ;   in Loop: Header=BB72_6 Depth=1
	s_orn2_b64 s[8:9], s[50:51], exec
.LBB72_384:                             ;   in Loop: Header=BB72_6 Depth=1
	s_or_b64 exec, exec, s[36:37]
	s_mov_b64 s[16:17], 0
	s_and_saveexec_b64 s[2:3], s[8:9]
	s_cbranch_execz .LBB72_395
; %bb.385:                              ;   in Loop: Header=BB72_6 Depth=1
	s_xor_b64 s[16:17], s[44:45], -1
	v_mov_b32_e32 v43, 1
	v_mov_b32_e32 v1, 1
	s_and_saveexec_b64 s[8:9], s[16:17]
	s_cbranch_execz .LBB72_394
; %bb.386:                              ;   in Loop: Header=BB72_6 Depth=1
	v_cmp_ge_u32_e32 vcc, s4, v8
	s_and_saveexec_b64 s[16:17], vcc
	s_xor_b64 s[16:17], exec, s[16:17]
	s_cbranch_execz .LBB72_391
; %bb.387:                              ;   in Loop: Header=BB72_6 Depth=1
	ds_read_b32 v1, v15 offset:4096
	v_and_b32_e32 v19, s77, v19
	v_and_b32_e32 v18, s76, v18
	v_or_b32_e32 v21, s23, v21
	v_or_b32_e32 v20, s22, v20
	s_waitcnt lgkmcnt(0)
	v_cmp_ne_u32_e32 vcc, 0, v1
	s_cbranch_vccnz .LBB72_391
; %bb.388:                              ;   in Loop: Header=BB72_6 Depth=1
	s_mov_b64 s[22:23], exec
	v_readlane_b32 s36, v47, 13
	v_readlane_b32 s37, v47, 14
	s_and_b64 s[36:37], s[22:23], s[36:37]
	s_mov_b64 exec, s[36:37]
; %bb.389:                              ;   in Loop: Header=BB72_6 Depth=1
	v_mov_b32_e32 v1, s4
	ds_write_b32 v15, v1 offset:4100
; %bb.390:                              ;   in Loop: Header=BB72_6 Depth=1
	s_or_b64 exec, exec, s[22:23]
	s_waitcnt lgkmcnt(0)
	s_barrier
.LBB72_391:                             ;   in Loop: Header=BB72_6 Depth=1
	s_andn2_saveexec_b64 s[16:17], s[16:17]
; %bb.392:                              ;   in Loop: Header=BB72_6 Depth=1
	v_subrev_u32_e32 v8, s4, v8
; %bb.393:                              ;   in Loop: Header=BB72_6 Depth=1
	s_or_b64 exec, exec, s[16:17]
	v_mov_b32_e32 v43, 5
	v_mov_b32_e32 v1, v8
.LBB72_394:                             ;   in Loop: Header=BB72_6 Depth=1
	s_or_b64 exec, exec, s[8:9]
	s_mov_b64 s[16:17], exec
	v_mov_b32_e32 v8, v1
.LBB72_395:                             ;   in Loop: Header=BB72_6 Depth=1
	s_or_b64 exec, exec, s[2:3]
	s_orn2_b64 s[2:3], s[16:17], exec
.LBB72_396:                             ;   in Loop: Header=BB72_6 Depth=1
	s_or_b64 exec, exec, s[34:35]
	s_andn2_b64 s[4:5], s[94:95], exec
	s_and_b64 s[8:9], s[24:25], exec
	s_or_b64 s[94:95], s[4:5], s[8:9]
	s_andn2_b64 s[4:5], s[92:93], exec
	s_and_b64 s[8:9], s[38:39], exec
	s_or_b64 s[92:93], s[4:5], s[8:9]
	s_and_b64 s[8:9], s[2:3], exec
	v_mov_b32_e32 v7, v8
.LBB72_397:                             ;   in Loop: Header=BB72_6 Depth=1
	s_or_b64 exec, exec, s[26:27]
	s_orn2_b64 s[2:3], s[8:9], exec
.LBB72_398:                             ;   in Loop: Header=BB72_6 Depth=1
	s_or_b64 exec, exec, s[90:91]
	s_andn2_b64 s[4:5], s[86:87], exec
	s_and_b64 s[8:9], s[94:95], exec
	s_or_b64 s[86:87], s[4:5], s[8:9]
	s_andn2_b64 s[4:5], s[84:85], exec
	s_and_b64 s[8:9], s[92:93], exec
	s_or_b64 s[84:85], s[4:5], s[8:9]
	s_and_b64 s[8:9], s[2:3], exec
	v_mov_b32_e32 v44, v7
.LBB72_399:                             ;   in Loop: Header=BB72_6 Depth=1
	s_or_b64 exec, exec, s[88:89]
	s_orn2_b64 s[2:3], s[8:9], exec
.LBB72_400:                             ;   in Loop: Header=BB72_6 Depth=1
	s_or_b64 exec, exec, s[6:7]
	s_mov_b64 s[6:7], s[80:81]
	s_mov_b64 s[8:9], s[78:79]
	s_and_saveexec_b64 s[16:17], s[2:3]
; %bb.401:                              ;   in Loop: Header=BB72_6 Depth=1
	v_cmp_ne_u32_e64 s[6:7], 5, v43
	v_cmp_eq_u32_e32 vcc, 5, v43
	s_andn2_b64 s[2:3], s[78:79], exec
	s_and_b64 s[4:5], s[6:7], exec
	s_or_b64 s[8:9], s[2:3], s[4:5]
	s_andn2_b64 s[2:3], s[80:81], exec
	s_and_b64 s[4:5], vcc, exec
	s_or_b64 s[6:7], s[2:3], s[4:5]
; %bb.402:                              ;   in Loop: Header=BB72_6 Depth=1
	s_or_b64 exec, exec, s[16:17]
	s_andn2_b64 s[2:3], s[18:19], exec
	s_and_b64 s[4:5], s[86:87], exec
	s_or_b64 s[18:19], s[2:3], s[4:5]
	s_andn2_b64 s[2:3], s[20:21], exec
	s_and_b64 s[4:5], s[84:85], exec
	s_or_b64 s[20:21], s[2:3], s[4:5]
	;; [unrolled: 3-line block ×4, first 2 shown]
.LBB72_403:                             ;   in Loop: Header=BB72_6 Depth=1
	s_or_b64 exec, exec, s[82:83]
	s_mov_b64 s[82:83], 0
	s_mov_b64 s[84:85], 0
	s_and_saveexec_b64 s[2:3], s[80:81]
.LBB72_404:                             ;   in Loop: Header=BB72_6 Depth=1
	v_mov_b32_e32 v43, 0
	s_or_b64 s[78:79], s[78:79], exec
.LBB72_405:                             ;   in Loop: Header=BB72_6 Depth=1
	s_or_b64 exec, exec, s[2:3]
	s_andn2_b64 s[2:3], s[72:73], exec
	s_and_b64 s[4:5], s[18:19], exec
	s_or_b64 s[72:73], s[2:3], s[4:5]
	s_andn2_b64 s[2:3], s[70:71], exec
	s_and_b64 s[4:5], s[20:21], exec
	s_or_b64 s[70:71], s[2:3], s[4:5]
	;; [unrolled: 3-line block ×3, first 2 shown]
	s_andn2_b64 s[2:3], s[66:67], exec
	s_and_b64 s[4:5], s[82:83], exec
	s_mov_b64 s[6:7], -1
	s_andn2_b64 s[74:75], s[74:75], exec
	s_or_b64 s[66:67], s[2:3], s[4:5]
	v_mov_b32_e32 v42, v44
	s_and_saveexec_b64 s[2:3], s[78:79]
	s_xor_b64 s[2:3], exec, s[2:3]
	s_cbranch_execz .LBB72_5
; %bb.406:                              ;   in Loop: Header=BB72_6 Depth=1
	v_cmp_eq_u32_e32 vcc, 0, v43
	s_mov_b64 s[8:9], -1
	s_and_saveexec_b64 s[16:17], vcc
	s_cbranch_execz .LBB72_4
; %bb.407:                              ;   in Loop: Header=BB72_6 Depth=1
	s_xor_b32 s41, s41, 1
	s_add_i32 s18, s11, -2
	s_cmp_eq_u32 s11, 0
	s_cselect_b64 s[4:5], -1, 0
	s_xor_b64 s[8:9], exec, -1
	s_orn2_b64 s[6:7], s[4:5], exec
	s_mov_b32 s11, s18
	s_branch .LBB72_4
.LBB72_408:
	s_or_b64 exec, exec, s[54:55]
	s_xor_b64 s[6:7], s[64:65], -1
	s_xor_b64 s[14:15], s[62:63], -1
	s_xor_b64 s[12:13], s[58:59], -1
	s_xor_b64 s[4:5], s[56:57], -1
	s_xor_b64 s[2:3], s[60:61], -1
	s_mov_b64 s[8:9], 0
	s_and_saveexec_b64 s[10:11], s[4:5]
	s_xor_b64 s[10:11], exec, s[10:11]
	s_cbranch_execnz .LBB72_413
; %bb.409:
	s_andn2_saveexec_b64 s[0:1], s[10:11]
	s_cbranch_execnz .LBB72_432
.LBB72_410:
	s_or_b64 exec, exec, s[0:1]
	s_and_saveexec_b64 s[0:1], s[8:9]
.LBB72_411:
	; divergent unreachable
.LBB72_412:
	s_endpgm
.LBB72_413:
	s_and_saveexec_b64 s[4:5], s[12:13]
	s_xor_b64 s[12:13], exec, s[4:5]
	s_cbranch_execz .LBB72_430
; %bb.414:
	s_and_saveexec_b64 s[4:5], s[14:15]
	s_xor_b64 s[14:15], exec, s[4:5]
	s_cbranch_execz .LBB72_428
; %bb.415:
	;; [unrolled: 4-line block ×3, first 2 shown]
	s_and_saveexec_b64 s[4:5], s[2:3]
	s_xor_b64 s[2:3], exec, s[4:5]
; %bb.417:
	v_lshrrev_b32_e32 v1, 31, v19
	v_add_co_u32_e32 v1, vcc, -1, v1
	v_addc_co_u32_e64 v2, s[4:5], 0, -1, vcc
	v_or_b32_e32 v2, 0x80000000, v2
	v_xor_b32_e32 v6, v2, v19
	v_xor_b32_e32 v5, v1, v18
; %bb.418:
	s_or_b64 exec, exec, s[2:3]
	s_mov_b64 s[2:3], exec
	v_readlane_b32 s4, v47, 13
	v_readlane_b32 s5, v47, 14
	;; [unrolled: 1-line block ×4, first 2 shown]
	s_and_b64 s[4:5], s[2:3], s[4:5]
	v_readlane_b32 s45, v47, 17
	v_readlane_b32 s9, v47, 21
	s_mov_b64 exec, s[4:5]
; %bb.419:
	v_mov_b32_e32 v1, 0
	ds_write_b32 v1, v1 offset:4108
; %bb.420:
	s_or_b64 exec, exec, s[2:3]
	v_mov_b32_e32 v7, 0
	v_mov_b32_e32 v8, 0
	s_waitcnt lgkmcnt(0)
	s_barrier
	s_mov_b64 s[2:3], exec
	v_readlane_b32 s4, v47, 22
	v_readlane_b32 s5, v47, 23
	s_and_b64 s[4:5], s[2:3], s[4:5]
	s_mov_b64 exec, s[4:5]
	s_cbranch_execz .LBB72_422
; %bb.421:
	global_load_dwordx2 v[7:8], v[11:12], off
.LBB72_422:
	s_or_b64 exec, exec, s[2:3]
	v_readlane_b32 s5, v47, 9
	v_readlane_b32 s7, v47, 10
	s_mul_i32 s2, s7, s5
	v_readlane_b32 s6, v47, 15
	s_add_i32 s34, s28, 63
	s_sub_i32 s2, s6, s2
	s_andn2_b32 s34, s34, 63
	s_add_i32 s3, s7, 1
	s_sub_i32 s4, s2, s5
	s_cmp_ge_u32 s2, s5
	s_cselect_b32 s3, s3, s7
	s_cselect_b32 s2, s4, s2
	s_add_i32 s4, s3, 1
	s_cmp_ge_u32 s2, s5
	s_cselect_b32 s2, s4, s3
	s_mul_i32 s3, s2, s5
	v_readlane_b32 s4, v47, 5
	s_sub_i32 s3, s6, s3
	v_readlane_b32 s5, v47, 6
	s_mul_i32 s3, s3, s5
	s_mul_i32 s2, s2, s4
	v_readlane_b32 s7, v47, 11
	v_readlane_b32 s18, v47, 12
	s_add_i32 s2, s2, s3
	s_mul_i32 s3, s18, s7
	s_sub_i32 s3, s6, s3
	s_add_i32 s4, s18, 1
	s_sub_i32 s5, s3, s7
	s_cmp_ge_u32 s3, s7
	s_cselect_b32 s4, s4, s18
	s_cselect_b32 s3, s5, s3
	s_add_i32 s5, s4, 1
	s_cmp_ge_u32 s3, s7
	s_cselect_b32 s3, s5, s4
	s_mul_i32 s4, s3, s7
	v_cmp_o_f64_e32 vcc, v[5:6], v[5:6]
	s_sub_i32 s4, s6, s4
	v_readlane_b32 s6, v47, 1
	v_readlane_b32 s7, v47, 2
	s_mul_i32 s4, s4, s7
	s_mul_i32 s3, s3, s6
	s_add_i32 s4, s3, s4
	s_mov_b32 s3, 0
	s_lshl_b64 s[6:7], s[2:3], 3
	v_readlane_b32 s18, v47, 7
	s_load_dword s39, s[8:9], 0x1c8
	s_load_dword s41, s[8:9], 0x2a8
	v_ashrrev_i32_e32 v1, 31, v6
	v_readlane_b32 s19, v47, 8
	s_add_u32 s35, s18, s6
	s_mov_b32 s5, s3
	v_or_b32_e32 v2, 0x80000000, v1
	s_addc_u32 s36, s19, s7
	s_lshl_b64 s[2:3], s[4:5], 3
	v_readlane_b32 s4, v47, 3
	v_xor_b32_e32 v2, v2, v6
	v_xor_b32_e32 v1, v1, v5
	v_readlane_b32 s5, v47, 4
	s_add_u32 s37, s4, s2
	v_cndmask_b32_e32 v3, -1, v2, vcc
	v_cndmask_b32_e32 v2, -1, v1, vcc
	s_addc_u32 s38, s5, s3
	v_cmp_gt_u32_e32 vcc, s34, v0
	s_mov_b64 s[2:3], -1
	s_mov_b64 s[8:9], 0
	s_mov_b64 s[4:5], 0
	s_and_saveexec_b64 s[18:19], vcc
	s_cbranch_execnz .LBB72_433
; %bb.423:
	s_or_b64 exec, exec, s[18:19]
	s_and_saveexec_b64 s[6:7], s[2:3]
	s_cbranch_execnz .LBB72_450
.LBB72_424:
	s_or_b64 exec, exec, s[6:7]
	s_and_saveexec_b64 s[0:1], s[4:5]
	s_xor_b64 s[0:1], exec, s[0:1]
	s_cbranch_execnz .LBB72_475
.LBB72_425:
	s_or_b64 exec, exec, s[0:1]
	s_and_b64 s[8:9], s[8:9], exec
.LBB72_426:
	s_andn2_saveexec_b64 s[0:1], s[16:17]
	s_cbranch_execnz .LBB72_477
.LBB72_427:
	s_or_b64 exec, exec, s[0:1]
	s_and_b64 s[8:9], s[8:9], exec
.LBB72_428:
	s_andn2_saveexec_b64 s[0:1], s[14:15]
	s_cbranch_execnz .LBB72_476
.LBB72_429:
	s_or_b64 exec, exec, s[0:1]
	s_and_b64 s[8:9], s[8:9], exec
.LBB72_430:
	s_andn2_saveexec_b64 s[0:1], s[12:13]
	s_cbranch_execnz .LBB72_471
.LBB72_431:
	s_or_b64 exec, exec, s[0:1]
	s_and_b64 s[8:9], s[8:9], exec
	s_andn2_saveexec_b64 s[0:1], s[10:11]
	s_cbranch_execz .LBB72_410
.LBB72_432:
	s_or_b64 s[8:9], s[8:9], exec
	s_trap 2
	s_or_b64 exec, exec, s[0:1]
	s_and_saveexec_b64 s[0:1], s[8:9]
	s_cbranch_execnz .LBB72_411
	s_branch .LBB72_412
.LBB72_433:
	v_add_u32_e32 v1, s46, v0
	v_readlane_b32 s2, v47, 0
	v_mul_lo_u32 v4, s2, v1
	s_mov_b64 s[20:21], 0
	v_mov_b32_e32 v5, 0
	v_mov_b32_e32 v6, v0
                                        ; implicit-def: $sgpr22_sgpr23
                                        ; implicit-def: $vgpr13
	s_branch .LBB72_435
.LBB72_434:                             ;   in Loop: Header=BB72_435 Depth=1
	s_or_b64 exec, exec, s[24:25]
	s_xor_b64 s[4:5], s[6:7], -1
	s_and_b64 s[2:3], exec, s[2:3]
	s_or_b64 s[20:21], s[2:3], s[20:21]
	s_andn2_b64 s[2:3], s[22:23], exec
	s_and_b64 s[4:5], s[4:5], exec
	s_waitcnt vmcnt(0)
	v_mov_b32_e32 v7, v9
	s_or_b64 s[22:23], s[2:3], s[4:5]
	v_mov_b32_e32 v8, v10
	v_mov_b32_e32 v6, v1
	s_andn2_b64 exec, exec, s[20:21]
	s_cbranch_execz .LBB72_449
.LBB72_435:                             ; =>This Inner Loop Header: Depth=1
	v_add_u32_e32 v1, s46, v6
	v_mov_b32_e32 v9, 0
	v_mov_b32_e32 v10, 0
	v_cmp_gt_u32_e64 s[4:5], s28, v1
	s_and_saveexec_b64 s[2:3], s[4:5]
	s_cbranch_execz .LBB72_437
; %bb.436:                              ;   in Loop: Header=BB72_435 Depth=1
	v_lshlrev_b64 v[9:10], 3, v[4:5]
	v_mov_b32_e32 v14, s40
	v_add_co_u32_e64 v9, s[4:5], s33, v9
	v_addc_co_u32_e64 v10, s[4:5], v14, v10, s[4:5]
	global_load_dwordx2 v[9:10], v[9:10], off
.LBB72_437:                             ;   in Loop: Header=BB72_435 Depth=1
	s_or_b64 exec, exec, s[2:3]
	v_cmp_gt_u32_e64 s[4:5], s28, v6
	s_mov_b64 s[24:25], 0
	s_and_saveexec_b64 s[2:3], s[4:5]
	s_cbranch_execz .LBB72_439
; %bb.438:                              ;   in Loop: Header=BB72_435 Depth=1
	s_waitcnt vmcnt(0)
	v_cmp_o_f64_e64 s[4:5], v[7:8], v[7:8]
	v_ashrrev_i32_e32 v14, 31, v8
	v_or_b32_e32 v15, 0x80000000, v14
	v_xor_b32_e32 v15, v15, v8
	v_xor_b32_e32 v14, v14, v7
	v_cndmask_b32_e64 v15, -1, v15, s[4:5]
	v_cndmask_b32_e64 v14, -1, v14, s[4:5]
	v_cmp_gt_u64_e64 s[4:5], v[14:15], v[2:3]
	v_cndmask_b32_e64 v16, 0, 1, s[4:5]
	v_cmp_lt_u64_e64 s[4:5], v[14:15], v[2:3]
	v_cndmask_b32_e64 v14, 0, 1, s[4:5]
	v_cndmask_b32_e64 v14, v14, v16, s[44:45]
	v_and_b32_e32 v14, 1, v14
	v_cmp_eq_u32_e64 s[4:5], 1, v14
	s_and_b64 s[24:25], s[4:5], exec
.LBB72_439:                             ;   in Loop: Header=BB72_435 Depth=1
	s_or_b64 exec, exec, s[2:3]
	v_cndmask_b32_e64 v14, 0, 1, s[24:25]
	v_cmp_ne_u32_e64 s[4:5], 0, v14
	s_cmp_lg_u64 s[4:5], 0
	s_cselect_b64 s[2:3], -1, 0
	s_and_b64 s[6:7], s[0:1], s[2:3]
	s_and_saveexec_b64 s[2:3], s[6:7]
	s_cbranch_execz .LBB72_443
; %bb.440:                              ;   in Loop: Header=BB72_435 Depth=1
	s_mov_b64 s[30:31], exec
	s_waitcnt lgkmcnt(0)
	v_mbcnt_lo_u32_b32 v13, s30, 0
	v_mbcnt_hi_u32_b32 v13, s31, v13
	s_bcnt1_i32_b64 s42, s[4:5]
	v_cmp_eq_u32_e64 s[6:7], 0, v13
                                        ; implicit-def: $vgpr14
	s_and_saveexec_b64 s[26:27], s[6:7]
; %bb.441:                              ;   in Loop: Header=BB72_435 Depth=1
	s_bcnt1_i32_b64 s6, s[30:31]
	s_mul_i32 s6, s42, s6
	v_mov_b32_e32 v14, s6
	ds_add_rtn_u32 v14, v5, v14 offset:4108
; %bb.442:                              ;   in Loop: Header=BB72_435 Depth=1
	s_or_b64 exec, exec, s[26:27]
	s_waitcnt lgkmcnt(0)
	v_readfirstlane_b32 s6, v14
	v_mov_b32_e32 v14, s6
	v_mad_u32_u24 v13, s42, v13, v14
.LBB72_443:                             ;   in Loop: Header=BB72_435 Depth=1
	s_or_b64 exec, exec, s[2:3]
	s_waitcnt lgkmcnt(0)
	ds_bpermute_b32 v13, v26, v13
	s_mov_b64 s[2:3], -1
	s_mov_b64 s[26:27], -1
	s_and_saveexec_b64 s[6:7], s[24:25]
	s_cbranch_execz .LBB72_447
; %bb.444:                              ;   in Loop: Header=BB72_435 Depth=1
	v_and_b32_e32 v15, s4, v28
	v_and_b32_e32 v14, s5, v27
	v_bcnt_u32_b32 v15, v15, 0
	v_bcnt_u32_b32 v14, v14, v15
	s_waitcnt lgkmcnt(0)
	v_add_u32_e32 v14, v13, v14
	v_cmp_gt_u32_e64 s[4:5], s29, v14
	s_mov_b64 s[24:25], 0
	s_and_saveexec_b64 s[26:27], s[4:5]
	s_cbranch_execz .LBB72_446
; %bb.445:                              ;   in Loop: Header=BB72_435 Depth=1
	v_mul_lo_u32 v15, v14, s39
	v_mov_b32_e32 v16, v5
	v_mul_lo_u32 v14, v14, s41
	v_mov_b32_e32 v17, s36
	v_lshlrev_b64 v[15:16], 3, v[15:16]
	s_mov_b64 s[24:25], exec
	v_add_co_u32_e64 v15, s[4:5], s35, v15
	v_addc_co_u32_e64 v16, s[4:5], v17, v16, s[4:5]
	s_waitcnt vmcnt(0)
	global_store_dwordx2 v[15:16], v[7:8], off
	v_mov_b32_e32 v15, v5
	v_lshlrev_b64 v[14:15], 3, v[14:15]
	v_mov_b32_e32 v8, s38
	v_add_co_u32_e64 v14, s[4:5], s37, v14
	v_mov_b32_e32 v7, v5
	v_addc_co_u32_e64 v15, s[4:5], v8, v15, s[4:5]
	global_store_dwordx2 v[14:15], v[6:7], off
.LBB72_446:                             ;   in Loop: Header=BB72_435 Depth=1
	s_or_b64 exec, exec, s[26:27]
	s_orn2_b64 s[26:27], s[24:25], exec
.LBB72_447:                             ;   in Loop: Header=BB72_435 Depth=1
	s_or_b64 exec, exec, s[6:7]
	s_mov_b64 s[6:7], -1
	s_and_saveexec_b64 s[24:25], s[26:27]
	s_cbranch_execz .LBB72_434
; %bb.448:                              ;   in Loop: Header=BB72_435 Depth=1
	v_cmp_le_u32_e64 s[4:5], s34, v1
	v_add_u32_e32 v4, s47, v4
	s_xor_b64 s[6:7], exec, -1
	s_orn2_b64 s[2:3], s[4:5], exec
	s_branch .LBB72_434
.LBB72_449:
	s_or_b64 exec, exec, s[20:21]
	s_mov_b64 s[4:5], exec
	s_orn2_b64 s[2:3], s[22:23], exec
	s_or_b64 exec, exec, s[18:19]
	s_and_saveexec_b64 s[6:7], s[2:3]
	s_cbranch_execz .LBB72_424
.LBB72_450:
	s_waitcnt vmcnt(0)
	v_mov_b32_e32 v8, 0
	v_mov_b32_e32 v9, 0
	s_waitcnt lgkmcnt(0)
	s_barrier
	s_mov_b64 s[2:3], exec
	v_readlane_b32 s8, v47, 22
	v_readlane_b32 s9, v47, 23
	s_and_b64 s[8:9], s[2:3], s[8:9]
	s_mov_b64 exec, s[8:9]
	s_cbranch_execz .LBB72_452
; %bb.451:
	global_load_dwordx2 v[8:9], v[11:12], off
.LBB72_452:
	s_or_b64 exec, exec, s[2:3]
	s_mov_b64 s[2:3], 0
	s_and_saveexec_b64 s[8:9], vcc
	s_cbranch_execz .LBB72_474
; %bb.453:
	v_add_u32_e32 v1, s46, v0
	v_readlane_b32 s2, v47, 0
	v_mul_lo_u32 v4, s2, v1
	s_mov_b64 s[18:19], 0
	v_mov_b32_e32 v5, 0
                                        ; implicit-def: $sgpr20_sgpr21
                                        ; implicit-def: $vgpr11
	s_branch .LBB72_456
.LBB72_454:                             ;   in Loop: Header=BB72_456 Depth=1
	s_or_b64 exec, exec, s[24:25]
	s_orn2_b64 s[26:27], s[30:31], exec
	s_orn2_b64 s[24:25], s[22:23], exec
.LBB72_455:                             ;   in Loop: Header=BB72_456 Depth=1
	s_or_b64 exec, exec, s[2:3]
	s_xor_b64 s[2:3], s[26:27], -1
	s_and_b64 s[22:23], exec, s[24:25]
	s_or_b64 s[18:19], s[22:23], s[18:19]
	s_andn2_b64 s[20:21], s[20:21], exec
	s_and_b64 s[2:3], s[2:3], exec
	s_waitcnt vmcnt(0)
	v_mov_b32_e32 v9, v7
	s_or_b64 s[20:21], s[20:21], s[2:3]
	v_mov_b32_e32 v0, v10
	v_mov_b32_e32 v8, v6
	s_andn2_b64 exec, exec, s[18:19]
	s_cbranch_execz .LBB72_472
.LBB72_456:                             ; =>This Inner Loop Header: Depth=1
	v_add_u32_e32 v10, s46, v0
	v_mov_b32_e32 v6, 0
	v_mov_b32_e32 v7, 0
	v_cmp_gt_u32_e32 vcc, s28, v10
	s_and_saveexec_b64 s[2:3], vcc
	s_cbranch_execz .LBB72_458
; %bb.457:                              ;   in Loop: Header=BB72_456 Depth=1
	v_lshlrev_b64 v[6:7], 3, v[4:5]
	v_mov_b32_e32 v1, s40
	v_add_co_u32_e32 v6, vcc, s33, v6
	v_addc_co_u32_e32 v7, vcc, v1, v7, vcc
	global_load_dwordx2 v[6:7], v[6:7], off
.LBB72_458:                             ;   in Loop: Header=BB72_456 Depth=1
	s_or_b64 exec, exec, s[2:3]
	v_cmp_gt_u32_e32 vcc, s28, v0
	s_mov_b64 s[22:23], 0
	s_and_saveexec_b64 s[2:3], vcc
	s_cbranch_execz .LBB72_460
; %bb.459:                              ;   in Loop: Header=BB72_456 Depth=1
	s_waitcnt vmcnt(0)
	v_cmp_o_f64_e32 vcc, v[8:9], v[8:9]
	v_ashrrev_i32_e32 v1, 31, v9
	v_or_b32_e32 v12, 0x80000000, v1
	v_xor_b32_e32 v12, v12, v9
	v_xor_b32_e32 v1, v1, v8
	v_cndmask_b32_e32 v13, -1, v12, vcc
	v_cndmask_b32_e32 v12, -1, v1, vcc
	v_cmp_eq_u64_e32 vcc, v[12:13], v[2:3]
	s_and_b64 s[22:23], vcc, exec
.LBB72_460:                             ;   in Loop: Header=BB72_456 Depth=1
	s_or_b64 exec, exec, s[2:3]
	v_cndmask_b32_e64 v1, 0, 1, s[22:23]
	v_cmp_ne_u32_e32 vcc, 0, v1
	s_cmp_lg_u64 vcc, 0
	s_cselect_b64 s[2:3], -1, 0
	s_and_b64 s[2:3], s[0:1], s[2:3]
	s_and_saveexec_b64 s[24:25], s[2:3]
	s_cbranch_execz .LBB72_464
; %bb.461:                              ;   in Loop: Header=BB72_456 Depth=1
	s_mov_b64 s[30:31], exec
	v_mbcnt_lo_u32_b32 v1, s30, 0
	v_mbcnt_hi_u32_b32 v1, s31, v1
	s_bcnt1_i32_b64 s42, vcc
	v_cmp_eq_u32_e64 s[2:3], 0, v1
                                        ; implicit-def: $vgpr11
	s_and_saveexec_b64 s[26:27], s[2:3]
; %bb.462:                              ;   in Loop: Header=BB72_456 Depth=1
	s_bcnt1_i32_b64 s2, s[30:31]
	s_mul_i32 s2, s42, s2
	v_mov_b32_e32 v11, s2
	ds_add_rtn_u32 v11, v5, v11 offset:4108
; %bb.463:                              ;   in Loop: Header=BB72_456 Depth=1
	s_or_b64 exec, exec, s[26:27]
	s_waitcnt lgkmcnt(0)
	v_readfirstlane_b32 s2, v11
	v_mov_b32_e32 v11, s2
	v_mad_u32_u24 v11, s42, v1, v11
.LBB72_464:                             ;   in Loop: Header=BB72_456 Depth=1
	s_or_b64 exec, exec, s[24:25]
	ds_bpermute_b32 v11, v26, v11
	s_cmp_eq_u64 vcc, 0
	s_cselect_b64 s[26:27], -1, 0
	s_mov_b64 s[24:25], -1
	s_waitcnt lgkmcnt(0)
	v_cmp_gt_u32_e64 s[2:3], s29, v11
	s_or_b64 s[30:31], s[26:27], s[2:3]
	s_mov_b64 s[26:27], -1
	s_and_saveexec_b64 s[2:3], s[30:31]
	s_cbranch_execz .LBB72_455
; %bb.465:                              ;   in Loop: Header=BB72_456 Depth=1
	v_and_b32_e32 v12, vcc_lo, v28
	v_and_b32_e32 v1, vcc_hi, v27
	v_bcnt_u32_b32 v12, v12, 0
	v_bcnt_u32_b32 v1, v1, v12
	v_sub_u32_e32 v12, s29, v11
	v_cmp_gt_u32_e32 vcc, v12, v1
	s_and_b64 s[42:43], s[22:23], vcc
	s_mov_b64 s[22:23], -1
	s_mov_b64 s[30:31], -1
	s_and_saveexec_b64 s[24:25], s[42:43]
	s_cbranch_execz .LBB72_469
; %bb.466:                              ;   in Loop: Header=BB72_456 Depth=1
	v_add_u32_e32 v1, v11, v1
	v_cmp_gt_u32_e32 vcc, s29, v1
	s_mov_b64 s[26:27], 0
	s_and_saveexec_b64 s[30:31], vcc
	s_cbranch_execz .LBB72_468
; %bb.467:                              ;   in Loop: Header=BB72_456 Depth=1
	v_mul_lo_u32 v12, v1, s39
	v_mov_b32_e32 v13, v5
	v_mul_lo_u32 v14, v1, s41
	v_mov_b32_e32 v1, s36
	v_lshlrev_b64 v[12:13], 3, v[12:13]
	v_mov_b32_e32 v15, v5
	v_add_co_u32_e32 v12, vcc, s35, v12
	v_addc_co_u32_e32 v13, vcc, v1, v13, vcc
	s_waitcnt vmcnt(0)
	global_store_dwordx2 v[12:13], v[8:9], off
	v_lshlrev_b64 v[8:9], 3, v[14:15]
	v_mov_b32_e32 v12, s38
	v_add_co_u32_e32 v8, vcc, s37, v8
	s_mov_b64 s[26:27], exec
	v_mov_b32_e32 v1, v5
	v_addc_co_u32_e32 v9, vcc, v12, v9, vcc
	global_store_dwordx2 v[8:9], v[0:1], off
.LBB72_468:                             ;   in Loop: Header=BB72_456 Depth=1
	s_or_b64 exec, exec, s[30:31]
	s_xor_b64 s[30:31], exec, -1
	s_orn2_b64 s[26:27], s[26:27], exec
.LBB72_469:                             ;   in Loop: Header=BB72_456 Depth=1
	s_or_b64 exec, exec, s[24:25]
	s_and_saveexec_b64 s[24:25], s[26:27]
	s_cbranch_execz .LBB72_454
; %bb.470:                              ;   in Loop: Header=BB72_456 Depth=1
	v_cmp_le_u32_e32 vcc, s34, v10
	v_add_u32_e32 v4, s47, v4
	s_or_b64 s[30:31], s[30:31], exec
	s_orn2_b64 s[22:23], vcc, exec
	s_branch .LBB72_454
.LBB72_471:
	s_or_b64 s[8:9], s[8:9], exec
	s_trap 2
	s_branch .LBB72_431
.LBB72_472:
	s_or_b64 exec, exec, s[18:19]
	s_mov_b64 s[0:1], 0
	s_and_saveexec_b64 s[2:3], s[20:21]
	s_xor_b64 s[2:3], exec, s[2:3]
	s_cbranch_execnz .LBB72_478
.LBB72_473:
	s_or_b64 exec, exec, s[2:3]
	s_and_b64 s[2:3], s[0:1], exec
.LBB72_474:
	s_or_b64 exec, exec, s[8:9]
	s_and_b64 s[8:9], s[2:3], exec
	s_andn2_b64 s[4:5], s[4:5], exec
	s_or_b64 exec, exec, s[6:7]
	s_and_saveexec_b64 s[0:1], s[4:5]
	s_xor_b64 s[0:1], exec, s[0:1]
	s_cbranch_execz .LBB72_425
.LBB72_475:
	s_trap 2
	s_or_b64 s[8:9], s[8:9], exec
	s_branch .LBB72_425
.LBB72_476:
	s_or_b64 s[8:9], s[8:9], exec
	s_trap 2
	s_branch .LBB72_429
.LBB72_477:
	s_trap 2
	s_or_b64 s[8:9], s[8:9], exec
	s_branch .LBB72_427
.LBB72_478:
	s_mov_b64 s[0:1], exec
	s_trap 2
	s_branch .LBB72_473
	.section	.rodata,"a",@progbits
	.p2align	6, 0x0
	.amdhsa_kernel _ZN2at6native6sbtopk10gatherTopKIdjLi2ELb0EEEvNS_4cuda6detail10TensorInfoIKT_T0_EES8_S8_bS8_S8_NS5_IS6_S8_EES8_NS5_IlS8_EES8_PS6_
		.amdhsa_group_segment_fixed_size 4112
		.amdhsa_private_segment_fixed_size 0
		.amdhsa_kernarg_size 952
		.amdhsa_user_sgpr_count 6
		.amdhsa_user_sgpr_private_segment_buffer 1
		.amdhsa_user_sgpr_dispatch_ptr 0
		.amdhsa_user_sgpr_queue_ptr 0
		.amdhsa_user_sgpr_kernarg_segment_ptr 1
		.amdhsa_user_sgpr_dispatch_id 0
		.amdhsa_user_sgpr_flat_scratch_init 0
		.amdhsa_user_sgpr_private_segment_size 0
		.amdhsa_uses_dynamic_stack 0
		.amdhsa_system_sgpr_private_segment_wavefront_offset 0
		.amdhsa_system_sgpr_workgroup_id_x 1
		.amdhsa_system_sgpr_workgroup_id_y 1
		.amdhsa_system_sgpr_workgroup_id_z 1
		.amdhsa_system_sgpr_workgroup_info 0
		.amdhsa_system_vgpr_workitem_id 0
		.amdhsa_next_free_vgpr 48
		.amdhsa_next_free_sgpr 96
		.amdhsa_reserve_vcc 1
		.amdhsa_reserve_flat_scratch 0
		.amdhsa_float_round_mode_32 0
		.amdhsa_float_round_mode_16_64 0
		.amdhsa_float_denorm_mode_32 3
		.amdhsa_float_denorm_mode_16_64 3
		.amdhsa_dx10_clamp 1
		.amdhsa_ieee_mode 1
		.amdhsa_fp16_overflow 0
		.amdhsa_exception_fp_ieee_invalid_op 0
		.amdhsa_exception_fp_denorm_src 0
		.amdhsa_exception_fp_ieee_div_zero 0
		.amdhsa_exception_fp_ieee_overflow 0
		.amdhsa_exception_fp_ieee_underflow 0
		.amdhsa_exception_fp_ieee_inexact 0
		.amdhsa_exception_int_div_zero 0
	.end_amdhsa_kernel
	.section	.text._ZN2at6native6sbtopk10gatherTopKIdjLi2ELb0EEEvNS_4cuda6detail10TensorInfoIKT_T0_EES8_S8_bS8_S8_NS5_IS6_S8_EES8_NS5_IlS8_EES8_PS6_,"axG",@progbits,_ZN2at6native6sbtopk10gatherTopKIdjLi2ELb0EEEvNS_4cuda6detail10TensorInfoIKT_T0_EES8_S8_bS8_S8_NS5_IS6_S8_EES8_NS5_IlS8_EES8_PS6_,comdat
.Lfunc_end72:
	.size	_ZN2at6native6sbtopk10gatherTopKIdjLi2ELb0EEEvNS_4cuda6detail10TensorInfoIKT_T0_EES8_S8_bS8_S8_NS5_IS6_S8_EES8_NS5_IlS8_EES8_PS6_, .Lfunc_end72-_ZN2at6native6sbtopk10gatherTopKIdjLi2ELb0EEEvNS_4cuda6detail10TensorInfoIKT_T0_EES8_S8_bS8_S8_NS5_IS6_S8_EES8_NS5_IlS8_EES8_PS6_
                                        ; -- End function
	.set _ZN2at6native6sbtopk10gatherTopKIdjLi2ELb0EEEvNS_4cuda6detail10TensorInfoIKT_T0_EES8_S8_bS8_S8_NS5_IS6_S8_EES8_NS5_IlS8_EES8_PS6_.num_vgpr, 48
	.set _ZN2at6native6sbtopk10gatherTopKIdjLi2ELb0EEEvNS_4cuda6detail10TensorInfoIKT_T0_EES8_S8_bS8_S8_NS5_IS6_S8_EES8_NS5_IlS8_EES8_PS6_.num_agpr, 0
	.set _ZN2at6native6sbtopk10gatherTopKIdjLi2ELb0EEEvNS_4cuda6detail10TensorInfoIKT_T0_EES8_S8_bS8_S8_NS5_IS6_S8_EES8_NS5_IlS8_EES8_PS6_.numbered_sgpr, 96
	.set _ZN2at6native6sbtopk10gatherTopKIdjLi2ELb0EEEvNS_4cuda6detail10TensorInfoIKT_T0_EES8_S8_bS8_S8_NS5_IS6_S8_EES8_NS5_IlS8_EES8_PS6_.num_named_barrier, 0
	.set _ZN2at6native6sbtopk10gatherTopKIdjLi2ELb0EEEvNS_4cuda6detail10TensorInfoIKT_T0_EES8_S8_bS8_S8_NS5_IS6_S8_EES8_NS5_IlS8_EES8_PS6_.private_seg_size, 0
	.set _ZN2at6native6sbtopk10gatherTopKIdjLi2ELb0EEEvNS_4cuda6detail10TensorInfoIKT_T0_EES8_S8_bS8_S8_NS5_IS6_S8_EES8_NS5_IlS8_EES8_PS6_.uses_vcc, 1
	.set _ZN2at6native6sbtopk10gatherTopKIdjLi2ELb0EEEvNS_4cuda6detail10TensorInfoIKT_T0_EES8_S8_bS8_S8_NS5_IS6_S8_EES8_NS5_IlS8_EES8_PS6_.uses_flat_scratch, 0
	.set _ZN2at6native6sbtopk10gatherTopKIdjLi2ELb0EEEvNS_4cuda6detail10TensorInfoIKT_T0_EES8_S8_bS8_S8_NS5_IS6_S8_EES8_NS5_IlS8_EES8_PS6_.has_dyn_sized_stack, 0
	.set _ZN2at6native6sbtopk10gatherTopKIdjLi2ELb0EEEvNS_4cuda6detail10TensorInfoIKT_T0_EES8_S8_bS8_S8_NS5_IS6_S8_EES8_NS5_IlS8_EES8_PS6_.has_recursion, 0
	.set _ZN2at6native6sbtopk10gatherTopKIdjLi2ELb0EEEvNS_4cuda6detail10TensorInfoIKT_T0_EES8_S8_bS8_S8_NS5_IS6_S8_EES8_NS5_IlS8_EES8_PS6_.has_indirect_call, 0
	.section	.AMDGPU.csdata,"",@progbits
; Kernel info:
; codeLenInByte = 16128
; TotalNumSgprs: 100
; NumVgprs: 48
; ScratchSize: 0
; MemoryBound: 0
; FloatMode: 240
; IeeeMode: 1
; LDSByteSize: 4112 bytes/workgroup (compile time only)
; SGPRBlocks: 12
; VGPRBlocks: 11
; NumSGPRsForWavesPerEU: 100
; NumVGPRsForWavesPerEU: 48
; Occupancy: 5
; WaveLimiterHint : 1
; COMPUTE_PGM_RSRC2:SCRATCH_EN: 0
; COMPUTE_PGM_RSRC2:USER_SGPR: 6
; COMPUTE_PGM_RSRC2:TRAP_HANDLER: 0
; COMPUTE_PGM_RSRC2:TGID_X_EN: 1
; COMPUTE_PGM_RSRC2:TGID_Y_EN: 1
; COMPUTE_PGM_RSRC2:TGID_Z_EN: 1
; COMPUTE_PGM_RSRC2:TIDIG_COMP_CNT: 0
	.section	.text._ZN2at6native6mbtopk23computeBlockDigitCountsIdjmLi3EEEvNS_4cuda6detail10TensorInfoIKT_T0_EEjPjjS8_iijT1_PSB_Ps,"axG",@progbits,_ZN2at6native6mbtopk23computeBlockDigitCountsIdjmLi3EEEvNS_4cuda6detail10TensorInfoIKT_T0_EEjPjjS8_iijT1_PSB_Ps,comdat
	.protected	_ZN2at6native6mbtopk23computeBlockDigitCountsIdjmLi3EEEvNS_4cuda6detail10TensorInfoIKT_T0_EEjPjjS8_iijT1_PSB_Ps ; -- Begin function _ZN2at6native6mbtopk23computeBlockDigitCountsIdjmLi3EEEvNS_4cuda6detail10TensorInfoIKT_T0_EEjPjjS8_iijT1_PSB_Ps
	.globl	_ZN2at6native6mbtopk23computeBlockDigitCountsIdjmLi3EEEvNS_4cuda6detail10TensorInfoIKT_T0_EEjPjjS8_iijT1_PSB_Ps
	.p2align	8
	.type	_ZN2at6native6mbtopk23computeBlockDigitCountsIdjmLi3EEEvNS_4cuda6detail10TensorInfoIKT_T0_EEjPjjS8_iijT1_PSB_Ps,@function
_ZN2at6native6mbtopk23computeBlockDigitCountsIdjmLi3EEEvNS_4cuda6detail10TensorInfoIKT_T0_EEjPjjS8_iijT1_PSB_Ps: ; @_ZN2at6native6mbtopk23computeBlockDigitCountsIdjmLi3EEEvNS_4cuda6detail10TensorInfoIKT_T0_EEjPjjS8_iijT1_PSB_Ps
; %bb.0:
	s_load_dword s19, s[4:5], 0xf8
	s_load_dwordx4 s[12:15], s[4:5], 0xe8
	s_load_dwordx2 s[0:1], s[4:5], 0x118
	s_mov_b32 s17, 0
	s_waitcnt lgkmcnt(0)
	v_cvt_f32_u32_e32 v1, s19
	s_sub_i32 s2, 0, s19
	s_mul_i32 s1, s1, s8
	s_add_i32 s1, s1, s7
	v_rcp_iflag_f32_e32 v1, v1
	s_mul_i32 s18, s1, s0
	s_add_i32 s18, s18, s6
	v_mul_f32_e32 v1, 0x4f7ffffe, v1
	v_cvt_u32_f32_e32 v1, v1
	v_readfirstlane_b32 s0, v1
	s_mul_i32 s2, s2, s0
	s_mul_hi_u32 s1, s0, s2
	s_add_i32 s0, s0, s1
	s_mul_hi_u32 s0, s18, s0
	s_mul_i32 s1, s0, s19
	s_sub_i32 s1, s18, s1
	s_add_i32 s2, s0, 1
	s_sub_i32 s3, s1, s19
	s_cmp_ge_u32 s1, s19
	s_cselect_b32 s0, s2, s0
	s_cselect_b32 s1, s3, s1
	s_add_i32 s2, s0, 1
	s_cmp_ge_u32 s1, s19
	s_cselect_b32 s16, s2, s0
	s_cmp_ge_u32 s16, s12
	s_cbranch_scc1 .LBB73_21
; %bb.1:
	s_load_dwordx2 s[0:1], s[4:5], 0xc
	s_load_dwordx4 s[8:11], s[4:5], 0x100
	s_load_dwordx2 s[2:3], s[4:5], 0x110
	s_lshl_b64 s[6:7], s[16:17], 3
	v_lshlrev_b32_e32 v5, 2, v0
	s_waitcnt lgkmcnt(0)
	s_add_u32 s10, s10, s6
	v_cvt_f32_u32_e32 v1, s1
	v_cvt_f32_u32_e32 v2, s0
	s_addc_u32 s11, s11, s7
	s_sub_i32 s6, 0, s1
	v_rcp_iflag_f32_e32 v1, v1
	v_rcp_iflag_f32_e32 v2, v2
	v_mul_f32_e32 v1, 0x4f7ffffe, v1
	v_cvt_u32_f32_e32 v1, v1
	v_mul_f32_e32 v2, 0x4f7ffffe, v2
	v_cvt_u32_f32_e32 v2, v2
	v_readfirstlane_b32 s7, v1
	s_mul_i32 s6, s6, s7
	s_mul_hi_u32 s6, s7, s6
	s_add_i32 s7, s7, s6
	s_mul_hi_u32 s6, s16, s7
	s_mul_i32 s7, s6, s1
	s_sub_i32 s7, s16, s7
	s_add_i32 s12, s6, 1
	s_sub_i32 s17, s7, s1
	s_cmp_ge_u32 s7, s1
	s_cselect_b32 s6, s12, s6
	s_cselect_b32 s7, s17, s7
	s_add_i32 s12, s6, 1
	s_cmp_ge_u32 s7, s1
	s_cselect_b32 s20, s12, s6
	s_movk_i32 s6, 0x100
	v_readfirstlane_b32 s21, v2
	v_cmp_gt_u32_e32 vcc, s6, v0
	s_and_saveexec_b64 s[6:7], vcc
; %bb.2:
	v_mov_b32_e32 v1, 0
	ds_write_b32 v5, v1
; %bb.3:
	s_or_b64 exec, exec, s[6:7]
	s_load_dword s12, s[4:5], 0xd8
	s_mul_i32 s6, s16, s19
	s_sub_i32 s6, s18, s6
	s_add_i32 s17, s6, 1
	s_mul_i32 s6, s15, s6
	s_lshl_b32 s22, s6, 8
	s_waitcnt lgkmcnt(0)
	s_sub_i32 s6, s12, s22
	s_add_u32 s6, s6, 0xff
	s_addc_u32 s7, 0, 0
	s_lshr_b64 s[6:7], s[6:7], 8
	s_cmp_lt_u32 s17, s19
	s_cselect_b32 s15, s15, s6
	s_cmp_lt_i32 s15, 1
	s_mov_b32 s17, 0
	s_barrier
	s_cbranch_scc1 .LBB73_19
; %bb.4:
	s_sub_i32 s6, 0, s0
	s_mul_i32 s6, s6, s21
	s_mul_hi_u32 s6, s21, s6
	s_add_i32 s21, s21, s6
	s_load_dwordx4 s[24:27], s[4:5], 0x6c
	s_load_dwordx2 s[28:29], s[4:5], 0x0
	s_load_dwordx2 s[6:7], s[10:11], 0x0
	s_mul_hi_u32 s4, s20, s21
	s_mul_i32 s5, s4, s0
	s_mul_i32 s1, s20, s1
	s_sub_i32 s5, s20, s5
	s_sub_i32 s1, s16, s1
	s_add_i32 s10, s4, 1
	s_sub_i32 s11, s5, s0
	s_cmp_ge_u32 s5, s0
	s_cselect_b32 s4, s10, s4
	s_cselect_b32 s5, s11, s5
	s_add_i32 s10, s4, 1
	s_cmp_ge_u32 s5, s0
	s_cselect_b32 s4, s10, s4
	s_mul_i32 s0, s4, s0
	s_sub_i32 s0, s20, s0
	s_waitcnt lgkmcnt(0)
	s_mul_i32 s1, s1, s26
	s_mul_i32 s0, s0, s25
	s_add_i32 s0, s0, s1
	s_mul_i32 s4, s4, s24
	s_add_i32 s16, s0, s4
	s_lshl_b64 s[0:1], s[16:17], 3
	s_add_u32 s11, s28, s0
	s_addc_u32 s16, s29, s1
	s_and_b32 s10, s14, 0xff
	s_cmp_eq_u32 s15, 1
	v_add_u32_e32 v6, s22, v0
	s_cbranch_scc1 .LBB73_14
; %bb.5:
	v_add_u32_e32 v1, 0x100, v6
	v_mul_lo_u32 v7, s13, v1
	v_mul_lo_u32 v8, s13, v6
	s_and_b32 s14, s15, 0x7ffffffe
	s_lshl_b32 s17, s13, 9
	s_mov_b32 s19, 0
	v_mov_b32_e32 v2, 0
	v_mov_b32_e32 v9, 1
	v_mov_b32_e32 v10, 2
	v_mov_b32_e32 v11, v6
	s_mov_b32 s20, 0
	s_branch .LBB73_7
.LBB73_6:                               ;   in Loop: Header=BB73_7 Depth=1
	s_or_b64 exec, exec, s[4:5]
	s_add_i32 s20, s20, 2
	s_add_i32 s19, s19, s17
	s_cmp_eq_u32 s14, s20
	v_add_u32_e32 v11, 0x200, v11
	s_cbranch_scc1 .LBB73_13
.LBB73_7:                               ; =>This Inner Loop Header: Depth=1
	v_cmp_gt_u32_e64 s[0:1], s12, v11
	s_and_saveexec_b64 s[4:5], s[0:1]
	s_cbranch_execz .LBB73_10
; %bb.8:                                ;   in Loop: Header=BB73_7 Depth=1
	v_add_u32_e32 v1, s19, v8
	v_lshlrev_b64 v[3:4], 3, v[1:2]
	v_mov_b32_e32 v1, s16
	v_add_co_u32_e64 v3, s[0:1], s11, v3
	v_addc_co_u32_e64 v4, s[0:1], v1, v4, s[0:1]
	global_load_dwordx2 v[3:4], v[3:4], off
	s_waitcnt vmcnt(0)
	v_cmp_o_f64_e64 s[0:1], v[3:4], v[3:4]
	v_ashrrev_i32_e32 v1, 31, v4
	v_or_b32_e32 v12, 0x80000000, v1
	v_xor_b32_e32 v12, v12, v4
	v_xor_b32_e32 v1, v1, v3
	v_cndmask_b32_e64 v4, -1, v12, s[0:1]
	v_cndmask_b32_e64 v3, -1, v1, s[0:1]
	v_xor_b32_e32 v12, s7, v4
	v_xor_b32_e32 v1, s6, v3
	v_and_b32_e32 v13, s9, v12
	v_and_b32_e32 v12, s8, v1
	v_cmp_eq_u64_e64 s[0:1], 0, v[12:13]
	s_and_b64 exec, exec, s[0:1]
; %bb.9:                                ;   in Loop: Header=BB73_7 Depth=1
	v_lshrrev_b64 v[3:4], s10, v[3:4]
	v_lshlrev_b32_sdwa v1, v10, v3 dst_sel:DWORD dst_unused:UNUSED_PAD src0_sel:DWORD src1_sel:BYTE_0
	ds_add_u32 v1, v9
.LBB73_10:                              ;   in Loop: Header=BB73_7 Depth=1
	s_or_b64 exec, exec, s[4:5]
	v_add_u32_e32 v1, 0x100, v11
	v_cmp_gt_u32_e64 s[0:1], s12, v1
	s_and_saveexec_b64 s[4:5], s[0:1]
	s_cbranch_execz .LBB73_6
; %bb.11:                               ;   in Loop: Header=BB73_7 Depth=1
	v_add_u32_e32 v1, s19, v7
	v_lshlrev_b64 v[3:4], 3, v[1:2]
	v_mov_b32_e32 v1, s16
	v_add_co_u32_e64 v3, s[0:1], s11, v3
	v_addc_co_u32_e64 v4, s[0:1], v1, v4, s[0:1]
	global_load_dwordx2 v[3:4], v[3:4], off
	s_waitcnt vmcnt(0)
	v_cmp_o_f64_e64 s[0:1], v[3:4], v[3:4]
	v_ashrrev_i32_e32 v1, 31, v4
	v_or_b32_e32 v12, 0x80000000, v1
	v_xor_b32_e32 v12, v12, v4
	v_xor_b32_e32 v1, v1, v3
	v_cndmask_b32_e64 v4, -1, v12, s[0:1]
	v_cndmask_b32_e64 v3, -1, v1, s[0:1]
	v_xor_b32_e32 v12, s7, v4
	v_xor_b32_e32 v1, s6, v3
	v_and_b32_e32 v13, s9, v12
	v_and_b32_e32 v12, s8, v1
	v_cmp_eq_u64_e64 s[0:1], 0, v[12:13]
	s_and_b64 exec, exec, s[0:1]
	s_cbranch_execz .LBB73_6
; %bb.12:                               ;   in Loop: Header=BB73_7 Depth=1
	v_lshrrev_b64 v[3:4], s10, v[3:4]
	v_lshlrev_b32_sdwa v1, v10, v3 dst_sel:DWORD dst_unused:UNUSED_PAD src0_sel:DWORD src1_sel:BYTE_0
	ds_add_u32 v1, v9
	s_branch .LBB73_6
.LBB73_13:
	s_lshl_b32 s17, s14, 8
.LBB73_14:
	s_bitcmp0_b32 s15, 0
	s_cbranch_scc1 .LBB73_19
; %bb.15:
	v_add_u32_e32 v1, s17, v6
	v_cmp_gt_u32_e64 s[0:1], s12, v1
	s_and_saveexec_b64 s[4:5], s[0:1]
	s_cbranch_execz .LBB73_18
; %bb.16:
	v_mul_lo_u32 v1, v1, s13
	v_mov_b32_e32 v2, 0
	v_mov_b32_e32 v3, s16
	v_lshlrev_b64 v[1:2], 3, v[1:2]
	v_add_co_u32_e64 v1, s[0:1], s11, v1
	v_addc_co_u32_e64 v2, s[0:1], v3, v2, s[0:1]
	global_load_dwordx2 v[1:2], v[1:2], off
	s_waitcnt vmcnt(0)
	v_cmp_o_f64_e64 s[0:1], v[1:2], v[1:2]
	v_ashrrev_i32_e32 v3, 31, v2
	v_or_b32_e32 v4, 0x80000000, v3
	v_xor_b32_e32 v4, v4, v2
	v_xor_b32_e32 v1, v3, v1
	v_cndmask_b32_e64 v2, -1, v4, s[0:1]
	v_cndmask_b32_e64 v1, -1, v1, s[0:1]
	v_xor_b32_e32 v3, s7, v2
	v_xor_b32_e32 v6, s6, v1
	v_and_b32_e32 v4, s9, v3
	v_and_b32_e32 v3, s8, v6
	v_cmp_eq_u64_e64 s[0:1], 0, v[3:4]
	s_and_b64 exec, exec, s[0:1]
	s_cbranch_execz .LBB73_18
; %bb.17:
	v_lshrrev_b64 v[1:2], s10, v[1:2]
	v_mov_b32_e32 v2, 2
	v_lshlrev_b32_sdwa v1, v2, v1 dst_sel:DWORD dst_unused:UNUSED_PAD src0_sel:DWORD src1_sel:BYTE_0
	v_mov_b32_e32 v2, 1
	ds_add_u32 v1, v2
.LBB73_18:
	s_or_b64 exec, exec, s[4:5]
.LBB73_19:
	s_waitcnt lgkmcnt(0)
	s_barrier
	s_and_saveexec_b64 s[0:1], vcc
	s_cbranch_execz .LBB73_21
; %bb.20:
	v_lshl_or_b32 v0, s18, 8, v0
	v_mov_b32_e32 v1, 0
	ds_read_b32 v3, v5
	v_lshlrev_b64 v[0:1], 1, v[0:1]
	v_mov_b32_e32 v2, s3
	v_add_co_u32_e32 v0, vcc, s2, v0
	v_addc_co_u32_e32 v1, vcc, v2, v1, vcc
	s_waitcnt lgkmcnt(0)
	global_store_short v[0:1], v3, off
.LBB73_21:
	s_endpgm
	.section	.rodata,"a",@progbits
	.p2align	6, 0x0
	.amdhsa_kernel _ZN2at6native6mbtopk23computeBlockDigitCountsIdjmLi3EEEvNS_4cuda6detail10TensorInfoIKT_T0_EEjPjjS8_iijT1_PSB_Ps
		.amdhsa_group_segment_fixed_size 1024
		.amdhsa_private_segment_fixed_size 0
		.amdhsa_kernarg_size 536
		.amdhsa_user_sgpr_count 6
		.amdhsa_user_sgpr_private_segment_buffer 1
		.amdhsa_user_sgpr_dispatch_ptr 0
		.amdhsa_user_sgpr_queue_ptr 0
		.amdhsa_user_sgpr_kernarg_segment_ptr 1
		.amdhsa_user_sgpr_dispatch_id 0
		.amdhsa_user_sgpr_flat_scratch_init 0
		.amdhsa_user_sgpr_private_segment_size 0
		.amdhsa_uses_dynamic_stack 0
		.amdhsa_system_sgpr_private_segment_wavefront_offset 0
		.amdhsa_system_sgpr_workgroup_id_x 1
		.amdhsa_system_sgpr_workgroup_id_y 1
		.amdhsa_system_sgpr_workgroup_id_z 1
		.amdhsa_system_sgpr_workgroup_info 0
		.amdhsa_system_vgpr_workitem_id 0
		.amdhsa_next_free_vgpr 14
		.amdhsa_next_free_sgpr 30
		.amdhsa_reserve_vcc 1
		.amdhsa_reserve_flat_scratch 0
		.amdhsa_float_round_mode_32 0
		.amdhsa_float_round_mode_16_64 0
		.amdhsa_float_denorm_mode_32 3
		.amdhsa_float_denorm_mode_16_64 3
		.amdhsa_dx10_clamp 1
		.amdhsa_ieee_mode 1
		.amdhsa_fp16_overflow 0
		.amdhsa_exception_fp_ieee_invalid_op 0
		.amdhsa_exception_fp_denorm_src 0
		.amdhsa_exception_fp_ieee_div_zero 0
		.amdhsa_exception_fp_ieee_overflow 0
		.amdhsa_exception_fp_ieee_underflow 0
		.amdhsa_exception_fp_ieee_inexact 0
		.amdhsa_exception_int_div_zero 0
	.end_amdhsa_kernel
	.section	.text._ZN2at6native6mbtopk23computeBlockDigitCountsIdjmLi3EEEvNS_4cuda6detail10TensorInfoIKT_T0_EEjPjjS8_iijT1_PSB_Ps,"axG",@progbits,_ZN2at6native6mbtopk23computeBlockDigitCountsIdjmLi3EEEvNS_4cuda6detail10TensorInfoIKT_T0_EEjPjjS8_iijT1_PSB_Ps,comdat
.Lfunc_end73:
	.size	_ZN2at6native6mbtopk23computeBlockDigitCountsIdjmLi3EEEvNS_4cuda6detail10TensorInfoIKT_T0_EEjPjjS8_iijT1_PSB_Ps, .Lfunc_end73-_ZN2at6native6mbtopk23computeBlockDigitCountsIdjmLi3EEEvNS_4cuda6detail10TensorInfoIKT_T0_EEjPjjS8_iijT1_PSB_Ps
                                        ; -- End function
	.set _ZN2at6native6mbtopk23computeBlockDigitCountsIdjmLi3EEEvNS_4cuda6detail10TensorInfoIKT_T0_EEjPjjS8_iijT1_PSB_Ps.num_vgpr, 14
	.set _ZN2at6native6mbtopk23computeBlockDigitCountsIdjmLi3EEEvNS_4cuda6detail10TensorInfoIKT_T0_EEjPjjS8_iijT1_PSB_Ps.num_agpr, 0
	.set _ZN2at6native6mbtopk23computeBlockDigitCountsIdjmLi3EEEvNS_4cuda6detail10TensorInfoIKT_T0_EEjPjjS8_iijT1_PSB_Ps.numbered_sgpr, 30
	.set _ZN2at6native6mbtopk23computeBlockDigitCountsIdjmLi3EEEvNS_4cuda6detail10TensorInfoIKT_T0_EEjPjjS8_iijT1_PSB_Ps.num_named_barrier, 0
	.set _ZN2at6native6mbtopk23computeBlockDigitCountsIdjmLi3EEEvNS_4cuda6detail10TensorInfoIKT_T0_EEjPjjS8_iijT1_PSB_Ps.private_seg_size, 0
	.set _ZN2at6native6mbtopk23computeBlockDigitCountsIdjmLi3EEEvNS_4cuda6detail10TensorInfoIKT_T0_EEjPjjS8_iijT1_PSB_Ps.uses_vcc, 1
	.set _ZN2at6native6mbtopk23computeBlockDigitCountsIdjmLi3EEEvNS_4cuda6detail10TensorInfoIKT_T0_EEjPjjS8_iijT1_PSB_Ps.uses_flat_scratch, 0
	.set _ZN2at6native6mbtopk23computeBlockDigitCountsIdjmLi3EEEvNS_4cuda6detail10TensorInfoIKT_T0_EEjPjjS8_iijT1_PSB_Ps.has_dyn_sized_stack, 0
	.set _ZN2at6native6mbtopk23computeBlockDigitCountsIdjmLi3EEEvNS_4cuda6detail10TensorInfoIKT_T0_EEjPjjS8_iijT1_PSB_Ps.has_recursion, 0
	.set _ZN2at6native6mbtopk23computeBlockDigitCountsIdjmLi3EEEvNS_4cuda6detail10TensorInfoIKT_T0_EEjPjjS8_iijT1_PSB_Ps.has_indirect_call, 0
	.section	.AMDGPU.csdata,"",@progbits
; Kernel info:
; codeLenInByte = 1244
; TotalNumSgprs: 34
; NumVgprs: 14
; ScratchSize: 0
; MemoryBound: 0
; FloatMode: 240
; IeeeMode: 1
; LDSByteSize: 1024 bytes/workgroup (compile time only)
; SGPRBlocks: 4
; VGPRBlocks: 3
; NumSGPRsForWavesPerEU: 34
; NumVGPRsForWavesPerEU: 14
; Occupancy: 10
; WaveLimiterHint : 1
; COMPUTE_PGM_RSRC2:SCRATCH_EN: 0
; COMPUTE_PGM_RSRC2:USER_SGPR: 6
; COMPUTE_PGM_RSRC2:TRAP_HANDLER: 0
; COMPUTE_PGM_RSRC2:TGID_X_EN: 1
; COMPUTE_PGM_RSRC2:TGID_Y_EN: 1
; COMPUTE_PGM_RSRC2:TGID_Z_EN: 1
; COMPUTE_PGM_RSRC2:TIDIG_COMP_CNT: 0
	.section	.text._ZN2at6native6mbtopk10gatherTopKIdjLi3EEEvNS_4cuda6detail10TensorInfoIKT_T0_EES8_S8_bjS8_NS5_IS6_S8_EES8_NS5_IlS8_EES8_jjPS6_PjSD_j,"axG",@progbits,_ZN2at6native6mbtopk10gatherTopKIdjLi3EEEvNS_4cuda6detail10TensorInfoIKT_T0_EES8_S8_bjS8_NS5_IS6_S8_EES8_NS5_IlS8_EES8_jjPS6_PjSD_j,comdat
	.protected	_ZN2at6native6mbtopk10gatherTopKIdjLi3EEEvNS_4cuda6detail10TensorInfoIKT_T0_EES8_S8_bjS8_NS5_IS6_S8_EES8_NS5_IlS8_EES8_jjPS6_PjSD_j ; -- Begin function _ZN2at6native6mbtopk10gatherTopKIdjLi3EEEvNS_4cuda6detail10TensorInfoIKT_T0_EES8_S8_bjS8_NS5_IS6_S8_EES8_NS5_IlS8_EES8_jjPS6_PjSD_j
	.globl	_ZN2at6native6mbtopk10gatherTopKIdjLi3EEEvNS_4cuda6detail10TensorInfoIKT_T0_EES8_S8_bjS8_NS5_IS6_S8_EES8_NS5_IlS8_EES8_jjPS6_PjSD_j
	.p2align	8
	.type	_ZN2at6native6mbtopk10gatherTopKIdjLi3EEEvNS_4cuda6detail10TensorInfoIKT_T0_EES8_S8_bjS8_NS5_IS6_S8_EES8_NS5_IlS8_EES8_jjPS6_PjSD_j,@function
_ZN2at6native6mbtopk10gatherTopKIdjLi3EEEvNS_4cuda6detail10TensorInfoIKT_T0_EES8_S8_bjS8_NS5_IS6_S8_EES8_NS5_IlS8_EES8_jjPS6_PjSD_j: ; @_ZN2at6native6mbtopk10gatherTopKIdjLi3EEEvNS_4cuda6detail10TensorInfoIKT_T0_EES8_S8_bjS8_NS5_IS6_S8_EES8_NS5_IlS8_EES8_jjPS6_PjSD_j
; %bb.0:
	s_load_dwordx2 s[0:1], s[4:5], 0x2d8
	s_load_dword s2, s[4:5], 0x2d0
	s_waitcnt lgkmcnt(0)
	s_mul_i32 s1, s1, s8
	s_add_i32 s1, s1, s7
	s_mul_i32 s0, s1, s0
	s_add_i32 s0, s0, s6
	s_cmp_ge_u32 s0, s2
	s_cbranch_scc1 .LBB74_40
; %bb.1:
	s_load_dwordx8 s[8:15], s[4:5], 0x2a8
	s_load_dwordx4 s[16:19], s[4:5], 0x23c
	s_load_dwordx2 s[38:39], s[4:5], 0x1dc
	s_load_dwordx2 s[6:7], s[4:5], 0x1d0
	s_load_dwordx4 s[20:23], s[4:5], 0x15c
	s_load_dwordx2 s[40:41], s[4:5], 0xfc
	s_load_dwordx2 s[34:35], s[4:5], 0xf0
	;; [unrolled: 3-line block ×3, first 2 shown]
	s_mov_b32 s43, 0
	s_waitcnt lgkmcnt(0)
	v_cvt_f32_u32_e32 v1, s10
	s_sub_i32 s1, 0, s10
	v_cvt_f32_u32_e32 v2, s45
	v_rcp_iflag_f32_e32 v1, v1
	v_mul_f32_e32 v1, 0x4f7ffffe, v1
	v_cvt_u32_f32_e32 v1, v1
	v_readfirstlane_b32 s2, v1
	s_mul_i32 s1, s1, s2
	s_mul_hi_u32 s1, s2, s1
	s_add_i32 s2, s2, s1
	v_rcp_iflag_f32_e32 v1, v2
	s_mul_hi_u32 s1, s0, s2
	s_mul_i32 s2, s1, s10
	s_sub_i32 s2, s0, s2
	s_add_i32 s3, s1, 1
	s_sub_i32 s11, s2, s10
	v_mul_f32_e32 v1, 0x4f7ffffe, v1
	s_cmp_ge_u32 s2, s10
	v_cvt_u32_f32_e32 v1, v1
	s_cselect_b32 s1, s3, s1
	s_cselect_b32 s2, s11, s2
	s_add_i32 s3, s1, 1
	s_cmp_ge_u32 s2, s10
	s_cselect_b32 s42, s3, s1
	v_readfirstlane_b32 s1, v1
	v_cvt_f32_u32_e32 v1, s44
	s_mul_i32 s28, s42, s10
	s_sub_i32 s11, s0, s28
	s_sub_i32 s0, 0, s45
	s_mul_i32 s0, s0, s1
	s_mul_hi_u32 s0, s1, s0
	v_rcp_iflag_f32_e32 v1, v1
	s_add_i32 s1, s1, s0
	v_cvt_f32_u32_e32 v2, s41
	s_mul_hi_u32 s0, s42, s1
	s_mul_i32 s1, s0, s45
	s_sub_i32 s1, s42, s1
	v_mul_f32_e32 v1, 0x4f7ffffe, v1
	s_add_i32 s2, s0, 1
	s_sub_i32 s3, s1, s45
	v_cvt_u32_f32_e32 v1, v1
	v_rcp_iflag_f32_e32 v2, v2
	s_cmp_ge_u32 s1, s45
	s_cselect_b32 s0, s2, s0
	s_cselect_b32 s1, s3, s1
	s_add_i32 s2, s0, 1
	s_cmp_ge_u32 s1, s45
	v_readfirstlane_b32 s1, v1
	v_mul_f32_e32 v1, 0x4f7ffffe, v2
	s_cselect_b32 s19, s2, s0
	s_sub_i32 s0, 0, s44
	v_cvt_u32_f32_e32 v1, v1
	s_mul_i32 s0, s0, s1
	s_mul_hi_u32 s0, s1, s0
	s_add_i32 s1, s1, s0
	s_mul_hi_u32 s23, s19, s1
	v_readfirstlane_b32 s1, v1
	v_cvt_f32_u32_e32 v1, s40
	s_sub_i32 s0, 0, s41
	s_mul_i32 s0, s0, s1
	s_mul_hi_u32 s0, s1, s0
	v_rcp_iflag_f32_e32 v1, v1
	s_add_i32 s1, s1, s0
	v_cvt_f32_u32_e32 v2, s39
	s_mul_hi_u32 s0, s42, s1
	s_mul_i32 s1, s0, s41
	s_sub_i32 s1, s42, s1
	v_mul_f32_e32 v1, 0x4f7ffffe, v1
	s_add_i32 s2, s0, 1
	s_sub_i32 s3, s1, s41
	v_cvt_u32_f32_e32 v1, v1
	v_rcp_iflag_f32_e32 v2, v2
	s_cmp_ge_u32 s1, s41
	s_cselect_b32 s0, s2, s0
	s_cselect_b32 s1, s3, s1
	s_add_i32 s2, s0, 1
	s_cmp_ge_u32 s1, s41
	v_readfirstlane_b32 s1, v1
	v_mul_f32_e32 v1, 0x4f7ffffe, v2
	v_cvt_u32_f32_e32 v1, v1
	s_cselect_b32 s27, s2, s0
	s_sub_i32 s0, 0, s40
	s_mul_i32 s0, s0, s1
	s_mul_hi_u32 s0, s1, s0
	s_add_i32 s2, s1, s0
	v_readfirstlane_b32 s1, v1
	v_cvt_f32_u32_e32 v1, s38
	s_sub_i32 s0, 0, s39
	s_mul_i32 s0, s0, s1
	s_mul_hi_u32 s0, s1, s0
	s_add_i32 s1, s1, s0
	v_rcp_iflag_f32_e32 v1, v1
	s_mul_hi_u32 s0, s42, s1
	s_mul_i32 s1, s0, s39
	s_sub_i32 s1, s42, s1
	s_add_i32 s3, s0, 1
	s_sub_i32 s29, s1, s39
	v_mul_f32_e32 v1, 0x4f7ffffe, v1
	s_cmp_ge_u32 s1, s39
	v_cvt_u32_f32_e32 v1, v1
	s_cselect_b32 s0, s3, s0
	s_cselect_b32 s1, s29, s1
	s_add_i32 s3, s0, 1
	s_cmp_ge_u32 s1, s39
	s_cselect_b32 s33, s3, s0
	s_sub_i32 s0, 0, s38
	v_readfirstlane_b32 s1, v1
	s_mul_i32 s0, s0, s1
	s_mul_hi_u32 s0, s1, s0
	s_add_i32 s3, s1, s0
	s_lshl_b64 s[0:1], s[42:43], 3
	s_add_u32 s0, s12, s0
	s_addc_u32 s1, s13, s1
	s_load_dwordx2 s[46:47], s[0:1], 0x0
	s_mul_hi_u32 s55, s27, s2
	s_mul_hi_u32 s54, s33, s3
	v_cmp_ne_u32_e64 s[0:1], 0, v0
	v_cmp_eq_u32_e64 s[2:3], 0, v0
	s_and_saveexec_b64 s[12:13], s[2:3]
	s_cbranch_execz .LBB74_17
; %bb.2:
	s_load_dwordx2 s[48:49], s[4:5], 0x2c8
	s_mov_b32 s29, s43
	s_lshl_b64 s[50:51], s[28:29], 2
	s_add_u32 s28, s14, s50
	s_addc_u32 s29, s15, s51
	s_waitcnt lgkmcnt(0)
	s_add_u32 s30, s48, s50
	s_addc_u32 s31, s49, s51
	s_cmp_lt_u32 s10, 4
	s_cbranch_scc1 .LBB74_14
; %bb.3:
	s_mov_b32 s56, s43
	s_mov_b32 s57, s43
	;; [unrolled: 1-line block ×3, first 2 shown]
.LBB74_4:                               ; =>This Inner Loop Header: Depth=1
	s_add_u32 s52, s14, s50
	s_addc_u32 s53, s15, s51
	s_load_dwordx4 s[28:31], s[52:53], 0x0
	s_add_u32 s52, s48, s50
	s_addc_u32 s53, s49, s51
	s_cmp_ge_u32 s58, s11
	s_cbranch_scc0 .LBB74_11
; %bb.5:                                ;   in Loop: Header=BB74_4 Depth=1
	s_add_i32 s59, s58, 1
	s_cmp_ge_u32 s59, s11
	s_cbranch_scc0 .LBB74_12
.LBB74_6:                               ;   in Loop: Header=BB74_4 Depth=1
	s_add_i32 s59, s59, 1
	s_cmp_ge_u32 s59, s11
	s_cbranch_scc0 .LBB74_13
.LBB74_7:                               ;   in Loop: Header=BB74_4 Depth=1
	s_add_i32 s59, s59, 1
	s_cmp_ge_u32 s59, s11
	s_cbranch_scc1 .LBB74_9
.LBB74_8:                               ;   in Loop: Header=BB74_4 Depth=1
	s_load_dword s52, s[52:53], 0xc
	s_waitcnt lgkmcnt(0)
	s_add_i32 s43, s43, s31
	s_add_i32 s56, s52, s56
.LBB74_9:                               ;   in Loop: Header=BB74_4 Depth=1
	s_waitcnt lgkmcnt(0)
	s_add_i32 s28, s28, s57
	s_add_i32 s28, s28, s29
	;; [unrolled: 1-line block ×4, first 2 shown]
	s_add_u32 s14, s14, 16
	s_addc_u32 s15, s15, 0
	s_add_u32 s48, s48, 16
	s_addc_u32 s49, s49, 0
	s_add_i32 s53, s59, 4
	s_add_u32 s30, s48, s50
	s_addc_u32 s31, s49, s51
	s_add_u32 s28, s14, s50
	s_addc_u32 s29, s15, s51
	s_add_i32 s52, s59, 1
	s_cmp_ge_u32 s53, s10
	s_cbranch_scc1 .LBB74_15
; %bb.10:                               ;   in Loop: Header=BB74_4 Depth=1
	s_mov_b32 s58, s52
	s_branch .LBB74_4
.LBB74_11:                              ;   in Loop: Header=BB74_4 Depth=1
	s_load_dword s59, s[52:53], 0x0
	s_waitcnt lgkmcnt(0)
	s_add_i32 s43, s28, s43
	s_add_i32 s56, s59, s56
	;; [unrolled: 1-line block ×3, first 2 shown]
	s_cmp_ge_u32 s59, s11
	s_cbranch_scc1 .LBB74_6
.LBB74_12:                              ;   in Loop: Header=BB74_4 Depth=1
	s_load_dword s60, s[52:53], 0x4
	s_waitcnt lgkmcnt(0)
	s_add_i32 s43, s43, s29
	s_add_i32 s56, s60, s56
	;; [unrolled: 1-line block ×3, first 2 shown]
	s_cmp_ge_u32 s59, s11
	s_cbranch_scc1 .LBB74_7
.LBB74_13:                              ;   in Loop: Header=BB74_4 Depth=1
	s_load_dword s60, s[52:53], 0x8
	s_waitcnt lgkmcnt(0)
	s_add_i32 s43, s43, s30
	s_add_i32 s56, s60, s56
	s_add_i32 s59, s59, 1
	s_cmp_ge_u32 s59, s11
	s_cbranch_scc0 .LBB74_8
	s_branch .LBB74_9
.LBB74_14:
	s_mov_b32 s56, 0
	s_mov_b32 s57, 0
	;; [unrolled: 1-line block ×3, first 2 shown]
	s_cmp_ge_u32 s14, s10
	s_cbranch_scc0 .LBB74_38
	s_branch .LBB74_16
.LBB74_15:
	s_add_i32 s14, s58, 4
	s_cmp_ge_u32 s14, s10
	s_cbranch_scc0 .LBB74_38
.LBB74_16:
	v_mov_b32_e32 v1, s56
	v_mov_b32_e32 v2, s57
	;; [unrolled: 1-line block ×4, first 2 shown]
	ds_write_b96 v4, v[1:3] offset:1056
.LBB74_17:
	s_or_b64 exec, exec, s[12:13]
	s_load_dwordx4 s[12:15], s[4:5], 0xd8
	s_waitcnt lgkmcnt(0)
	s_mul_i32 s15, s9, s11
	s_lshl_b32 s15, s15, 8
	s_add_i32 s30, s11, 1
	s_mov_b32 s11, 0
	s_sub_i32 s28, s12, s15
	s_add_u32 s28, s28, 0xff
	s_addc_u32 s29, 0, 0
	s_lshr_b64 s[28:29], s[28:29], 8
	s_cmp_lt_u32 s30, s10
	s_cselect_b32 s9, s9, s28
	s_cmp_eq_u32 s9, 0
	s_barrier
	s_cbranch_scc1 .LBB74_40
; %bb.18:
	s_mul_i32 s10, s19, s45
	s_sub_i32 s10, s42, s10
	s_mul_i32 s10, s10, s26
	s_mul_i32 s26, s23, s44
	s_sub_i32 s26, s19, s26
	s_add_i32 s28, s23, 1
	s_sub_i32 s29, s26, s44
	s_cmp_ge_u32 s26, s44
	s_cselect_b32 s23, s28, s23
	s_cselect_b32 s26, s29, s26
	s_add_i32 s28, s23, 1
	s_cmp_ge_u32 s26, s44
	s_cselect_b32 s23, s28, s23
	s_mul_i32 s26, s23, s44
	s_sub_i32 s19, s19, s26
	s_mul_i32 s19, s19, s25
	s_add_i32 s10, s19, s10
	s_mul_i32 s19, s27, s41
	s_sub_i32 s19, s42, s19
	s_mul_i32 s19, s19, s22
	s_mul_i32 s22, s55, s40
	;; [unrolled: 1-line block ×3, first 2 shown]
	s_sub_i32 s22, s27, s22
	s_add_i32 s10, s10, s23
	s_add_i32 s23, s55, 1
	s_sub_i32 s24, s22, s40
	s_cmp_ge_u32 s22, s40
	s_cselect_b32 s23, s23, s55
	s_cselect_b32 s22, s24, s22
	s_add_i32 s24, s23, 1
	s_cmp_ge_u32 s22, s40
	s_cselect_b32 s22, s24, s23
	s_mul_i32 s23, s22, s40
	s_sub_i32 s23, s27, s23
	s_mul_i32 s21, s23, s21
	s_add_i32 s19, s21, s19
	s_mul_i32 s22, s22, s20
	s_add_i32 s20, s19, s22
	s_mul_i32 s19, s33, s39
	s_sub_i32 s19, s42, s19
	s_mul_i32 s19, s19, s18
	s_mul_i32 s18, s54, s38
	s_sub_i32 s18, s33, s18
	s_add_i32 s21, s54, 1
	s_sub_i32 s22, s18, s38
	s_cmp_ge_u32 s18, s38
	s_cselect_b32 s21, s21, s54
	s_cselect_b32 s18, s22, s18
	s_add_i32 s22, s21, 1
	s_cmp_ge_u32 s18, s38
	s_cselect_b32 s18, s22, s21
	s_mul_i32 s21, s18, s38
	s_sub_i32 s21, s33, s21
	s_mul_i32 s17, s21, s17
	s_add_i32 s17, s17, s19
	s_mul_i32 s18, s18, s16
	s_add_i32 s22, s17, s18
	s_lshl_b64 s[16:17], s[10:11], 3
	s_add_u32 s16, s36, s16
	s_mov_b32 s21, s11
	v_cmp_o_f64_e64 s[24:25], s[46:47], s[46:47]
	s_addc_u32 s17, s37, s17
	s_lshl_b64 s[18:19], s[20:21], 3
	v_mov_b32_e32 v5, 0
	s_add_u32 s18, s34, s18
	s_mov_b32 s23, s11
	ds_read_b96 v[1:3], v5 offset:1056
	s_addc_u32 s19, s35, s19
	s_lshl_b64 s[10:11], s[22:23], 3
	s_add_u32 s20, s6, s10
	s_addc_u32 s21, s7, s11
	s_ashr_i32 s6, s47, 31
	s_or_b32 s7, s6, 0x80000000
	s_xor_b64 s[6:7], s[6:7], s[46:47]
	s_waitcnt lgkmcnt(0)
	v_add_u32_e32 v2, v1, v2
	v_lshrrev_b32_e32 v1, 3, v0
	s_and_b64 s[10:11], s[24:25], exec
	v_and_b32_e32 v1, 28, v1
	s_cselect_b32 s11, s7, -1
	s_cselect_b32 s10, s6, -1
	s_bitcmp1_b32 s14, 0
	s_load_dword s14, s[4:5], 0xe8
	s_load_dword s22, s[4:5], 0x1c8
	v_lshl_add_u32 v8, v0, 2, v1
	v_lshrrev_b32_e32 v1, 1, v0
	v_and_b32_e32 v9, 0x7c, v1
	v_add_u32_e32 v1, -1, v0
	v_lshrrev_b32_e32 v4, 3, v1
	v_cmp_gt_u32_e64 s[4:5], 64, v0
	v_lshlrev_b32_e32 v10, 4, v0
	v_and_b32_e32 v4, 0x1ffffffc, v4
	v_add_u32_e32 v0, s15, v0
	v_lshl_add_u32 v11, v1, 2, v4
	s_waitcnt lgkmcnt(0)
	v_mul_lo_u32 v4, s14, v0
	v_mbcnt_lo_u32_b32 v1, -1, 0
	s_cselect_b64 s[6:7], -1, 0
	s_lshl_b32 s23, s14, 8
	v_mbcnt_hi_u32_b32 v12, -1, v1
                                        ; implicit-def: $vgpr6_vgpr7
	s_branch .LBB74_21
.LBB74_19:                              ;   in Loop: Header=BB74_21 Depth=1
	s_or_b64 exec, exec, s[14:15]
	v_add_u32_e32 v2, v15, v2
.LBB74_20:                              ;   in Loop: Header=BB74_21 Depth=1
	s_add_i32 s9, s9, -1
	v_add_u32_e32 v3, v14, v3
	v_add_u32_e32 v4, s23, v4
	s_cmp_lg_u32 s9, 0
	v_add_u32_e32 v0, 0x100, v0
	s_cbranch_scc0 .LBB74_40
.LBB74_21:                              ; =>This Inner Loop Header: Depth=1
	v_cmp_gt_u32_e32 vcc, s12, v0
	v_mov_b32_e32 v1, 0
	v_mov_b32_e32 v13, 0
	s_and_saveexec_b64 s[14:15], vcc
	s_cbranch_execz .LBB74_23
; %bb.22:                               ;   in Loop: Header=BB74_21 Depth=1
	v_lshlrev_b64 v[6:7], 3, v[4:5]
	v_mov_b32_e32 v1, s17
	v_add_co_u32_e32 v6, vcc, s16, v6
	v_addc_co_u32_e32 v7, vcc, v1, v7, vcc
	global_load_dwordx2 v[6:7], v[6:7], off
	s_waitcnt vmcnt(0)
	v_cmp_o_f64_e32 vcc, v[6:7], v[6:7]
	v_ashrrev_i32_e32 v1, 31, v7
	v_or_b32_e32 v13, 0x80000000, v1
	v_xor_b32_e32 v13, v13, v7
	v_xor_b32_e32 v1, v1, v6
	v_cndmask_b32_e32 v14, -1, v13, vcc
	v_cndmask_b32_e32 v13, -1, v1, vcc
	v_cmp_lt_u64_e32 vcc, s[10:11], v[13:14]
	v_cndmask_b32_e64 v1, 0, 1, vcc
	v_cmp_gt_u64_e32 vcc, s[10:11], v[13:14]
	v_cndmask_b32_e64 v15, 0, 1, vcc
	v_cmp_eq_u64_e32 vcc, s[10:11], v[13:14]
	v_cndmask_b32_e64 v1, v15, v1, s[6:7]
	v_and_b32_e32 v1, 1, v1
	v_cndmask_b32_e64 v13, 0, 1, vcc
.LBB74_23:                              ;   in Loop: Header=BB74_21 Depth=1
	s_or_b64 exec, exec, s[14:15]
	ds_write_b32 v8, v1
	s_waitcnt vmcnt(0) lgkmcnt(0)
	s_barrier
	s_and_saveexec_b64 s[14:15], s[4:5]
	s_cbranch_execz .LBB74_25
; %bb.24:                               ;   in Loop: Header=BB74_21 Depth=1
	v_add_u32_e32 v18, v9, v10
	ds_read2_b32 v[14:15], v18 offset1:1
	ds_read2_b32 v[16:17], v18 offset0:2 offset1:3
	v_and_b32_e32 v19, 15, v12
	v_cmp_ne_u32_e32 vcc, 0, v19
	s_waitcnt lgkmcnt(1)
	v_add_u32_e32 v15, v15, v14
	s_waitcnt lgkmcnt(0)
	v_add3_u32 v15, v15, v16, v17
	v_bfe_i32 v17, v12, 4, 1
	; wave barrier
	s_nop 0
	v_mov_b32_dpp v16, v15 row_shr:1 row_mask:0xf bank_mask:0xf
	v_cndmask_b32_e32 v16, 0, v16, vcc
	v_add_u32_e32 v15, v16, v15
	v_cmp_lt_u32_e32 vcc, 1, v19
	s_nop 0
	v_mov_b32_dpp v16, v15 row_shr:2 row_mask:0xf bank_mask:0xf
	v_cndmask_b32_e32 v16, 0, v16, vcc
	v_add_u32_e32 v15, v15, v16
	v_cmp_lt_u32_e32 vcc, 3, v19
	;; [unrolled: 5-line block ×4, first 2 shown]
	s_nop 0
	v_mov_b32_dpp v16, v15 row_bcast:15 row_mask:0xf bank_mask:0xf
	v_and_b32_e32 v16, v17, v16
	v_add_u32_e32 v15, v15, v16
	v_and_b32_e32 v17, 64, v12
	s_nop 0
	v_mov_b32_dpp v16, v15 row_bcast:31 row_mask:0xf bank_mask:0xf
	v_cndmask_b32_e32 v16, 0, v16, vcc
	v_add_u32_e32 v15, v15, v16
	v_add_u32_e32 v16, -1, v12
	v_cmp_lt_i32_e32 vcc, v16, v17
	v_cndmask_b32_e32 v16, v16, v12, vcc
	v_lshlrev_b32_e32 v16, 2, v16
	ds_bpermute_b32 v15, v16, v15
	s_waitcnt lgkmcnt(0)
	v_add_u32_e32 v14, v15, v14
	v_cndmask_b32_e64 v16, v14, v1, s[2:3]
	ds_write_b32 v18, v16
	; wave barrier
	ds_read2_b32 v[14:15], v18 offset0:1 offset1:2
	ds_read_b32 v17, v18 offset:12
	s_waitcnt lgkmcnt(1)
	v_add_u32_e32 v14, v14, v16
	v_add_u32_e32 v15, v15, v14
	ds_write2_b32 v18, v14, v15 offset0:1 offset1:2
	s_waitcnt lgkmcnt(1)
	v_add_u32_e32 v14, v17, v15
	ds_write_b32 v18, v14 offset:12
.LBB74_25:                              ;   in Loop: Header=BB74_21 Depth=1
	s_or_b64 exec, exec, s[14:15]
	v_mov_b32_e32 v15, 0
	s_waitcnt lgkmcnt(0)
	s_barrier
	s_and_saveexec_b64 s[14:15], s[0:1]
; %bb.26:                               ;   in Loop: Header=BB74_21 Depth=1
	ds_read_b32 v15, v11
; %bb.27:                               ;   in Loop: Header=BB74_21 Depth=1
	s_or_b64 exec, exec, s[14:15]
	ds_read_b32 v14, v5 offset:1048
	v_cmp_ne_u32_e32 vcc, 0, v1
	s_waitcnt lgkmcnt(0)
	s_barrier
	s_and_saveexec_b64 s[14:15], vcc
	s_cbranch_execz .LBB74_29
; %bb.28:                               ;   in Loop: Header=BB74_21 Depth=1
	v_add_u32_e32 v1, v15, v3
	v_mul_lo_u32 v15, v1, s22
	v_mov_b32_e32 v16, v5
	v_mov_b32_e32 v17, s19
	v_mov_b32_e32 v18, v5
	v_lshlrev_b64 v[15:16], 3, v[15:16]
	v_add_co_u32_e32 v15, vcc, s18, v15
	v_addc_co_u32_e32 v16, vcc, v17, v16, vcc
	v_mul_lo_u32 v17, v1, s8
	global_store_dwordx2 v[15:16], v[6:7], off
	v_mov_b32_e32 v1, v5
	v_lshlrev_b64 v[15:16], 3, v[17:18]
	v_mov_b32_e32 v17, s21
	v_add_co_u32_e32 v15, vcc, s20, v15
	v_addc_co_u32_e32 v16, vcc, v17, v16, vcc
	global_store_dwordx2 v[15:16], v[0:1], off
.LBB74_29:                              ;   in Loop: Header=BB74_21 Depth=1
	s_or_b64 exec, exec, s[14:15]
	v_cmp_le_u32_e32 vcc, s13, v2
	s_cbranch_vccnz .LBB74_20
; %bb.30:                               ;   in Loop: Header=BB74_21 Depth=1
	ds_write_b32 v8, v13
	s_waitcnt vmcnt(0) lgkmcnt(0)
	s_barrier
	s_and_saveexec_b64 s[14:15], s[4:5]
	s_cbranch_execz .LBB74_32
; %bb.31:                               ;   in Loop: Header=BB74_21 Depth=1
	v_add_u32_e32 v1, v9, v10
	ds_read2_b32 v[15:16], v1 offset1:1
	ds_read2_b32 v[17:18], v1 offset0:2 offset1:3
	v_and_b32_e32 v19, 15, v12
	v_cmp_ne_u32_e32 vcc, 0, v19
	s_waitcnt lgkmcnt(1)
	v_add_u32_e32 v16, v16, v15
	s_waitcnt lgkmcnt(0)
	v_add3_u32 v16, v16, v17, v18
	v_bfe_i32 v18, v12, 4, 1
	; wave barrier
	s_nop 0
	v_mov_b32_dpp v17, v16 row_shr:1 row_mask:0xf bank_mask:0xf
	v_cndmask_b32_e32 v17, 0, v17, vcc
	v_add_u32_e32 v16, v17, v16
	v_cmp_lt_u32_e32 vcc, 1, v19
	s_nop 0
	v_mov_b32_dpp v17, v16 row_shr:2 row_mask:0xf bank_mask:0xf
	v_cndmask_b32_e32 v17, 0, v17, vcc
	v_add_u32_e32 v16, v16, v17
	v_cmp_lt_u32_e32 vcc, 3, v19
	;; [unrolled: 5-line block ×4, first 2 shown]
	s_nop 0
	v_mov_b32_dpp v17, v16 row_bcast:15 row_mask:0xf bank_mask:0xf
	v_and_b32_e32 v17, v18, v17
	v_add_u32_e32 v16, v16, v17
	v_and_b32_e32 v18, 64, v12
	s_nop 0
	v_mov_b32_dpp v17, v16 row_bcast:31 row_mask:0xf bank_mask:0xf
	v_cndmask_b32_e32 v17, 0, v17, vcc
	v_add_u32_e32 v16, v16, v17
	v_add_u32_e32 v17, -1, v12
	v_cmp_lt_i32_e32 vcc, v17, v18
	v_cndmask_b32_e32 v17, v17, v12, vcc
	v_lshlrev_b32_e32 v17, 2, v17
	ds_bpermute_b32 v16, v17, v16
	s_waitcnt lgkmcnt(0)
	v_add_u32_e32 v15, v16, v15
	v_cndmask_b32_e64 v17, v15, v13, s[2:3]
	ds_write_b32 v1, v17
	; wave barrier
	ds_read2_b32 v[15:16], v1 offset0:1 offset1:2
	ds_read_b32 v18, v1 offset:12
	s_waitcnt lgkmcnt(1)
	v_add_u32_e32 v15, v15, v17
	v_add_u32_e32 v16, v16, v15
	ds_write2_b32 v1, v15, v16 offset0:1 offset1:2
	s_waitcnt lgkmcnt(1)
	v_add_u32_e32 v15, v18, v16
	ds_write_b32 v1, v15 offset:12
.LBB74_32:                              ;   in Loop: Header=BB74_21 Depth=1
	s_or_b64 exec, exec, s[14:15]
	v_mov_b32_e32 v1, 0
	s_waitcnt lgkmcnt(0)
	s_barrier
	s_and_saveexec_b64 s[14:15], s[0:1]
; %bb.33:                               ;   in Loop: Header=BB74_21 Depth=1
	ds_read_b32 v1, v11
; %bb.34:                               ;   in Loop: Header=BB74_21 Depth=1
	s_or_b64 exec, exec, s[14:15]
	ds_read_b32 v15, v5 offset:1048
	v_cmp_ne_u32_e32 vcc, 0, v13
	s_waitcnt lgkmcnt(0)
	s_barrier
	s_and_saveexec_b64 s[14:15], vcc
	s_cbranch_execz .LBB74_19
; %bb.35:                               ;   in Loop: Header=BB74_21 Depth=1
	v_add_u32_e32 v1, v1, v2
	v_cmp_gt_u32_e32 vcc, s13, v1
	s_and_b64 exec, exec, vcc
	s_cbranch_execz .LBB74_19
; %bb.36:                               ;   in Loop: Header=BB74_21 Depth=1
	v_mul_lo_u32 v16, v1, s22
	v_mov_b32_e32 v17, v5
	v_mul_lo_u32 v18, v1, s8
	v_mov_b32_e32 v13, s19
	v_lshlrev_b64 v[16:17], 3, v[16:17]
	v_mov_b32_e32 v19, v5
	v_add_co_u32_e32 v16, vcc, s18, v16
	v_addc_co_u32_e32 v17, vcc, v13, v17, vcc
	global_store_dwordx2 v[16:17], v[6:7], off
	v_lshlrev_b64 v[16:17], 3, v[18:19]
	v_mov_b32_e32 v13, s21
	v_add_co_u32_e32 v16, vcc, s20, v16
	v_mov_b32_e32 v1, v5
	v_addc_co_u32_e32 v17, vcc, v13, v17, vcc
	global_store_dwordx2 v[16:17], v[0:1], off
	s_branch .LBB74_19
.LBB74_37:                              ;   in Loop: Header=BB74_38 Depth=1
	s_add_u32 s28, s28, 4
	s_addc_u32 s29, s29, 0
	s_waitcnt lgkmcnt(0)
	s_add_i32 s57, s15, s57
	s_add_u32 s30, s30, 4
	s_addc_u32 s31, s31, 0
	s_add_i32 s14, s14, 1
	s_cmp_lt_u32 s14, s10
	s_cbranch_scc0 .LBB74_16
.LBB74_38:                              ; =>This Inner Loop Header: Depth=1
	s_load_dword s15, s[28:29], 0x0
	s_cmp_ge_u32 s14, s11
	s_cbranch_scc1 .LBB74_37
; %bb.39:                               ;   in Loop: Header=BB74_38 Depth=1
	s_load_dword s48, s[30:31], 0x0
	s_waitcnt lgkmcnt(0)
	s_add_i32 s43, s15, s43
	s_add_i32 s56, s48, s56
	s_branch .LBB74_37
.LBB74_40:
	s_endpgm
	.section	.rodata,"a",@progbits
	.p2align	6, 0x0
	.amdhsa_kernel _ZN2at6native6mbtopk10gatherTopKIdjLi3EEEvNS_4cuda6detail10TensorInfoIKT_T0_EES8_S8_bjS8_NS5_IS6_S8_EES8_NS5_IlS8_EES8_jjPS6_PjSD_j
		.amdhsa_group_segment_fixed_size 1068
		.amdhsa_private_segment_fixed_size 0
		.amdhsa_kernarg_size 984
		.amdhsa_user_sgpr_count 6
		.amdhsa_user_sgpr_private_segment_buffer 1
		.amdhsa_user_sgpr_dispatch_ptr 0
		.amdhsa_user_sgpr_queue_ptr 0
		.amdhsa_user_sgpr_kernarg_segment_ptr 1
		.amdhsa_user_sgpr_dispatch_id 0
		.amdhsa_user_sgpr_flat_scratch_init 0
		.amdhsa_user_sgpr_private_segment_size 0
		.amdhsa_uses_dynamic_stack 0
		.amdhsa_system_sgpr_private_segment_wavefront_offset 0
		.amdhsa_system_sgpr_workgroup_id_x 1
		.amdhsa_system_sgpr_workgroup_id_y 1
		.amdhsa_system_sgpr_workgroup_id_z 1
		.amdhsa_system_sgpr_workgroup_info 0
		.amdhsa_system_vgpr_workitem_id 0
		.amdhsa_next_free_vgpr 20
		.amdhsa_next_free_sgpr 61
		.amdhsa_reserve_vcc 1
		.amdhsa_reserve_flat_scratch 0
		.amdhsa_float_round_mode_32 0
		.amdhsa_float_round_mode_16_64 0
		.amdhsa_float_denorm_mode_32 3
		.amdhsa_float_denorm_mode_16_64 3
		.amdhsa_dx10_clamp 1
		.amdhsa_ieee_mode 1
		.amdhsa_fp16_overflow 0
		.amdhsa_exception_fp_ieee_invalid_op 0
		.amdhsa_exception_fp_denorm_src 0
		.amdhsa_exception_fp_ieee_div_zero 0
		.amdhsa_exception_fp_ieee_overflow 0
		.amdhsa_exception_fp_ieee_underflow 0
		.amdhsa_exception_fp_ieee_inexact 0
		.amdhsa_exception_int_div_zero 0
	.end_amdhsa_kernel
	.section	.text._ZN2at6native6mbtopk10gatherTopKIdjLi3EEEvNS_4cuda6detail10TensorInfoIKT_T0_EES8_S8_bjS8_NS5_IS6_S8_EES8_NS5_IlS8_EES8_jjPS6_PjSD_j,"axG",@progbits,_ZN2at6native6mbtopk10gatherTopKIdjLi3EEEvNS_4cuda6detail10TensorInfoIKT_T0_EES8_S8_bjS8_NS5_IS6_S8_EES8_NS5_IlS8_EES8_jjPS6_PjSD_j,comdat
.Lfunc_end74:
	.size	_ZN2at6native6mbtopk10gatherTopKIdjLi3EEEvNS_4cuda6detail10TensorInfoIKT_T0_EES8_S8_bjS8_NS5_IS6_S8_EES8_NS5_IlS8_EES8_jjPS6_PjSD_j, .Lfunc_end74-_ZN2at6native6mbtopk10gatherTopKIdjLi3EEEvNS_4cuda6detail10TensorInfoIKT_T0_EES8_S8_bjS8_NS5_IS6_S8_EES8_NS5_IlS8_EES8_jjPS6_PjSD_j
                                        ; -- End function
	.set _ZN2at6native6mbtopk10gatherTopKIdjLi3EEEvNS_4cuda6detail10TensorInfoIKT_T0_EES8_S8_bjS8_NS5_IS6_S8_EES8_NS5_IlS8_EES8_jjPS6_PjSD_j.num_vgpr, 20
	.set _ZN2at6native6mbtopk10gatherTopKIdjLi3EEEvNS_4cuda6detail10TensorInfoIKT_T0_EES8_S8_bjS8_NS5_IS6_S8_EES8_NS5_IlS8_EES8_jjPS6_PjSD_j.num_agpr, 0
	.set _ZN2at6native6mbtopk10gatherTopKIdjLi3EEEvNS_4cuda6detail10TensorInfoIKT_T0_EES8_S8_bjS8_NS5_IS6_S8_EES8_NS5_IlS8_EES8_jjPS6_PjSD_j.numbered_sgpr, 61
	.set _ZN2at6native6mbtopk10gatherTopKIdjLi3EEEvNS_4cuda6detail10TensorInfoIKT_T0_EES8_S8_bjS8_NS5_IS6_S8_EES8_NS5_IlS8_EES8_jjPS6_PjSD_j.num_named_barrier, 0
	.set _ZN2at6native6mbtopk10gatherTopKIdjLi3EEEvNS_4cuda6detail10TensorInfoIKT_T0_EES8_S8_bjS8_NS5_IS6_S8_EES8_NS5_IlS8_EES8_jjPS6_PjSD_j.private_seg_size, 0
	.set _ZN2at6native6mbtopk10gatherTopKIdjLi3EEEvNS_4cuda6detail10TensorInfoIKT_T0_EES8_S8_bjS8_NS5_IS6_S8_EES8_NS5_IlS8_EES8_jjPS6_PjSD_j.uses_vcc, 1
	.set _ZN2at6native6mbtopk10gatherTopKIdjLi3EEEvNS_4cuda6detail10TensorInfoIKT_T0_EES8_S8_bjS8_NS5_IS6_S8_EES8_NS5_IlS8_EES8_jjPS6_PjSD_j.uses_flat_scratch, 0
	.set _ZN2at6native6mbtopk10gatherTopKIdjLi3EEEvNS_4cuda6detail10TensorInfoIKT_T0_EES8_S8_bjS8_NS5_IS6_S8_EES8_NS5_IlS8_EES8_jjPS6_PjSD_j.has_dyn_sized_stack, 0
	.set _ZN2at6native6mbtopk10gatherTopKIdjLi3EEEvNS_4cuda6detail10TensorInfoIKT_T0_EES8_S8_bjS8_NS5_IS6_S8_EES8_NS5_IlS8_EES8_jjPS6_PjSD_j.has_recursion, 0
	.set _ZN2at6native6mbtopk10gatherTopKIdjLi3EEEvNS_4cuda6detail10TensorInfoIKT_T0_EES8_S8_bjS8_NS5_IS6_S8_EES8_NS5_IlS8_EES8_jjPS6_PjSD_j.has_indirect_call, 0
	.section	.AMDGPU.csdata,"",@progbits
; Kernel info:
; codeLenInByte = 2776
; TotalNumSgprs: 65
; NumVgprs: 20
; ScratchSize: 0
; MemoryBound: 0
; FloatMode: 240
; IeeeMode: 1
; LDSByteSize: 1068 bytes/workgroup (compile time only)
; SGPRBlocks: 8
; VGPRBlocks: 4
; NumSGPRsForWavesPerEU: 65
; NumVGPRsForWavesPerEU: 20
; Occupancy: 10
; WaveLimiterHint : 1
; COMPUTE_PGM_RSRC2:SCRATCH_EN: 0
; COMPUTE_PGM_RSRC2:USER_SGPR: 6
; COMPUTE_PGM_RSRC2:TRAP_HANDLER: 0
; COMPUTE_PGM_RSRC2:TGID_X_EN: 1
; COMPUTE_PGM_RSRC2:TGID_Y_EN: 1
; COMPUTE_PGM_RSRC2:TGID_Z_EN: 1
; COMPUTE_PGM_RSRC2:TIDIG_COMP_CNT: 0
	.section	.text._ZN2at6native6sbtopk10gatherTopKIdjLi3ELb0EEEvNS_4cuda6detail10TensorInfoIKT_T0_EES8_S8_bS8_S8_NS5_IS6_S8_EES8_NS5_IlS8_EES8_PS6_,"axG",@progbits,_ZN2at6native6sbtopk10gatherTopKIdjLi3ELb0EEEvNS_4cuda6detail10TensorInfoIKT_T0_EES8_S8_bS8_S8_NS5_IS6_S8_EES8_NS5_IlS8_EES8_PS6_,comdat
	.protected	_ZN2at6native6sbtopk10gatherTopKIdjLi3ELb0EEEvNS_4cuda6detail10TensorInfoIKT_T0_EES8_S8_bS8_S8_NS5_IS6_S8_EES8_NS5_IlS8_EES8_PS6_ ; -- Begin function _ZN2at6native6sbtopk10gatherTopKIdjLi3ELb0EEEvNS_4cuda6detail10TensorInfoIKT_T0_EES8_S8_bS8_S8_NS5_IS6_S8_EES8_NS5_IlS8_EES8_PS6_
	.globl	_ZN2at6native6sbtopk10gatherTopKIdjLi3ELb0EEEvNS_4cuda6detail10TensorInfoIKT_T0_EES8_S8_bS8_S8_NS5_IS6_S8_EES8_NS5_IlS8_EES8_PS6_
	.p2align	8
	.type	_ZN2at6native6sbtopk10gatherTopKIdjLi3ELb0EEEvNS_4cuda6detail10TensorInfoIKT_T0_EES8_S8_bS8_S8_NS5_IS6_S8_EES8_NS5_IlS8_EES8_PS6_,@function
_ZN2at6native6sbtopk10gatherTopKIdjLi3ELb0EEEvNS_4cuda6detail10TensorInfoIKT_T0_EES8_S8_bS8_S8_NS5_IS6_S8_EES8_NS5_IlS8_EES8_PS6_: ; @_ZN2at6native6sbtopk10gatherTopKIdjLi3ELb0EEEvNS_4cuda6detail10TensorInfoIKT_T0_EES8_S8_bS8_S8_NS5_IS6_S8_EES8_NS5_IlS8_EES8_PS6_
; %bb.0:
	s_load_dwordx2 s[14:15], s[4:5], 0x2b8
	s_load_dwordx4 s[28:31], s[4:5], 0xd8
	s_mov_b64 s[20:21], s[4:5]
	s_add_u32 s12, s20, 0x2b8
	s_addc_u32 s13, s21, 0
	s_waitcnt lgkmcnt(0)
	s_mul_i32 s0, s15, s8
	s_add_i32 s0, s0, s7
	s_mul_i32 s0, s0, s14
	s_add_i32 s15, s0, s6
	s_cmp_ge_u32 s15, s31
	s_cbranch_scc1 .LBB75_412
; %bb.1:
	s_load_dwordx4 s[0:3], s[20:21], 0x23c
                                        ; implicit-def: $vgpr47 : SGPR spill to VGPR lane
	s_load_dwordx2 s[16:17], s[20:21], 0xc
	s_load_dwordx2 s[10:11], s[20:21], 0x0
	s_mov_b32 s49, 0
	s_waitcnt lgkmcnt(0)
	v_cvt_f32_u32_e32 v1, s17
	v_writelane_b32 v47, s0, 0
	v_writelane_b32 v47, s1, 1
	;; [unrolled: 1-line block ×4, first 2 shown]
	s_load_dwordx2 s[18:19], s[20:21], 0x1dc
	s_load_dwordx2 s[0:1], s[20:21], 0x1d0
	v_rcp_iflag_f32_e32 v1, v1
	v_cvt_f32_u32_e32 v2, s16
	s_waitcnt lgkmcnt(0)
	v_writelane_b32 v47, s0, 4
	v_writelane_b32 v47, s1, 5
	s_load_dwordx4 s[0:3], s[20:21], 0x15c
	v_mul_f32_e32 v1, 0x4f7ffffe, v1
	v_cvt_u32_f32_e32 v1, v1
	s_waitcnt lgkmcnt(0)
	v_writelane_b32 v47, s0, 6
	v_writelane_b32 v47, s1, 7
	;; [unrolled: 1-line block ×4, first 2 shown]
	s_load_dwordx2 s[22:23], s[20:21], 0xfc
	s_load_dwordx2 s[0:1], s[20:21], 0xf0
	v_readfirstlane_b32 s4, v1
	v_rcp_iflag_f32_e32 v1, v2
	s_waitcnt lgkmcnt(0)
	v_cvt_f32_u32_e32 v2, s23
	v_writelane_b32 v47, s0, 10
	v_writelane_b32 v47, s1, 11
	s_load_dword s0, s[20:21], 0xe8
	v_mul_f32_e32 v1, 0x4f7ffffe, v1
	v_cvt_u32_f32_e32 v1, v1
	v_rcp_iflag_f32_e32 v2, v2
	s_waitcnt lgkmcnt(0)
	v_writelane_b32 v47, s0, 12
	s_load_dwordx4 s[0:3], s[20:21], 0x6c
	s_waitcnt lgkmcnt(0)
	s_sub_i32 s3, 0, s17
	s_mul_i32 s3, s3, s4
	s_mul_hi_u32 s3, s4, s3
	s_add_i32 s4, s4, s3
	s_mul_hi_u32 s3, s15, s4
	s_mul_i32 s4, s3, s17
	s_sub_i32 s4, s15, s4
	s_add_i32 s5, s3, 1
	s_sub_i32 s7, s4, s17
	s_cmp_ge_u32 s4, s17
	s_cselect_b32 s3, s5, s3
	s_cselect_b32 s4, s7, s4
	s_add_i32 s5, s3, 1
	s_cmp_ge_u32 s4, s17
	s_cselect_b32 s3, s5, s3
	v_readfirstlane_b32 s5, v1
	v_mul_f32_e32 v1, 0x4f7ffffe, v2
	v_cvt_u32_f32_e32 v1, v1
	s_sub_i32 s4, 0, s16
	s_mul_i32 s4, s4, s5
	s_mul_hi_u32 s4, s5, s4
	v_readfirstlane_b32 s7, v1
	v_cvt_f32_u32_e32 v1, s22
	s_add_i32 s5, s5, s4
	s_mul_hi_u32 s4, s3, s5
	s_sub_i32 s5, 0, s23
	s_mul_i32 s5, s5, s7
	s_mul_hi_u32 s5, s7, s5
	v_rcp_iflag_f32_e32 v1, v1
	s_add_i32 s7, s7, s5
	v_cvt_f32_u32_e32 v2, s19
	s_mul_hi_u32 s5, s15, s7
	s_mul_i32 s7, s5, s23
	s_sub_i32 s7, s15, s7
	v_mul_f32_e32 v1, 0x4f7ffffe, v1
	s_add_i32 s8, s5, 1
	s_sub_i32 s9, s7, s23
	v_cvt_u32_f32_e32 v1, v1
	v_rcp_iflag_f32_e32 v2, v2
	s_cmp_ge_u32 s7, s23
	s_cselect_b32 s5, s8, s5
	s_cselect_b32 s7, s9, s7
	s_add_i32 s8, s5, 1
	s_cmp_ge_u32 s7, s23
	v_readfirstlane_b32 s7, v1
	v_mul_f32_e32 v1, 0x4f7ffffe, v2
	s_cselect_b32 s8, s8, s5
	v_writelane_b32 v47, s22, 13
	s_sub_i32 s5, 0, s22
	v_cvt_u32_f32_e32 v1, v1
	s_mul_i32 s5, s5, s7
	s_mul_hi_u32 s5, s7, s5
	v_writelane_b32 v47, s23, 14
	s_add_i32 s7, s7, s5
	v_writelane_b32 v47, s8, 15
	s_mul_hi_u32 s5, s8, s7
	v_readfirstlane_b32 s7, v1
	v_cvt_f32_u32_e32 v1, s18
	v_writelane_b32 v47, s5, 16
	s_sub_i32 s5, 0, s19
	s_mul_i32 s5, s5, s7
	s_mul_hi_u32 s5, s7, s5
	s_add_i32 s7, s7, s5
	v_rcp_iflag_f32_e32 v1, v1
	s_mul_hi_u32 s5, s15, s7
	s_mul_i32 s7, s5, s19
	s_sub_i32 s7, s15, s7
	s_add_i32 s8, s5, 1
	s_sub_i32 s9, s7, s19
	v_mul_f32_e32 v1, 0x4f7ffffe, v1
	s_cmp_ge_u32 s7, s19
	v_cvt_u32_f32_e32 v1, v1
	s_cselect_b32 s5, s8, s5
	s_cselect_b32 s7, s9, s7
	s_add_i32 s8, s5, 1
	s_cmp_ge_u32 s7, s19
	s_cselect_b32 s8, s8, s5
	v_writelane_b32 v47, s18, 17
	s_sub_i32 s5, 0, s18
	v_readfirstlane_b32 s7, v1
	s_mul_i32 s5, s5, s7
	s_mul_hi_u32 s5, s7, s5
	v_writelane_b32 v47, s19, 18
	s_add_i32 s7, s7, s5
	v_writelane_b32 v47, s8, 19
	s_mul_hi_u32 s5, s8, s7
	v_writelane_b32 v47, s5, 20
	v_cmp_eq_u32_e64 s[18:19], 0, v0
	s_mov_b64 s[8:9], exec
	v_writelane_b32 v47, s18, 21
	v_writelane_b32 v47, s19, 22
	s_and_b64 s[18:19], s[8:9], s[18:19]
	s_mov_b64 exec, s[18:19]
; %bb.2:
	v_mov_b32_e32 v1, 0
	v_mov_b32_e32 v2, s28
	;; [unrolled: 1-line block ×3, first 2 shown]
	ds_write_b96 v1, v[1:3] offset:4096
; %bb.3:
	s_or_b64 exec, exec, s[8:9]
	s_mul_i32 s5, s3, s17
	s_sub_i32 s5, s15, s5
	s_mul_i32 s5, s5, s2
	s_mul_i32 s2, s4, s16
	s_sub_i32 s2, s3, s2
	s_add_i32 s7, s4, 1
	s_sub_i32 s8, s2, s16
	s_cmp_ge_u32 s2, s16
	s_cselect_b32 s4, s7, s4
	s_cselect_b32 s2, s8, s2
	s_add_i32 s7, s4, 1
	s_cmp_ge_u32 s2, s16
	s_cselect_b32 s2, s7, s4
	s_mul_i32 s4, s2, s16
	s_sub_i32 s3, s3, s4
	s_mul_i32 s1, s3, s1
	s_add_i32 s1, s1, s5
	s_mul_i32 s2, s2, s0
	s_add_i32 s48, s1, s2
	s_lshl_b64 s[0:1], s[48:49], 3
	s_add_u32 s33, s10, s0
	s_waitcnt lgkmcnt(0)
	s_barrier
	s_load_dword s0, s[12:13], 0xc
	s_addc_u32 s48, s11, s1
	s_bitcmp1_b32 s30, 0
	v_writelane_b32 v47, s15, 23
	s_cselect_b64 s[2:3], -1, 0
	v_mbcnt_lo_u32_b32 v1, -1, 0
	v_writelane_b32 v47, s2, 24
	v_mbcnt_hi_u32_b32 v30, -1, v1
	v_writelane_b32 v47, s3, 25
	s_xor_b64 s[30:31], s[2:3], -1
	s_waitcnt lgkmcnt(0)
	s_and_b32 s54, s0, 0xffff
	v_cmp_gt_u32_e32 vcc, 64, v0
	v_cmp_gt_i32_e64 s[2:3], 4, v30
	s_lshl_b32 s15, s54, 2
	s_bfe_u32 s4, s0, 0xa0006
	s_and_b64 s[50:51], vcc, s[2:3]
	s_cmpk_gt_u32 s28, 0x180
	s_cselect_b64 s[2:3], -1, 0
	v_writelane_b32 v47, s2, 26
	v_writelane_b32 v47, s3, 27
	;; [unrolled: 1-line block ×3, first 2 shown]
	s_load_dword s7, s[20:21], 0xe8
	v_mov_b32_e32 v15, 0
	v_mov_b32_e32 v14, v15
	v_writelane_b32 v47, s21, 29
	v_cmp_gt_u32_e64 s[2:3], s28, v0
	s_waitcnt lgkmcnt(0)
	v_mul_lo_u32 v13, s7, v0
	v_writelane_b32 v47, s2, 30
	v_mov_b32_e32 v3, s48
	s_cmp_gt_u32 s54, 63
	v_lshlrev_b64 v[1:2], 3, v[13:14]
	v_writelane_b32 v47, s3, 31
	v_add_co_u32_e32 v11, vcc, s33, v1
	v_addc_co_u32_e32 v12, vcc, v3, v2, vcc
	s_cselect_b64 s[2:3], -1, 0
	v_lshlrev_b64 v[2:3], v30, -1
	v_writelane_b32 v47, s2, 32
	v_writelane_b32 v47, s3, 33
	v_cmp_gt_u32_e64 s[2:3], 2, v0
	v_not_b32_e32 v28, v2
	v_lshrrev_b32_e32 v2, 2, v0
	v_writelane_b32 v47, s2, 34
	v_and_b32_e32 v2, 0xf0, v2
	v_writelane_b32 v47, s3, 35
	s_add_i32 s2, s54, -1
	v_or_b32_e32 v33, 0xc00, v2
	v_cvt_f32_u32_e32 v2, s15
	v_writelane_b32 v47, s2, 36
	s_add_i32 s2, s2, s28
	s_cmp_lt_u32 s6, s14
	s_cselect_b32 s3, 12, 18
	s_add_u32 s8, s12, s3
	v_rcp_iflag_f32_e32 v2, v2
	s_addc_u32 s9, s13, 0
	s_add_i32 s3, s4, -1
	s_bfe_u32 s5, s54, 0x30006
	s_and_b32 s3, s3, 0xffff
	v_writelane_b32 v47, s8, 37
	s_cmp_gt_u32 s3, 6
	v_writelane_b32 v47, s9, 38
	s_cselect_b64 s[8:9], -1, 0
	v_mul_f32_e32 v2, 0x4f7ffffe, v2
	v_writelane_b32 v47, s8, 39
	s_and_b32 s14, s4, 0x3f8
	v_cvt_u32_f32_e32 v2, v2
	v_writelane_b32 v47, s9, 40
	s_cmp_lg_u32 s5, 0
	v_writelane_b32 v47, s5, 41
	s_cselect_b64 s[4:5], -1, 0
	v_writelane_b32 v47, s4, 42
	v_writelane_b32 v47, s5, 43
	s_sub_i32 s3, 0, s15
	v_readfirstlane_b32 s4, v2
	s_mul_i32 s3, s3, s4
	s_mul_hi_u32 s3, s4, s3
	s_add_i32 s3, s4, s3
	v_writelane_b32 v47, s3, 44
	s_mul_hi_u32 s3, s28, s3
	s_mul_i32 s3, s3, s15
	v_cvt_f32_u32_e32 v2, s54
	s_sub_i32 s3, s28, s3
	s_sub_i32 s4, s3, s15
	s_cmp_ge_u32 s3, s15
	s_cselect_b32 s3, s4, s3
	v_rcp_iflag_f32_e32 v4, v2
	s_sub_i32 s4, s3, s15
	s_cmp_ge_u32 s3, s15
	s_cselect_b32 s3, s4, s3
	v_lshlrev_b32_e32 v29, 2, v0
	s_sub_i32 s13, s28, s3
	v_mul_f32_e32 v4, 0x4f7ffffe, v4
	v_cmp_gt_u32_e64 s[4:5], s13, v29
	v_cvt_u32_f32_e32 v4, v4
	v_add_u32_e32 v34, s13, v0
	v_writelane_b32 v47, s4, 45
	v_writelane_b32 v47, s5, 46
	v_cmp_gt_u32_e64 s[4:5], s28, v34
	v_writelane_b32 v47, s4, 47
	v_writelane_b32 v47, s5, 48
	s_sub_i32 s4, 0, s54
	v_readfirstlane_b32 s5, v4
	s_mul_i32 s4, s4, s5
	v_mul_lo_u32 v14, v34, s7
	s_mul_hi_u32 s4, s5, s4
	s_add_i32 s4, s5, s4
	v_writelane_b32 v47, s4, 49
	s_mul_hi_u32 s4, s2, s4
	s_mul_i32 s4, s4, s54
	v_not_b32_e32 v27, v3
	v_lshlrev_b64 v[2:3], 3, v[14:15]
	s_sub_i32 s4, s2, s4
	s_sub_i32 s5, s4, s54
	v_add_co_u32_e32 v16, vcc, s33, v2
	s_cmp_ge_u32 s4, s54
	v_mul_lo_u32 v2, s7, v29
	s_cselect_b32 s4, s5, s4
	s_sub_i32 s5, s4, s54
	s_cmp_ge_u32 s4, s54
	s_cselect_b32 s4, s5, s4
	v_add_u32_e32 v35, s7, v2
	v_or_b32_e32 v2, 2, v29
	s_sub_i32 s12, s2, s4
	v_mul_lo_u32 v36, s7, v2
	v_or_b32_e32 v2, 3, v29
	s_add_i32 s2, s54, s28
	v_mul_lo_u32 v37, s7, v2
	v_add_u32_e32 v2, s2, v0
	v_subrev_u32_e32 v2, s3, v2
	v_mul_lo_u32 v39, s7, v2
	v_mov_b32_e32 v5, s48
	v_lshlrev_b32_e32 v31, 3, v0
	v_lshlrev_b32_e32 v1, 2, v30
	v_addc_co_u32_e32 v17, vcc, v5, v3, vcc
	v_cmp_gt_u32_e64 s[4:5], s12, v0
	s_mul_i32 s55, s7, s54
	v_mov_b32_e32 v18, 0
	v_mov_b32_e32 v20, 0
	;; [unrolled: 1-line block ×3, first 2 shown]
	v_cmp_eq_u32_e64 s[0:1], 0, v30
	v_add_u32_e32 v32, 0xc00, v31
	v_and_b32_e32 v26, 0x100, v1
	v_writelane_b32 v47, s4, 50
	s_lshl_b32 s56, s55, 2
	v_lshlrev_b32_e32 v38, 2, v13
	v_lshlrev_b32_e32 v40, 5, v0
	s_lshl_b32 s57, s54, 5
	s_lshl_b32 s10, s54, 3
	v_or_b32_e32 v41, 0xc00, v1
	s_mov_b32 s11, 62
	s_mov_b64 s[62:63], 0
	v_mov_b32_e32 v42, s29
	v_mov_b32_e32 v19, 0
	;; [unrolled: 1-line block ×5, first 2 shown]
	v_writelane_b32 v47, s5, 51
                                        ; implicit-def: $sgpr64_sgpr65
                                        ; implicit-def: $sgpr66_sgpr67
                                        ; implicit-def: $sgpr70_sgpr71
                                        ; implicit-def: $sgpr72_sgpr73
                                        ; implicit-def: $sgpr68_sgpr69
                                        ; implicit-def: $sgpr74_sgpr75
                                        ; implicit-def: $sgpr76_sgpr77
                                        ; implicit-def: $sgpr78_sgpr79
                                        ; implicit-def: $sgpr80_sgpr81
                                        ; implicit-def: $sgpr82_sgpr83
	s_branch .LBB75_6
.LBB75_4:                               ;   in Loop: Header=BB75_6 Depth=1
	s_or_b64 exec, exec, s[16:17]
	s_andn2_b64 s[4:5], s[82:83], exec
	s_and_b64 s[8:9], s[8:9], exec
	s_or_b64 s[82:83], s[4:5], s[8:9]
	s_andn2_b64 s[80:81], s[80:81], exec
	s_andn2_b64 s[78:79], s[78:79], exec
	;; [unrolled: 1-line block ×4, first 2 shown]
	s_orn2_b64 s[6:7], s[6:7], exec
	v_mov_b32_e32 v42, v44
.LBB75_5:                               ;   in Loop: Header=BB75_6 Depth=1
	s_or_b64 exec, exec, s[2:3]
	s_and_b64 s[2:3], exec, s[6:7]
	s_or_b64 s[62:63], s[2:3], s[62:63]
	s_andn2_b64 s[2:3], s[68:69], exec
	s_and_b64 s[4:5], s[82:83], exec
	s_or_b64 s[68:69], s[2:3], s[4:5]
	s_andn2_b64 s[2:3], s[72:73], exec
	s_and_b64 s[4:5], s[80:81], exec
	;; [unrolled: 3-line block ×5, first 2 shown]
	s_or_b64 s[64:65], s[2:3], s[4:5]
	s_andn2_b64 exec, exec, s[62:63]
	s_cbranch_execz .LBB75_408
.LBB75_6:                               ; =>This Loop Header: Depth=1
                                        ;     Child Loop BB75_12 Depth 2
                                        ;     Child Loop BB75_25 Depth 2
	;; [unrolled: 1-line block ×24, first 2 shown]
	ds_read_b64 v[3:4], v15 offset:4096
	s_waitcnt lgkmcnt(0)
	v_readfirstlane_b32 s4, v3
	s_cmp_lg_u32 s4, 0
	s_cbranch_scc1 .LBB75_33
; %bb.7:                                ;   in Loop: Header=BB75_6 Depth=1
	v_readlane_b32 s2, v47, 26
	v_readlane_b32 s3, v47, 27
	s_and_b64 vcc, exec, s[2:3]
	s_cbranch_vccz .LBB75_20
; %bb.8:                                ;   in Loop: Header=BB75_6 Depth=1
	s_movk_i32 s2, 0x181
	v_cmp_gt_u32_e32 vcc, s2, v4
	s_mov_b64 s[20:21], 0
	s_mov_b64 s[2:3], 0
	s_cbranch_vccz .LBB75_21
; %bb.9:                                ;   in Loop: Header=BB75_6 Depth=1
	s_mov_b64 s[22:23], exec
	v_readlane_b32 s2, v47, 30
	v_readlane_b32 s3, v47, 31
	s_and_b64 s[2:3], s[22:23], s[2:3]
	s_mov_b64 exec, s[2:3]
	s_cbranch_execz .LBB75_82
; %bb.10:                               ;   in Loop: Header=BB75_6 Depth=1
	v_readlane_b32 s2, v47, 37
	v_readlane_b32 s3, v47, 38
	s_nop 4
	global_load_ushort v1, v15, s[2:3]
	global_load_dwordx2 v[3:4], v[11:12], off
	v_readlane_b32 s2, v47, 28
	v_readlane_b32 s3, v47, 29
	s_load_dword s2, s[2:3], 0xe8
	v_mov_b32_e32 v10, v0
	s_waitcnt vmcnt(1)
	v_add_u32_e32 v7, v0, v1
	s_waitcnt lgkmcnt(0)
	v_mul_lo_u32 v14, s2, v7
	v_mul_lo_u32 v9, s2, v1
	s_mov_b64 s[2:3], 0
	s_branch .LBB75_12
.LBB75_11:                              ;   in Loop: Header=BB75_12 Depth=2
	s_or_b64 exec, exec, s[6:7]
	v_mov_b32_e32 v3, v7
	v_add_u32_e32 v14, v14, v9
	v_mov_b32_e32 v4, v8
	s_andn2_b64 exec, exec, s[2:3]
	s_cbranch_execz .LBB75_82
.LBB75_12:                              ;   Parent Loop BB75_6 Depth=1
                                        ; =>  This Inner Loop Header: Depth=2
	v_add_u32_e32 v10, v10, v1
	v_mov_b32_e32 v7, 0
	v_cmp_gt_u32_e64 s[6:7], s28, v10
	v_mov_b32_e32 v8, 0
	v_cmp_le_u32_e32 vcc, s28, v10
	s_and_saveexec_b64 s[8:9], s[6:7]
	s_cbranch_execz .LBB75_14
; %bb.13:                               ;   in Loop: Header=BB75_12 Depth=2
	v_lshlrev_b64 v[7:8], 3, v[14:15]
	s_waitcnt lgkmcnt(0)
	v_mov_b32_e32 v22, s48
	v_add_co_u32_e64 v7, s[6:7], s33, v7
	v_addc_co_u32_e64 v8, s[6:7], v22, v8, s[6:7]
	global_load_dwordx2 v[7:8], v[7:8], off
.LBB75_14:                              ;   in Loop: Header=BB75_12 Depth=2
	s_or_b64 exec, exec, s[8:9]
	s_waitcnt vmcnt(0)
	v_cmp_o_f64_e64 s[6:7], v[3:4], v[3:4]
	s_waitcnt lgkmcnt(0)
	v_ashrrev_i32_e32 v22, 31, v4
	v_or_b32_e32 v23, 0x80000000, v22
	v_xor_b32_e32 v23, v23, v4
	v_xor_b32_e32 v22, v22, v3
	v_cndmask_b32_e64 v23, -1, v23, s[6:7]
	v_cndmask_b32_e64 v22, -1, v22, s[6:7]
	v_and_b32_e32 v23, v23, v21
	v_and_b32_e32 v22, v22, v20
	v_cmp_eq_u64_e64 s[18:19], v[22:23], v[18:19]
	v_mov_b32_e32 v22, 0
	s_cmp_lg_u64 s[18:19], 0
	s_cselect_b64 s[4:5], -1, 0
	s_and_b64 s[4:5], s[0:1], s[4:5]
	s_and_saveexec_b64 s[8:9], s[4:5]
	s_cbranch_execz .LBB75_18
; %bb.15:                               ;   in Loop: Header=BB75_12 Depth=2
	s_mov_b64 s[24:25], exec
	v_mbcnt_lo_u32_b32 v22, s24, 0
	v_mbcnt_hi_u32_b32 v22, s25, v22
	s_bcnt1_i32_b64 s4, s[18:19]
	v_cmp_eq_u32_e64 s[6:7], 0, v22
                                        ; implicit-def: $vgpr23
	s_and_saveexec_b64 s[16:17], s[6:7]
; %bb.16:                               ;   in Loop: Header=BB75_12 Depth=2
	s_bcnt1_i32_b64 s5, s[24:25]
	s_mul_i32 s5, s4, s5
	v_mov_b32_e32 v23, s5
	ds_add_rtn_u32 v23, v15, v23 offset:4104
; %bb.17:                               ;   in Loop: Header=BB75_12 Depth=2
	s_or_b64 exec, exec, s[16:17]
	s_waitcnt lgkmcnt(0)
	v_readfirstlane_b32 s5, v23
	v_mov_b32_e32 v23, s5
	v_mad_u32_u24 v22, s4, v22, v23
.LBB75_18:                              ;   in Loop: Header=BB75_12 Depth=2
	s_or_b64 exec, exec, s[8:9]
	ds_bpermute_b32 v22, v26, v22
	s_and_b64 s[4:5], exec, vcc
	s_or_b64 s[2:3], s[4:5], s[2:3]
	s_and_saveexec_b64 s[6:7], s[18:19]
	s_cbranch_execz .LBB75_11
; %bb.19:                               ;   in Loop: Header=BB75_12 Depth=2
	v_and_b32_e32 v24, s18, v28
	v_and_b32_e32 v23, s19, v27
	v_bcnt_u32_b32 v24, v24, 0
	v_bcnt_u32_b32 v23, v23, v24
	v_lshlrev_b32_e32 v23, 3, v23
	s_waitcnt lgkmcnt(0)
	v_lshl_add_u32 v22, v22, 3, v23
	ds_write_b64 v22, v[3:4]
	s_branch .LBB75_11
.LBB75_20:                              ;   in Loop: Header=BB75_6 Depth=1
	s_mov_b64 s[20:21], -1
	s_mov_b64 s[2:3], 0
.LBB75_21:                              ;   in Loop: Header=BB75_6 Depth=1
	s_and_b64 vcc, exec, s[20:21]
	s_cbranch_vccz .LBB75_31
.LBB75_22:                              ;   in Loop: Header=BB75_6 Depth=1
	s_mov_b64 s[2:3], exec
	v_readlane_b32 s4, v47, 30
	v_readlane_b32 s5, v47, 31
	s_and_b64 s[4:5], s[2:3], s[4:5]
	s_mov_b64 exec, s[4:5]
	s_cbranch_execz .LBB75_28
; %bb.23:                               ;   in Loop: Header=BB75_6 Depth=1
	v_readlane_b32 s4, v47, 37
	v_readlane_b32 s5, v47, 38
	s_nop 4
	global_load_ushort v1, v15, s[4:5]
	global_load_dwordx2 v[3:4], v[11:12], off
	v_mov_b32_e32 v9, v0
	s_waitcnt vmcnt(1)
	v_add_u32_e32 v7, v0, v1
	v_cmp_gt_u32_e32 vcc, s28, v7
	s_and_saveexec_b64 s[6:7], vcc
	s_cbranch_execz .LBB75_27
; %bb.24:                               ;   in Loop: Header=BB75_6 Depth=1
	v_readlane_b32 s4, v47, 28
	v_readlane_b32 s5, v47, 29
	s_load_dword s4, s[4:5], 0xe8
	v_lshlrev_b32_e32 v10, 3, v1
	s_mov_b64 s[8:9], 0
	v_mov_b32_e32 v23, v31
	v_mov_b32_e32 v9, v0
	s_waitcnt lgkmcnt(0)
	v_mul_lo_u32 v14, s4, v7
	v_mul_lo_u32 v22, s4, v1
.LBB75_25:                              ;   Parent Loop BB75_6 Depth=1
                                        ; =>  This Inner Loop Header: Depth=2
	v_lshlrev_b64 v[7:8], 3, v[14:15]
	v_mov_b32_e32 v24, s48
	v_add_co_u32_e32 v7, vcc, s33, v7
	v_addc_co_u32_e32 v8, vcc, v24, v8, vcc
	global_load_dwordx2 v[7:8], v[7:8], off
	v_add_u32_e32 v9, v9, v1
	s_waitcnt vmcnt(1)
	ds_write_b64 v23, v[3:4]
	v_add_u32_e32 v3, v1, v9
	v_cmp_le_u32_e32 vcc, s28, v3
	v_add_u32_e32 v23, v23, v10
	v_add_u32_e32 v14, v14, v22
	s_or_b64 s[8:9], vcc, s[8:9]
	s_waitcnt vmcnt(0)
	v_mov_b32_e32 v3, v7
	v_mov_b32_e32 v4, v8
	s_andn2_b64 exec, exec, s[8:9]
	s_cbranch_execnz .LBB75_25
; %bb.26:                               ;   in Loop: Header=BB75_6 Depth=1
	s_or_b64 exec, exec, s[8:9]
	v_mov_b32_e32 v3, v7
	v_mov_b32_e32 v4, v8
.LBB75_27:                              ;   in Loop: Header=BB75_6 Depth=1
	s_or_b64 exec, exec, s[6:7]
	v_lshlrev_b32_e32 v1, 3, v9
	s_waitcnt vmcnt(0)
	ds_write_b64 v1, v[3:4]
.LBB75_28:                              ;   in Loop: Header=BB75_6 Depth=1
	s_or_b64 exec, exec, s[2:3]
	s_waitcnt lgkmcnt(0)
	s_barrier
	s_mov_b64 s[2:3], exec
	v_readlane_b32 s4, v47, 21
	v_readlane_b32 s5, v47, 22
	s_and_b64 s[4:5], s[2:3], s[4:5]
	s_mov_b64 exec, s[4:5]
; %bb.29:                               ;   in Loop: Header=BB75_6 Depth=1
	v_mov_b32_e32 v1, s28
	ds_write_b32 v15, v1 offset:4096
; %bb.30:                               ;   in Loop: Header=BB75_6 Depth=1
	s_or_b64 exec, exec, s[2:3]
	s_mov_b64 s[2:3], -1
	s_waitcnt lgkmcnt(0)
	s_barrier
.LBB75_31:                              ;   in Loop: Header=BB75_6 Depth=1
	s_mov_b32 s4, 0
	s_and_b64 vcc, exec, s[2:3]
	s_cbranch_vccz .LBB75_33
; %bb.32:                               ;   in Loop: Header=BB75_6 Depth=1
	ds_read_b32 v1, v15 offset:4096
	s_waitcnt lgkmcnt(0)
	v_readfirstlane_b32 s4, v1
.LBB75_33:                              ;   in Loop: Header=BB75_6 Depth=1
	s_cmp_lt_i32 s4, 1
	s_mov_b64 s[2:3], -1
                                        ; implicit-def: $vgpr7
	s_cbranch_scc1 .LBB75_43
; %bb.34:                               ;   in Loop: Header=BB75_6 Depth=1
	s_and_b64 vcc, exec, s[2:3]
	s_cbranch_vccnz .LBB75_54
.LBB75_35:                              ;   in Loop: Header=BB75_6 Depth=1
	s_lshl_b32 s4, s49, 6
	s_and_saveexec_b64 s[2:3], s[0:1]
.LBB75_36:                              ;   in Loop: Header=BB75_6 Depth=1
	v_lshl_add_u32 v1, s4, 2, v33
	ds_write_b128 v1, v[7:10]
.LBB75_37:                              ;   in Loop: Header=BB75_6 Depth=1
	s_or_b64 exec, exec, s[2:3]
	s_waitcnt lgkmcnt(0)
	s_barrier
	s_and_saveexec_b64 s[2:3], s[50:51]
	s_cbranch_execz .LBB75_68
; %bb.38:                               ;   in Loop: Header=BB75_6 Depth=1
	v_readlane_b32 s6, v47, 32
	v_readlane_b32 s7, v47, 33
	s_andn2_b64 vcc, exec, s[6:7]
	v_mov_b32_e32 v1, 0
	s_cbranch_vccnz .LBB75_67
; %bb.39:                               ;   in Loop: Header=BB75_6 Depth=1
	v_readlane_b32 s6, v47, 39
	v_readlane_b32 s7, v47, 40
	s_andn2_b64 vcc, exec, s[6:7]
	s_cbranch_vccnz .LBB75_63
; %bb.40:                               ;   in Loop: Header=BB75_6 Depth=1
	v_lshl_add_u32 v3, s49, 8, v41
	s_mov_b32 s5, 0
	v_mov_b32_e32 v1, 0
.LBB75_41:                              ;   Parent Loop BB75_6 Depth=1
                                        ; =>  This Inner Loop Header: Depth=2
	ds_read2_b32 v[7:8], v3 offset1:4
	ds_read2_b32 v[9:10], v3 offset0:8 offset1:12
	ds_read2_b32 v[22:23], v3 offset0:16 offset1:20
	;; [unrolled: 1-line block ×3, first 2 shown]
	s_add_i32 s5, s5, 8
	s_waitcnt lgkmcnt(3)
	v_add3_u32 v1, v7, v1, v8
	s_waitcnt lgkmcnt(2)
	v_add3_u32 v1, v9, v1, v10
	s_waitcnt lgkmcnt(1)
	v_add3_u32 v1, v22, v1, v23
	v_add_u32_e32 v3, 0x80, v3
	s_cmp_eq_u32 s14, s5
	s_waitcnt lgkmcnt(0)
	v_add3_u32 v1, v24, v1, v25
	s_cbranch_scc0 .LBB75_41
; %bb.42:                               ;   in Loop: Header=BB75_6 Depth=1
	s_mov_b32 s5, s14
	s_branch .LBB75_64
.LBB75_43:                              ;   in Loop: Header=BB75_6 Depth=1
	v_mov_b32_e32 v7, 0
	v_mov_b32_e32 v8, 0
	;; [unrolled: 1-line block ×4, first 2 shown]
	s_mov_b64 s[26:27], exec
	v_readlane_b32 s2, v47, 45
	v_readlane_b32 s3, v47, 46
	s_and_b64 s[2:3], s[26:27], s[2:3]
	s_mov_b64 exec, s[2:3]
	s_cbranch_execz .LBB75_47
; %bb.44:                               ;   in Loop: Header=BB75_6 Depth=1
	s_mov_b32 s2, 0
	s_mov_b64 s[84:85], 0
	s_mov_b32 s3, 0
	s_mov_b32 s5, 0
	;; [unrolled: 1-line block ×4, first 2 shown]
	v_mov_b32_e32 v1, v29
.LBB75_45:                              ;   Parent Loop BB75_6 Depth=1
                                        ; =>  This Inner Loop Header: Depth=2
	v_add_u32_e32 v14, s2, v38
	v_lshlrev_b64 v[3:4], 3, v[14:15]
	v_mov_b32_e32 v24, s48
	v_add_co_u32_e32 v3, vcc, s33, v3
	v_addc_co_u32_e32 v4, vcc, v24, v4, vcc
	global_load_dwordx2 v[3:4], v[3:4], off
	v_add_u32_e32 v14, s2, v35
	v_lshlrev_b64 v[7:8], 3, v[14:15]
	v_add_u32_e32 v14, s2, v36
	v_add_co_u32_e32 v7, vcc, s33, v7
	v_addc_co_u32_e32 v8, vcc, v24, v8, vcc
	global_load_dwordx2 v[7:8], v[7:8], off
	v_lshlrev_b64 v[9:10], 3, v[14:15]
	v_add_u32_e32 v14, s2, v37
	v_add_co_u32_e32 v9, vcc, s33, v9
	v_addc_co_u32_e32 v10, vcc, v24, v10, vcc
	global_load_dwordx2 v[9:10], v[9:10], off
	;; [unrolled: 5-line block ×3, first 2 shown]
	s_add_i32 s2, s2, s56
	s_waitcnt vmcnt(3)
	v_cmp_o_f64_e32 vcc, v[3:4], v[3:4]
	v_ashrrev_i32_e32 v14, 31, v4
	v_or_b32_e32 v24, 0x80000000, v14
	v_xor_b32_e32 v4, v24, v4
	v_xor_b32_e32 v3, v14, v3
	s_waitcnt vmcnt(2)
	v_ashrrev_i32_e32 v14, 31, v8
	v_cndmask_b32_e32 v4, -1, v4, vcc
	v_cndmask_b32_e32 v3, -1, v3, vcc
	v_cmp_o_f64_e32 vcc, v[7:8], v[7:8]
	v_or_b32_e32 v24, 0x80000000, v14
	v_xor_b32_e32 v8, v24, v8
	v_xor_b32_e32 v7, v14, v7
	v_cndmask_b32_e32 v25, -1, v8, vcc
	v_cndmask_b32_e32 v24, -1, v7, vcc
	s_waitcnt vmcnt(1)
	v_cmp_o_f64_e32 vcc, v[9:10], v[9:10]
	v_ashrrev_i32_e32 v7, 31, v10
	v_or_b32_e32 v8, 0x80000000, v7
	v_xor_b32_e32 v8, v8, v10
	v_xor_b32_e32 v7, v7, v9
	v_cndmask_b32_e32 v10, -1, v8, vcc
	v_cndmask_b32_e32 v9, -1, v7, vcc
	s_waitcnt vmcnt(0)
	v_cmp_o_f64_e32 vcc, v[22:23], v[22:23]
	v_ashrrev_i32_e32 v7, 31, v23
	v_or_b32_e32 v8, 0x80000000, v7
	v_xor_b32_e32 v8, v8, v23
	v_xor_b32_e32 v7, v7, v22
	v_and_b32_e32 v23, v4, v21
	v_and_b32_e32 v22, v3, v20
	v_lshrrev_b64 v[3:4], s11, v[3:4]
	v_cndmask_b32_e32 v8, -1, v8, vcc
	v_and_b32_e32 v14, 3, v3
	v_lshrrev_b64 v[3:4], s11, v[24:25]
	v_cndmask_b32_e32 v7, -1, v7, vcc
	v_cmp_eq_u64_e32 vcc, v[22:23], v[18:19]
	v_and_b32_e32 v23, v25, v21
	v_and_b32_e32 v22, v24, v20
	v_cmp_eq_u64_e64 s[6:7], 0, v[14:15]
	v_cmp_eq_u64_e64 s[18:19], v[22:23], v[18:19]
	v_and_b32_e32 v23, v10, v21
	v_and_b32_e32 v22, v9, v20
	;; [unrolled: 1-line block ×3, first 2 shown]
	v_mov_b32_e32 v4, v15
	v_lshrrev_b64 v[9:10], s11, v[9:10]
	s_and_b64 s[16:17], vcc, s[6:7]
	v_cmp_eq_u64_e64 s[6:7], 0, v[3:4]
	v_cmp_eq_u64_e64 s[20:21], v[22:23], v[18:19]
	v_and_b32_e32 v23, v8, v21
	v_and_b32_e32 v22, v7, v20
	v_and_b32_e32 v9, 3, v9
	v_mov_b32_e32 v10, v15
	v_lshrrev_b64 v[7:8], s11, v[7:8]
	s_and_b64 s[24:25], s[18:19], s[6:7]
	v_cmp_eq_u64_e64 s[6:7], 0, v[9:10]
	v_and_b32_e32 v7, 3, v7
	v_mov_b32_e32 v8, v15
	v_cmp_eq_u64_e64 s[22:23], v[22:23], v[18:19]
	s_and_b64 s[34:35], s[20:21], s[6:7]
	v_cmp_eq_u64_e64 s[6:7], 0, v[7:8]
	v_cndmask_b32_e64 v22, 0, 1, s[16:17]
	s_and_b64 s[36:37], s[22:23], s[6:7]
	v_cmp_ne_u32_e64 s[6:7], 0, v22
	v_cndmask_b32_e64 v22, 0, 1, s[24:25]
	s_bcnt1_i32_b64 s16, s[6:7]
	v_cmp_ne_u32_e64 s[6:7], 0, v22
	v_cndmask_b32_e64 v22, 0, 1, s[34:35]
	s_bcnt1_i32_b64 s17, s[6:7]
	;; [unrolled: 3-line block ×3, first 2 shown]
	v_cmp_ne_u32_e64 s[6:7], 0, v22
	s_bcnt1_i32_b64 s6, s[6:7]
	s_add_i32 s7, s9, s16
	s_add_i32 s7, s7, s17
	;; [unrolled: 1-line block ×4, first 2 shown]
	v_cmp_eq_u64_e64 s[6:7], 1, v[14:15]
	s_and_b64 s[16:17], vcc, s[6:7]
	v_cmp_eq_u64_e64 s[6:7], 1, v[3:4]
	v_cndmask_b32_e64 v22, 0, 1, s[16:17]
	s_and_b64 s[24:25], s[18:19], s[6:7]
	v_cmp_eq_u64_e64 s[6:7], 1, v[9:10]
	s_and_b64 s[34:35], s[20:21], s[6:7]
	v_cmp_eq_u64_e64 s[6:7], 1, v[7:8]
	s_and_b64 s[36:37], s[22:23], s[6:7]
	v_cmp_ne_u32_e64 s[6:7], 0, v22
	v_cndmask_b32_e64 v22, 0, 1, s[24:25]
	s_bcnt1_i32_b64 s16, s[6:7]
	v_cmp_ne_u32_e64 s[6:7], 0, v22
	v_cndmask_b32_e64 v22, 0, 1, s[34:35]
	s_bcnt1_i32_b64 s17, s[6:7]
	;; [unrolled: 3-line block ×3, first 2 shown]
	v_cmp_ne_u32_e64 s[6:7], 0, v22
	s_bcnt1_i32_b64 s6, s[6:7]
	s_add_i32 s7, s8, s16
	s_add_i32 s7, s7, s17
	;; [unrolled: 1-line block ×4, first 2 shown]
	v_cmp_eq_u64_e64 s[6:7], 2, v[14:15]
	s_and_b64 s[16:17], vcc, s[6:7]
	v_cmp_eq_u64_e64 s[6:7], 2, v[3:4]
	v_cndmask_b32_e64 v22, 0, 1, s[16:17]
	s_and_b64 s[24:25], s[18:19], s[6:7]
	v_cmp_eq_u64_e64 s[6:7], 2, v[9:10]
	s_and_b64 s[34:35], s[20:21], s[6:7]
	v_cmp_eq_u64_e64 s[6:7], 2, v[7:8]
	s_and_b64 s[36:37], s[22:23], s[6:7]
	v_cmp_ne_u32_e64 s[6:7], 0, v22
	v_cndmask_b32_e64 v22, 0, 1, s[24:25]
	s_bcnt1_i32_b64 s16, s[6:7]
	v_cmp_ne_u32_e64 s[6:7], 0, v22
	v_cndmask_b32_e64 v22, 0, 1, s[34:35]
	s_bcnt1_i32_b64 s17, s[6:7]
	v_cmp_ne_u32_e64 s[6:7], 0, v22
	v_cndmask_b32_e64 v22, 0, 1, s[36:37]
	s_add_i32 s5, s5, s16
	s_bcnt1_i32_b64 s24, s[6:7]
	v_cmp_ne_u32_e64 s[6:7], 0, v22
	s_add_i32 s5, s5, s17
	s_bcnt1_i32_b64 s6, s[6:7]
	s_add_i32 s5, s5, s24
	s_add_i32 s5, s5, s6
	v_cmp_eq_u64_e64 s[6:7], 3, v[14:15]
	s_and_b64 s[6:7], vcc, s[6:7]
	v_cmp_eq_u64_e32 vcc, 3, v[3:4]
	v_cndmask_b32_e64 v3, 0, 1, s[6:7]
	s_and_b64 s[16:17], s[18:19], vcc
	v_cmp_eq_u64_e32 vcc, 3, v[9:10]
	v_mov_b32_e32 v9, s5
	s_and_b64 s[18:19], s[20:21], vcc
	v_cmp_eq_u64_e32 vcc, 3, v[7:8]
	v_mov_b32_e32 v7, s9
	s_and_b64 s[20:21], s[22:23], vcc
	v_cmp_ne_u32_e32 vcc, 0, v3
	v_cndmask_b32_e64 v3, 0, 1, s[16:17]
	s_bcnt1_i32_b64 s6, vcc
	v_cmp_ne_u32_e32 vcc, 0, v3
	v_cndmask_b32_e64 v3, 0, 1, s[18:19]
	s_bcnt1_i32_b64 s7, vcc
	v_cmp_ne_u32_e32 vcc, 0, v3
	v_cndmask_b32_e64 v3, 0, 1, s[20:21]
	s_add_i32 s3, s3, s6
	s_bcnt1_i32_b64 s16, vcc
	v_cmp_ne_u32_e32 vcc, 0, v3
	s_add_i32 s3, s3, s7
	s_bcnt1_i32_b64 s17, vcc
	s_add_i32 s3, s3, s16
	s_add_i32 s3, s3, s17
	v_cmp_le_u32_e32 vcc, s13, v1
	s_or_b64 s[84:85], vcc, s[84:85]
	v_mov_b32_e32 v8, s8
	v_mov_b32_e32 v10, s3
	s_andn2_b64 exec, exec, s[84:85]
	s_cbranch_execnz .LBB75_45
; %bb.46:                               ;   in Loop: Header=BB75_6 Depth=1
	s_or_b64 exec, exec, s[84:85]
.LBB75_47:                              ;   in Loop: Header=BB75_6 Depth=1
	s_or_b64 exec, exec, s[26:27]
	s_mov_b64 s[18:19], exec
	v_readlane_b32 s2, v47, 47
	v_readlane_b32 s3, v47, 48
	s_and_b64 s[2:3], s[18:19], s[2:3]
	s_mov_b64 exec, s[2:3]
	s_cbranch_execz .LBB75_53
; %bb.48:                               ;   in Loop: Header=BB75_6 Depth=1
	global_load_dwordx2 v[24:25], v[16:17], off
	s_mov_b64 s[20:21], 0
	v_mov_b32_e32 v3, v39
	v_mov_b32_e32 v1, v34
	s_branch .LBB75_50
.LBB75_49:                              ;   in Loop: Header=BB75_50 Depth=2
	s_or_b64 exec, exec, s[2:3]
	s_and_b64 s[2:3], exec, vcc
	s_waitcnt vmcnt(0)
	v_cmp_o_f64_e32 vcc, v[24:25], v[24:25]
	v_ashrrev_i32_e32 v4, 31, v25
	v_or_b32_e32 v14, 0x80000000, v4
	v_xor_b32_e32 v14, v14, v25
	v_xor_b32_e32 v4, v4, v24
	s_or_b64 s[20:21], s[2:3], s[20:21]
	v_add_u32_e32 v3, s55, v3
	v_cndmask_b32_e32 v25, -1, v14, vcc
	v_cndmask_b32_e32 v24, -1, v4, vcc
	v_and_b32_e32 v44, v25, v21
	v_and_b32_e32 v43, v24, v20
	v_lshrrev_b64 v[24:25], s11, v[24:25]
	v_cmp_eq_u64_e32 vcc, v[43:44], v[18:19]
	v_and_b32_e32 v14, 3, v24
	v_cmp_eq_u64_e64 s[6:7], 0, v[14:15]
	v_mov_b32_e32 v25, v23
	s_and_b64 s[2:3], vcc, s[6:7]
	v_cndmask_b32_e64 v4, 0, 1, s[2:3]
	v_cmp_ne_u32_e64 s[6:7], 0, v4
	s_bcnt1_i32_b64 s2, s[6:7]
	v_cmp_eq_u64_e64 s[6:7], 1, v[14:15]
	v_add_u32_e32 v7, s2, v7
	s_and_b64 s[2:3], vcc, s[6:7]
	v_cndmask_b32_e64 v4, 0, 1, s[2:3]
	v_cmp_ne_u32_e64 s[6:7], 0, v4
	s_bcnt1_i32_b64 s2, s[6:7]
	v_cmp_eq_u64_e64 s[6:7], 2, v[14:15]
	v_add_u32_e32 v8, s2, v8
	;; [unrolled: 6-line block ×3, first 2 shown]
	s_and_b64 s[2:3], vcc, s[6:7]
	v_cndmask_b32_e64 v4, 0, 1, s[2:3]
	v_cmp_ne_u32_e32 vcc, 0, v4
	s_bcnt1_i32_b64 s2, vcc
	v_add_u32_e32 v10, s2, v10
	v_mov_b32_e32 v24, v22
	s_andn2_b64 exec, exec, s[20:21]
	s_cbranch_execz .LBB75_52
.LBB75_50:                              ;   Parent Loop BB75_6 Depth=1
                                        ; =>  This Inner Loop Header: Depth=2
	v_add_u32_e32 v1, s54, v1
	v_mov_b32_e32 v22, 0
	v_cmp_gt_u32_e64 s[6:7], s28, v1
	v_mov_b32_e32 v23, 0
	v_cmp_le_u32_e32 vcc, s28, v1
	s_and_saveexec_b64 s[2:3], s[6:7]
	s_cbranch_execz .LBB75_49
; %bb.51:                               ;   in Loop: Header=BB75_50 Depth=2
	v_mov_b32_e32 v4, v15
	v_lshlrev_b64 v[22:23], 3, v[3:4]
	v_mov_b32_e32 v4, s48
	v_add_co_u32_e64 v22, s[6:7], s33, v22
	v_addc_co_u32_e64 v23, s[6:7], v4, v23, s[6:7]
	global_load_dwordx2 v[22:23], v[22:23], off
	s_branch .LBB75_49
.LBB75_52:                              ;   in Loop: Header=BB75_6 Depth=1
	s_or_b64 exec, exec, s[20:21]
.LBB75_53:                              ;   in Loop: Header=BB75_6 Depth=1
	s_or_b64 exec, exec, s[18:19]
	s_branch .LBB75_35
.LBB75_54:                              ;   in Loop: Header=BB75_6 Depth=1
	v_readlane_b32 s2, v47, 44
	s_mul_hi_u32 s2, s4, s2
	s_mul_i32 s2, s2, s15
	s_sub_i32 s2, s4, s2
	s_sub_i32 s3, s2, s15
	s_cmp_ge_u32 s2, s15
	s_cselect_b32 s2, s3, s2
	s_sub_i32 s3, s2, s15
	s_cmp_ge_u32 s2, s15
	s_cselect_b32 s2, s3, s2
	s_sub_i32 s2, s4, s2
	v_cmp_gt_u32_e32 vcc, s2, v29
	v_mov_b32_e32 v7, 0
	v_mov_b32_e32 v8, 0
	;; [unrolled: 1-line block ×4, first 2 shown]
	s_and_saveexec_b64 s[26:27], vcc
	s_cbranch_execz .LBB75_58
; %bb.55:                               ;   in Loop: Header=BB75_6 Depth=1
	s_mov_b32 s3, 0
	s_mov_b64 s[84:85], 0
	v_mov_b32_e32 v1, v40
	s_mov_b32 s5, 0
	s_mov_b32 s8, 0
	;; [unrolled: 1-line block ×3, first 2 shown]
	v_mov_b32_e32 v22, v29
.LBB75_56:                              ;   Parent Loop BB75_6 Depth=1
                                        ; =>  This Inner Loop Header: Depth=2
	ds_read_b128 v[7:10], v1
	ds_read_b128 v[43:46], v1 offset:16
	v_add_u32_e32 v22, s15, v22
	v_add_u32_e32 v1, s57, v1
	s_waitcnt lgkmcnt(1)
	v_cmp_o_f64_e32 vcc, v[7:8], v[7:8]
	v_ashrrev_i32_e32 v3, 31, v8
	v_or_b32_e32 v4, 0x80000000, v3
	v_xor_b32_e32 v4, v4, v8
	v_xor_b32_e32 v3, v3, v7
	v_ashrrev_i32_e32 v7, 31, v10
	v_or_b32_e32 v8, 0x80000000, v7
	v_xor_b32_e32 v8, v8, v10
	v_cndmask_b32_e32 v4, -1, v4, vcc
	v_cndmask_b32_e32 v3, -1, v3, vcc
	v_cmp_o_f64_e32 vcc, v[9:10], v[9:10]
	v_xor_b32_e32 v7, v7, v9
	v_cndmask_b32_e32 v24, -1, v8, vcc
	v_cndmask_b32_e32 v23, -1, v7, vcc
	s_waitcnt lgkmcnt(0)
	v_cmp_o_f64_e32 vcc, v[43:44], v[43:44]
	v_ashrrev_i32_e32 v7, 31, v44
	v_or_b32_e32 v8, 0x80000000, v7
	v_xor_b32_e32 v8, v8, v44
	v_xor_b32_e32 v7, v7, v43
	v_and_b32_e32 v44, v4, v21
	v_and_b32_e32 v43, v3, v20
	v_lshrrev_b64 v[3:4], s11, v[3:4]
	v_cndmask_b32_e32 v10, -1, v8, vcc
	v_cndmask_b32_e32 v9, -1, v7, vcc
	v_cmp_o_f64_e32 vcc, v[45:46], v[45:46]
	v_ashrrev_i32_e32 v7, 31, v46
	v_or_b32_e32 v8, 0x80000000, v7
	v_xor_b32_e32 v8, v8, v46
	v_xor_b32_e32 v7, v7, v45
	v_and_b32_e32 v14, 3, v3
	v_lshrrev_b64 v[3:4], s11, v[23:24]
	v_cmp_eq_u64_e64 s[6:7], 0, v[14:15]
	v_cndmask_b32_e32 v8, -1, v8, vcc
	v_cndmask_b32_e32 v7, -1, v7, vcc
	v_cmp_eq_u64_e32 vcc, v[43:44], v[18:19]
	v_and_b32_e32 v44, v24, v21
	v_and_b32_e32 v43, v23, v20
	v_cmp_eq_u64_e64 s[18:19], v[43:44], v[18:19]
	v_and_b32_e32 v44, v10, v21
	v_and_b32_e32 v43, v9, v20
	;; [unrolled: 1-line block ×3, first 2 shown]
	v_mov_b32_e32 v4, v15
	v_lshrrev_b64 v[9:10], s11, v[9:10]
	s_and_b64 s[16:17], vcc, s[6:7]
	v_cmp_eq_u64_e64 s[6:7], 0, v[3:4]
	v_cmp_eq_u64_e64 s[20:21], v[43:44], v[18:19]
	v_and_b32_e32 v44, v8, v21
	v_and_b32_e32 v43, v7, v20
	;; [unrolled: 1-line block ×3, first 2 shown]
	v_mov_b32_e32 v10, v15
	v_lshrrev_b64 v[7:8], s11, v[7:8]
	s_and_b64 s[24:25], s[18:19], s[6:7]
	v_cmp_eq_u64_e64 s[6:7], 0, v[9:10]
	v_and_b32_e32 v7, 3, v7
	v_mov_b32_e32 v8, v15
	v_cmp_eq_u64_e64 s[22:23], v[43:44], v[18:19]
	s_and_b64 s[34:35], s[20:21], s[6:7]
	v_cmp_eq_u64_e64 s[6:7], 0, v[7:8]
	v_cndmask_b32_e64 v23, 0, 1, s[16:17]
	s_and_b64 s[36:37], s[22:23], s[6:7]
	v_cmp_ne_u32_e64 s[6:7], 0, v23
	v_cndmask_b32_e64 v23, 0, 1, s[24:25]
	s_bcnt1_i32_b64 s16, s[6:7]
	v_cmp_ne_u32_e64 s[6:7], 0, v23
	v_cndmask_b32_e64 v23, 0, 1, s[34:35]
	s_bcnt1_i32_b64 s17, s[6:7]
	;; [unrolled: 3-line block ×3, first 2 shown]
	v_cmp_ne_u32_e64 s[6:7], 0, v23
	s_bcnt1_i32_b64 s6, s[6:7]
	s_add_i32 s7, s9, s16
	s_add_i32 s7, s7, s17
	;; [unrolled: 1-line block ×4, first 2 shown]
	v_cmp_eq_u64_e64 s[6:7], 1, v[14:15]
	s_and_b64 s[16:17], vcc, s[6:7]
	v_cmp_eq_u64_e64 s[6:7], 1, v[3:4]
	v_cndmask_b32_e64 v23, 0, 1, s[16:17]
	s_and_b64 s[24:25], s[18:19], s[6:7]
	v_cmp_eq_u64_e64 s[6:7], 1, v[9:10]
	s_and_b64 s[34:35], s[20:21], s[6:7]
	v_cmp_eq_u64_e64 s[6:7], 1, v[7:8]
	s_and_b64 s[36:37], s[22:23], s[6:7]
	v_cmp_ne_u32_e64 s[6:7], 0, v23
	v_cndmask_b32_e64 v23, 0, 1, s[24:25]
	s_bcnt1_i32_b64 s16, s[6:7]
	v_cmp_ne_u32_e64 s[6:7], 0, v23
	v_cndmask_b32_e64 v23, 0, 1, s[34:35]
	s_bcnt1_i32_b64 s17, s[6:7]
	;; [unrolled: 3-line block ×3, first 2 shown]
	v_cmp_ne_u32_e64 s[6:7], 0, v23
	s_bcnt1_i32_b64 s6, s[6:7]
	s_add_i32 s7, s8, s16
	s_add_i32 s7, s7, s17
	;; [unrolled: 1-line block ×4, first 2 shown]
	v_cmp_eq_u64_e64 s[6:7], 2, v[14:15]
	s_and_b64 s[16:17], vcc, s[6:7]
	v_cmp_eq_u64_e64 s[6:7], 2, v[3:4]
	v_cndmask_b32_e64 v23, 0, 1, s[16:17]
	s_and_b64 s[24:25], s[18:19], s[6:7]
	v_cmp_eq_u64_e64 s[6:7], 2, v[9:10]
	s_and_b64 s[34:35], s[20:21], s[6:7]
	v_cmp_eq_u64_e64 s[6:7], 2, v[7:8]
	s_and_b64 s[36:37], s[22:23], s[6:7]
	v_cmp_ne_u32_e64 s[6:7], 0, v23
	v_cndmask_b32_e64 v23, 0, 1, s[24:25]
	s_bcnt1_i32_b64 s16, s[6:7]
	v_cmp_ne_u32_e64 s[6:7], 0, v23
	v_cndmask_b32_e64 v23, 0, 1, s[34:35]
	s_bcnt1_i32_b64 s17, s[6:7]
	v_cmp_ne_u32_e64 s[6:7], 0, v23
	v_cndmask_b32_e64 v23, 0, 1, s[36:37]
	s_add_i32 s5, s5, s16
	s_bcnt1_i32_b64 s24, s[6:7]
	v_cmp_ne_u32_e64 s[6:7], 0, v23
	s_add_i32 s5, s5, s17
	s_bcnt1_i32_b64 s6, s[6:7]
	s_add_i32 s5, s5, s24
	s_add_i32 s5, s5, s6
	v_cmp_eq_u64_e64 s[6:7], 3, v[14:15]
	s_and_b64 s[6:7], vcc, s[6:7]
	v_cmp_eq_u64_e32 vcc, 3, v[3:4]
	v_cndmask_b32_e64 v3, 0, 1, s[6:7]
	s_and_b64 s[16:17], s[18:19], vcc
	v_cmp_eq_u64_e32 vcc, 3, v[9:10]
	v_mov_b32_e32 v9, s5
	s_and_b64 s[18:19], s[20:21], vcc
	v_cmp_eq_u64_e32 vcc, 3, v[7:8]
	v_mov_b32_e32 v7, s9
	s_and_b64 s[20:21], s[22:23], vcc
	v_cmp_ne_u32_e32 vcc, 0, v3
	v_cndmask_b32_e64 v3, 0, 1, s[16:17]
	s_bcnt1_i32_b64 s6, vcc
	v_cmp_ne_u32_e32 vcc, 0, v3
	v_cndmask_b32_e64 v3, 0, 1, s[18:19]
	s_bcnt1_i32_b64 s7, vcc
	v_cmp_ne_u32_e32 vcc, 0, v3
	v_cndmask_b32_e64 v3, 0, 1, s[20:21]
	s_add_i32 s3, s3, s6
	s_bcnt1_i32_b64 s16, vcc
	v_cmp_ne_u32_e32 vcc, 0, v3
	s_add_i32 s3, s3, s7
	s_bcnt1_i32_b64 s17, vcc
	s_add_i32 s3, s3, s16
	s_add_i32 s3, s3, s17
	v_cmp_le_u32_e32 vcc, s2, v22
	s_or_b64 s[84:85], vcc, s[84:85]
	v_mov_b32_e32 v8, s8
	v_mov_b32_e32 v10, s3
	s_andn2_b64 exec, exec, s[84:85]
	s_cbranch_execnz .LBB75_56
; %bb.57:                               ;   in Loop: Header=BB75_6 Depth=1
	s_or_b64 exec, exec, s[84:85]
.LBB75_58:                              ;   in Loop: Header=BB75_6 Depth=1
	s_or_b64 exec, exec, s[26:27]
	v_add_u32_e32 v1, s2, v0
	v_cmp_gt_u32_e32 vcc, s4, v1
	s_and_saveexec_b64 s[18:19], vcc
	s_cbranch_execz .LBB75_62
; %bb.59:                               ;   in Loop: Header=BB75_6 Depth=1
	v_lshlrev_b32_e32 v3, 3, v1
	s_mov_b64 s[20:21], 0
.LBB75_60:                              ;   Parent Loop BB75_6 Depth=1
                                        ; =>  This Inner Loop Header: Depth=2
	ds_read_b64 v[22:23], v3
	v_add_u32_e32 v1, s54, v1
	v_add_u32_e32 v3, s10, v3
	s_waitcnt lgkmcnt(0)
	v_cmp_o_f64_e32 vcc, v[22:23], v[22:23]
	v_ashrrev_i32_e32 v4, 31, v23
	v_or_b32_e32 v14, 0x80000000, v4
	v_xor_b32_e32 v14, v14, v23
	v_xor_b32_e32 v4, v4, v22
	v_cndmask_b32_e32 v23, -1, v14, vcc
	v_cndmask_b32_e32 v22, -1, v4, vcc
	v_and_b32_e32 v25, v23, v21
	v_and_b32_e32 v24, v22, v20
	v_lshrrev_b64 v[22:23], s11, v[22:23]
	v_cmp_eq_u64_e32 vcc, v[24:25], v[18:19]
	v_and_b32_e32 v14, 3, v22
	v_cmp_eq_u64_e64 s[6:7], 0, v[14:15]
	s_and_b64 s[2:3], vcc, s[6:7]
	v_cndmask_b32_e64 v4, 0, 1, s[2:3]
	v_cmp_ne_u32_e64 s[6:7], 0, v4
	s_bcnt1_i32_b64 s2, s[6:7]
	v_cmp_eq_u64_e64 s[6:7], 1, v[14:15]
	v_add_u32_e32 v7, s2, v7
	s_and_b64 s[2:3], vcc, s[6:7]
	v_cndmask_b32_e64 v4, 0, 1, s[2:3]
	v_cmp_ne_u32_e64 s[6:7], 0, v4
	s_bcnt1_i32_b64 s2, s[6:7]
	v_cmp_eq_u64_e64 s[6:7], 2, v[14:15]
	v_add_u32_e32 v8, s2, v8
	;; [unrolled: 6-line block ×3, first 2 shown]
	s_and_b64 s[2:3], vcc, s[6:7]
	v_cndmask_b32_e64 v4, 0, 1, s[2:3]
	v_cmp_ne_u32_e32 vcc, 0, v4
	s_bcnt1_i32_b64 s2, vcc
	v_cmp_le_u32_e32 vcc, s4, v1
	v_add_u32_e32 v10, s2, v10
	s_or_b64 s[20:21], vcc, s[20:21]
	s_andn2_b64 exec, exec, s[20:21]
	s_cbranch_execnz .LBB75_60
; %bb.61:                               ;   in Loop: Header=BB75_6 Depth=1
	s_or_b64 exec, exec, s[20:21]
.LBB75_62:                              ;   in Loop: Header=BB75_6 Depth=1
	s_or_b64 exec, exec, s[18:19]
	s_lshl_b32 s4, s49, 6
	s_and_saveexec_b64 s[2:3], s[0:1]
	s_cbranch_execnz .LBB75_36
	s_branch .LBB75_37
.LBB75_63:                              ;   in Loop: Header=BB75_6 Depth=1
	v_mov_b32_e32 v1, 0
	s_mov_b32 s5, 0
.LBB75_64:                              ;   in Loop: Header=BB75_6 Depth=1
	v_readlane_b32 s6, v47, 42
	v_readlane_b32 s7, v47, 43
	s_andn2_b64 vcc, exec, s[6:7]
	s_cbranch_vccnz .LBB75_67
; %bb.65:                               ;   in Loop: Header=BB75_6 Depth=1
	s_lshl_b32 s6, s49, 8
	s_lshl_b32 s5, s5, 4
	s_add_i32 s6, s6, s5
	v_add_u32_e32 v3, s6, v41
	v_readlane_b32 s5, v47, 41
.LBB75_66:                              ;   Parent Loop BB75_6 Depth=1
                                        ; =>  This Inner Loop Header: Depth=2
	ds_read_b32 v4, v3
	s_add_i32 s5, s5, -1
	v_add_u32_e32 v3, 16, v3
	s_cmp_lg_u32 s5, 0
	s_waitcnt lgkmcnt(0)
	v_add_u32_e32 v1, v4, v1
	s_cbranch_scc1 .LBB75_66
.LBB75_67:                              ;   in Loop: Header=BB75_6 Depth=1
	v_add_lshl_u32 v3, s4, v30, 2
	ds_write_b32 v3, v1 offset:3072
.LBB75_68:                              ;   in Loop: Header=BB75_6 Depth=1
	s_or_b64 exec, exec, s[2:3]
	s_lshl_b32 s2, s4, 2
	v_mov_b32_e32 v1, s2
	s_waitcnt lgkmcnt(0)
	s_barrier
	ds_read_b128 v[7:10], v1 offset:3072
	s_lshl_b64 s[22:23], 3, s11
	s_not_b64 s[84:85], s[22:23]
	v_cmp_eq_u32_e64 s[18:19], 1, v42
	s_mov_b64 s[94:95], -1
	s_waitcnt lgkmcnt(0)
	v_readfirstlane_b32 s4, v7
	v_readfirstlane_b32 s5, v8
	;; [unrolled: 1-line block ×4, first 2 shown]
	s_mov_b64 s[20:21], 0
	s_andn2_b64 vcc, exec, s[30:31]
	s_mov_b64 s[88:89], 0
	s_mov_b64 s[86:87], 0
                                        ; implicit-def: $sgpr90_sgpr91
                                        ; implicit-def: $sgpr92_sgpr93
                                        ; implicit-def: $vgpr44
                                        ; implicit-def: $vgpr43
                                        ; implicit-def: $vgpr22_vgpr23
                                        ; implicit-def: $vgpr24_vgpr25
                                        ; implicit-def: $vgpr9_vgpr10
	s_cbranch_vccnz .LBB75_237
; %bb.69:                               ;   in Loop: Header=BB75_6 Depth=1
	s_cmp_eq_u32 s4, 1
	s_cselect_b64 s[2:3], -1, 0
	v_mov_b32_e32 v23, v19
	v_mov_b32_e32 v25, v21
	;; [unrolled: 1-line block ×3, first 2 shown]
	s_and_b64 s[6:7], s[2:3], s[18:19]
	s_mov_b64 s[2:3], -1
	v_mov_b32_e32 v22, v18
	v_mov_b32_e32 v24, v20
	;; [unrolled: 1-line block ×3, first 2 shown]
                                        ; implicit-def: $sgpr92_sgpr93
                                        ; implicit-def: $sgpr90_sgpr91
	s_and_saveexec_b64 s[24:25], s[6:7]
	s_cbranch_execz .LBB75_100
; %bb.70:                               ;   in Loop: Header=BB75_6 Depth=1
	ds_read_b32 v1, v15 offset:4096
	s_waitcnt lgkmcnt(0)
	s_barrier
	v_readfirstlane_b32 s38, v1
	s_mov_b64 s[2:3], exec
	v_readlane_b32 s8, v47, 34
	v_readlane_b32 s9, v47, 35
	s_and_b64 s[8:9], s[2:3], s[8:9]
	s_mov_b64 exec, s[8:9]
; %bb.71:                               ;   in Loop: Header=BB75_6 Depth=1
	v_mov_b32_e32 v14, v15
	ds_write_b64 v32, v[14:15]
; %bb.72:                               ;   in Loop: Header=BB75_6 Depth=1
	s_or_b64 exec, exec, s[2:3]
	v_and_b32_e32 v23, s85, v19
	v_and_b32_e32 v22, s84, v18
	v_or_b32_e32 v25, s23, v21
	v_or_b32_e32 v24, s22, v20
	s_mov_b64 s[90:91], -1
	s_mov_b64 s[92:93], 0
	s_cmp_eq_u32 s38, 0
	s_mov_b64 s[26:27], 0
	s_mov_b64 s[34:35], -1
	s_waitcnt lgkmcnt(0)
	s_barrier
                                        ; implicit-def: $vgpr9_vgpr10
	s_cbranch_scc1 .LBB75_87
; %bb.73:                               ;   in Loop: Header=BB75_6 Depth=1
	v_readlane_b32 s2, v47, 36
	s_add_i32 s2, s38, s2
	v_readlane_b32 s3, v47, 49
	s_mul_hi_u32 s3, s2, s3
	s_mul_i32 s3, s3, s54
	s_sub_i32 s3, s2, s3
	s_sub_i32 s8, s3, s54
	s_cmp_ge_u32 s3, s54
	s_cselect_b32 s3, s8, s3
	s_sub_i32 s8, s3, s54
	s_cmp_ge_u32 s3, s54
	s_cselect_b32 s3, s8, s3
	s_sub_i32 s39, s2, s3
	v_cmp_gt_u32_e32 vcc, s39, v0
	s_mov_b64 s[34:35], 0
                                        ; implicit-def: $vgpr9_vgpr10
	s_and_saveexec_b64 s[2:3], vcc
	s_cbranch_execz .LBB75_86
; %bb.74:                               ;   in Loop: Header=BB75_6 Depth=1
	s_mov_b64 s[16:17], 0
	v_mov_b32_e32 v14, v31
	v_mov_b32_e32 v43, v0
                                        ; implicit-def: $sgpr8_sgpr9
	s_branch .LBB75_78
.LBB75_75:                              ;   in Loop: Header=BB75_78 Depth=2
	s_or_b64 exec, exec, s[26:27]
	s_waitcnt lgkmcnt(0)
	s_barrier
	ds_read_b128 v[7:10], v15 offset:3072
	s_waitcnt lgkmcnt(0)
	s_barrier
	v_cmp_neq_f64_e32 vcc, 0, v[7:8]
	s_cbranch_vccnz .LBB75_81
; %bb.76:                               ;   in Loop: Header=BB75_78 Depth=2
	v_add_u32_e32 v43, s54, v43
	v_cmp_le_u32_e32 vcc, s39, v43
	v_add_u32_e32 v14, s10, v14
	s_mov_b64 s[26:27], 0
	s_orn2_b64 s[36:37], vcc, exec
.LBB75_77:                              ;   in Loop: Header=BB75_78 Depth=2
	s_and_b64 s[36:37], exec, s[36:37]
	s_or_b64 s[16:17], s[36:37], s[16:17]
	s_andn2_b64 s[8:9], s[8:9], exec
	s_and_b64 s[26:27], s[26:27], exec
	s_or_b64 s[8:9], s[8:9], s[26:27]
	s_andn2_b64 exec, exec, s[16:17]
	s_cbranch_execz .LBB75_85
.LBB75_78:                              ;   Parent Loop BB75_6 Depth=1
                                        ; =>  This Inner Loop Header: Depth=2
	v_cmp_gt_u32_e32 vcc, s38, v43
	s_and_saveexec_b64 s[26:27], vcc
	s_cbranch_execz .LBB75_75
; %bb.79:                               ;   in Loop: Header=BB75_78 Depth=2
	ds_read_b64 v[3:4], v14
	s_waitcnt lgkmcnt(0)
	v_cmp_o_f64_e32 vcc, v[3:4], v[3:4]
	v_ashrrev_i32_e32 v1, 31, v4
	v_or_b32_e32 v7, 0x80000000, v1
	v_xor_b32_e32 v7, v7, v4
	v_xor_b32_e32 v1, v1, v3
	v_cndmask_b32_e32 v7, -1, v7, vcc
	v_cndmask_b32_e32 v1, -1, v1, vcc
	v_and_b32_e32 v8, v7, v25
	v_and_b32_e32 v7, v1, v24
	v_cmp_eq_u64_e32 vcc, v[7:8], v[22:23]
	s_and_b64 exec, exec, vcc
	s_cbranch_execz .LBB75_75
; %bb.80:                               ;   in Loop: Header=BB75_78 Depth=2
	v_mov_b32_e32 v1, v15
	ds_write_b128 v15, v[1:4] offset:3072
	s_branch .LBB75_75
.LBB75_81:                              ;   in Loop: Header=BB75_78 Depth=2
	s_mov_b64 s[36:37], -1
                                        ; implicit-def: $vgpr43
                                        ; implicit-def: $vgpr14
	s_mov_b64 s[26:27], -1
	s_branch .LBB75_77
.LBB75_82:                              ;   in Loop: Header=BB75_6 Depth=1
	s_or_b64 exec, exec, s[22:23]
	s_waitcnt lgkmcnt(0)
	s_barrier
	s_mov_b64 s[2:3], exec
	v_readlane_b32 s4, v47, 21
	v_readlane_b32 s5, v47, 22
	s_and_b64 s[4:5], s[2:3], s[4:5]
	s_mov_b64 exec, s[4:5]
	s_cbranch_execz .LBB75_84
; %bb.83:                               ;   in Loop: Header=BB75_6 Depth=1
	ds_read_b32 v1, v15 offset:4104
	s_waitcnt lgkmcnt(0)
	ds_write_b32 v15, v1 offset:4096
.LBB75_84:                              ;   in Loop: Header=BB75_6 Depth=1
	s_or_b64 exec, exec, s[2:3]
	s_waitcnt lgkmcnt(0)
	s_barrier
	s_mov_b64 s[2:3], -1
	s_and_b64 vcc, exec, s[20:21]
	s_cbranch_vccnz .LBB75_22
	s_branch .LBB75_31
.LBB75_85:                              ;   in Loop: Header=BB75_6 Depth=1
	s_or_b64 exec, exec, s[16:17]
	s_and_b64 s[26:27], s[8:9], exec
.LBB75_86:                              ;   in Loop: Header=BB75_6 Depth=1
	s_or_b64 exec, exec, s[2:3]
.LBB75_87:                              ;   in Loop: Header=BB75_6 Depth=1
	s_and_b64 vcc, exec, s[34:35]
	s_cbranch_vccz .LBB75_99
; %bb.88:                               ;   in Loop: Header=BB75_6 Depth=1
                                        ; implicit-def: $vgpr9_vgpr10
	s_mov_b64 s[2:3], exec
	v_readlane_b32 s8, v47, 50
	v_readlane_b32 s9, v47, 51
	s_and_b64 s[8:9], s[2:3], s[8:9]
	s_mov_b64 exec, s[8:9]
	s_cbranch_execz .LBB75_98
; %bb.89:                               ;   in Loop: Header=BB75_6 Depth=1
	s_mov_b64 s[34:35], 0
	v_mov_b32_e32 v14, v13
	v_mov_b32_e32 v43, v0
                                        ; implicit-def: $sgpr16_sgpr17
	s_branch .LBB75_93
.LBB75_90:                              ;   in Loop: Header=BB75_93 Depth=2
	s_or_b64 exec, exec, s[8:9]
	s_waitcnt lgkmcnt(0)
	s_barrier
	ds_read_b128 v[7:10], v15 offset:3072
	s_waitcnt lgkmcnt(0)
	s_barrier
	v_cmp_neq_f64_e32 vcc, 0, v[7:8]
	s_cbranch_vccnz .LBB75_96
; %bb.91:                               ;   in Loop: Header=BB75_93 Depth=2
	v_add_u32_e32 v43, s54, v43
	v_cmp_le_u32_e32 vcc, s12, v43
	v_add_u32_e32 v14, s55, v14
	s_mov_b64 s[8:9], 0
	s_orn2_b64 s[36:37], vcc, exec
.LBB75_92:                              ;   in Loop: Header=BB75_93 Depth=2
	s_and_b64 s[36:37], exec, s[36:37]
	s_or_b64 s[34:35], s[36:37], s[34:35]
	s_andn2_b64 s[16:17], s[16:17], exec
	s_and_b64 s[8:9], s[8:9], exec
	s_or_b64 s[16:17], s[16:17], s[8:9]
	s_andn2_b64 exec, exec, s[34:35]
	s_cbranch_execz .LBB75_97
.LBB75_93:                              ;   Parent Loop BB75_6 Depth=1
                                        ; =>  This Inner Loop Header: Depth=2
	v_cmp_gt_u32_e32 vcc, s28, v43
	s_and_saveexec_b64 s[8:9], vcc
	s_cbranch_execz .LBB75_90
; %bb.94:                               ;   in Loop: Header=BB75_93 Depth=2
	v_lshlrev_b64 v[3:4], 3, v[14:15]
	v_mov_b32_e32 v1, s48
	v_add_co_u32_e32 v3, vcc, s33, v3
	v_addc_co_u32_e32 v4, vcc, v1, v4, vcc
	global_load_dwordx2 v[3:4], v[3:4], off
	s_waitcnt vmcnt(0)
	v_cmp_o_f64_e32 vcc, v[3:4], v[3:4]
	v_ashrrev_i32_e32 v1, 31, v4
	v_or_b32_e32 v7, 0x80000000, v1
	v_xor_b32_e32 v7, v7, v4
	v_xor_b32_e32 v1, v1, v3
	v_cndmask_b32_e32 v7, -1, v7, vcc
	v_cndmask_b32_e32 v1, -1, v1, vcc
	v_and_b32_e32 v8, v7, v25
	v_and_b32_e32 v7, v1, v24
	v_cmp_eq_u64_e32 vcc, v[7:8], v[22:23]
	s_and_b64 exec, exec, vcc
	s_cbranch_execz .LBB75_90
; %bb.95:                               ;   in Loop: Header=BB75_93 Depth=2
	v_mov_b32_e32 v1, v15
	ds_write_b128 v15, v[1:4] offset:3072
	s_branch .LBB75_90
.LBB75_96:                              ;   in Loop: Header=BB75_93 Depth=2
	s_mov_b64 s[36:37], -1
                                        ; implicit-def: $vgpr43
	s_mov_b64 s[8:9], -1
	s_branch .LBB75_92
.LBB75_97:                              ;   in Loop: Header=BB75_6 Depth=1
	s_or_b64 exec, exec, s[34:35]
	s_andn2_b64 s[8:9], s[26:27], exec
	s_and_b64 s[16:17], s[16:17], exec
	s_or_b64 s[26:27], s[8:9], s[16:17]
.LBB75_98:                              ;   in Loop: Header=BB75_6 Depth=1
	s_or_b64 exec, exec, s[2:3]
	s_mov_b64 s[90:91], 0
	s_mov_b64 s[92:93], -1
.LBB75_99:                              ;   in Loop: Header=BB75_6 Depth=1
	s_orn2_b64 s[2:3], s[26:27], exec
.LBB75_100:                             ;   in Loop: Header=BB75_6 Depth=1
	s_or_b64 exec, exec, s[24:25]
	s_mov_b64 s[94:95], 0
	s_mov_b64 s[88:89], 0
	;; [unrolled: 1-line block ×3, first 2 shown]
                                        ; implicit-def: $vgpr44
                                        ; implicit-def: $vgpr43
	s_and_saveexec_b64 s[26:27], s[2:3]
	s_cbranch_execz .LBB75_236
; %bb.101:                              ;   in Loop: Header=BB75_6 Depth=1
	s_xor_b64 s[8:9], s[6:7], -1
	s_mov_b64 s[6:7], 0
	v_mov_b32_e32 v44, 1
	v_mov_b32_e32 v43, 1
	s_and_saveexec_b64 s[2:3], s[8:9]
	s_cbranch_execz .LBB75_110
; %bb.102:                              ;   in Loop: Header=BB75_6 Depth=1
	v_cmp_ge_u32_e32 vcc, s4, v42
	s_and_saveexec_b64 s[6:7], vcc
	s_xor_b64 s[6:7], exec, s[6:7]
	s_cbranch_execz .LBB75_107
; %bb.103:                              ;   in Loop: Header=BB75_6 Depth=1
	ds_read_b32 v1, v15 offset:4096
	v_and_b32_e32 v23, s85, v23
	v_and_b32_e32 v22, s84, v22
	v_or_b32_e32 v25, s23, v25
	v_or_b32_e32 v24, s22, v24
	s_waitcnt lgkmcnt(0)
	v_cmp_ne_u32_e32 vcc, 0, v1
	s_cbranch_vccnz .LBB75_107
; %bb.104:                              ;   in Loop: Header=BB75_6 Depth=1
	s_mov_b64 s[8:9], exec
	v_readlane_b32 s16, v47, 21
	v_readlane_b32 s17, v47, 22
	s_and_b64 s[16:17], s[8:9], s[16:17]
	s_mov_b64 exec, s[16:17]
; %bb.105:                              ;   in Loop: Header=BB75_6 Depth=1
	v_mov_b32_e32 v1, s4
	ds_write_b32 v15, v1 offset:4100
; %bb.106:                              ;   in Loop: Header=BB75_6 Depth=1
	s_or_b64 exec, exec, s[8:9]
	s_waitcnt lgkmcnt(0)
	s_barrier
.LBB75_107:                             ;   in Loop: Header=BB75_6 Depth=1
	s_or_saveexec_b64 s[6:7], s[6:7]
	s_mov_b64 s[8:9], 0
	v_mov_b32_e32 v43, 8
	v_mov_b32_e32 v44, v42
	s_xor_b64 exec, exec, s[6:7]
; %bb.108:                              ;   in Loop: Header=BB75_6 Depth=1
	s_mov_b64 s[8:9], exec
	v_subrev_u32_e32 v44, s4, v42
	v_mov_b32_e32 v43, 0
; %bb.109:                              ;   in Loop: Header=BB75_6 Depth=1
	s_or_b64 exec, exec, s[6:7]
	s_and_b64 s[6:7], s[8:9], exec
.LBB75_110:                             ;   in Loop: Header=BB75_6 Depth=1
	s_or_b64 exec, exec, s[2:3]
	s_mov_b64 s[2:3], -1
                                        ; implicit-def: $sgpr86_sgpr87
                                        ; implicit-def: $sgpr88_sgpr89
	s_and_saveexec_b64 s[8:9], s[6:7]
	s_xor_b64 s[6:7], exec, s[8:9]
	s_cbranch_execz .LBB75_233
; %bb.111:                              ;   in Loop: Header=BB75_6 Depth=1
	s_cmp_eq_u32 s5, 1
	s_cselect_b64 s[2:3], -1, 0
	v_cmp_eq_u32_e32 vcc, 1, v44
	s_and_b64 s[24:25], s[2:3], vcc
	s_mov_b64 s[2:3], -1
                                        ; implicit-def: $sgpr88_sgpr89
                                        ; implicit-def: $sgpr86_sgpr87
	s_and_saveexec_b64 s[34:35], s[24:25]
	s_cbranch_execz .LBB75_139
; %bb.112:                              ;   in Loop: Header=BB75_6 Depth=1
	ds_read_b32 v1, v15 offset:4096
	s_waitcnt lgkmcnt(0)
	s_barrier
	v_readfirstlane_b32 s42, v1
	s_mov_b64 s[2:3], exec
	v_readlane_b32 s8, v47, 34
	v_readlane_b32 s9, v47, 35
	s_and_b64 s[8:9], s[2:3], s[8:9]
	s_mov_b64 exec, s[8:9]
; %bb.113:                              ;   in Loop: Header=BB75_6 Depth=1
	v_mov_b32_e32 v14, v15
	ds_write_b64 v32, v[14:15]
; %bb.114:                              ;   in Loop: Header=BB75_6 Depth=1
	s_or_b64 exec, exec, s[2:3]
	s_lshl_b64 s[2:3], 1, s11
	v_and_b32_e32 v1, s85, v23
	v_and_b32_e32 v3, s84, v22
	v_or_b32_e32 v23, s3, v1
	v_or_b32_e32 v22, s2, v3
	;; [unrolled: 1-line block ×4, first 2 shown]
	s_mov_b64 s[86:87], -1
	s_mov_b64 s[88:89], 0
	s_cmp_eq_u32 s42, 0
	s_mov_b64 s[36:37], 0
	s_mov_b64 s[38:39], -1
	s_waitcnt lgkmcnt(0)
	s_barrier
                                        ; implicit-def: $vgpr9_vgpr10
	s_cbranch_scc1 .LBB75_126
; %bb.115:                              ;   in Loop: Header=BB75_6 Depth=1
	v_readlane_b32 s2, v47, 36
	s_add_i32 s2, s42, s2
	v_readlane_b32 s3, v47, 49
	s_mul_hi_u32 s3, s2, s3
	s_mul_i32 s3, s3, s54
	s_sub_i32 s3, s2, s3
	s_sub_i32 s8, s3, s54
	s_cmp_ge_u32 s3, s54
	s_cselect_b32 s3, s8, s3
	s_sub_i32 s8, s3, s54
	s_cmp_ge_u32 s3, s54
	s_cselect_b32 s3, s8, s3
	s_sub_i32 s43, s2, s3
	v_cmp_gt_u32_e32 vcc, s43, v0
	s_mov_b64 s[38:39], 0
                                        ; implicit-def: $vgpr9_vgpr10
	s_and_saveexec_b64 s[2:3], vcc
	s_cbranch_execz .LBB75_125
; %bb.116:                              ;   in Loop: Header=BB75_6 Depth=1
	s_mov_b64 s[16:17], 0
	v_mov_b32_e32 v14, v31
	v_mov_b32_e32 v45, v0
                                        ; implicit-def: $sgpr36_sgpr37
	s_branch .LBB75_120
.LBB75_117:                             ;   in Loop: Header=BB75_120 Depth=2
	s_or_b64 exec, exec, s[8:9]
	s_waitcnt lgkmcnt(0)
	s_barrier
	ds_read_b128 v[7:10], v15 offset:3072
	s_waitcnt lgkmcnt(0)
	s_barrier
	v_cmp_neq_f64_e32 vcc, 0, v[7:8]
	s_cbranch_vccnz .LBB75_123
; %bb.118:                              ;   in Loop: Header=BB75_120 Depth=2
	v_add_u32_e32 v45, s54, v45
	v_cmp_le_u32_e32 vcc, s43, v45
	v_add_u32_e32 v14, s10, v14
	s_mov_b64 s[8:9], 0
	s_orn2_b64 s[40:41], vcc, exec
.LBB75_119:                             ;   in Loop: Header=BB75_120 Depth=2
	s_and_b64 s[40:41], exec, s[40:41]
	s_or_b64 s[16:17], s[40:41], s[16:17]
	s_andn2_b64 s[36:37], s[36:37], exec
	s_and_b64 s[8:9], s[8:9], exec
	s_or_b64 s[36:37], s[36:37], s[8:9]
	s_andn2_b64 exec, exec, s[16:17]
	s_cbranch_execz .LBB75_124
.LBB75_120:                             ;   Parent Loop BB75_6 Depth=1
                                        ; =>  This Inner Loop Header: Depth=2
	v_cmp_gt_u32_e32 vcc, s42, v45
	s_and_saveexec_b64 s[8:9], vcc
	s_cbranch_execz .LBB75_117
; %bb.121:                              ;   in Loop: Header=BB75_120 Depth=2
	ds_read_b64 v[3:4], v14
	s_waitcnt lgkmcnt(0)
	v_cmp_o_f64_e32 vcc, v[3:4], v[3:4]
	v_ashrrev_i32_e32 v1, 31, v4
	v_or_b32_e32 v7, 0x80000000, v1
	v_xor_b32_e32 v7, v7, v4
	v_xor_b32_e32 v1, v1, v3
	v_cndmask_b32_e32 v7, -1, v7, vcc
	v_cndmask_b32_e32 v1, -1, v1, vcc
	v_and_b32_e32 v8, v7, v25
	v_and_b32_e32 v7, v1, v24
	v_cmp_eq_u64_e32 vcc, v[7:8], v[22:23]
	s_and_b64 exec, exec, vcc
	s_cbranch_execz .LBB75_117
; %bb.122:                              ;   in Loop: Header=BB75_120 Depth=2
	v_mov_b32_e32 v1, v15
	ds_write_b128 v15, v[1:4] offset:3072
	s_branch .LBB75_117
.LBB75_123:                             ;   in Loop: Header=BB75_120 Depth=2
	s_mov_b64 s[40:41], -1
                                        ; implicit-def: $vgpr45
                                        ; implicit-def: $vgpr14
	s_mov_b64 s[8:9], -1
	s_branch .LBB75_119
.LBB75_124:                             ;   in Loop: Header=BB75_6 Depth=1
	s_or_b64 exec, exec, s[16:17]
	s_and_b64 s[36:37], s[36:37], exec
.LBB75_125:                             ;   in Loop: Header=BB75_6 Depth=1
	s_or_b64 exec, exec, s[2:3]
.LBB75_126:                             ;   in Loop: Header=BB75_6 Depth=1
	s_and_b64 vcc, exec, s[38:39]
	s_cbranch_vccz .LBB75_138
; %bb.127:                              ;   in Loop: Header=BB75_6 Depth=1
                                        ; implicit-def: $vgpr9_vgpr10
	s_mov_b64 s[2:3], exec
	v_readlane_b32 s8, v47, 50
	v_readlane_b32 s9, v47, 51
	s_and_b64 s[8:9], s[2:3], s[8:9]
	s_mov_b64 exec, s[8:9]
	s_cbranch_execz .LBB75_137
; %bb.128:                              ;   in Loop: Header=BB75_6 Depth=1
	s_mov_b64 s[16:17], 0
	v_mov_b32_e32 v14, v13
	v_mov_b32_e32 v45, v0
                                        ; implicit-def: $sgpr38_sgpr39
	s_branch .LBB75_132
.LBB75_129:                             ;   in Loop: Header=BB75_132 Depth=2
	s_or_b64 exec, exec, s[8:9]
	s_waitcnt lgkmcnt(0)
	s_barrier
	ds_read_b128 v[7:10], v15 offset:3072
	s_waitcnt lgkmcnt(0)
	s_barrier
	v_cmp_eq_f64_e32 vcc, 0, v[7:8]
	s_cbranch_vccz .LBB75_135
; %bb.130:                              ;   in Loop: Header=BB75_132 Depth=2
	v_add_u32_e32 v45, s54, v45
	v_cmp_le_u32_e32 vcc, s12, v45
	v_add_u32_e32 v14, s55, v14
	s_mov_b64 s[8:9], 0
	s_orn2_b64 s[40:41], vcc, exec
.LBB75_131:                             ;   in Loop: Header=BB75_132 Depth=2
	s_and_b64 s[40:41], exec, s[40:41]
	s_or_b64 s[16:17], s[40:41], s[16:17]
	s_andn2_b64 s[38:39], s[38:39], exec
	s_and_b64 s[8:9], s[8:9], exec
	s_or_b64 s[38:39], s[38:39], s[8:9]
	s_andn2_b64 exec, exec, s[16:17]
	s_cbranch_execz .LBB75_136
.LBB75_132:                             ;   Parent Loop BB75_6 Depth=1
                                        ; =>  This Inner Loop Header: Depth=2
	v_cmp_gt_u32_e32 vcc, s28, v45
	s_and_saveexec_b64 s[8:9], vcc
	s_cbranch_execz .LBB75_129
; %bb.133:                              ;   in Loop: Header=BB75_132 Depth=2
	v_lshlrev_b64 v[3:4], 3, v[14:15]
	v_mov_b32_e32 v1, s48
	v_add_co_u32_e32 v3, vcc, s33, v3
	v_addc_co_u32_e32 v4, vcc, v1, v4, vcc
	global_load_dwordx2 v[3:4], v[3:4], off
	s_waitcnt vmcnt(0)
	v_cmp_o_f64_e32 vcc, v[3:4], v[3:4]
	v_ashrrev_i32_e32 v1, 31, v4
	v_or_b32_e32 v7, 0x80000000, v1
	v_xor_b32_e32 v7, v7, v4
	v_xor_b32_e32 v1, v1, v3
	v_cndmask_b32_e32 v7, -1, v7, vcc
	v_cndmask_b32_e32 v1, -1, v1, vcc
	v_and_b32_e32 v8, v7, v25
	v_and_b32_e32 v7, v1, v24
	v_cmp_eq_u64_e32 vcc, v[7:8], v[22:23]
	s_and_b64 exec, exec, vcc
	s_cbranch_execz .LBB75_129
; %bb.134:                              ;   in Loop: Header=BB75_132 Depth=2
	v_mov_b32_e32 v1, v15
	ds_write_b128 v15, v[1:4] offset:3072
	s_branch .LBB75_129
.LBB75_135:                             ;   in Loop: Header=BB75_132 Depth=2
	s_mov_b64 s[40:41], -1
                                        ; implicit-def: $vgpr45
	s_mov_b64 s[8:9], -1
	s_branch .LBB75_131
.LBB75_136:                             ;   in Loop: Header=BB75_6 Depth=1
	s_or_b64 exec, exec, s[16:17]
	s_andn2_b64 s[8:9], s[36:37], exec
	s_and_b64 s[16:17], s[38:39], exec
	s_or_b64 s[36:37], s[8:9], s[16:17]
.LBB75_137:                             ;   in Loop: Header=BB75_6 Depth=1
	s_or_b64 exec, exec, s[2:3]
	s_mov_b64 s[86:87], 0
	s_mov_b64 s[88:89], -1
.LBB75_138:                             ;   in Loop: Header=BB75_6 Depth=1
	s_orn2_b64 s[2:3], s[36:37], exec
.LBB75_139:                             ;   in Loop: Header=BB75_6 Depth=1
	s_or_b64 exec, exec, s[34:35]
	s_mov_b64 s[8:9], 0
	s_and_saveexec_b64 s[34:35], s[2:3]
	s_cbranch_execz .LBB75_232
; %bb.140:                              ;   in Loop: Header=BB75_6 Depth=1
	s_xor_b64 s[2:3], s[24:25], -1
	v_mov_b32_e32 v45, 1
	v_mov_b32_e32 v43, 1
	s_and_saveexec_b64 s[24:25], s[2:3]
	s_cbranch_execz .LBB75_149
; %bb.141:                              ;   in Loop: Header=BB75_6 Depth=1
	v_cmp_ge_u32_e32 vcc, s5, v44
	s_and_saveexec_b64 s[2:3], vcc
	s_xor_b64 s[2:3], exec, s[2:3]
	s_cbranch_execz .LBB75_146
; %bb.142:                              ;   in Loop: Header=BB75_6 Depth=1
	s_lshl_b64 s[8:9], 1, s11
	v_and_b32_e32 v1, s85, v23
	v_or_b32_e32 v23, s9, v1
	ds_read_b32 v1, v15 offset:4096
	v_and_b32_e32 v3, s84, v22
	v_or_b32_e32 v22, s8, v3
	v_or_b32_e32 v25, s23, v25
	;; [unrolled: 1-line block ×3, first 2 shown]
	s_waitcnt lgkmcnt(0)
	v_cmp_ne_u32_e32 vcc, 0, v1
	s_cbranch_vccnz .LBB75_146
; %bb.143:                              ;   in Loop: Header=BB75_6 Depth=1
	s_mov_b64 s[8:9], exec
	v_readlane_b32 s16, v47, 21
	v_readlane_b32 s17, v47, 22
	s_and_b64 s[16:17], s[8:9], s[16:17]
	s_mov_b64 exec, s[16:17]
; %bb.144:                              ;   in Loop: Header=BB75_6 Depth=1
	v_mov_b32_e32 v1, s5
	ds_write_b32 v15, v1 offset:4100
; %bb.145:                              ;   in Loop: Header=BB75_6 Depth=1
	s_or_b64 exec, exec, s[8:9]
	s_waitcnt lgkmcnt(0)
	s_barrier
.LBB75_146:                             ;   in Loop: Header=BB75_6 Depth=1
	s_or_saveexec_b64 s[2:3], s[2:3]
	s_mov_b64 s[8:9], 0
	v_mov_b32_e32 v43, 8
	s_xor_b64 exec, exec, s[2:3]
; %bb.147:                              ;   in Loop: Header=BB75_6 Depth=1
	s_mov_b64 s[8:9], exec
	v_subrev_u32_e32 v44, s5, v44
	v_mov_b32_e32 v43, 0
; %bb.148:                              ;   in Loop: Header=BB75_6 Depth=1
	s_or_b64 exec, exec, s[2:3]
	s_and_b64 s[8:9], s[8:9], exec
	v_mov_b32_e32 v45, v44
.LBB75_149:                             ;   in Loop: Header=BB75_6 Depth=1
	s_or_b64 exec, exec, s[24:25]
	s_mov_b64 s[2:3], -1
                                        ; implicit-def: $sgpr38_sgpr39
                                        ; implicit-def: $sgpr40_sgpr41
	s_and_saveexec_b64 s[36:37], s[8:9]
	s_cbranch_execz .LBB75_231
; %bb.150:                              ;   in Loop: Header=BB75_6 Depth=1
	s_cmp_eq_u32 s58, 1
	s_cselect_b64 s[2:3], -1, 0
	v_cmp_eq_u32_e32 vcc, 1, v45
	s_and_b64 s[24:25], s[2:3], vcc
	s_mov_b64 s[2:3], -1
                                        ; implicit-def: $sgpr40_sgpr41
                                        ; implicit-def: $sgpr38_sgpr39
	s_and_saveexec_b64 s[42:43], s[24:25]
	s_cbranch_execz .LBB75_178
; %bb.151:                              ;   in Loop: Header=BB75_6 Depth=1
	ds_read_b32 v1, v15 offset:4096
	s_waitcnt lgkmcnt(0)
	s_barrier
	v_readfirstlane_b32 s60, v1
	s_mov_b64 s[2:3], exec
	v_readlane_b32 s8, v47, 34
	v_readlane_b32 s9, v47, 35
	s_and_b64 s[8:9], s[2:3], s[8:9]
	s_mov_b64 exec, s[8:9]
; %bb.152:                              ;   in Loop: Header=BB75_6 Depth=1
	v_mov_b32_e32 v14, v15
	ds_write_b64 v32, v[14:15]
; %bb.153:                              ;   in Loop: Header=BB75_6 Depth=1
	s_or_b64 exec, exec, s[2:3]
	s_lshl_b64 s[2:3], 2, s11
	v_and_b32_e32 v1, s85, v23
	v_and_b32_e32 v3, s84, v22
	v_or_b32_e32 v23, s3, v1
	v_or_b32_e32 v22, s2, v3
	v_or_b32_e32 v25, s23, v25
	v_or_b32_e32 v24, s22, v24
	s_mov_b64 s[38:39], -1
	s_mov_b64 s[40:41], 0
	s_cmp_eq_u32 s60, 0
	s_mov_b64 s[44:45], 0
	s_mov_b64 s[46:47], -1
	s_waitcnt lgkmcnt(0)
	s_barrier
                                        ; implicit-def: $vgpr9_vgpr10
	s_cbranch_scc1 .LBB75_165
; %bb.154:                              ;   in Loop: Header=BB75_6 Depth=1
	v_readlane_b32 s2, v47, 36
	s_add_i32 s2, s60, s2
	v_readlane_b32 s3, v47, 49
	s_mul_hi_u32 s3, s2, s3
	s_mul_i32 s3, s3, s54
	s_sub_i32 s3, s2, s3
	s_sub_i32 s8, s3, s54
	s_cmp_ge_u32 s3, s54
	s_cselect_b32 s3, s8, s3
	s_sub_i32 s8, s3, s54
	s_cmp_ge_u32 s3, s54
	s_cselect_b32 s3, s8, s3
	s_sub_i32 s61, s2, s3
	v_cmp_gt_u32_e32 vcc, s61, v0
	s_mov_b64 s[46:47], 0
                                        ; implicit-def: $vgpr9_vgpr10
	s_and_saveexec_b64 s[2:3], vcc
	s_cbranch_execz .LBB75_164
; %bb.155:                              ;   in Loop: Header=BB75_6 Depth=1
	s_mov_b64 s[16:17], 0
	v_mov_b32_e32 v14, v31
	v_mov_b32_e32 v44, v0
                                        ; implicit-def: $sgpr44_sgpr45
	s_branch .LBB75_159
.LBB75_156:                             ;   in Loop: Header=BB75_159 Depth=2
	s_or_b64 exec, exec, s[8:9]
	s_waitcnt lgkmcnt(0)
	s_barrier
	ds_read_b128 v[7:10], v15 offset:3072
	s_waitcnt lgkmcnt(0)
	s_barrier
	v_cmp_neq_f64_e32 vcc, 0, v[7:8]
	s_cbranch_vccnz .LBB75_162
; %bb.157:                              ;   in Loop: Header=BB75_159 Depth=2
	v_add_u32_e32 v44, s54, v44
	v_cmp_le_u32_e32 vcc, s61, v44
	v_add_u32_e32 v14, s10, v14
	s_mov_b64 s[8:9], 0
	s_orn2_b64 s[52:53], vcc, exec
.LBB75_158:                             ;   in Loop: Header=BB75_159 Depth=2
	s_and_b64 s[52:53], exec, s[52:53]
	s_or_b64 s[16:17], s[52:53], s[16:17]
	s_andn2_b64 s[44:45], s[44:45], exec
	s_and_b64 s[8:9], s[8:9], exec
	s_or_b64 s[44:45], s[44:45], s[8:9]
	s_andn2_b64 exec, exec, s[16:17]
	s_cbranch_execz .LBB75_163
.LBB75_159:                             ;   Parent Loop BB75_6 Depth=1
                                        ; =>  This Inner Loop Header: Depth=2
	v_cmp_gt_u32_e32 vcc, s60, v44
	s_and_saveexec_b64 s[8:9], vcc
	s_cbranch_execz .LBB75_156
; %bb.160:                              ;   in Loop: Header=BB75_159 Depth=2
	ds_read_b64 v[3:4], v14
	s_waitcnt lgkmcnt(0)
	v_cmp_o_f64_e32 vcc, v[3:4], v[3:4]
	v_ashrrev_i32_e32 v1, 31, v4
	v_or_b32_e32 v7, 0x80000000, v1
	v_xor_b32_e32 v7, v7, v4
	v_xor_b32_e32 v1, v1, v3
	v_cndmask_b32_e32 v7, -1, v7, vcc
	v_cndmask_b32_e32 v1, -1, v1, vcc
	v_and_b32_e32 v8, v7, v25
	v_and_b32_e32 v7, v1, v24
	v_cmp_eq_u64_e32 vcc, v[7:8], v[22:23]
	s_and_b64 exec, exec, vcc
	s_cbranch_execz .LBB75_156
; %bb.161:                              ;   in Loop: Header=BB75_159 Depth=2
	v_mov_b32_e32 v1, v15
	ds_write_b128 v15, v[1:4] offset:3072
	s_branch .LBB75_156
.LBB75_162:                             ;   in Loop: Header=BB75_159 Depth=2
	s_mov_b64 s[52:53], -1
                                        ; implicit-def: $vgpr44
                                        ; implicit-def: $vgpr14
	s_mov_b64 s[8:9], -1
	s_branch .LBB75_158
.LBB75_163:                             ;   in Loop: Header=BB75_6 Depth=1
	s_or_b64 exec, exec, s[16:17]
	s_and_b64 s[44:45], s[44:45], exec
.LBB75_164:                             ;   in Loop: Header=BB75_6 Depth=1
	s_or_b64 exec, exec, s[2:3]
.LBB75_165:                             ;   in Loop: Header=BB75_6 Depth=1
	s_and_b64 vcc, exec, s[46:47]
	s_cbranch_vccz .LBB75_177
; %bb.166:                              ;   in Loop: Header=BB75_6 Depth=1
                                        ; implicit-def: $vgpr9_vgpr10
	s_mov_b64 s[2:3], exec
	v_readlane_b32 s8, v47, 50
	v_readlane_b32 s9, v47, 51
	s_and_b64 s[8:9], s[2:3], s[8:9]
	s_mov_b64 exec, s[8:9]
	s_cbranch_execz .LBB75_176
; %bb.167:                              ;   in Loop: Header=BB75_6 Depth=1
	s_mov_b64 s[16:17], 0
	v_mov_b32_e32 v14, v13
	v_mov_b32_e32 v44, v0
                                        ; implicit-def: $sgpr38_sgpr39
	s_branch .LBB75_171
.LBB75_168:                             ;   in Loop: Header=BB75_171 Depth=2
	s_or_b64 exec, exec, s[8:9]
	s_waitcnt lgkmcnt(0)
	s_barrier
	ds_read_b128 v[7:10], v15 offset:3072
	s_waitcnt lgkmcnt(0)
	s_barrier
	v_cmp_eq_f64_e32 vcc, 0, v[7:8]
	s_cbranch_vccz .LBB75_174
; %bb.169:                              ;   in Loop: Header=BB75_171 Depth=2
	v_add_u32_e32 v44, s54, v44
	v_cmp_le_u32_e32 vcc, s12, v44
	v_add_u32_e32 v14, s55, v14
	s_mov_b64 s[8:9], 0
	s_orn2_b64 s[40:41], vcc, exec
.LBB75_170:                             ;   in Loop: Header=BB75_171 Depth=2
	s_and_b64 s[40:41], exec, s[40:41]
	s_or_b64 s[16:17], s[40:41], s[16:17]
	s_andn2_b64 s[38:39], s[38:39], exec
	s_and_b64 s[8:9], s[8:9], exec
	s_or_b64 s[38:39], s[38:39], s[8:9]
	s_andn2_b64 exec, exec, s[16:17]
	s_cbranch_execz .LBB75_175
.LBB75_171:                             ;   Parent Loop BB75_6 Depth=1
                                        ; =>  This Inner Loop Header: Depth=2
	v_cmp_gt_u32_e32 vcc, s28, v44
	s_and_saveexec_b64 s[8:9], vcc
	s_cbranch_execz .LBB75_168
; %bb.172:                              ;   in Loop: Header=BB75_171 Depth=2
	v_lshlrev_b64 v[3:4], 3, v[14:15]
	v_mov_b32_e32 v1, s48
	v_add_co_u32_e32 v3, vcc, s33, v3
	v_addc_co_u32_e32 v4, vcc, v1, v4, vcc
	global_load_dwordx2 v[3:4], v[3:4], off
	s_waitcnt vmcnt(0)
	v_cmp_o_f64_e32 vcc, v[3:4], v[3:4]
	v_ashrrev_i32_e32 v1, 31, v4
	v_or_b32_e32 v7, 0x80000000, v1
	v_xor_b32_e32 v7, v7, v4
	v_xor_b32_e32 v1, v1, v3
	v_cndmask_b32_e32 v7, -1, v7, vcc
	v_cndmask_b32_e32 v1, -1, v1, vcc
	v_and_b32_e32 v8, v7, v25
	v_and_b32_e32 v7, v1, v24
	v_cmp_eq_u64_e32 vcc, v[7:8], v[22:23]
	s_and_b64 exec, exec, vcc
	s_cbranch_execz .LBB75_168
; %bb.173:                              ;   in Loop: Header=BB75_171 Depth=2
	v_mov_b32_e32 v1, v15
	ds_write_b128 v15, v[1:4] offset:3072
	s_branch .LBB75_168
.LBB75_174:                             ;   in Loop: Header=BB75_171 Depth=2
	s_mov_b64 s[40:41], -1
                                        ; implicit-def: $vgpr44
	s_mov_b64 s[8:9], -1
	s_branch .LBB75_170
.LBB75_175:                             ;   in Loop: Header=BB75_6 Depth=1
	s_or_b64 exec, exec, s[16:17]
	s_andn2_b64 s[8:9], s[44:45], exec
	s_and_b64 s[16:17], s[38:39], exec
	s_or_b64 s[44:45], s[8:9], s[16:17]
.LBB75_176:                             ;   in Loop: Header=BB75_6 Depth=1
	s_or_b64 exec, exec, s[2:3]
	s_mov_b64 s[38:39], 0
	s_mov_b64 s[40:41], -1
.LBB75_177:                             ;   in Loop: Header=BB75_6 Depth=1
	s_orn2_b64 s[2:3], s[44:45], exec
.LBB75_178:                             ;   in Loop: Header=BB75_6 Depth=1
	s_or_b64 exec, exec, s[42:43]
	s_mov_b64 s[8:9], 0
	s_and_saveexec_b64 s[42:43], s[2:3]
	s_cbranch_execz .LBB75_230
; %bb.179:                              ;   in Loop: Header=BB75_6 Depth=1
	s_xor_b64 s[2:3], s[24:25], -1
	v_mov_b32_e32 v44, 1
	v_mov_b32_e32 v43, 1
	s_and_saveexec_b64 s[24:25], s[2:3]
	s_cbranch_execz .LBB75_188
; %bb.180:                              ;   in Loop: Header=BB75_6 Depth=1
	v_cmp_ge_u32_e32 vcc, s58, v45
	s_and_saveexec_b64 s[2:3], vcc
	s_xor_b64 s[2:3], exec, s[2:3]
	s_cbranch_execz .LBB75_185
; %bb.181:                              ;   in Loop: Header=BB75_6 Depth=1
	s_lshl_b64 s[8:9], 2, s11
	v_and_b32_e32 v1, s85, v23
	v_or_b32_e32 v23, s9, v1
	ds_read_b32 v1, v15 offset:4096
	v_and_b32_e32 v3, s84, v22
	v_or_b32_e32 v22, s8, v3
	v_or_b32_e32 v25, s23, v25
	;; [unrolled: 1-line block ×3, first 2 shown]
	s_waitcnt lgkmcnt(0)
	v_cmp_ne_u32_e32 vcc, 0, v1
	s_cbranch_vccnz .LBB75_185
; %bb.182:                              ;   in Loop: Header=BB75_6 Depth=1
	s_mov_b64 s[8:9], exec
	v_readlane_b32 s16, v47, 21
	v_readlane_b32 s17, v47, 22
	s_and_b64 s[16:17], s[8:9], s[16:17]
	s_mov_b64 exec, s[16:17]
; %bb.183:                              ;   in Loop: Header=BB75_6 Depth=1
	v_mov_b32_e32 v1, s58
	ds_write_b32 v15, v1 offset:4100
; %bb.184:                              ;   in Loop: Header=BB75_6 Depth=1
	s_or_b64 exec, exec, s[8:9]
	s_waitcnt lgkmcnt(0)
	s_barrier
.LBB75_185:                             ;   in Loop: Header=BB75_6 Depth=1
	s_or_saveexec_b64 s[2:3], s[2:3]
	s_mov_b64 s[8:9], 0
	v_mov_b32_e32 v43, 8
	s_xor_b64 exec, exec, s[2:3]
; %bb.186:                              ;   in Loop: Header=BB75_6 Depth=1
	s_mov_b64 s[8:9], exec
	v_subrev_u32_e32 v45, s58, v45
	v_mov_b32_e32 v43, 0
; %bb.187:                              ;   in Loop: Header=BB75_6 Depth=1
	s_or_b64 exec, exec, s[2:3]
	s_and_b64 s[8:9], s[8:9], exec
	v_mov_b32_e32 v44, v45
.LBB75_188:                             ;   in Loop: Header=BB75_6 Depth=1
	s_or_b64 exec, exec, s[24:25]
	s_mov_b64 s[2:3], -1
                                        ; implicit-def: $sgpr46_sgpr47
                                        ; implicit-def: $sgpr60_sgpr61
	s_and_saveexec_b64 s[24:25], s[8:9]
	s_cbranch_execz .LBB75_229
; %bb.189:                              ;   in Loop: Header=BB75_6 Depth=1
	s_cmp_eq_u32 s59, 1
	s_cselect_b64 s[2:3], -1, 0
	v_cmp_eq_u32_e32 vcc, 1, v44
	s_and_b64 s[52:53], s[2:3], vcc
	s_mov_b64 s[8:9], -1
                                        ; implicit-def: $sgpr46_sgpr47
                                        ; implicit-def: $sgpr60_sgpr61
	s_and_saveexec_b64 s[44:45], s[52:53]
	s_cbranch_execz .LBB75_217
; %bb.190:                              ;   in Loop: Header=BB75_6 Depth=1
	ds_read_b32 v1, v15 offset:4096
	s_waitcnt lgkmcnt(0)
	s_barrier
	v_readfirstlane_b32 s16, v1
	s_mov_b64 s[2:3], exec
	v_readlane_b32 s8, v47, 34
	v_readlane_b32 s9, v47, 35
	s_and_b64 s[8:9], s[2:3], s[8:9]
	s_mov_b64 exec, s[8:9]
; %bb.191:                              ;   in Loop: Header=BB75_6 Depth=1
	v_mov_b32_e32 v14, v15
	ds_write_b64 v32, v[14:15]
; %bb.192:                              ;   in Loop: Header=BB75_6 Depth=1
	s_or_b64 exec, exec, s[2:3]
	s_mov_b64 s[2:3], -1
	v_writelane_b32 v47, s2, 52
	v_or_b32_e32 v23, s23, v23
	v_or_b32_e32 v22, s22, v22
	;; [unrolled: 1-line block ×4, first 2 shown]
	v_writelane_b32 v47, s3, 53
	s_mov_b64 s[46:47], 0
	s_cmp_eq_u32 s16, 0
	s_mov_b64 s[60:61], 0
	s_mov_b64 s[2:3], -1
	s_waitcnt lgkmcnt(0)
	s_barrier
                                        ; implicit-def: $vgpr9_vgpr10
	s_cbranch_scc1 .LBB75_204
; %bb.193:                              ;   in Loop: Header=BB75_6 Depth=1
	v_readlane_b32 s2, v47, 36
	s_add_i32 s2, s16, s2
	v_readlane_b32 s3, v47, 49
	s_mul_hi_u32 s3, s2, s3
	s_mul_i32 s3, s3, s54
	s_sub_i32 s3, s2, s3
	s_sub_i32 s8, s3, s54
	s_cmp_ge_u32 s3, s54
	s_cselect_b32 s3, s8, s3
	s_sub_i32 s8, s3, s54
	s_cmp_ge_u32 s3, s54
	s_cselect_b32 s3, s8, s3
	s_sub_i32 s17, s2, s3
	s_mov_b64 s[2:3], 0
	v_cmp_gt_u32_e32 vcc, s17, v0
                                        ; implicit-def: $vgpr9_vgpr10
	s_mov_b64 s[8:9], exec
	v_writelane_b32 v47, s8, 54
	v_writelane_b32 v47, s9, 55
	s_and_b64 s[8:9], s[8:9], vcc
	s_mov_b64 exec, s[8:9]
	s_cbranch_execz .LBB75_203
; %bb.194:                              ;   in Loop: Header=BB75_6 Depth=1
	v_writelane_b32 v47, s52, 56
	v_mov_b32_e32 v14, v31
	v_mov_b32_e32 v45, v0
	v_writelane_b32 v47, s53, 57
                                        ; implicit-def: $sgpr8_sgpr9
	s_branch .LBB75_198
.LBB75_195:                             ;   in Loop: Header=BB75_198 Depth=2
	s_or_b64 exec, exec, s[52:53]
	s_waitcnt lgkmcnt(0)
	s_barrier
	ds_read_b128 v[7:10], v15 offset:3072
	s_waitcnt lgkmcnt(0)
	s_barrier
	v_cmp_neq_f64_e32 vcc, 0, v[7:8]
	s_cbranch_vccnz .LBB75_201
; %bb.196:                              ;   in Loop: Header=BB75_198 Depth=2
	v_add_u32_e32 v45, s54, v45
	v_cmp_le_u32_e32 vcc, s17, v45
	v_add_u32_e32 v14, s10, v14
	s_mov_b64 s[52:53], 0
	s_orn2_b64 vcc, vcc, exec
.LBB75_197:                             ;   in Loop: Header=BB75_198 Depth=2
	s_and_b64 vcc, exec, vcc
	s_or_b64 s[60:61], vcc, s[60:61]
	s_andn2_b64 s[8:9], s[8:9], exec
	s_and_b64 s[52:53], s[52:53], exec
	s_or_b64 s[8:9], s[8:9], s[52:53]
	s_andn2_b64 exec, exec, s[60:61]
	s_cbranch_execz .LBB75_202
.LBB75_198:                             ;   Parent Loop BB75_6 Depth=1
                                        ; =>  This Inner Loop Header: Depth=2
	v_cmp_gt_u32_e32 vcc, s16, v45
	s_and_saveexec_b64 s[52:53], vcc
	s_cbranch_execz .LBB75_195
; %bb.199:                              ;   in Loop: Header=BB75_198 Depth=2
	ds_read_b64 v[3:4], v14
	s_waitcnt lgkmcnt(0)
	v_cmp_o_f64_e32 vcc, v[3:4], v[3:4]
	v_ashrrev_i32_e32 v1, 31, v4
	v_or_b32_e32 v7, 0x80000000, v1
	v_xor_b32_e32 v7, v7, v4
	v_xor_b32_e32 v1, v1, v3
	v_cndmask_b32_e32 v7, -1, v7, vcc
	v_cndmask_b32_e32 v1, -1, v1, vcc
	v_and_b32_e32 v8, v7, v25
	v_and_b32_e32 v7, v1, v24
	v_cmp_eq_u64_e32 vcc, v[7:8], v[22:23]
	s_and_b64 exec, exec, vcc
	s_cbranch_execz .LBB75_195
; %bb.200:                              ;   in Loop: Header=BB75_198 Depth=2
	v_mov_b32_e32 v1, v15
	ds_write_b128 v15, v[1:4] offset:3072
	s_branch .LBB75_195
.LBB75_201:                             ;   in Loop: Header=BB75_198 Depth=2
	s_mov_b64 vcc, -1
                                        ; implicit-def: $vgpr45
                                        ; implicit-def: $vgpr14
	s_mov_b64 s[52:53], -1
	s_branch .LBB75_197
.LBB75_202:                             ;   in Loop: Header=BB75_6 Depth=1
	s_or_b64 exec, exec, s[60:61]
	v_readlane_b32 s52, v47, 56
	s_and_b64 s[60:61], s[8:9], exec
	v_readlane_b32 s53, v47, 57
.LBB75_203:                             ;   in Loop: Header=BB75_6 Depth=1
	v_readlane_b32 s8, v47, 54
	v_readlane_b32 s9, v47, 55
	s_or_b64 exec, exec, s[8:9]
.LBB75_204:                             ;   in Loop: Header=BB75_6 Depth=1
	s_and_b64 vcc, exec, s[2:3]
	s_cbranch_vccz .LBB75_216
; %bb.205:                              ;   in Loop: Header=BB75_6 Depth=1
                                        ; implicit-def: $vgpr9_vgpr10
	s_mov_b64 s[2:3], exec
	v_readlane_b32 s8, v47, 50
	v_readlane_b32 s9, v47, 51
	s_and_b64 s[8:9], s[2:3], s[8:9]
	s_mov_b64 exec, s[8:9]
	s_cbranch_execz .LBB75_215
; %bb.206:                              ;   in Loop: Header=BB75_6 Depth=1
	v_writelane_b32 v47, s52, 56
	s_mov_b64 s[16:17], 0
	v_mov_b32_e32 v14, v13
	v_mov_b32_e32 v45, v0
	v_writelane_b32 v47, s53, 57
                                        ; implicit-def: $sgpr46_sgpr47
	s_branch .LBB75_210
.LBB75_207:                             ;   in Loop: Header=BB75_210 Depth=2
	s_or_b64 exec, exec, s[8:9]
	s_waitcnt lgkmcnt(0)
	s_barrier
	ds_read_b128 v[7:10], v15 offset:3072
	s_waitcnt lgkmcnt(0)
	s_barrier
	v_cmp_eq_f64_e32 vcc, 0, v[7:8]
	s_cbranch_vccz .LBB75_213
; %bb.208:                              ;   in Loop: Header=BB75_210 Depth=2
	v_add_u32_e32 v45, s54, v45
	v_cmp_le_u32_e32 vcc, s12, v45
	v_add_u32_e32 v14, s55, v14
	s_mov_b64 s[8:9], 0
	s_orn2_b64 s[52:53], vcc, exec
.LBB75_209:                             ;   in Loop: Header=BB75_210 Depth=2
	s_and_b64 s[52:53], exec, s[52:53]
	s_or_b64 s[16:17], s[52:53], s[16:17]
	s_andn2_b64 s[46:47], s[46:47], exec
	s_and_b64 s[8:9], s[8:9], exec
	s_or_b64 s[46:47], s[46:47], s[8:9]
	s_andn2_b64 exec, exec, s[16:17]
	s_cbranch_execz .LBB75_214
.LBB75_210:                             ;   Parent Loop BB75_6 Depth=1
                                        ; =>  This Inner Loop Header: Depth=2
	v_cmp_gt_u32_e32 vcc, s28, v45
	s_and_saveexec_b64 s[8:9], vcc
	s_cbranch_execz .LBB75_207
; %bb.211:                              ;   in Loop: Header=BB75_210 Depth=2
	v_lshlrev_b64 v[3:4], 3, v[14:15]
	v_mov_b32_e32 v1, s48
	v_add_co_u32_e32 v3, vcc, s33, v3
	v_addc_co_u32_e32 v4, vcc, v1, v4, vcc
	global_load_dwordx2 v[3:4], v[3:4], off
	s_waitcnt vmcnt(0)
	v_cmp_o_f64_e32 vcc, v[3:4], v[3:4]
	v_ashrrev_i32_e32 v1, 31, v4
	v_or_b32_e32 v7, 0x80000000, v1
	v_xor_b32_e32 v7, v7, v4
	v_xor_b32_e32 v1, v1, v3
	v_cndmask_b32_e32 v7, -1, v7, vcc
	v_cndmask_b32_e32 v1, -1, v1, vcc
	v_and_b32_e32 v8, v7, v25
	v_and_b32_e32 v7, v1, v24
	v_cmp_eq_u64_e32 vcc, v[7:8], v[22:23]
	s_and_b64 exec, exec, vcc
	s_cbranch_execz .LBB75_207
; %bb.212:                              ;   in Loop: Header=BB75_210 Depth=2
	v_mov_b32_e32 v1, v15
	ds_write_b128 v15, v[1:4] offset:3072
	s_branch .LBB75_207
.LBB75_213:                             ;   in Loop: Header=BB75_210 Depth=2
	s_mov_b64 s[52:53], -1
                                        ; implicit-def: $vgpr45
	s_mov_b64 s[8:9], -1
	s_branch .LBB75_209
.LBB75_214:                             ;   in Loop: Header=BB75_6 Depth=1
	s_or_b64 exec, exec, s[16:17]
	s_andn2_b64 s[8:9], s[60:61], exec
	s_and_b64 s[16:17], s[46:47], exec
	v_readlane_b32 s52, v47, 56
	s_or_b64 s[60:61], s[8:9], s[16:17]
	v_readlane_b32 s53, v47, 57
.LBB75_215:                             ;   in Loop: Header=BB75_6 Depth=1
	s_or_b64 exec, exec, s[2:3]
	s_mov_b64 s[2:3], 0
	v_writelane_b32 v47, s2, 52
	v_writelane_b32 v47, s3, 53
	s_mov_b64 s[46:47], -1
.LBB75_216:                             ;   in Loop: Header=BB75_6 Depth=1
	s_orn2_b64 s[8:9], s[60:61], exec
	v_readlane_b32 s60, v47, 52
	v_readlane_b32 s61, v47, 53
.LBB75_217:                             ;   in Loop: Header=BB75_6 Depth=1
	s_or_b64 exec, exec, s[44:45]
	s_mov_b64 s[16:17], 0
	s_and_saveexec_b64 s[2:3], s[8:9]
	s_cbranch_execz .LBB75_228
; %bb.218:                              ;   in Loop: Header=BB75_6 Depth=1
	s_xor_b64 s[16:17], s[52:53], -1
	v_mov_b32_e32 v43, 1
	v_mov_b32_e32 v1, 1
	s_and_saveexec_b64 s[8:9], s[16:17]
	s_cbranch_execz .LBB75_227
; %bb.219:                              ;   in Loop: Header=BB75_6 Depth=1
	v_cmp_ge_u32_e32 vcc, s59, v44
	s_and_saveexec_b64 s[16:17], vcc
	s_xor_b64 s[16:17], exec, s[16:17]
	s_cbranch_execz .LBB75_224
; %bb.220:                              ;   in Loop: Header=BB75_6 Depth=1
	ds_read_b32 v1, v15 offset:4096
	v_or_b32_e32 v23, s23, v23
	v_or_b32_e32 v22, s22, v22
	;; [unrolled: 1-line block ×4, first 2 shown]
	s_waitcnt lgkmcnt(0)
	v_cmp_ne_u32_e32 vcc, 0, v1
	s_cbranch_vccnz .LBB75_224
; %bb.221:                              ;   in Loop: Header=BB75_6 Depth=1
	s_mov_b64 s[52:53], exec
	v_readlane_b32 s44, v47, 21
	v_readlane_b32 s45, v47, 22
	s_and_b64 s[44:45], s[52:53], s[44:45]
	s_mov_b64 exec, s[44:45]
; %bb.222:                              ;   in Loop: Header=BB75_6 Depth=1
	v_mov_b32_e32 v1, s59
	ds_write_b32 v15, v1 offset:4100
; %bb.223:                              ;   in Loop: Header=BB75_6 Depth=1
	s_or_b64 exec, exec, s[52:53]
	s_waitcnt lgkmcnt(0)
	s_barrier
.LBB75_224:                             ;   in Loop: Header=BB75_6 Depth=1
	s_andn2_saveexec_b64 s[16:17], s[16:17]
; %bb.225:                              ;   in Loop: Header=BB75_6 Depth=1
	v_subrev_u32_e32 v44, s59, v44
; %bb.226:                              ;   in Loop: Header=BB75_6 Depth=1
	s_or_b64 exec, exec, s[16:17]
	v_mov_b32_e32 v43, 8
	v_mov_b32_e32 v1, v44
.LBB75_227:                             ;   in Loop: Header=BB75_6 Depth=1
	s_or_b64 exec, exec, s[8:9]
	s_mov_b64 s[16:17], exec
	v_mov_b32_e32 v44, v1
.LBB75_228:                             ;   in Loop: Header=BB75_6 Depth=1
	s_or_b64 exec, exec, s[2:3]
	s_orn2_b64 s[2:3], s[16:17], exec
.LBB75_229:                             ;   in Loop: Header=BB75_6 Depth=1
	s_or_b64 exec, exec, s[24:25]
	s_andn2_b64 s[8:9], s[40:41], exec
	s_and_b64 s[16:17], s[46:47], exec
	s_or_b64 s[40:41], s[8:9], s[16:17]
	s_andn2_b64 s[8:9], s[38:39], exec
	s_and_b64 s[16:17], s[60:61], exec
	s_or_b64 s[38:39], s[8:9], s[16:17]
	s_and_b64 s[8:9], s[2:3], exec
	v_mov_b32_e32 v45, v44
.LBB75_230:                             ;   in Loop: Header=BB75_6 Depth=1
	s_or_b64 exec, exec, s[42:43]
	s_orn2_b64 s[2:3], s[8:9], exec
.LBB75_231:                             ;   in Loop: Header=BB75_6 Depth=1
	s_or_b64 exec, exec, s[36:37]
	s_andn2_b64 s[8:9], s[88:89], exec
	s_and_b64 s[16:17], s[40:41], exec
	s_or_b64 s[88:89], s[8:9], s[16:17]
	s_andn2_b64 s[8:9], s[86:87], exec
	s_and_b64 s[16:17], s[38:39], exec
	s_or_b64 s[86:87], s[8:9], s[16:17]
	s_and_b64 s[8:9], s[2:3], exec
	v_mov_b32_e32 v44, v45
.LBB75_232:                             ;   in Loop: Header=BB75_6 Depth=1
	s_or_b64 exec, exec, s[34:35]
	s_orn2_b64 s[2:3], s[8:9], exec
.LBB75_233:                             ;   in Loop: Header=BB75_6 Depth=1
	s_or_b64 exec, exec, s[6:7]
	s_mov_b64 s[6:7], 0
	s_mov_b64 s[8:9], 0
	s_and_saveexec_b64 s[16:17], s[2:3]
	s_xor_b64 s[2:3], exec, s[16:17]
; %bb.234:                              ;   in Loop: Header=BB75_6 Depth=1
	v_cmp_eq_u32_e32 vcc, 8, v43
	v_cmp_ne_u32_e64 s[6:7], 8, v43
	s_and_b64 s[8:9], s[6:7], exec
	s_and_b64 s[6:7], vcc, exec
; %bb.235:                              ;   in Loop: Header=BB75_6 Depth=1
	s_or_b64 exec, exec, s[2:3]
	s_andn2_b64 s[2:3], s[92:93], exec
	s_and_b64 s[16:17], s[88:89], exec
	s_or_b64 s[92:93], s[2:3], s[16:17]
	s_andn2_b64 s[2:3], s[90:91], exec
	s_and_b64 s[16:17], s[86:87], exec
	s_or_b64 s[90:91], s[2:3], s[16:17]
	s_and_b64 s[86:87], s[8:9], exec
	s_and_b64 s[88:89], s[6:7], exec
.LBB75_236:                             ;   in Loop: Header=BB75_6 Depth=1
	s_or_b64 exec, exec, s[26:27]
.LBB75_237:                             ;   in Loop: Header=BB75_6 Depth=1
	s_and_b64 vcc, exec, s[94:95]
	s_cbranch_vccz .LBB75_251
; %bb.238:                              ;   in Loop: Header=BB75_6 Depth=1
	s_cmp_eq_u32 s59, 1
	s_cselect_b64 s[2:3], -1, 0
	s_and_b64 s[6:7], s[2:3], s[18:19]
	s_mov_b64 s[2:3], -1
                                        ; implicit-def: $sgpr18_sgpr19
                                        ; implicit-def: $sgpr20_sgpr21
	s_and_saveexec_b64 s[24:25], s[6:7]
	s_cbranch_execz .LBB75_267
; %bb.239:                              ;   in Loop: Header=BB75_6 Depth=1
	ds_read_b32 v1, v15 offset:4096
	s_waitcnt lgkmcnt(0)
	s_barrier
	v_readfirstlane_b32 s38, v1
	s_mov_b64 s[2:3], exec
	v_readlane_b32 s8, v47, 34
	v_readlane_b32 s9, v47, 35
	s_and_b64 s[8:9], s[2:3], s[8:9]
	s_mov_b64 exec, s[8:9]
; %bb.240:                              ;   in Loop: Header=BB75_6 Depth=1
	v_mov_b32_e32 v14, v15
	ds_write_b64 v32, v[14:15]
; %bb.241:                              ;   in Loop: Header=BB75_6 Depth=1
	s_or_b64 exec, exec, s[2:3]
	v_or_b32_e32 v19, s23, v19
	v_or_b32_e32 v18, s22, v18
	;; [unrolled: 1-line block ×4, first 2 shown]
	s_mov_b64 s[20:21], -1
	s_mov_b64 s[18:19], 0
	s_cmp_eq_u32 s38, 0
	s_mov_b64 s[26:27], 0
	s_mov_b64 s[2:3], -1
	s_waitcnt lgkmcnt(0)
	s_barrier
                                        ; implicit-def: $vgpr5_vgpr6
	s_cbranch_scc1 .LBB75_254
; %bb.242:                              ;   in Loop: Header=BB75_6 Depth=1
	v_readlane_b32 s2, v47, 36
	s_add_i32 s2, s38, s2
	v_readlane_b32 s3, v47, 49
	s_mul_hi_u32 s3, s2, s3
	s_mul_i32 s3, s3, s54
	s_sub_i32 s3, s2, s3
	s_sub_i32 s8, s3, s54
	s_cmp_ge_u32 s3, s54
	s_cselect_b32 s3, s8, s3
	s_sub_i32 s8, s3, s54
	s_cmp_ge_u32 s3, s54
	s_cselect_b32 s3, s8, s3
	s_sub_i32 s39, s2, s3
	v_cmp_gt_u32_e32 vcc, s39, v0
	s_mov_b64 s[2:3], 0
                                        ; implicit-def: $vgpr5_vgpr6
	s_and_saveexec_b64 s[34:35], vcc
	s_cbranch_execz .LBB75_253
; %bb.243:                              ;   in Loop: Header=BB75_6 Depth=1
	s_mov_b64 s[16:17], 0
	v_mov_b32_e32 v7, v31
	v_mov_b32_e32 v8, v0
                                        ; implicit-def: $sgpr26_sgpr27
	s_branch .LBB75_247
.LBB75_244:                             ;   in Loop: Header=BB75_247 Depth=2
	s_or_b64 exec, exec, s[8:9]
	s_waitcnt lgkmcnt(0)
	s_barrier
	ds_read_b128 v[3:6], v15 offset:3072
	s_waitcnt lgkmcnt(0)
	s_barrier
	v_cmp_neq_f64_e32 vcc, 0, v[3:4]
	s_cbranch_vccnz .LBB75_250
; %bb.245:                              ;   in Loop: Header=BB75_247 Depth=2
	v_add_u32_e32 v8, s54, v8
	v_cmp_le_u32_e32 vcc, s39, v8
	v_add_u32_e32 v7, s10, v7
	s_mov_b64 s[8:9], 0
	s_orn2_b64 s[36:37], vcc, exec
.LBB75_246:                             ;   in Loop: Header=BB75_247 Depth=2
	s_and_b64 s[36:37], exec, s[36:37]
	s_or_b64 s[16:17], s[36:37], s[16:17]
	s_andn2_b64 s[26:27], s[26:27], exec
	s_and_b64 s[8:9], s[8:9], exec
	s_or_b64 s[26:27], s[26:27], s[8:9]
	s_andn2_b64 exec, exec, s[16:17]
	s_cbranch_execz .LBB75_252
.LBB75_247:                             ;   Parent Loop BB75_6 Depth=1
                                        ; =>  This Inner Loop Header: Depth=2
	v_cmp_gt_u32_e32 vcc, s38, v8
	s_and_saveexec_b64 s[8:9], vcc
	s_cbranch_execz .LBB75_244
; %bb.248:                              ;   in Loop: Header=BB75_247 Depth=2
	ds_read_b64 v[3:4], v7
	s_waitcnt lgkmcnt(0)
	v_cmp_o_f64_e32 vcc, v[3:4], v[3:4]
	v_ashrrev_i32_e32 v1, 31, v4
	v_or_b32_e32 v5, 0x80000000, v1
	v_xor_b32_e32 v5, v5, v4
	v_xor_b32_e32 v1, v1, v3
	v_cndmask_b32_e32 v5, -1, v5, vcc
	v_cndmask_b32_e32 v1, -1, v1, vcc
	v_and_b32_e32 v6, v5, v21
	v_and_b32_e32 v5, v1, v20
	v_cmp_eq_u64_e32 vcc, v[5:6], v[18:19]
	s_and_b64 exec, exec, vcc
	s_cbranch_execz .LBB75_244
; %bb.249:                              ;   in Loop: Header=BB75_247 Depth=2
	v_mov_b32_e32 v1, v15
	ds_write_b128 v15, v[1:4] offset:3072
	s_branch .LBB75_244
.LBB75_250:                             ;   in Loop: Header=BB75_247 Depth=2
	s_mov_b64 s[36:37], -1
                                        ; implicit-def: $vgpr8
                                        ; implicit-def: $vgpr7
	s_mov_b64 s[8:9], -1
	s_branch .LBB75_246
.LBB75_251:                             ;   in Loop: Header=BB75_6 Depth=1
	v_mov_b32_e32 v18, v22
	v_mov_b32_e32 v20, v24
	;; [unrolled: 1-line block ×3, first 2 shown]
	s_mov_b64 s[18:19], 0
	v_mov_b32_e32 v19, v23
	v_mov_b32_e32 v21, v25
	;; [unrolled: 1-line block ×3, first 2 shown]
	s_and_saveexec_b64 s[2:3], s[88:89]
	s_cbranch_execnz .LBB75_404
	s_branch .LBB75_405
.LBB75_252:                             ;   in Loop: Header=BB75_6 Depth=1
	s_or_b64 exec, exec, s[16:17]
	s_and_b64 s[26:27], s[26:27], exec
.LBB75_253:                             ;   in Loop: Header=BB75_6 Depth=1
	s_or_b64 exec, exec, s[34:35]
.LBB75_254:                             ;   in Loop: Header=BB75_6 Depth=1
	s_and_b64 vcc, exec, s[2:3]
	s_cbranch_vccz .LBB75_266
; %bb.255:                              ;   in Loop: Header=BB75_6 Depth=1
                                        ; implicit-def: $vgpr5_vgpr6
	s_mov_b64 s[2:3], exec
	v_readlane_b32 s8, v47, 50
	v_readlane_b32 s9, v47, 51
	s_and_b64 s[8:9], s[2:3], s[8:9]
	s_mov_b64 exec, s[8:9]
	s_cbranch_execz .LBB75_265
; %bb.256:                              ;   in Loop: Header=BB75_6 Depth=1
	s_mov_b64 s[18:19], 0
	v_mov_b32_e32 v14, v13
	v_mov_b32_e32 v7, v0
                                        ; implicit-def: $sgpr16_sgpr17
	s_branch .LBB75_260
.LBB75_257:                             ;   in Loop: Header=BB75_260 Depth=2
	s_or_b64 exec, exec, s[8:9]
	s_waitcnt lgkmcnt(0)
	s_barrier
	ds_read_b128 v[3:6], v15 offset:3072
	s_waitcnt lgkmcnt(0)
	s_barrier
	v_cmp_neq_f64_e32 vcc, 0, v[3:4]
	s_cbranch_vccnz .LBB75_263
; %bb.258:                              ;   in Loop: Header=BB75_260 Depth=2
	v_add_u32_e32 v7, s54, v7
	v_cmp_le_u32_e32 vcc, s12, v7
	v_add_u32_e32 v14, s55, v14
	s_mov_b64 s[8:9], 0
	s_orn2_b64 s[20:21], vcc, exec
.LBB75_259:                             ;   in Loop: Header=BB75_260 Depth=2
	s_and_b64 s[20:21], exec, s[20:21]
	s_or_b64 s[18:19], s[20:21], s[18:19]
	s_andn2_b64 s[16:17], s[16:17], exec
	s_and_b64 s[8:9], s[8:9], exec
	s_or_b64 s[16:17], s[16:17], s[8:9]
	s_andn2_b64 exec, exec, s[18:19]
	s_cbranch_execz .LBB75_264
.LBB75_260:                             ;   Parent Loop BB75_6 Depth=1
                                        ; =>  This Inner Loop Header: Depth=2
	v_cmp_gt_u32_e32 vcc, s28, v7
	s_and_saveexec_b64 s[8:9], vcc
	s_cbranch_execz .LBB75_257
; %bb.261:                              ;   in Loop: Header=BB75_260 Depth=2
	v_lshlrev_b64 v[3:4], 3, v[14:15]
	v_mov_b32_e32 v1, s48
	v_add_co_u32_e32 v3, vcc, s33, v3
	v_addc_co_u32_e32 v4, vcc, v1, v4, vcc
	global_load_dwordx2 v[3:4], v[3:4], off
	s_waitcnt vmcnt(0)
	v_cmp_o_f64_e32 vcc, v[3:4], v[3:4]
	v_ashrrev_i32_e32 v1, 31, v4
	v_or_b32_e32 v5, 0x80000000, v1
	v_xor_b32_e32 v5, v5, v4
	v_xor_b32_e32 v1, v1, v3
	v_cndmask_b32_e32 v5, -1, v5, vcc
	v_cndmask_b32_e32 v1, -1, v1, vcc
	v_and_b32_e32 v6, v5, v21
	v_and_b32_e32 v5, v1, v20
	v_cmp_eq_u64_e32 vcc, v[5:6], v[18:19]
	s_and_b64 exec, exec, vcc
	s_cbranch_execz .LBB75_257
; %bb.262:                              ;   in Loop: Header=BB75_260 Depth=2
	v_mov_b32_e32 v1, v15
	ds_write_b128 v15, v[1:4] offset:3072
	s_branch .LBB75_257
.LBB75_263:                             ;   in Loop: Header=BB75_260 Depth=2
	s_mov_b64 s[20:21], -1
                                        ; implicit-def: $vgpr7
	s_mov_b64 s[8:9], -1
	s_branch .LBB75_259
.LBB75_264:                             ;   in Loop: Header=BB75_6 Depth=1
	s_or_b64 exec, exec, s[18:19]
	s_andn2_b64 s[8:9], s[26:27], exec
	s_and_b64 s[16:17], s[16:17], exec
	s_or_b64 s[26:27], s[8:9], s[16:17]
.LBB75_265:                             ;   in Loop: Header=BB75_6 Depth=1
	s_or_b64 exec, exec, s[2:3]
	s_mov_b64 s[20:21], 0
	s_mov_b64 s[18:19], -1
.LBB75_266:                             ;   in Loop: Header=BB75_6 Depth=1
	s_orn2_b64 s[2:3], s[26:27], exec
.LBB75_267:                             ;   in Loop: Header=BB75_6 Depth=1
	s_or_b64 exec, exec, s[24:25]
                                        ; implicit-def: $vgpr44
                                        ; implicit-def: $vgpr43
	s_and_saveexec_b64 s[90:91], s[2:3]
	s_cbranch_execz .LBB75_403
; %bb.268:                              ;   in Loop: Header=BB75_6 Depth=1
	s_xor_b64 s[8:9], s[6:7], -1
	s_mov_b64 s[6:7], 0
	v_mov_b32_e32 v44, 1
	v_mov_b32_e32 v43, 1
	s_and_saveexec_b64 s[2:3], s[8:9]
	s_cbranch_execz .LBB75_277
; %bb.269:                              ;   in Loop: Header=BB75_6 Depth=1
	v_cmp_ge_u32_e32 vcc, s59, v42
	s_and_saveexec_b64 s[6:7], vcc
	s_xor_b64 s[6:7], exec, s[6:7]
	s_cbranch_execz .LBB75_274
; %bb.270:                              ;   in Loop: Header=BB75_6 Depth=1
	ds_read_b32 v1, v15 offset:4096
	v_or_b32_e32 v19, s23, v19
	v_or_b32_e32 v18, s22, v18
	;; [unrolled: 1-line block ×4, first 2 shown]
	s_waitcnt lgkmcnt(0)
	v_cmp_ne_u32_e32 vcc, 0, v1
	s_cbranch_vccnz .LBB75_274
; %bb.271:                              ;   in Loop: Header=BB75_6 Depth=1
	s_mov_b64 s[8:9], exec
	v_readlane_b32 s16, v47, 21
	v_readlane_b32 s17, v47, 22
	s_and_b64 s[16:17], s[8:9], s[16:17]
	s_mov_b64 exec, s[16:17]
; %bb.272:                              ;   in Loop: Header=BB75_6 Depth=1
	v_mov_b32_e32 v1, s59
	ds_write_b32 v15, v1 offset:4100
; %bb.273:                              ;   in Loop: Header=BB75_6 Depth=1
	s_or_b64 exec, exec, s[8:9]
	s_waitcnt lgkmcnt(0)
	s_barrier
.LBB75_274:                             ;   in Loop: Header=BB75_6 Depth=1
	s_or_saveexec_b64 s[6:7], s[6:7]
	s_mov_b64 s[8:9], 0
	v_mov_b32_e32 v43, 5
	s_xor_b64 exec, exec, s[6:7]
; %bb.275:                              ;   in Loop: Header=BB75_6 Depth=1
	v_subrev_u32_e32 v42, s59, v42
	v_mov_b32_e32 v43, 0
	s_mov_b64 s[8:9], exec
; %bb.276:                              ;   in Loop: Header=BB75_6 Depth=1
	s_or_b64 exec, exec, s[6:7]
	s_and_b64 s[6:7], s[8:9], exec
	v_mov_b32_e32 v44, v42
.LBB75_277:                             ;   in Loop: Header=BB75_6 Depth=1
	s_or_b64 exec, exec, s[2:3]
	s_mov_b64 s[2:3], -1
                                        ; implicit-def: $sgpr26_sgpr27
                                        ; implicit-def: $sgpr92_sgpr93
	s_and_saveexec_b64 s[8:9], s[6:7]
	s_xor_b64 s[6:7], exec, s[8:9]
	s_cbranch_execz .LBB75_400
; %bb.278:                              ;   in Loop: Header=BB75_6 Depth=1
	s_cmp_eq_u32 s58, 1
	s_cselect_b64 s[2:3], -1, 0
	v_cmp_eq_u32_e32 vcc, 1, v44
	s_and_b64 s[24:25], s[2:3], vcc
	s_mov_b64 s[2:3], -1
                                        ; implicit-def: $sgpr92_sgpr93
                                        ; implicit-def: $sgpr26_sgpr27
	s_and_saveexec_b64 s[34:35], s[24:25]
	s_cbranch_execz .LBB75_306
; %bb.279:                              ;   in Loop: Header=BB75_6 Depth=1
	ds_read_b32 v1, v15 offset:4096
	s_waitcnt lgkmcnt(0)
	s_barrier
	v_readfirstlane_b32 s42, v1
	s_mov_b64 s[2:3], exec
	v_readlane_b32 s8, v47, 34
	v_readlane_b32 s9, v47, 35
	s_and_b64 s[8:9], s[2:3], s[8:9]
	s_mov_b64 exec, s[8:9]
; %bb.280:                              ;   in Loop: Header=BB75_6 Depth=1
	v_mov_b32_e32 v14, v15
	ds_write_b64 v32, v[14:15]
; %bb.281:                              ;   in Loop: Header=BB75_6 Depth=1
	s_or_b64 exec, exec, s[2:3]
	s_lshl_b64 s[2:3], 2, s11
	v_and_b32_e32 v1, s85, v19
	v_and_b32_e32 v3, s84, v18
	v_or_b32_e32 v19, s3, v1
	v_or_b32_e32 v18, s2, v3
	;; [unrolled: 1-line block ×4, first 2 shown]
	s_mov_b64 s[26:27], -1
	s_mov_b64 s[92:93], 0
	s_cmp_eq_u32 s42, 0
	s_mov_b64 s[36:37], 0
	s_mov_b64 s[2:3], -1
	s_waitcnt lgkmcnt(0)
	s_barrier
                                        ; implicit-def: $vgpr5_vgpr6
	s_cbranch_scc1 .LBB75_293
; %bb.282:                              ;   in Loop: Header=BB75_6 Depth=1
	v_readlane_b32 s2, v47, 36
	s_add_i32 s2, s42, s2
	v_readlane_b32 s3, v47, 49
	s_mul_hi_u32 s3, s2, s3
	s_mul_i32 s3, s3, s54
	s_sub_i32 s3, s2, s3
	s_sub_i32 s8, s3, s54
	s_cmp_ge_u32 s3, s54
	s_cselect_b32 s3, s8, s3
	s_sub_i32 s8, s3, s54
	s_cmp_ge_u32 s3, s54
	s_cselect_b32 s3, s8, s3
	s_sub_i32 s43, s2, s3
	v_cmp_gt_u32_e32 vcc, s43, v0
	s_mov_b64 s[2:3], 0
                                        ; implicit-def: $vgpr5_vgpr6
	s_and_saveexec_b64 s[38:39], vcc
	s_cbranch_execz .LBB75_292
; %bb.283:                              ;   in Loop: Header=BB75_6 Depth=1
	s_mov_b64 s[16:17], 0
	v_mov_b32_e32 v7, v31
	v_mov_b32_e32 v8, v0
                                        ; implicit-def: $sgpr36_sgpr37
	s_branch .LBB75_287
.LBB75_284:                             ;   in Loop: Header=BB75_287 Depth=2
	s_or_b64 exec, exec, s[8:9]
	s_waitcnt lgkmcnt(0)
	s_barrier
	ds_read_b128 v[3:6], v15 offset:3072
	s_waitcnt lgkmcnt(0)
	s_barrier
	v_cmp_neq_f64_e32 vcc, 0, v[3:4]
	s_cbranch_vccnz .LBB75_290
; %bb.285:                              ;   in Loop: Header=BB75_287 Depth=2
	v_add_u32_e32 v8, s54, v8
	v_cmp_le_u32_e32 vcc, s43, v8
	v_add_u32_e32 v7, s10, v7
	s_mov_b64 s[8:9], 0
	s_orn2_b64 s[40:41], vcc, exec
.LBB75_286:                             ;   in Loop: Header=BB75_287 Depth=2
	s_and_b64 s[40:41], exec, s[40:41]
	s_or_b64 s[16:17], s[40:41], s[16:17]
	s_andn2_b64 s[36:37], s[36:37], exec
	s_and_b64 s[8:9], s[8:9], exec
	s_or_b64 s[36:37], s[36:37], s[8:9]
	s_andn2_b64 exec, exec, s[16:17]
	s_cbranch_execz .LBB75_291
.LBB75_287:                             ;   Parent Loop BB75_6 Depth=1
                                        ; =>  This Inner Loop Header: Depth=2
	v_cmp_gt_u32_e32 vcc, s42, v8
	s_and_saveexec_b64 s[8:9], vcc
	s_cbranch_execz .LBB75_284
; %bb.288:                              ;   in Loop: Header=BB75_287 Depth=2
	ds_read_b64 v[3:4], v7
	s_waitcnt lgkmcnt(0)
	v_cmp_o_f64_e32 vcc, v[3:4], v[3:4]
	v_ashrrev_i32_e32 v1, 31, v4
	v_or_b32_e32 v5, 0x80000000, v1
	v_xor_b32_e32 v5, v5, v4
	v_xor_b32_e32 v1, v1, v3
	v_cndmask_b32_e32 v5, -1, v5, vcc
	v_cndmask_b32_e32 v1, -1, v1, vcc
	v_and_b32_e32 v6, v5, v21
	v_and_b32_e32 v5, v1, v20
	v_cmp_eq_u64_e32 vcc, v[5:6], v[18:19]
	s_and_b64 exec, exec, vcc
	s_cbranch_execz .LBB75_284
; %bb.289:                              ;   in Loop: Header=BB75_287 Depth=2
	v_mov_b32_e32 v1, v15
	ds_write_b128 v15, v[1:4] offset:3072
	s_branch .LBB75_284
.LBB75_290:                             ;   in Loop: Header=BB75_287 Depth=2
	s_mov_b64 s[40:41], -1
                                        ; implicit-def: $vgpr8
                                        ; implicit-def: $vgpr7
	s_mov_b64 s[8:9], -1
	s_branch .LBB75_286
.LBB75_291:                             ;   in Loop: Header=BB75_6 Depth=1
	s_or_b64 exec, exec, s[16:17]
	s_and_b64 s[36:37], s[36:37], exec
.LBB75_292:                             ;   in Loop: Header=BB75_6 Depth=1
	s_or_b64 exec, exec, s[38:39]
.LBB75_293:                             ;   in Loop: Header=BB75_6 Depth=1
	s_and_b64 vcc, exec, s[2:3]
	s_cbranch_vccz .LBB75_305
; %bb.294:                              ;   in Loop: Header=BB75_6 Depth=1
                                        ; implicit-def: $vgpr5_vgpr6
	s_mov_b64 s[2:3], exec
	v_readlane_b32 s8, v47, 50
	v_readlane_b32 s9, v47, 51
	s_and_b64 s[8:9], s[2:3], s[8:9]
	s_mov_b64 exec, s[8:9]
	s_cbranch_execz .LBB75_304
; %bb.295:                              ;   in Loop: Header=BB75_6 Depth=1
	s_mov_b64 s[16:17], 0
	v_mov_b32_e32 v14, v13
	v_mov_b32_e32 v7, v0
                                        ; implicit-def: $sgpr26_sgpr27
	s_branch .LBB75_299
.LBB75_296:                             ;   in Loop: Header=BB75_299 Depth=2
	s_or_b64 exec, exec, s[8:9]
	s_waitcnt lgkmcnt(0)
	s_barrier
	ds_read_b128 v[3:6], v15 offset:3072
	s_waitcnt lgkmcnt(0)
	s_barrier
	v_cmp_eq_f64_e32 vcc, 0, v[3:4]
	s_cbranch_vccz .LBB75_302
; %bb.297:                              ;   in Loop: Header=BB75_299 Depth=2
	v_add_u32_e32 v7, s54, v7
	v_cmp_le_u32_e32 vcc, s12, v7
	v_add_u32_e32 v14, s55, v14
	s_mov_b64 s[8:9], 0
	s_orn2_b64 s[38:39], vcc, exec
.LBB75_298:                             ;   in Loop: Header=BB75_299 Depth=2
	s_and_b64 s[38:39], exec, s[38:39]
	s_or_b64 s[16:17], s[38:39], s[16:17]
	s_andn2_b64 s[26:27], s[26:27], exec
	s_and_b64 s[8:9], s[8:9], exec
	s_or_b64 s[26:27], s[26:27], s[8:9]
	s_andn2_b64 exec, exec, s[16:17]
	s_cbranch_execz .LBB75_303
.LBB75_299:                             ;   Parent Loop BB75_6 Depth=1
                                        ; =>  This Inner Loop Header: Depth=2
	v_cmp_gt_u32_e32 vcc, s28, v7
	s_and_saveexec_b64 s[8:9], vcc
	s_cbranch_execz .LBB75_296
; %bb.300:                              ;   in Loop: Header=BB75_299 Depth=2
	v_lshlrev_b64 v[3:4], 3, v[14:15]
	v_mov_b32_e32 v1, s48
	v_add_co_u32_e32 v3, vcc, s33, v3
	v_addc_co_u32_e32 v4, vcc, v1, v4, vcc
	global_load_dwordx2 v[3:4], v[3:4], off
	s_waitcnt vmcnt(0)
	v_cmp_o_f64_e32 vcc, v[3:4], v[3:4]
	v_ashrrev_i32_e32 v1, 31, v4
	v_or_b32_e32 v5, 0x80000000, v1
	v_xor_b32_e32 v5, v5, v4
	v_xor_b32_e32 v1, v1, v3
	v_cndmask_b32_e32 v5, -1, v5, vcc
	v_cndmask_b32_e32 v1, -1, v1, vcc
	v_and_b32_e32 v6, v5, v21
	v_and_b32_e32 v5, v1, v20
	v_cmp_eq_u64_e32 vcc, v[5:6], v[18:19]
	s_and_b64 exec, exec, vcc
	s_cbranch_execz .LBB75_296
; %bb.301:                              ;   in Loop: Header=BB75_299 Depth=2
	v_mov_b32_e32 v1, v15
	ds_write_b128 v15, v[1:4] offset:3072
	s_branch .LBB75_296
.LBB75_302:                             ;   in Loop: Header=BB75_299 Depth=2
	s_mov_b64 s[38:39], -1
                                        ; implicit-def: $vgpr7
	s_mov_b64 s[8:9], -1
	s_branch .LBB75_298
.LBB75_303:                             ;   in Loop: Header=BB75_6 Depth=1
	s_or_b64 exec, exec, s[16:17]
	s_andn2_b64 s[8:9], s[36:37], exec
	s_and_b64 s[16:17], s[26:27], exec
	s_or_b64 s[36:37], s[8:9], s[16:17]
.LBB75_304:                             ;   in Loop: Header=BB75_6 Depth=1
	s_or_b64 exec, exec, s[2:3]
	s_mov_b64 s[26:27], 0
	s_mov_b64 s[92:93], -1
.LBB75_305:                             ;   in Loop: Header=BB75_6 Depth=1
	s_orn2_b64 s[2:3], s[36:37], exec
.LBB75_306:                             ;   in Loop: Header=BB75_6 Depth=1
	s_or_b64 exec, exec, s[34:35]
	s_mov_b64 s[8:9], 0
	s_and_saveexec_b64 s[94:95], s[2:3]
	s_cbranch_execz .LBB75_399
; %bb.307:                              ;   in Loop: Header=BB75_6 Depth=1
	s_xor_b64 s[2:3], s[24:25], -1
	v_mov_b32_e32 v7, 1
	v_mov_b32_e32 v43, 1
	s_and_saveexec_b64 s[24:25], s[2:3]
	s_cbranch_execz .LBB75_316
; %bb.308:                              ;   in Loop: Header=BB75_6 Depth=1
	v_cmp_ge_u32_e32 vcc, s58, v44
	s_and_saveexec_b64 s[2:3], vcc
	s_xor_b64 s[2:3], exec, s[2:3]
	s_cbranch_execz .LBB75_313
; %bb.309:                              ;   in Loop: Header=BB75_6 Depth=1
	s_lshl_b64 s[8:9], 2, s11
	v_and_b32_e32 v1, s85, v19
	v_or_b32_e32 v19, s9, v1
	ds_read_b32 v1, v15 offset:4096
	v_and_b32_e32 v3, s84, v18
	v_or_b32_e32 v18, s8, v3
	v_or_b32_e32 v21, s23, v21
	;; [unrolled: 1-line block ×3, first 2 shown]
	s_waitcnt lgkmcnt(0)
	v_cmp_ne_u32_e32 vcc, 0, v1
	s_cbranch_vccnz .LBB75_313
; %bb.310:                              ;   in Loop: Header=BB75_6 Depth=1
	s_mov_b64 s[8:9], exec
	v_readlane_b32 s16, v47, 21
	v_readlane_b32 s17, v47, 22
	s_and_b64 s[16:17], s[8:9], s[16:17]
	s_mov_b64 exec, s[16:17]
; %bb.311:                              ;   in Loop: Header=BB75_6 Depth=1
	v_mov_b32_e32 v1, s58
	ds_write_b32 v15, v1 offset:4100
; %bb.312:                              ;   in Loop: Header=BB75_6 Depth=1
	s_or_b64 exec, exec, s[8:9]
	s_waitcnt lgkmcnt(0)
	s_barrier
.LBB75_313:                             ;   in Loop: Header=BB75_6 Depth=1
	s_or_saveexec_b64 s[2:3], s[2:3]
	s_mov_b64 s[8:9], 0
	v_mov_b32_e32 v43, 5
	s_xor_b64 exec, exec, s[2:3]
; %bb.314:                              ;   in Loop: Header=BB75_6 Depth=1
	v_subrev_u32_e32 v44, s58, v44
	v_mov_b32_e32 v43, 0
	s_mov_b64 s[8:9], exec
; %bb.315:                              ;   in Loop: Header=BB75_6 Depth=1
	s_or_b64 exec, exec, s[2:3]
	s_and_b64 s[8:9], s[8:9], exec
	v_mov_b32_e32 v7, v44
.LBB75_316:                             ;   in Loop: Header=BB75_6 Depth=1
	s_or_b64 exec, exec, s[24:25]
	s_mov_b64 s[2:3], -1
                                        ; implicit-def: $sgpr36_sgpr37
                                        ; implicit-def: $sgpr38_sgpr39
	s_and_saveexec_b64 s[34:35], s[8:9]
	s_cbranch_execz .LBB75_398
; %bb.317:                              ;   in Loop: Header=BB75_6 Depth=1
	s_cmp_eq_u32 s5, 1
	s_cselect_b64 s[2:3], -1, 0
	v_cmp_eq_u32_e32 vcc, 1, v7
	s_and_b64 s[24:25], s[2:3], vcc
	s_mov_b64 s[2:3], -1
                                        ; implicit-def: $sgpr38_sgpr39
                                        ; implicit-def: $sgpr36_sgpr37
	s_and_saveexec_b64 s[40:41], s[24:25]
	s_cbranch_execz .LBB75_345
; %bb.318:                              ;   in Loop: Header=BB75_6 Depth=1
	ds_read_b32 v1, v15 offset:4096
	s_waitcnt lgkmcnt(0)
	s_barrier
	v_readfirstlane_b32 s52, v1
	s_mov_b64 s[2:3], exec
	v_readlane_b32 s8, v47, 34
	v_readlane_b32 s9, v47, 35
	s_and_b64 s[8:9], s[2:3], s[8:9]
	s_mov_b64 exec, s[8:9]
; %bb.319:                              ;   in Loop: Header=BB75_6 Depth=1
	v_mov_b32_e32 v14, v15
	ds_write_b64 v32, v[14:15]
; %bb.320:                              ;   in Loop: Header=BB75_6 Depth=1
	s_or_b64 exec, exec, s[2:3]
	s_lshl_b64 s[2:3], 1, s11
	v_and_b32_e32 v1, s85, v19
	v_and_b32_e32 v3, s84, v18
	v_or_b32_e32 v19, s3, v1
	v_or_b32_e32 v18, s2, v3
	;; [unrolled: 1-line block ×4, first 2 shown]
	s_mov_b64 s[36:37], -1
	s_mov_b64 s[38:39], 0
	s_cmp_eq_u32 s52, 0
	s_mov_b64 s[42:43], 0
	s_mov_b64 s[2:3], -1
	s_waitcnt lgkmcnt(0)
	s_barrier
                                        ; implicit-def: $vgpr5_vgpr6
	s_cbranch_scc1 .LBB75_332
; %bb.321:                              ;   in Loop: Header=BB75_6 Depth=1
	v_readlane_b32 s2, v47, 36
	s_add_i32 s2, s52, s2
	v_readlane_b32 s3, v47, 49
	s_mul_hi_u32 s3, s2, s3
	s_mul_i32 s3, s3, s54
	s_sub_i32 s3, s2, s3
	s_sub_i32 s8, s3, s54
	s_cmp_ge_u32 s3, s54
	s_cselect_b32 s3, s8, s3
	s_sub_i32 s8, s3, s54
	s_cmp_ge_u32 s3, s54
	s_cselect_b32 s3, s8, s3
	s_sub_i32 s53, s2, s3
	v_cmp_gt_u32_e32 vcc, s53, v0
	s_mov_b64 s[2:3], 0
                                        ; implicit-def: $vgpr5_vgpr6
	s_and_saveexec_b64 s[44:45], vcc
	s_cbranch_execz .LBB75_331
; %bb.322:                              ;   in Loop: Header=BB75_6 Depth=1
	s_mov_b64 s[16:17], 0
	v_mov_b32_e32 v8, v31
	v_mov_b32_e32 v9, v0
                                        ; implicit-def: $sgpr42_sgpr43
	s_branch .LBB75_326
.LBB75_323:                             ;   in Loop: Header=BB75_326 Depth=2
	s_or_b64 exec, exec, s[8:9]
	s_waitcnt lgkmcnt(0)
	s_barrier
	ds_read_b128 v[3:6], v15 offset:3072
	s_waitcnt lgkmcnt(0)
	s_barrier
	v_cmp_neq_f64_e32 vcc, 0, v[3:4]
	s_cbranch_vccnz .LBB75_329
; %bb.324:                              ;   in Loop: Header=BB75_326 Depth=2
	v_add_u32_e32 v9, s54, v9
	v_cmp_le_u32_e32 vcc, s53, v9
	v_add_u32_e32 v8, s10, v8
	s_mov_b64 s[8:9], 0
	s_orn2_b64 s[46:47], vcc, exec
.LBB75_325:                             ;   in Loop: Header=BB75_326 Depth=2
	s_and_b64 s[46:47], exec, s[46:47]
	s_or_b64 s[16:17], s[46:47], s[16:17]
	s_andn2_b64 s[42:43], s[42:43], exec
	s_and_b64 s[8:9], s[8:9], exec
	s_or_b64 s[42:43], s[42:43], s[8:9]
	s_andn2_b64 exec, exec, s[16:17]
	s_cbranch_execz .LBB75_330
.LBB75_326:                             ;   Parent Loop BB75_6 Depth=1
                                        ; =>  This Inner Loop Header: Depth=2
	v_cmp_gt_u32_e32 vcc, s52, v9
	s_and_saveexec_b64 s[8:9], vcc
	s_cbranch_execz .LBB75_323
; %bb.327:                              ;   in Loop: Header=BB75_326 Depth=2
	ds_read_b64 v[3:4], v8
	s_waitcnt lgkmcnt(0)
	v_cmp_o_f64_e32 vcc, v[3:4], v[3:4]
	v_ashrrev_i32_e32 v1, 31, v4
	v_or_b32_e32 v5, 0x80000000, v1
	v_xor_b32_e32 v5, v5, v4
	v_xor_b32_e32 v1, v1, v3
	v_cndmask_b32_e32 v5, -1, v5, vcc
	v_cndmask_b32_e32 v1, -1, v1, vcc
	v_and_b32_e32 v6, v5, v21
	v_and_b32_e32 v5, v1, v20
	v_cmp_eq_u64_e32 vcc, v[5:6], v[18:19]
	s_and_b64 exec, exec, vcc
	s_cbranch_execz .LBB75_323
; %bb.328:                              ;   in Loop: Header=BB75_326 Depth=2
	v_mov_b32_e32 v1, v15
	ds_write_b128 v15, v[1:4] offset:3072
	s_branch .LBB75_323
.LBB75_329:                             ;   in Loop: Header=BB75_326 Depth=2
	s_mov_b64 s[46:47], -1
                                        ; implicit-def: $vgpr9
                                        ; implicit-def: $vgpr8
	s_mov_b64 s[8:9], -1
	s_branch .LBB75_325
.LBB75_330:                             ;   in Loop: Header=BB75_6 Depth=1
	s_or_b64 exec, exec, s[16:17]
	s_and_b64 s[42:43], s[42:43], exec
.LBB75_331:                             ;   in Loop: Header=BB75_6 Depth=1
	s_or_b64 exec, exec, s[44:45]
.LBB75_332:                             ;   in Loop: Header=BB75_6 Depth=1
	s_and_b64 vcc, exec, s[2:3]
	s_cbranch_vccz .LBB75_344
; %bb.333:                              ;   in Loop: Header=BB75_6 Depth=1
                                        ; implicit-def: $vgpr5_vgpr6
	s_mov_b64 s[2:3], exec
	v_readlane_b32 s8, v47, 50
	v_readlane_b32 s9, v47, 51
	s_and_b64 s[8:9], s[2:3], s[8:9]
	s_mov_b64 exec, s[8:9]
	s_cbranch_execz .LBB75_343
; %bb.334:                              ;   in Loop: Header=BB75_6 Depth=1
	s_mov_b64 s[16:17], 0
	v_mov_b32_e32 v14, v13
	v_mov_b32_e32 v8, v0
                                        ; implicit-def: $sgpr36_sgpr37
	s_branch .LBB75_338
.LBB75_335:                             ;   in Loop: Header=BB75_338 Depth=2
	s_or_b64 exec, exec, s[8:9]
	s_waitcnt lgkmcnt(0)
	s_barrier
	ds_read_b128 v[3:6], v15 offset:3072
	s_waitcnt lgkmcnt(0)
	s_barrier
	v_cmp_eq_f64_e32 vcc, 0, v[3:4]
	s_cbranch_vccz .LBB75_341
; %bb.336:                              ;   in Loop: Header=BB75_338 Depth=2
	v_add_u32_e32 v8, s54, v8
	v_cmp_le_u32_e32 vcc, s12, v8
	v_add_u32_e32 v14, s55, v14
	s_mov_b64 s[8:9], 0
	s_orn2_b64 s[38:39], vcc, exec
.LBB75_337:                             ;   in Loop: Header=BB75_338 Depth=2
	s_and_b64 s[38:39], exec, s[38:39]
	s_or_b64 s[16:17], s[38:39], s[16:17]
	s_andn2_b64 s[36:37], s[36:37], exec
	s_and_b64 s[8:9], s[8:9], exec
	s_or_b64 s[36:37], s[36:37], s[8:9]
	s_andn2_b64 exec, exec, s[16:17]
	s_cbranch_execz .LBB75_342
.LBB75_338:                             ;   Parent Loop BB75_6 Depth=1
                                        ; =>  This Inner Loop Header: Depth=2
	v_cmp_gt_u32_e32 vcc, s28, v8
	s_and_saveexec_b64 s[8:9], vcc
	s_cbranch_execz .LBB75_335
; %bb.339:                              ;   in Loop: Header=BB75_338 Depth=2
	v_lshlrev_b64 v[3:4], 3, v[14:15]
	v_mov_b32_e32 v1, s48
	v_add_co_u32_e32 v3, vcc, s33, v3
	v_addc_co_u32_e32 v4, vcc, v1, v4, vcc
	global_load_dwordx2 v[3:4], v[3:4], off
	s_waitcnt vmcnt(0)
	v_cmp_o_f64_e32 vcc, v[3:4], v[3:4]
	v_ashrrev_i32_e32 v1, 31, v4
	v_or_b32_e32 v5, 0x80000000, v1
	v_xor_b32_e32 v5, v5, v4
	v_xor_b32_e32 v1, v1, v3
	v_cndmask_b32_e32 v5, -1, v5, vcc
	v_cndmask_b32_e32 v1, -1, v1, vcc
	v_and_b32_e32 v6, v5, v21
	v_and_b32_e32 v5, v1, v20
	v_cmp_eq_u64_e32 vcc, v[5:6], v[18:19]
	s_and_b64 exec, exec, vcc
	s_cbranch_execz .LBB75_335
; %bb.340:                              ;   in Loop: Header=BB75_338 Depth=2
	v_mov_b32_e32 v1, v15
	ds_write_b128 v15, v[1:4] offset:3072
	s_branch .LBB75_335
.LBB75_341:                             ;   in Loop: Header=BB75_338 Depth=2
	s_mov_b64 s[38:39], -1
                                        ; implicit-def: $vgpr8
	s_mov_b64 s[8:9], -1
	s_branch .LBB75_337
.LBB75_342:                             ;   in Loop: Header=BB75_6 Depth=1
	s_or_b64 exec, exec, s[16:17]
	s_andn2_b64 s[8:9], s[42:43], exec
	s_and_b64 s[16:17], s[36:37], exec
	s_or_b64 s[42:43], s[8:9], s[16:17]
.LBB75_343:                             ;   in Loop: Header=BB75_6 Depth=1
	s_or_b64 exec, exec, s[2:3]
	s_mov_b64 s[36:37], 0
	s_mov_b64 s[38:39], -1
.LBB75_344:                             ;   in Loop: Header=BB75_6 Depth=1
	s_orn2_b64 s[2:3], s[42:43], exec
.LBB75_345:                             ;   in Loop: Header=BB75_6 Depth=1
	s_or_b64 exec, exec, s[40:41]
	s_mov_b64 s[8:9], 0
	s_and_saveexec_b64 s[40:41], s[2:3]
	s_cbranch_execz .LBB75_397
; %bb.346:                              ;   in Loop: Header=BB75_6 Depth=1
	s_xor_b64 s[2:3], s[24:25], -1
	v_mov_b32_e32 v8, 1
	v_mov_b32_e32 v43, 1
	s_and_saveexec_b64 s[24:25], s[2:3]
	s_cbranch_execz .LBB75_355
; %bb.347:                              ;   in Loop: Header=BB75_6 Depth=1
	v_cmp_ge_u32_e32 vcc, s5, v7
	s_and_saveexec_b64 s[2:3], vcc
	s_xor_b64 s[2:3], exec, s[2:3]
	s_cbranch_execz .LBB75_352
; %bb.348:                              ;   in Loop: Header=BB75_6 Depth=1
	s_lshl_b64 s[8:9], 1, s11
	v_and_b32_e32 v1, s85, v19
	v_or_b32_e32 v19, s9, v1
	ds_read_b32 v1, v15 offset:4096
	v_and_b32_e32 v3, s84, v18
	v_or_b32_e32 v18, s8, v3
	v_or_b32_e32 v21, s23, v21
	;; [unrolled: 1-line block ×3, first 2 shown]
	s_waitcnt lgkmcnt(0)
	v_cmp_ne_u32_e32 vcc, 0, v1
	s_cbranch_vccnz .LBB75_352
; %bb.349:                              ;   in Loop: Header=BB75_6 Depth=1
	s_mov_b64 s[8:9], exec
	v_readlane_b32 s16, v47, 21
	v_readlane_b32 s17, v47, 22
	s_and_b64 s[16:17], s[8:9], s[16:17]
	s_mov_b64 exec, s[16:17]
; %bb.350:                              ;   in Loop: Header=BB75_6 Depth=1
	v_mov_b32_e32 v1, s5
	ds_write_b32 v15, v1 offset:4100
; %bb.351:                              ;   in Loop: Header=BB75_6 Depth=1
	s_or_b64 exec, exec, s[8:9]
	s_waitcnt lgkmcnt(0)
	s_barrier
.LBB75_352:                             ;   in Loop: Header=BB75_6 Depth=1
	s_or_saveexec_b64 s[2:3], s[2:3]
	s_mov_b64 s[8:9], 0
	v_mov_b32_e32 v43, 5
	s_xor_b64 exec, exec, s[2:3]
; %bb.353:                              ;   in Loop: Header=BB75_6 Depth=1
	v_subrev_u32_e32 v7, s5, v7
	v_mov_b32_e32 v43, 0
	s_mov_b64 s[8:9], exec
; %bb.354:                              ;   in Loop: Header=BB75_6 Depth=1
	s_or_b64 exec, exec, s[2:3]
	s_and_b64 s[8:9], s[8:9], exec
	v_mov_b32_e32 v8, v7
.LBB75_355:                             ;   in Loop: Header=BB75_6 Depth=1
	s_or_b64 exec, exec, s[24:25]
	s_mov_b64 s[2:3], -1
                                        ; implicit-def: $sgpr46_sgpr47
                                        ; implicit-def: $sgpr44_sgpr45
	s_and_saveexec_b64 s[42:43], s[8:9]
	s_cbranch_execz .LBB75_396
; %bb.356:                              ;   in Loop: Header=BB75_6 Depth=1
	s_cmp_eq_u32 s4, 1
	s_cselect_b64 s[2:3], -1, 0
	v_cmp_eq_u32_e32 vcc, 1, v8
	s_and_b64 s[52:53], s[2:3], vcc
	s_mov_b64 s[8:9], -1
                                        ; implicit-def: $sgpr46_sgpr47
                                        ; implicit-def: $sgpr44_sgpr45
	s_and_saveexec_b64 s[24:25], s[52:53]
	s_cbranch_execz .LBB75_384
; %bb.357:                              ;   in Loop: Header=BB75_6 Depth=1
	ds_read_b32 v1, v15 offset:4096
	s_waitcnt lgkmcnt(0)
	s_barrier
	v_readfirstlane_b32 s5, v1
	s_mov_b64 s[2:3], exec
	v_readlane_b32 s8, v47, 34
	v_readlane_b32 s9, v47, 35
	s_and_b64 s[8:9], s[2:3], s[8:9]
	s_mov_b64 exec, s[8:9]
; %bb.358:                              ;   in Loop: Header=BB75_6 Depth=1
	v_mov_b32_e32 v14, v15
	ds_write_b64 v32, v[14:15]
; %bb.359:                              ;   in Loop: Header=BB75_6 Depth=1
	s_or_b64 exec, exec, s[2:3]
	v_and_b32_e32 v19, s85, v19
	v_and_b32_e32 v18, s84, v18
	v_or_b32_e32 v21, s23, v21
	v_or_b32_e32 v20, s22, v20
	s_mov_b64 s[44:45], -1
	s_mov_b64 s[46:47], 0
	s_cmp_eq_u32 s5, 0
	s_mov_b64 s[58:59], 0
	s_mov_b64 s[2:3], -1
	s_waitcnt lgkmcnt(0)
	s_barrier
                                        ; implicit-def: $vgpr5_vgpr6
	s_cbranch_scc1 .LBB75_371
; %bb.360:                              ;   in Loop: Header=BB75_6 Depth=1
	v_readlane_b32 s2, v47, 36
	s_add_i32 s2, s5, s2
	v_readlane_b32 s3, v47, 49
	s_mul_hi_u32 s3, s2, s3
	s_mul_i32 s3, s3, s54
	s_sub_i32 s3, s2, s3
	s_sub_i32 s8, s3, s54
	s_cmp_ge_u32 s3, s54
	s_cselect_b32 s3, s8, s3
	s_sub_i32 s8, s3, s54
	s_cmp_ge_u32 s3, s54
	s_cselect_b32 s3, s8, s3
	s_sub_i32 s60, s2, s3
	s_mov_b64 s[2:3], 0
	v_cmp_gt_u32_e32 vcc, s60, v0
                                        ; implicit-def: $vgpr5_vgpr6
	s_mov_b64 s[8:9], exec
	v_writelane_b32 v47, s8, 52
	v_writelane_b32 v47, s9, 53
	s_and_b64 s[8:9], s[8:9], vcc
	s_mov_b64 exec, s[8:9]
	s_cbranch_execz .LBB75_370
; %bb.361:                              ;   in Loop: Header=BB75_6 Depth=1
	v_writelane_b32 v47, s52, 54
	s_mov_b64 s[16:17], 0
	v_mov_b32_e32 v7, v31
	v_mov_b32_e32 v9, v0
	v_writelane_b32 v47, s53, 55
                                        ; implicit-def: $sgpr58_sgpr59
	s_branch .LBB75_365
.LBB75_362:                             ;   in Loop: Header=BB75_365 Depth=2
	s_or_b64 exec, exec, s[8:9]
	s_waitcnt lgkmcnt(0)
	s_barrier
	ds_read_b128 v[3:6], v15 offset:3072
	s_waitcnt lgkmcnt(0)
	s_barrier
	v_cmp_neq_f64_e32 vcc, 0, v[3:4]
	s_cbranch_vccnz .LBB75_368
; %bb.363:                              ;   in Loop: Header=BB75_365 Depth=2
	v_add_u32_e32 v9, s54, v9
	v_cmp_le_u32_e32 vcc, s60, v9
	v_add_u32_e32 v7, s10, v7
	s_mov_b64 s[8:9], 0
	s_orn2_b64 s[52:53], vcc, exec
.LBB75_364:                             ;   in Loop: Header=BB75_365 Depth=2
	s_and_b64 s[52:53], exec, s[52:53]
	s_or_b64 s[16:17], s[52:53], s[16:17]
	s_andn2_b64 s[52:53], s[58:59], exec
	s_and_b64 s[8:9], s[8:9], exec
	s_or_b64 s[58:59], s[52:53], s[8:9]
	s_andn2_b64 exec, exec, s[16:17]
	s_cbranch_execz .LBB75_369
.LBB75_365:                             ;   Parent Loop BB75_6 Depth=1
                                        ; =>  This Inner Loop Header: Depth=2
	v_cmp_gt_u32_e32 vcc, s5, v9
	s_and_saveexec_b64 s[8:9], vcc
	s_cbranch_execz .LBB75_362
; %bb.366:                              ;   in Loop: Header=BB75_365 Depth=2
	ds_read_b64 v[3:4], v7
	s_waitcnt lgkmcnt(0)
	v_cmp_o_f64_e32 vcc, v[3:4], v[3:4]
	v_ashrrev_i32_e32 v1, 31, v4
	v_or_b32_e32 v5, 0x80000000, v1
	v_xor_b32_e32 v5, v5, v4
	v_xor_b32_e32 v1, v1, v3
	v_cndmask_b32_e32 v5, -1, v5, vcc
	v_cndmask_b32_e32 v1, -1, v1, vcc
	v_and_b32_e32 v6, v5, v21
	v_and_b32_e32 v5, v1, v20
	v_cmp_eq_u64_e32 vcc, v[5:6], v[18:19]
	s_and_b64 exec, exec, vcc
	s_cbranch_execz .LBB75_362
; %bb.367:                              ;   in Loop: Header=BB75_365 Depth=2
	v_mov_b32_e32 v1, v15
	ds_write_b128 v15, v[1:4] offset:3072
	s_branch .LBB75_362
.LBB75_368:                             ;   in Loop: Header=BB75_365 Depth=2
	s_mov_b64 s[52:53], -1
                                        ; implicit-def: $vgpr9
                                        ; implicit-def: $vgpr7
	s_mov_b64 s[8:9], -1
	s_branch .LBB75_364
.LBB75_369:                             ;   in Loop: Header=BB75_6 Depth=1
	s_or_b64 exec, exec, s[16:17]
	v_readlane_b32 s52, v47, 54
	s_and_b64 s[58:59], s[58:59], exec
	v_readlane_b32 s53, v47, 55
.LBB75_370:                             ;   in Loop: Header=BB75_6 Depth=1
	v_readlane_b32 s8, v47, 52
	v_readlane_b32 s9, v47, 53
	s_or_b64 exec, exec, s[8:9]
.LBB75_371:                             ;   in Loop: Header=BB75_6 Depth=1
	s_and_b64 vcc, exec, s[2:3]
	s_cbranch_vccz .LBB75_383
; %bb.372:                              ;   in Loop: Header=BB75_6 Depth=1
                                        ; implicit-def: $vgpr5_vgpr6
	s_mov_b64 s[2:3], exec
	v_readlane_b32 s8, v47, 50
	v_readlane_b32 s9, v47, 51
	s_and_b64 s[8:9], s[2:3], s[8:9]
	s_mov_b64 exec, s[8:9]
	s_cbranch_execz .LBB75_382
; %bb.373:                              ;   in Loop: Header=BB75_6 Depth=1
	s_mov_b64 s[16:17], 0
	v_mov_b32_e32 v14, v13
	v_mov_b32_e32 v7, v0
                                        ; implicit-def: $sgpr44_sgpr45
	s_branch .LBB75_377
.LBB75_374:                             ;   in Loop: Header=BB75_377 Depth=2
	s_or_b64 exec, exec, s[8:9]
	s_waitcnt lgkmcnt(0)
	s_barrier
	ds_read_b128 v[3:6], v15 offset:3072
	s_waitcnt lgkmcnt(0)
	s_barrier
	v_cmp_eq_f64_e32 vcc, 0, v[3:4]
	s_cbranch_vccz .LBB75_380
; %bb.375:                              ;   in Loop: Header=BB75_377 Depth=2
	v_add_u32_e32 v7, s54, v7
	v_cmp_le_u32_e32 vcc, s12, v7
	v_add_u32_e32 v14, s55, v14
	s_mov_b64 s[8:9], 0
	s_orn2_b64 s[46:47], vcc, exec
.LBB75_376:                             ;   in Loop: Header=BB75_377 Depth=2
	s_and_b64 s[46:47], exec, s[46:47]
	s_or_b64 s[16:17], s[46:47], s[16:17]
	s_andn2_b64 s[44:45], s[44:45], exec
	s_and_b64 s[8:9], s[8:9], exec
	s_or_b64 s[44:45], s[44:45], s[8:9]
	s_andn2_b64 exec, exec, s[16:17]
	s_cbranch_execz .LBB75_381
.LBB75_377:                             ;   Parent Loop BB75_6 Depth=1
                                        ; =>  This Inner Loop Header: Depth=2
	v_cmp_gt_u32_e32 vcc, s28, v7
	s_and_saveexec_b64 s[8:9], vcc
	s_cbranch_execz .LBB75_374
; %bb.378:                              ;   in Loop: Header=BB75_377 Depth=2
	v_lshlrev_b64 v[3:4], 3, v[14:15]
	v_mov_b32_e32 v1, s48
	v_add_co_u32_e32 v3, vcc, s33, v3
	v_addc_co_u32_e32 v4, vcc, v1, v4, vcc
	global_load_dwordx2 v[3:4], v[3:4], off
	s_waitcnt vmcnt(0)
	v_cmp_o_f64_e32 vcc, v[3:4], v[3:4]
	v_ashrrev_i32_e32 v1, 31, v4
	v_or_b32_e32 v5, 0x80000000, v1
	v_xor_b32_e32 v5, v5, v4
	v_xor_b32_e32 v1, v1, v3
	v_cndmask_b32_e32 v5, -1, v5, vcc
	v_cndmask_b32_e32 v1, -1, v1, vcc
	v_and_b32_e32 v6, v5, v21
	v_and_b32_e32 v5, v1, v20
	v_cmp_eq_u64_e32 vcc, v[5:6], v[18:19]
	s_and_b64 exec, exec, vcc
	s_cbranch_execz .LBB75_374
; %bb.379:                              ;   in Loop: Header=BB75_377 Depth=2
	v_mov_b32_e32 v1, v15
	ds_write_b128 v15, v[1:4] offset:3072
	s_branch .LBB75_374
.LBB75_380:                             ;   in Loop: Header=BB75_377 Depth=2
	s_mov_b64 s[46:47], -1
                                        ; implicit-def: $vgpr7
	s_mov_b64 s[8:9], -1
	s_branch .LBB75_376
.LBB75_381:                             ;   in Loop: Header=BB75_6 Depth=1
	s_or_b64 exec, exec, s[16:17]
	s_andn2_b64 s[8:9], s[58:59], exec
	s_and_b64 s[16:17], s[44:45], exec
	s_or_b64 s[58:59], s[8:9], s[16:17]
.LBB75_382:                             ;   in Loop: Header=BB75_6 Depth=1
	s_or_b64 exec, exec, s[2:3]
	s_mov_b64 s[44:45], 0
	s_mov_b64 s[46:47], -1
.LBB75_383:                             ;   in Loop: Header=BB75_6 Depth=1
	s_orn2_b64 s[8:9], s[58:59], exec
.LBB75_384:                             ;   in Loop: Header=BB75_6 Depth=1
	s_or_b64 exec, exec, s[24:25]
	s_mov_b64 s[16:17], 0
	s_and_saveexec_b64 s[2:3], s[8:9]
	s_cbranch_execz .LBB75_395
; %bb.385:                              ;   in Loop: Header=BB75_6 Depth=1
	s_xor_b64 s[16:17], s[52:53], -1
	v_mov_b32_e32 v43, 1
	v_mov_b32_e32 v1, 1
	s_and_saveexec_b64 s[8:9], s[16:17]
	s_cbranch_execz .LBB75_394
; %bb.386:                              ;   in Loop: Header=BB75_6 Depth=1
	v_cmp_ge_u32_e32 vcc, s4, v8
	s_and_saveexec_b64 s[16:17], vcc
	s_xor_b64 s[16:17], exec, s[16:17]
	s_cbranch_execz .LBB75_391
; %bb.387:                              ;   in Loop: Header=BB75_6 Depth=1
	ds_read_b32 v1, v15 offset:4096
	v_and_b32_e32 v19, s85, v19
	v_and_b32_e32 v18, s84, v18
	v_or_b32_e32 v21, s23, v21
	v_or_b32_e32 v20, s22, v20
	s_waitcnt lgkmcnt(0)
	v_cmp_ne_u32_e32 vcc, 0, v1
	s_cbranch_vccnz .LBB75_391
; %bb.388:                              ;   in Loop: Header=BB75_6 Depth=1
	s_mov_b64 s[22:23], exec
	v_readlane_b32 s24, v47, 21
	v_readlane_b32 s25, v47, 22
	s_and_b64 s[24:25], s[22:23], s[24:25]
	s_mov_b64 exec, s[24:25]
; %bb.389:                              ;   in Loop: Header=BB75_6 Depth=1
	v_mov_b32_e32 v1, s4
	ds_write_b32 v15, v1 offset:4100
; %bb.390:                              ;   in Loop: Header=BB75_6 Depth=1
	s_or_b64 exec, exec, s[22:23]
	s_waitcnt lgkmcnt(0)
	s_barrier
.LBB75_391:                             ;   in Loop: Header=BB75_6 Depth=1
	s_andn2_saveexec_b64 s[16:17], s[16:17]
; %bb.392:                              ;   in Loop: Header=BB75_6 Depth=1
	v_subrev_u32_e32 v8, s4, v8
; %bb.393:                              ;   in Loop: Header=BB75_6 Depth=1
	s_or_b64 exec, exec, s[16:17]
	v_mov_b32_e32 v43, 5
	v_mov_b32_e32 v1, v8
.LBB75_394:                             ;   in Loop: Header=BB75_6 Depth=1
	s_or_b64 exec, exec, s[8:9]
	s_mov_b64 s[16:17], exec
	v_mov_b32_e32 v8, v1
.LBB75_395:                             ;   in Loop: Header=BB75_6 Depth=1
	s_or_b64 exec, exec, s[2:3]
	s_orn2_b64 s[2:3], s[16:17], exec
.LBB75_396:                             ;   in Loop: Header=BB75_6 Depth=1
	s_or_b64 exec, exec, s[42:43]
	s_andn2_b64 s[4:5], s[38:39], exec
	s_and_b64 s[8:9], s[46:47], exec
	s_or_b64 s[38:39], s[4:5], s[8:9]
	s_andn2_b64 s[4:5], s[36:37], exec
	s_and_b64 s[8:9], s[44:45], exec
	s_or_b64 s[36:37], s[4:5], s[8:9]
	s_and_b64 s[8:9], s[2:3], exec
	v_mov_b32_e32 v7, v8
.LBB75_397:                             ;   in Loop: Header=BB75_6 Depth=1
	s_or_b64 exec, exec, s[40:41]
	s_orn2_b64 s[2:3], s[8:9], exec
.LBB75_398:                             ;   in Loop: Header=BB75_6 Depth=1
	s_or_b64 exec, exec, s[34:35]
	s_andn2_b64 s[4:5], s[92:93], exec
	s_and_b64 s[8:9], s[38:39], exec
	s_or_b64 s[92:93], s[4:5], s[8:9]
	s_andn2_b64 s[4:5], s[26:27], exec
	s_and_b64 s[8:9], s[36:37], exec
	s_or_b64 s[26:27], s[4:5], s[8:9]
	s_and_b64 s[8:9], s[2:3], exec
	v_mov_b32_e32 v44, v7
.LBB75_399:                             ;   in Loop: Header=BB75_6 Depth=1
	s_or_b64 exec, exec, s[94:95]
	s_orn2_b64 s[2:3], s[8:9], exec
.LBB75_400:                             ;   in Loop: Header=BB75_6 Depth=1
	s_or_b64 exec, exec, s[6:7]
	s_mov_b64 s[6:7], s[88:89]
	s_mov_b64 s[8:9], s[86:87]
	s_and_saveexec_b64 s[16:17], s[2:3]
; %bb.401:                              ;   in Loop: Header=BB75_6 Depth=1
	v_cmp_ne_u32_e64 s[6:7], 5, v43
	v_cmp_eq_u32_e32 vcc, 5, v43
	s_andn2_b64 s[2:3], s[86:87], exec
	s_and_b64 s[4:5], s[6:7], exec
	s_or_b64 s[8:9], s[2:3], s[4:5]
	s_andn2_b64 s[2:3], s[88:89], exec
	s_and_b64 s[4:5], vcc, exec
	s_or_b64 s[6:7], s[2:3], s[4:5]
; %bb.402:                              ;   in Loop: Header=BB75_6 Depth=1
	s_or_b64 exec, exec, s[16:17]
	s_andn2_b64 s[2:3], s[18:19], exec
	s_and_b64 s[4:5], s[92:93], exec
	s_or_b64 s[18:19], s[2:3], s[4:5]
	s_andn2_b64 s[2:3], s[20:21], exec
	s_and_b64 s[4:5], s[26:27], exec
	s_or_b64 s[20:21], s[2:3], s[4:5]
	;; [unrolled: 3-line block ×4, first 2 shown]
.LBB75_403:                             ;   in Loop: Header=BB75_6 Depth=1
	s_or_b64 exec, exec, s[90:91]
	s_mov_b64 s[90:91], 0
	s_mov_b64 s[92:93], 0
	s_and_saveexec_b64 s[2:3], s[88:89]
.LBB75_404:                             ;   in Loop: Header=BB75_6 Depth=1
	v_mov_b32_e32 v43, 0
	s_or_b64 s[86:87], s[86:87], exec
.LBB75_405:                             ;   in Loop: Header=BB75_6 Depth=1
	s_or_b64 exec, exec, s[2:3]
	s_andn2_b64 s[2:3], s[80:81], exec
	s_and_b64 s[4:5], s[18:19], exec
	s_or_b64 s[80:81], s[2:3], s[4:5]
	s_andn2_b64 s[2:3], s[78:79], exec
	s_and_b64 s[4:5], s[20:21], exec
	s_or_b64 s[78:79], s[2:3], s[4:5]
	;; [unrolled: 3-line block ×3, first 2 shown]
	s_andn2_b64 s[2:3], s[74:75], exec
	s_and_b64 s[4:5], s[90:91], exec
	s_mov_b64 s[6:7], -1
	s_andn2_b64 s[82:83], s[82:83], exec
	s_or_b64 s[74:75], s[2:3], s[4:5]
	v_mov_b32_e32 v42, v44
	s_and_saveexec_b64 s[2:3], s[86:87]
	s_xor_b64 s[2:3], exec, s[2:3]
	s_cbranch_execz .LBB75_5
; %bb.406:                              ;   in Loop: Header=BB75_6 Depth=1
	v_cmp_eq_u32_e32 vcc, 0, v43
	s_mov_b64 s[8:9], -1
	s_and_saveexec_b64 s[16:17], vcc
	s_cbranch_execz .LBB75_4
; %bb.407:                              ;   in Loop: Header=BB75_6 Depth=1
	s_xor_b32 s49, s49, 1
	s_add_i32 s18, s11, -2
	s_cmp_eq_u32 s11, 0
	s_cselect_b64 s[4:5], -1, 0
	s_xor_b64 s[8:9], exec, -1
	s_orn2_b64 s[6:7], s[4:5], exec
	s_mov_b32 s11, s18
	s_branch .LBB75_4
.LBB75_408:
	s_or_b64 exec, exec, s[62:63]
	s_xor_b64 s[6:7], s[72:73], -1
	s_xor_b64 s[14:15], s[70:71], -1
	;; [unrolled: 1-line block ×5, first 2 shown]
	s_mov_b64 s[8:9], 0
	s_and_saveexec_b64 s[10:11], s[4:5]
	s_xor_b64 s[10:11], exec, s[10:11]
	s_cbranch_execnz .LBB75_413
; %bb.409:
	s_andn2_saveexec_b64 s[0:1], s[10:11]
	s_cbranch_execnz .LBB75_432
.LBB75_410:
	s_or_b64 exec, exec, s[0:1]
	s_and_saveexec_b64 s[0:1], s[8:9]
.LBB75_411:
	; divergent unreachable
.LBB75_412:
	s_endpgm
.LBB75_413:
	s_and_saveexec_b64 s[4:5], s[12:13]
	s_xor_b64 s[12:13], exec, s[4:5]
	s_cbranch_execz .LBB75_430
; %bb.414:
	s_and_saveexec_b64 s[4:5], s[14:15]
	s_xor_b64 s[14:15], exec, s[4:5]
	s_cbranch_execz .LBB75_428
; %bb.415:
	;; [unrolled: 4-line block ×3, first 2 shown]
	s_and_saveexec_b64 s[4:5], s[2:3]
	s_xor_b64 s[2:3], exec, s[4:5]
; %bb.417:
	v_lshrrev_b32_e32 v1, 31, v19
	v_add_co_u32_e32 v1, vcc, -1, v1
	v_addc_co_u32_e64 v2, s[4:5], 0, -1, vcc
	v_or_b32_e32 v2, 0x80000000, v2
	v_xor_b32_e32 v6, v2, v19
	v_xor_b32_e32 v5, v1, v18
; %bb.418:
	s_or_b64 exec, exec, s[2:3]
	s_mov_b64 s[2:3], exec
	v_readlane_b32 s4, v47, 21
	v_readlane_b32 s5, v47, 22
	;; [unrolled: 1-line block ×4, first 2 shown]
	s_and_b64 s[4:5], s[2:3], s[4:5]
	v_readlane_b32 s43, v47, 25
	v_readlane_b32 s9, v47, 29
	s_mov_b64 exec, s[4:5]
; %bb.419:
	v_mov_b32_e32 v1, 0
	ds_write_b32 v1, v1 offset:4108
; %bb.420:
	s_or_b64 exec, exec, s[2:3]
	v_mov_b32_e32 v7, 0
	v_mov_b32_e32 v8, 0
	s_waitcnt lgkmcnt(0)
	s_barrier
	s_mov_b64 s[2:3], exec
	v_readlane_b32 s4, v47, 30
	v_readlane_b32 s5, v47, 31
	s_and_b64 s[4:5], s[2:3], s[4:5]
	s_mov_b64 exec, s[4:5]
	s_cbranch_execz .LBB75_422
; %bb.421:
	global_load_dwordx2 v[7:8], v[11:12], off
.LBB75_422:
	s_or_b64 exec, exec, s[2:3]
	v_readlane_b32 s18, v47, 13
	v_readlane_b32 s19, v47, 14
	;; [unrolled: 1-line block ×3, first 2 shown]
	s_mul_i32 s2, s7, s19
	v_readlane_b32 s19, v47, 16
	s_mul_i32 s3, s19, s18
	s_add_i32 s34, s28, 63
	v_readlane_b32 s6, v47, 23
	s_sub_i32 s3, s7, s3
	s_andn2_b32 s34, s34, 63
	s_sub_i32 s2, s6, s2
	s_add_i32 s4, s19, 1
	s_sub_i32 s5, s3, s18
	s_cmp_ge_u32 s3, s18
	s_cselect_b32 s4, s4, s19
	s_cselect_b32 s3, s5, s3
	s_add_i32 s5, s4, 1
	s_cmp_ge_u32 s3, s18
	s_cselect_b32 s3, s5, s4
	v_readlane_b32 s20, v47, 6
	s_mul_i32 s4, s3, s18
	v_readlane_b32 s21, v47, 7
	v_readlane_b32 s22, v47, 8
	s_sub_i32 s4, s7, s4
	v_readlane_b32 s23, v47, 9
	s_mul_i32 s2, s2, s22
	s_mul_i32 s4, s4, s21
	v_readlane_b32 s18, v47, 17
	s_add_i32 s2, s4, s2
	s_mul_i32 s3, s3, s20
	v_readlane_b32 s19, v47, 18
	v_readlane_b32 s23, v47, 19
	s_add_i32 s2, s2, s3
	s_mul_i32 s3, s23, s19
	s_sub_i32 s3, s6, s3
	v_readlane_b32 s4, v47, 0
	v_readlane_b32 s6, v47, 2
	;; [unrolled: 1-line block ×4, first 2 shown]
	s_mov_b32 s22, s6
	v_readlane_b32 s7, v47, 20
	s_mov_b64 s[20:21], s[4:5]
	s_mul_i32 s4, s7, s18
	s_sub_i32 s4, s23, s4
	s_add_i32 s5, s7, 1
	s_sub_i32 s6, s4, s18
	s_cmp_ge_u32 s4, s18
	s_cselect_b32 s5, s5, s7
	s_cselect_b32 s4, s6, s4
	s_add_i32 s6, s5, 1
	s_cmp_ge_u32 s4, s18
	s_cselect_b32 s4, s6, s5
	s_mul_i32 s5, s4, s18
	v_cmp_o_f64_e32 vcc, v[5:6], v[5:6]
	s_sub_i32 s5, s23, s5
	s_mul_i32 s3, s3, s22
	s_mul_i32 s5, s5, s21
	s_add_i32 s3, s5, s3
	s_mul_i32 s4, s4, s20
	s_add_i32 s4, s3, s4
	s_mov_b32 s3, 0
	s_lshl_b64 s[6:7], s[2:3], 3
	v_readlane_b32 s18, v47, 10
	s_load_dword s39, s[8:9], 0x1c8
	s_load_dword s40, s[8:9], 0x2a8
	v_ashrrev_i32_e32 v1, 31, v6
	v_readlane_b32 s19, v47, 11
	s_add_u32 s35, s18, s6
	s_mov_b32 s5, s3
	v_or_b32_e32 v2, 0x80000000, v1
	s_addc_u32 s36, s19, s7
	s_lshl_b64 s[2:3], s[4:5], 3
	v_readlane_b32 s4, v47, 4
	v_xor_b32_e32 v2, v2, v6
	v_xor_b32_e32 v1, v1, v5
	v_readlane_b32 s5, v47, 5
	s_add_u32 s37, s4, s2
	v_cndmask_b32_e32 v3, -1, v2, vcc
	v_cndmask_b32_e32 v2, -1, v1, vcc
	s_addc_u32 s38, s5, s3
	v_cmp_gt_u32_e32 vcc, s34, v0
	s_mov_b64 s[2:3], -1
	s_mov_b64 s[8:9], 0
	s_mov_b64 s[4:5], 0
	s_and_saveexec_b64 s[18:19], vcc
	s_cbranch_execnz .LBB75_433
; %bb.423:
	s_or_b64 exec, exec, s[18:19]
	s_and_saveexec_b64 s[6:7], s[2:3]
	s_cbranch_execnz .LBB75_450
.LBB75_424:
	s_or_b64 exec, exec, s[6:7]
	s_and_saveexec_b64 s[0:1], s[4:5]
	s_xor_b64 s[0:1], exec, s[0:1]
	s_cbranch_execnz .LBB75_475
.LBB75_425:
	s_or_b64 exec, exec, s[0:1]
	s_and_b64 s[8:9], s[8:9], exec
.LBB75_426:
	s_andn2_saveexec_b64 s[0:1], s[16:17]
	s_cbranch_execnz .LBB75_477
.LBB75_427:
	s_or_b64 exec, exec, s[0:1]
	s_and_b64 s[8:9], s[8:9], exec
.LBB75_428:
	s_andn2_saveexec_b64 s[0:1], s[14:15]
	s_cbranch_execnz .LBB75_476
.LBB75_429:
	s_or_b64 exec, exec, s[0:1]
	s_and_b64 s[8:9], s[8:9], exec
.LBB75_430:
	s_andn2_saveexec_b64 s[0:1], s[12:13]
	s_cbranch_execnz .LBB75_471
.LBB75_431:
	s_or_b64 exec, exec, s[0:1]
	s_and_b64 s[8:9], s[8:9], exec
	s_andn2_saveexec_b64 s[0:1], s[10:11]
	s_cbranch_execz .LBB75_410
.LBB75_432:
	s_or_b64 s[8:9], s[8:9], exec
	s_trap 2
	s_or_b64 exec, exec, s[0:1]
	s_and_saveexec_b64 s[0:1], s[8:9]
	s_cbranch_execnz .LBB75_411
	s_branch .LBB75_412
.LBB75_433:
	v_add_u32_e32 v1, s54, v0
	v_readlane_b32 s2, v47, 12
	v_mul_lo_u32 v4, s2, v1
	s_mov_b64 s[20:21], 0
	v_mov_b32_e32 v5, 0
	v_mov_b32_e32 v6, v0
                                        ; implicit-def: $sgpr22_sgpr23
                                        ; implicit-def: $vgpr13
	s_branch .LBB75_435
.LBB75_434:                             ;   in Loop: Header=BB75_435 Depth=1
	s_or_b64 exec, exec, s[24:25]
	s_xor_b64 s[4:5], s[6:7], -1
	s_and_b64 s[2:3], exec, s[2:3]
	s_or_b64 s[20:21], s[2:3], s[20:21]
	s_andn2_b64 s[2:3], s[22:23], exec
	s_and_b64 s[4:5], s[4:5], exec
	s_waitcnt vmcnt(0)
	v_mov_b32_e32 v7, v9
	s_or_b64 s[22:23], s[2:3], s[4:5]
	v_mov_b32_e32 v8, v10
	v_mov_b32_e32 v6, v1
	s_andn2_b64 exec, exec, s[20:21]
	s_cbranch_execz .LBB75_449
.LBB75_435:                             ; =>This Inner Loop Header: Depth=1
	v_add_u32_e32 v1, s54, v6
	v_mov_b32_e32 v9, 0
	v_mov_b32_e32 v10, 0
	v_cmp_gt_u32_e64 s[4:5], s28, v1
	s_and_saveexec_b64 s[2:3], s[4:5]
	s_cbranch_execz .LBB75_437
; %bb.436:                              ;   in Loop: Header=BB75_435 Depth=1
	v_lshlrev_b64 v[9:10], 3, v[4:5]
	v_mov_b32_e32 v14, s48
	v_add_co_u32_e64 v9, s[4:5], s33, v9
	v_addc_co_u32_e64 v10, s[4:5], v14, v10, s[4:5]
	global_load_dwordx2 v[9:10], v[9:10], off
.LBB75_437:                             ;   in Loop: Header=BB75_435 Depth=1
	s_or_b64 exec, exec, s[2:3]
	v_cmp_gt_u32_e64 s[4:5], s28, v6
	s_mov_b64 s[24:25], 0
	s_and_saveexec_b64 s[2:3], s[4:5]
	s_cbranch_execz .LBB75_439
; %bb.438:                              ;   in Loop: Header=BB75_435 Depth=1
	s_waitcnt vmcnt(0)
	v_cmp_o_f64_e64 s[4:5], v[7:8], v[7:8]
	v_ashrrev_i32_e32 v14, 31, v8
	v_or_b32_e32 v15, 0x80000000, v14
	v_xor_b32_e32 v15, v15, v8
	v_xor_b32_e32 v14, v14, v7
	v_cndmask_b32_e64 v15, -1, v15, s[4:5]
	v_cndmask_b32_e64 v14, -1, v14, s[4:5]
	v_cmp_gt_u64_e64 s[4:5], v[14:15], v[2:3]
	v_cndmask_b32_e64 v16, 0, 1, s[4:5]
	v_cmp_lt_u64_e64 s[4:5], v[14:15], v[2:3]
	v_cndmask_b32_e64 v14, 0, 1, s[4:5]
	v_cndmask_b32_e64 v14, v14, v16, s[42:43]
	v_and_b32_e32 v14, 1, v14
	v_cmp_eq_u32_e64 s[4:5], 1, v14
	s_and_b64 s[24:25], s[4:5], exec
.LBB75_439:                             ;   in Loop: Header=BB75_435 Depth=1
	s_or_b64 exec, exec, s[2:3]
	v_cndmask_b32_e64 v14, 0, 1, s[24:25]
	v_cmp_ne_u32_e64 s[4:5], 0, v14
	s_cmp_lg_u64 s[4:5], 0
	s_cselect_b64 s[2:3], -1, 0
	s_and_b64 s[6:7], s[0:1], s[2:3]
	s_and_saveexec_b64 s[2:3], s[6:7]
	s_cbranch_execz .LBB75_443
; %bb.440:                              ;   in Loop: Header=BB75_435 Depth=1
	s_mov_b64 s[30:31], exec
	s_waitcnt lgkmcnt(0)
	v_mbcnt_lo_u32_b32 v13, s30, 0
	v_mbcnt_hi_u32_b32 v13, s31, v13
	s_bcnt1_i32_b64 s41, s[4:5]
	v_cmp_eq_u32_e64 s[6:7], 0, v13
                                        ; implicit-def: $vgpr14
	s_and_saveexec_b64 s[26:27], s[6:7]
; %bb.441:                              ;   in Loop: Header=BB75_435 Depth=1
	s_bcnt1_i32_b64 s6, s[30:31]
	s_mul_i32 s6, s41, s6
	v_mov_b32_e32 v14, s6
	ds_add_rtn_u32 v14, v5, v14 offset:4108
; %bb.442:                              ;   in Loop: Header=BB75_435 Depth=1
	s_or_b64 exec, exec, s[26:27]
	s_waitcnt lgkmcnt(0)
	v_readfirstlane_b32 s6, v14
	v_mov_b32_e32 v14, s6
	v_mad_u32_u24 v13, s41, v13, v14
.LBB75_443:                             ;   in Loop: Header=BB75_435 Depth=1
	s_or_b64 exec, exec, s[2:3]
	s_waitcnt lgkmcnt(0)
	ds_bpermute_b32 v13, v26, v13
	s_mov_b64 s[2:3], -1
	s_mov_b64 s[26:27], -1
	s_and_saveexec_b64 s[6:7], s[24:25]
	s_cbranch_execz .LBB75_447
; %bb.444:                              ;   in Loop: Header=BB75_435 Depth=1
	v_and_b32_e32 v15, s4, v28
	v_and_b32_e32 v14, s5, v27
	v_bcnt_u32_b32 v15, v15, 0
	v_bcnt_u32_b32 v14, v14, v15
	s_waitcnt lgkmcnt(0)
	v_add_u32_e32 v14, v13, v14
	v_cmp_gt_u32_e64 s[4:5], s29, v14
	s_mov_b64 s[24:25], 0
	s_and_saveexec_b64 s[26:27], s[4:5]
	s_cbranch_execz .LBB75_446
; %bb.445:                              ;   in Loop: Header=BB75_435 Depth=1
	v_mul_lo_u32 v15, v14, s39
	v_mov_b32_e32 v16, v5
	v_mul_lo_u32 v14, v14, s40
	v_mov_b32_e32 v17, s36
	v_lshlrev_b64 v[15:16], 3, v[15:16]
	s_mov_b64 s[24:25], exec
	v_add_co_u32_e64 v15, s[4:5], s35, v15
	v_addc_co_u32_e64 v16, s[4:5], v17, v16, s[4:5]
	s_waitcnt vmcnt(0)
	global_store_dwordx2 v[15:16], v[7:8], off
	v_mov_b32_e32 v15, v5
	v_lshlrev_b64 v[14:15], 3, v[14:15]
	v_mov_b32_e32 v8, s38
	v_add_co_u32_e64 v14, s[4:5], s37, v14
	v_mov_b32_e32 v7, v5
	v_addc_co_u32_e64 v15, s[4:5], v8, v15, s[4:5]
	global_store_dwordx2 v[14:15], v[6:7], off
.LBB75_446:                             ;   in Loop: Header=BB75_435 Depth=1
	s_or_b64 exec, exec, s[26:27]
	s_orn2_b64 s[26:27], s[24:25], exec
.LBB75_447:                             ;   in Loop: Header=BB75_435 Depth=1
	s_or_b64 exec, exec, s[6:7]
	s_mov_b64 s[6:7], -1
	s_and_saveexec_b64 s[24:25], s[26:27]
	s_cbranch_execz .LBB75_434
; %bb.448:                              ;   in Loop: Header=BB75_435 Depth=1
	v_cmp_le_u32_e64 s[4:5], s34, v1
	v_add_u32_e32 v4, s55, v4
	s_xor_b64 s[6:7], exec, -1
	s_orn2_b64 s[2:3], s[4:5], exec
	s_branch .LBB75_434
.LBB75_449:
	s_or_b64 exec, exec, s[20:21]
	s_mov_b64 s[4:5], exec
	s_orn2_b64 s[2:3], s[22:23], exec
	s_or_b64 exec, exec, s[18:19]
	s_and_saveexec_b64 s[6:7], s[2:3]
	s_cbranch_execz .LBB75_424
.LBB75_450:
	s_waitcnt vmcnt(0)
	v_mov_b32_e32 v8, 0
	v_mov_b32_e32 v9, 0
	s_waitcnt lgkmcnt(0)
	s_barrier
	s_mov_b64 s[2:3], exec
	v_readlane_b32 s8, v47, 30
	v_readlane_b32 s9, v47, 31
	s_and_b64 s[8:9], s[2:3], s[8:9]
	s_mov_b64 exec, s[8:9]
	s_cbranch_execz .LBB75_452
; %bb.451:
	global_load_dwordx2 v[8:9], v[11:12], off
.LBB75_452:
	s_or_b64 exec, exec, s[2:3]
	s_mov_b64 s[2:3], 0
	s_and_saveexec_b64 s[8:9], vcc
	s_cbranch_execz .LBB75_474
; %bb.453:
	v_add_u32_e32 v1, s54, v0
	v_readlane_b32 s2, v47, 12
	v_mul_lo_u32 v4, s2, v1
	s_mov_b64 s[18:19], 0
	v_mov_b32_e32 v5, 0
                                        ; implicit-def: $sgpr20_sgpr21
                                        ; implicit-def: $vgpr11
	s_branch .LBB75_456
.LBB75_454:                             ;   in Loop: Header=BB75_456 Depth=1
	s_or_b64 exec, exec, s[24:25]
	s_orn2_b64 s[26:27], s[30:31], exec
	s_orn2_b64 s[24:25], s[22:23], exec
.LBB75_455:                             ;   in Loop: Header=BB75_456 Depth=1
	s_or_b64 exec, exec, s[2:3]
	s_xor_b64 s[2:3], s[26:27], -1
	s_and_b64 s[22:23], exec, s[24:25]
	s_or_b64 s[18:19], s[22:23], s[18:19]
	s_andn2_b64 s[20:21], s[20:21], exec
	s_and_b64 s[2:3], s[2:3], exec
	s_waitcnt vmcnt(0)
	v_mov_b32_e32 v9, v7
	s_or_b64 s[20:21], s[20:21], s[2:3]
	v_mov_b32_e32 v0, v10
	v_mov_b32_e32 v8, v6
	s_andn2_b64 exec, exec, s[18:19]
	s_cbranch_execz .LBB75_472
.LBB75_456:                             ; =>This Inner Loop Header: Depth=1
	v_add_u32_e32 v10, s54, v0
	v_mov_b32_e32 v6, 0
	v_mov_b32_e32 v7, 0
	v_cmp_gt_u32_e32 vcc, s28, v10
	s_and_saveexec_b64 s[2:3], vcc
	s_cbranch_execz .LBB75_458
; %bb.457:                              ;   in Loop: Header=BB75_456 Depth=1
	v_lshlrev_b64 v[6:7], 3, v[4:5]
	v_mov_b32_e32 v1, s48
	v_add_co_u32_e32 v6, vcc, s33, v6
	v_addc_co_u32_e32 v7, vcc, v1, v7, vcc
	global_load_dwordx2 v[6:7], v[6:7], off
.LBB75_458:                             ;   in Loop: Header=BB75_456 Depth=1
	s_or_b64 exec, exec, s[2:3]
	v_cmp_gt_u32_e32 vcc, s28, v0
	s_mov_b64 s[22:23], 0
	s_and_saveexec_b64 s[2:3], vcc
	s_cbranch_execz .LBB75_460
; %bb.459:                              ;   in Loop: Header=BB75_456 Depth=1
	s_waitcnt vmcnt(0)
	v_cmp_o_f64_e32 vcc, v[8:9], v[8:9]
	v_ashrrev_i32_e32 v1, 31, v9
	v_or_b32_e32 v12, 0x80000000, v1
	v_xor_b32_e32 v12, v12, v9
	v_xor_b32_e32 v1, v1, v8
	v_cndmask_b32_e32 v13, -1, v12, vcc
	v_cndmask_b32_e32 v12, -1, v1, vcc
	v_cmp_eq_u64_e32 vcc, v[12:13], v[2:3]
	s_and_b64 s[22:23], vcc, exec
.LBB75_460:                             ;   in Loop: Header=BB75_456 Depth=1
	s_or_b64 exec, exec, s[2:3]
	v_cndmask_b32_e64 v1, 0, 1, s[22:23]
	v_cmp_ne_u32_e32 vcc, 0, v1
	s_cmp_lg_u64 vcc, 0
	s_cselect_b64 s[2:3], -1, 0
	s_and_b64 s[2:3], s[0:1], s[2:3]
	s_and_saveexec_b64 s[24:25], s[2:3]
	s_cbranch_execz .LBB75_464
; %bb.461:                              ;   in Loop: Header=BB75_456 Depth=1
	s_mov_b64 s[30:31], exec
	v_mbcnt_lo_u32_b32 v1, s30, 0
	v_mbcnt_hi_u32_b32 v1, s31, v1
	s_bcnt1_i32_b64 s41, vcc
	v_cmp_eq_u32_e64 s[2:3], 0, v1
                                        ; implicit-def: $vgpr11
	s_and_saveexec_b64 s[26:27], s[2:3]
; %bb.462:                              ;   in Loop: Header=BB75_456 Depth=1
	s_bcnt1_i32_b64 s2, s[30:31]
	s_mul_i32 s2, s41, s2
	v_mov_b32_e32 v11, s2
	ds_add_rtn_u32 v11, v5, v11 offset:4108
; %bb.463:                              ;   in Loop: Header=BB75_456 Depth=1
	s_or_b64 exec, exec, s[26:27]
	s_waitcnt lgkmcnt(0)
	v_readfirstlane_b32 s2, v11
	v_mov_b32_e32 v11, s2
	v_mad_u32_u24 v11, s41, v1, v11
.LBB75_464:                             ;   in Loop: Header=BB75_456 Depth=1
	s_or_b64 exec, exec, s[24:25]
	ds_bpermute_b32 v11, v26, v11
	s_cmp_eq_u64 vcc, 0
	s_cselect_b64 s[26:27], -1, 0
	s_mov_b64 s[24:25], -1
	s_waitcnt lgkmcnt(0)
	v_cmp_gt_u32_e64 s[2:3], s29, v11
	s_or_b64 s[30:31], s[26:27], s[2:3]
	s_mov_b64 s[26:27], -1
	s_and_saveexec_b64 s[2:3], s[30:31]
	s_cbranch_execz .LBB75_455
; %bb.465:                              ;   in Loop: Header=BB75_456 Depth=1
	v_and_b32_e32 v12, vcc_lo, v28
	v_and_b32_e32 v1, vcc_hi, v27
	v_bcnt_u32_b32 v12, v12, 0
	v_bcnt_u32_b32 v1, v1, v12
	v_sub_u32_e32 v12, s29, v11
	v_cmp_gt_u32_e32 vcc, v12, v1
	s_and_b64 s[42:43], s[22:23], vcc
	s_mov_b64 s[22:23], -1
	s_mov_b64 s[30:31], -1
	s_and_saveexec_b64 s[24:25], s[42:43]
	s_cbranch_execz .LBB75_469
; %bb.466:                              ;   in Loop: Header=BB75_456 Depth=1
	v_add_u32_e32 v1, v11, v1
	v_cmp_gt_u32_e32 vcc, s29, v1
	s_mov_b64 s[26:27], 0
	s_and_saveexec_b64 s[30:31], vcc
	s_cbranch_execz .LBB75_468
; %bb.467:                              ;   in Loop: Header=BB75_456 Depth=1
	v_mul_lo_u32 v12, v1, s39
	v_mov_b32_e32 v13, v5
	v_mul_lo_u32 v14, v1, s40
	v_mov_b32_e32 v1, s36
	v_lshlrev_b64 v[12:13], 3, v[12:13]
	v_mov_b32_e32 v15, v5
	v_add_co_u32_e32 v12, vcc, s35, v12
	v_addc_co_u32_e32 v13, vcc, v1, v13, vcc
	s_waitcnt vmcnt(0)
	global_store_dwordx2 v[12:13], v[8:9], off
	v_lshlrev_b64 v[8:9], 3, v[14:15]
	v_mov_b32_e32 v12, s38
	v_add_co_u32_e32 v8, vcc, s37, v8
	s_mov_b64 s[26:27], exec
	v_mov_b32_e32 v1, v5
	v_addc_co_u32_e32 v9, vcc, v12, v9, vcc
	global_store_dwordx2 v[8:9], v[0:1], off
.LBB75_468:                             ;   in Loop: Header=BB75_456 Depth=1
	s_or_b64 exec, exec, s[30:31]
	s_xor_b64 s[30:31], exec, -1
	s_orn2_b64 s[26:27], s[26:27], exec
.LBB75_469:                             ;   in Loop: Header=BB75_456 Depth=1
	s_or_b64 exec, exec, s[24:25]
	s_and_saveexec_b64 s[24:25], s[26:27]
	s_cbranch_execz .LBB75_454
; %bb.470:                              ;   in Loop: Header=BB75_456 Depth=1
	v_cmp_le_u32_e32 vcc, s34, v10
	v_add_u32_e32 v4, s55, v4
	s_or_b64 s[30:31], s[30:31], exec
	s_orn2_b64 s[22:23], vcc, exec
	s_branch .LBB75_454
.LBB75_471:
	s_or_b64 s[8:9], s[8:9], exec
	s_trap 2
	s_branch .LBB75_431
.LBB75_472:
	s_or_b64 exec, exec, s[18:19]
	s_mov_b64 s[0:1], 0
	s_and_saveexec_b64 s[2:3], s[20:21]
	s_xor_b64 s[2:3], exec, s[2:3]
	s_cbranch_execnz .LBB75_478
.LBB75_473:
	s_or_b64 exec, exec, s[2:3]
	s_and_b64 s[2:3], s[0:1], exec
.LBB75_474:
	s_or_b64 exec, exec, s[8:9]
	s_and_b64 s[8:9], s[2:3], exec
	s_andn2_b64 s[4:5], s[4:5], exec
	s_or_b64 exec, exec, s[6:7]
	s_and_saveexec_b64 s[0:1], s[4:5]
	s_xor_b64 s[0:1], exec, s[0:1]
	s_cbranch_execz .LBB75_425
.LBB75_475:
	s_trap 2
	s_or_b64 s[8:9], s[8:9], exec
	s_branch .LBB75_425
.LBB75_476:
	s_or_b64 s[8:9], s[8:9], exec
	s_trap 2
	s_branch .LBB75_429
.LBB75_477:
	s_trap 2
	s_or_b64 s[8:9], s[8:9], exec
	s_branch .LBB75_427
.LBB75_478:
	s_mov_b64 s[0:1], exec
	s_trap 2
	s_branch .LBB75_473
	.section	.rodata,"a",@progbits
	.p2align	6, 0x0
	.amdhsa_kernel _ZN2at6native6sbtopk10gatherTopKIdjLi3ELb0EEEvNS_4cuda6detail10TensorInfoIKT_T0_EES8_S8_bS8_S8_NS5_IS6_S8_EES8_NS5_IlS8_EES8_PS6_
		.amdhsa_group_segment_fixed_size 4112
		.amdhsa_private_segment_fixed_size 0
		.amdhsa_kernarg_size 952
		.amdhsa_user_sgpr_count 6
		.amdhsa_user_sgpr_private_segment_buffer 1
		.amdhsa_user_sgpr_dispatch_ptr 0
		.amdhsa_user_sgpr_queue_ptr 0
		.amdhsa_user_sgpr_kernarg_segment_ptr 1
		.amdhsa_user_sgpr_dispatch_id 0
		.amdhsa_user_sgpr_flat_scratch_init 0
		.amdhsa_user_sgpr_private_segment_size 0
		.amdhsa_uses_dynamic_stack 0
		.amdhsa_system_sgpr_private_segment_wavefront_offset 0
		.amdhsa_system_sgpr_workgroup_id_x 1
		.amdhsa_system_sgpr_workgroup_id_y 1
		.amdhsa_system_sgpr_workgroup_id_z 1
		.amdhsa_system_sgpr_workgroup_info 0
		.amdhsa_system_vgpr_workitem_id 0
		.amdhsa_next_free_vgpr 48
		.amdhsa_next_free_sgpr 96
		.amdhsa_reserve_vcc 1
		.amdhsa_reserve_flat_scratch 0
		.amdhsa_float_round_mode_32 0
		.amdhsa_float_round_mode_16_64 0
		.amdhsa_float_denorm_mode_32 3
		.amdhsa_float_denorm_mode_16_64 3
		.amdhsa_dx10_clamp 1
		.amdhsa_ieee_mode 1
		.amdhsa_fp16_overflow 0
		.amdhsa_exception_fp_ieee_invalid_op 0
		.amdhsa_exception_fp_denorm_src 0
		.amdhsa_exception_fp_ieee_div_zero 0
		.amdhsa_exception_fp_ieee_overflow 0
		.amdhsa_exception_fp_ieee_underflow 0
		.amdhsa_exception_fp_ieee_inexact 0
		.amdhsa_exception_int_div_zero 0
	.end_amdhsa_kernel
	.section	.text._ZN2at6native6sbtopk10gatherTopKIdjLi3ELb0EEEvNS_4cuda6detail10TensorInfoIKT_T0_EES8_S8_bS8_S8_NS5_IS6_S8_EES8_NS5_IlS8_EES8_PS6_,"axG",@progbits,_ZN2at6native6sbtopk10gatherTopKIdjLi3ELb0EEEvNS_4cuda6detail10TensorInfoIKT_T0_EES8_S8_bS8_S8_NS5_IS6_S8_EES8_NS5_IlS8_EES8_PS6_,comdat
.Lfunc_end75:
	.size	_ZN2at6native6sbtopk10gatherTopKIdjLi3ELb0EEEvNS_4cuda6detail10TensorInfoIKT_T0_EES8_S8_bS8_S8_NS5_IS6_S8_EES8_NS5_IlS8_EES8_PS6_, .Lfunc_end75-_ZN2at6native6sbtopk10gatherTopKIdjLi3ELb0EEEvNS_4cuda6detail10TensorInfoIKT_T0_EES8_S8_bS8_S8_NS5_IS6_S8_EES8_NS5_IlS8_EES8_PS6_
                                        ; -- End function
	.set _ZN2at6native6sbtopk10gatherTopKIdjLi3ELb0EEEvNS_4cuda6detail10TensorInfoIKT_T0_EES8_S8_bS8_S8_NS5_IS6_S8_EES8_NS5_IlS8_EES8_PS6_.num_vgpr, 48
	.set _ZN2at6native6sbtopk10gatherTopKIdjLi3ELb0EEEvNS_4cuda6detail10TensorInfoIKT_T0_EES8_S8_bS8_S8_NS5_IS6_S8_EES8_NS5_IlS8_EES8_PS6_.num_agpr, 0
	.set _ZN2at6native6sbtopk10gatherTopKIdjLi3ELb0EEEvNS_4cuda6detail10TensorInfoIKT_T0_EES8_S8_bS8_S8_NS5_IS6_S8_EES8_NS5_IlS8_EES8_PS6_.numbered_sgpr, 96
	.set _ZN2at6native6sbtopk10gatherTopKIdjLi3ELb0EEEvNS_4cuda6detail10TensorInfoIKT_T0_EES8_S8_bS8_S8_NS5_IS6_S8_EES8_NS5_IlS8_EES8_PS6_.num_named_barrier, 0
	.set _ZN2at6native6sbtopk10gatherTopKIdjLi3ELb0EEEvNS_4cuda6detail10TensorInfoIKT_T0_EES8_S8_bS8_S8_NS5_IS6_S8_EES8_NS5_IlS8_EES8_PS6_.private_seg_size, 0
	.set _ZN2at6native6sbtopk10gatherTopKIdjLi3ELb0EEEvNS_4cuda6detail10TensorInfoIKT_T0_EES8_S8_bS8_S8_NS5_IS6_S8_EES8_NS5_IlS8_EES8_PS6_.uses_vcc, 1
	.set _ZN2at6native6sbtopk10gatherTopKIdjLi3ELb0EEEvNS_4cuda6detail10TensorInfoIKT_T0_EES8_S8_bS8_S8_NS5_IS6_S8_EES8_NS5_IlS8_EES8_PS6_.uses_flat_scratch, 0
	.set _ZN2at6native6sbtopk10gatherTopKIdjLi3ELb0EEEvNS_4cuda6detail10TensorInfoIKT_T0_EES8_S8_bS8_S8_NS5_IS6_S8_EES8_NS5_IlS8_EES8_PS6_.has_dyn_sized_stack, 0
	.set _ZN2at6native6sbtopk10gatherTopKIdjLi3ELb0EEEvNS_4cuda6detail10TensorInfoIKT_T0_EES8_S8_bS8_S8_NS5_IS6_S8_EES8_NS5_IlS8_EES8_PS6_.has_recursion, 0
	.set _ZN2at6native6sbtopk10gatherTopKIdjLi3ELb0EEEvNS_4cuda6detail10TensorInfoIKT_T0_EES8_S8_bS8_S8_NS5_IS6_S8_EES8_NS5_IlS8_EES8_PS6_.has_indirect_call, 0
	.section	.AMDGPU.csdata,"",@progbits
; Kernel info:
; codeLenInByte = 16560
; TotalNumSgprs: 100
; NumVgprs: 48
; ScratchSize: 0
; MemoryBound: 0
; FloatMode: 240
; IeeeMode: 1
; LDSByteSize: 4112 bytes/workgroup (compile time only)
; SGPRBlocks: 12
; VGPRBlocks: 11
; NumSGPRsForWavesPerEU: 100
; NumVGPRsForWavesPerEU: 48
; Occupancy: 5
; WaveLimiterHint : 1
; COMPUTE_PGM_RSRC2:SCRATCH_EN: 0
; COMPUTE_PGM_RSRC2:USER_SGPR: 6
; COMPUTE_PGM_RSRC2:TRAP_HANDLER: 0
; COMPUTE_PGM_RSRC2:TGID_X_EN: 1
; COMPUTE_PGM_RSRC2:TGID_Y_EN: 1
; COMPUTE_PGM_RSRC2:TGID_Z_EN: 1
; COMPUTE_PGM_RSRC2:TIDIG_COMP_CNT: 0
	.section	.text._ZN2at6native6mbtopk23computeBlockDigitCountsIdjmLin1EEEvNS_4cuda6detail10TensorInfoIKT_T0_EEjPjjS8_iijT1_PSB_Ps,"axG",@progbits,_ZN2at6native6mbtopk23computeBlockDigitCountsIdjmLin1EEEvNS_4cuda6detail10TensorInfoIKT_T0_EEjPjjS8_iijT1_PSB_Ps,comdat
	.protected	_ZN2at6native6mbtopk23computeBlockDigitCountsIdjmLin1EEEvNS_4cuda6detail10TensorInfoIKT_T0_EEjPjjS8_iijT1_PSB_Ps ; -- Begin function _ZN2at6native6mbtopk23computeBlockDigitCountsIdjmLin1EEEvNS_4cuda6detail10TensorInfoIKT_T0_EEjPjjS8_iijT1_PSB_Ps
	.globl	_ZN2at6native6mbtopk23computeBlockDigitCountsIdjmLin1EEEvNS_4cuda6detail10TensorInfoIKT_T0_EEjPjjS8_iijT1_PSB_Ps
	.p2align	8
	.type	_ZN2at6native6mbtopk23computeBlockDigitCountsIdjmLin1EEEvNS_4cuda6detail10TensorInfoIKT_T0_EEjPjjS8_iijT1_PSB_Ps,@function
_ZN2at6native6mbtopk23computeBlockDigitCountsIdjmLin1EEEvNS_4cuda6detail10TensorInfoIKT_T0_EEjPjjS8_iijT1_PSB_Ps: ; @_ZN2at6native6mbtopk23computeBlockDigitCountsIdjmLin1EEEvNS_4cuda6detail10TensorInfoIKT_T0_EEjPjjS8_iijT1_PSB_Ps
; %bb.0:
	s_load_dword s17, s[4:5], 0xf8
	s_load_dwordx4 s[12:15], s[4:5], 0xe8
	s_load_dwordx2 s[0:1], s[4:5], 0x118
	s_waitcnt lgkmcnt(0)
	v_cvt_f32_u32_e32 v1, s17
	s_sub_i32 s2, 0, s17
	s_mul_i32 s1, s1, s8
	s_add_i32 s1, s1, s7
	v_rcp_iflag_f32_e32 v1, v1
	s_mul_i32 s16, s1, s0
	s_add_i32 s16, s16, s6
	v_mul_f32_e32 v1, 0x4f7ffffe, v1
	v_cvt_u32_f32_e32 v1, v1
	v_readfirstlane_b32 s0, v1
	s_mul_i32 s2, s2, s0
	s_mul_hi_u32 s1, s0, s2
	s_add_i32 s0, s0, s1
	s_mul_hi_u32 s0, s16, s0
	s_mul_i32 s1, s0, s17
	s_sub_i32 s1, s16, s1
	s_add_i32 s2, s0, 1
	s_sub_i32 s3, s1, s17
	s_cmp_ge_u32 s1, s17
	s_cselect_b32 s0, s2, s0
	s_cselect_b32 s1, s3, s1
	s_add_i32 s2, s0, 1
	s_cmp_ge_u32 s1, s17
	s_cselect_b32 s0, s2, s0
	s_cmp_ge_u32 s0, s12
	s_mov_b32 s1, 0
	s_cbranch_scc1 .LBB76_24
; %bb.1:
	s_load_dwordx4 s[8:11], s[4:5], 0x100
	s_load_dword s18, s[4:5], 0xd0
	s_load_dwordx2 s[2:3], s[4:5], 0x110
	s_lshl_b64 s[6:7], s[0:1], 3
	s_mov_b32 s19, s0
	s_waitcnt lgkmcnt(0)
	s_add_u32 s6, s10, s6
	s_addc_u32 s7, s11, s7
	s_load_dwordx2 s[6:7], s[6:7], 0x0
	s_cmp_lt_i32 s18, 2
	s_cbranch_scc1 .LBB76_4
; %bb.2:
	s_add_i32 s20, s18, -1
	s_mov_b32 s21, 0
	s_add_i32 s12, s18, 1
	s_lshl_b64 s[10:11], s[20:21], 2
	s_add_u32 s1, s4, s10
	s_addc_u32 s11, s5, s11
	s_add_u32 s10, s1, 8
	s_addc_u32 s11, s11, 0
	s_mov_b32 s19, s0
	s_mov_b32 s1, s21
.LBB76_3:                               ; =>This Inner Loop Header: Depth=1
	s_load_dword s18, s[10:11], 0x0
	s_load_dword s21, s[10:11], 0x64
	s_mov_b32 s20, s19
	s_waitcnt lgkmcnt(0)
	v_cvt_f32_u32_e32 v1, s18
	s_sub_i32 s19, 0, s18
	v_rcp_iflag_f32_e32 v1, v1
	v_mul_f32_e32 v1, 0x4f7ffffe, v1
	v_cvt_u32_f32_e32 v1, v1
	v_readfirstlane_b32 s22, v1
	s_mul_i32 s19, s19, s22
	s_mul_hi_u32 s19, s22, s19
	s_add_i32 s22, s22, s19
	s_mul_hi_u32 s19, s20, s22
	s_mul_i32 s22, s19, s18
	s_sub_i32 s22, s20, s22
	s_add_i32 s23, s19, 1
	s_sub_i32 s24, s22, s18
	s_cmp_ge_u32 s22, s18
	s_cselect_b32 s19, s23, s19
	s_cselect_b32 s22, s24, s22
	s_add_i32 s23, s19, 1
	s_cmp_ge_u32 s22, s18
	s_cselect_b32 s19, s23, s19
	s_mul_i32 s18, s19, s18
	s_sub_i32 s18, s20, s18
	s_mul_i32 s18, s21, s18
	s_add_i32 s12, s12, -1
	s_add_i32 s1, s18, s1
	s_add_u32 s10, s10, -4
	s_addc_u32 s11, s11, -1
	s_cmp_gt_u32 s12, 2
	s_cbranch_scc1 .LBB76_3
.LBB76_4:
	s_movk_i32 s10, 0x100
	v_cmp_gt_u32_e32 vcc, s10, v0
	v_lshlrev_b32_e32 v5, 2, v0
	s_and_saveexec_b64 s[10:11], vcc
; %bb.5:
	v_mov_b32_e32 v1, 0
	ds_write_b32 v5, v1
; %bb.6:
	s_or_b64 exec, exec, s[10:11]
	s_load_dword s12, s[4:5], 0xd8
	s_mul_i32 s0, s0, s17
	s_sub_i32 s0, s16, s0
	s_add_i32 s18, s0, 1
	s_mul_i32 s0, s15, s0
	s_lshl_b32 s0, s0, 8
	s_waitcnt lgkmcnt(0)
	s_sub_i32 s10, s12, s0
	s_add_u32 s10, s10, 0xff
	s_addc_u32 s11, 0, 0
	s_lshr_b64 s[10:11], s[10:11], 8
	s_cmp_lt_u32 s18, s17
	s_cselect_b32 s18, s15, s10
	s_cmp_lt_i32 s18, 1
	s_mov_b32 s11, 0
	s_barrier
	s_cbranch_scc1 .LBB76_22
; %bb.7:
	s_load_dword s10, s[4:5], 0x6c
	s_load_dwordx2 s[20:21], s[4:5], 0x0
	v_add_u32_e32 v6, s0, v0
	s_waitcnt lgkmcnt(0)
	s_mul_i32 s4, s10, s19
	s_add_i32 s10, s4, s1
	s_lshl_b64 s[4:5], s[10:11], 3
	s_add_u32 s15, s20, s4
	s_addc_u32 s17, s21, s5
	s_and_b32 s10, s14, 0xff
	s_cmp_eq_u32 s18, 1
	s_cbranch_scc1 .LBB76_17
; %bb.8:
	v_add_u32_e32 v1, 0x100, v6
	v_mul_lo_u32 v7, s13, v1
	v_mul_lo_u32 v8, s13, v6
	s_and_b32 s11, s18, 0x7ffffffe
	s_lshl_b32 s14, s13, 9
	s_mov_b32 s19, 0
	v_mov_b32_e32 v2, 0
	v_mov_b32_e32 v9, 1
	;; [unrolled: 1-line block ×4, first 2 shown]
	s_mov_b32 s20, 0
	s_branch .LBB76_10
.LBB76_9:                               ;   in Loop: Header=BB76_10 Depth=1
	s_or_b64 exec, exec, s[4:5]
	s_add_i32 s20, s20, 2
	s_add_i32 s19, s19, s14
	s_cmp_eq_u32 s11, s20
	v_add_u32_e32 v11, 0x200, v11
	s_cbranch_scc1 .LBB76_16
.LBB76_10:                              ; =>This Inner Loop Header: Depth=1
	v_cmp_gt_u32_e64 s[0:1], s12, v11
	s_and_saveexec_b64 s[4:5], s[0:1]
	s_cbranch_execz .LBB76_13
; %bb.11:                               ;   in Loop: Header=BB76_10 Depth=1
	v_add_u32_e32 v1, s19, v8
	v_lshlrev_b64 v[3:4], 3, v[1:2]
	v_mov_b32_e32 v1, s17
	v_add_co_u32_e64 v3, s[0:1], s15, v3
	v_addc_co_u32_e64 v4, s[0:1], v1, v4, s[0:1]
	global_load_dwordx2 v[3:4], v[3:4], off
	s_waitcnt vmcnt(0)
	v_cmp_o_f64_e64 s[0:1], v[3:4], v[3:4]
	v_ashrrev_i32_e32 v1, 31, v4
	v_or_b32_e32 v12, 0x80000000, v1
	v_xor_b32_e32 v12, v12, v4
	v_xor_b32_e32 v1, v1, v3
	v_cndmask_b32_e64 v4, -1, v12, s[0:1]
	v_cndmask_b32_e64 v3, -1, v1, s[0:1]
	v_xor_b32_e32 v12, s7, v4
	v_xor_b32_e32 v1, s6, v3
	v_and_b32_e32 v13, s9, v12
	v_and_b32_e32 v12, s8, v1
	v_cmp_eq_u64_e64 s[0:1], 0, v[12:13]
	s_and_b64 exec, exec, s[0:1]
; %bb.12:                               ;   in Loop: Header=BB76_10 Depth=1
	v_lshrrev_b64 v[3:4], s10, v[3:4]
	v_lshlrev_b32_sdwa v1, v10, v3 dst_sel:DWORD dst_unused:UNUSED_PAD src0_sel:DWORD src1_sel:BYTE_0
	ds_add_u32 v1, v9
.LBB76_13:                              ;   in Loop: Header=BB76_10 Depth=1
	s_or_b64 exec, exec, s[4:5]
	v_add_u32_e32 v1, 0x100, v11
	v_cmp_gt_u32_e64 s[0:1], s12, v1
	s_and_saveexec_b64 s[4:5], s[0:1]
	s_cbranch_execz .LBB76_9
; %bb.14:                               ;   in Loop: Header=BB76_10 Depth=1
	v_add_u32_e32 v1, s19, v7
	v_lshlrev_b64 v[3:4], 3, v[1:2]
	v_mov_b32_e32 v1, s17
	v_add_co_u32_e64 v3, s[0:1], s15, v3
	v_addc_co_u32_e64 v4, s[0:1], v1, v4, s[0:1]
	global_load_dwordx2 v[3:4], v[3:4], off
	s_waitcnt vmcnt(0)
	v_cmp_o_f64_e64 s[0:1], v[3:4], v[3:4]
	v_ashrrev_i32_e32 v1, 31, v4
	v_or_b32_e32 v12, 0x80000000, v1
	v_xor_b32_e32 v12, v12, v4
	v_xor_b32_e32 v1, v1, v3
	v_cndmask_b32_e64 v4, -1, v12, s[0:1]
	v_cndmask_b32_e64 v3, -1, v1, s[0:1]
	v_xor_b32_e32 v12, s7, v4
	v_xor_b32_e32 v1, s6, v3
	v_and_b32_e32 v13, s9, v12
	v_and_b32_e32 v12, s8, v1
	v_cmp_eq_u64_e64 s[0:1], 0, v[12:13]
	s_and_b64 exec, exec, s[0:1]
	s_cbranch_execz .LBB76_9
; %bb.15:                               ;   in Loop: Header=BB76_10 Depth=1
	v_lshrrev_b64 v[3:4], s10, v[3:4]
	v_lshlrev_b32_sdwa v1, v10, v3 dst_sel:DWORD dst_unused:UNUSED_PAD src0_sel:DWORD src1_sel:BYTE_0
	ds_add_u32 v1, v9
	s_branch .LBB76_9
.LBB76_16:
	s_lshl_b32 s11, s11, 8
.LBB76_17:
	s_bitcmp0_b32 s18, 0
	s_cbranch_scc1 .LBB76_22
; %bb.18:
	v_add_u32_e32 v1, s11, v6
	v_cmp_gt_u32_e64 s[0:1], s12, v1
	s_and_saveexec_b64 s[4:5], s[0:1]
	s_cbranch_execz .LBB76_21
; %bb.19:
	v_mul_lo_u32 v1, v1, s13
	v_mov_b32_e32 v2, 0
	v_mov_b32_e32 v3, s17
	v_lshlrev_b64 v[1:2], 3, v[1:2]
	v_add_co_u32_e64 v1, s[0:1], s15, v1
	v_addc_co_u32_e64 v2, s[0:1], v3, v2, s[0:1]
	global_load_dwordx2 v[1:2], v[1:2], off
	s_waitcnt vmcnt(0)
	v_cmp_o_f64_e64 s[0:1], v[1:2], v[1:2]
	v_ashrrev_i32_e32 v3, 31, v2
	v_or_b32_e32 v4, 0x80000000, v3
	v_xor_b32_e32 v4, v4, v2
	v_xor_b32_e32 v1, v3, v1
	v_cndmask_b32_e64 v2, -1, v4, s[0:1]
	v_cndmask_b32_e64 v1, -1, v1, s[0:1]
	v_xor_b32_e32 v3, s7, v2
	v_xor_b32_e32 v6, s6, v1
	v_and_b32_e32 v4, s9, v3
	v_and_b32_e32 v3, s8, v6
	v_cmp_eq_u64_e64 s[0:1], 0, v[3:4]
	s_and_b64 exec, exec, s[0:1]
	s_cbranch_execz .LBB76_21
; %bb.20:
	v_lshrrev_b64 v[1:2], s10, v[1:2]
	v_mov_b32_e32 v2, 2
	v_lshlrev_b32_sdwa v1, v2, v1 dst_sel:DWORD dst_unused:UNUSED_PAD src0_sel:DWORD src1_sel:BYTE_0
	v_mov_b32_e32 v2, 1
	ds_add_u32 v1, v2
.LBB76_21:
	s_or_b64 exec, exec, s[4:5]
.LBB76_22:
	s_waitcnt lgkmcnt(0)
	s_barrier
	s_and_saveexec_b64 s[0:1], vcc
	s_cbranch_execz .LBB76_24
; %bb.23:
	v_lshl_or_b32 v0, s16, 8, v0
	v_mov_b32_e32 v1, 0
	ds_read_b32 v3, v5
	v_lshlrev_b64 v[0:1], 1, v[0:1]
	v_mov_b32_e32 v2, s3
	v_add_co_u32_e32 v0, vcc, s2, v0
	v_addc_co_u32_e32 v1, vcc, v2, v1, vcc
	s_waitcnt lgkmcnt(0)
	global_store_short v[0:1], v3, off
.LBB76_24:
	s_endpgm
	.section	.rodata,"a",@progbits
	.p2align	6, 0x0
	.amdhsa_kernel _ZN2at6native6mbtopk23computeBlockDigitCountsIdjmLin1EEEvNS_4cuda6detail10TensorInfoIKT_T0_EEjPjjS8_iijT1_PSB_Ps
		.amdhsa_group_segment_fixed_size 1024
		.amdhsa_private_segment_fixed_size 0
		.amdhsa_kernarg_size 536
		.amdhsa_user_sgpr_count 6
		.amdhsa_user_sgpr_private_segment_buffer 1
		.amdhsa_user_sgpr_dispatch_ptr 0
		.amdhsa_user_sgpr_queue_ptr 0
		.amdhsa_user_sgpr_kernarg_segment_ptr 1
		.amdhsa_user_sgpr_dispatch_id 0
		.amdhsa_user_sgpr_flat_scratch_init 0
		.amdhsa_user_sgpr_private_segment_size 0
		.amdhsa_uses_dynamic_stack 0
		.amdhsa_system_sgpr_private_segment_wavefront_offset 0
		.amdhsa_system_sgpr_workgroup_id_x 1
		.amdhsa_system_sgpr_workgroup_id_y 1
		.amdhsa_system_sgpr_workgroup_id_z 1
		.amdhsa_system_sgpr_workgroup_info 0
		.amdhsa_system_vgpr_workitem_id 0
		.amdhsa_next_free_vgpr 14
		.amdhsa_next_free_sgpr 25
		.amdhsa_reserve_vcc 1
		.amdhsa_reserve_flat_scratch 0
		.amdhsa_float_round_mode_32 0
		.amdhsa_float_round_mode_16_64 0
		.amdhsa_float_denorm_mode_32 3
		.amdhsa_float_denorm_mode_16_64 3
		.amdhsa_dx10_clamp 1
		.amdhsa_ieee_mode 1
		.amdhsa_fp16_overflow 0
		.amdhsa_exception_fp_ieee_invalid_op 0
		.amdhsa_exception_fp_denorm_src 0
		.amdhsa_exception_fp_ieee_div_zero 0
		.amdhsa_exception_fp_ieee_overflow 0
		.amdhsa_exception_fp_ieee_underflow 0
		.amdhsa_exception_fp_ieee_inexact 0
		.amdhsa_exception_int_div_zero 0
	.end_amdhsa_kernel
	.section	.text._ZN2at6native6mbtopk23computeBlockDigitCountsIdjmLin1EEEvNS_4cuda6detail10TensorInfoIKT_T0_EEjPjjS8_iijT1_PSB_Ps,"axG",@progbits,_ZN2at6native6mbtopk23computeBlockDigitCountsIdjmLin1EEEvNS_4cuda6detail10TensorInfoIKT_T0_EEjPjjS8_iijT1_PSB_Ps,comdat
.Lfunc_end76:
	.size	_ZN2at6native6mbtopk23computeBlockDigitCountsIdjmLin1EEEvNS_4cuda6detail10TensorInfoIKT_T0_EEjPjjS8_iijT1_PSB_Ps, .Lfunc_end76-_ZN2at6native6mbtopk23computeBlockDigitCountsIdjmLin1EEEvNS_4cuda6detail10TensorInfoIKT_T0_EEjPjjS8_iijT1_PSB_Ps
                                        ; -- End function
	.set _ZN2at6native6mbtopk23computeBlockDigitCountsIdjmLin1EEEvNS_4cuda6detail10TensorInfoIKT_T0_EEjPjjS8_iijT1_PSB_Ps.num_vgpr, 14
	.set _ZN2at6native6mbtopk23computeBlockDigitCountsIdjmLin1EEEvNS_4cuda6detail10TensorInfoIKT_T0_EEjPjjS8_iijT1_PSB_Ps.num_agpr, 0
	.set _ZN2at6native6mbtopk23computeBlockDigitCountsIdjmLin1EEEvNS_4cuda6detail10TensorInfoIKT_T0_EEjPjjS8_iijT1_PSB_Ps.numbered_sgpr, 25
	.set _ZN2at6native6mbtopk23computeBlockDigitCountsIdjmLin1EEEvNS_4cuda6detail10TensorInfoIKT_T0_EEjPjjS8_iijT1_PSB_Ps.num_named_barrier, 0
	.set _ZN2at6native6mbtopk23computeBlockDigitCountsIdjmLin1EEEvNS_4cuda6detail10TensorInfoIKT_T0_EEjPjjS8_iijT1_PSB_Ps.private_seg_size, 0
	.set _ZN2at6native6mbtopk23computeBlockDigitCountsIdjmLin1EEEvNS_4cuda6detail10TensorInfoIKT_T0_EEjPjjS8_iijT1_PSB_Ps.uses_vcc, 1
	.set _ZN2at6native6mbtopk23computeBlockDigitCountsIdjmLin1EEEvNS_4cuda6detail10TensorInfoIKT_T0_EEjPjjS8_iijT1_PSB_Ps.uses_flat_scratch, 0
	.set _ZN2at6native6mbtopk23computeBlockDigitCountsIdjmLin1EEEvNS_4cuda6detail10TensorInfoIKT_T0_EEjPjjS8_iijT1_PSB_Ps.has_dyn_sized_stack, 0
	.set _ZN2at6native6mbtopk23computeBlockDigitCountsIdjmLin1EEEvNS_4cuda6detail10TensorInfoIKT_T0_EEjPjjS8_iijT1_PSB_Ps.has_recursion, 0
	.set _ZN2at6native6mbtopk23computeBlockDigitCountsIdjmLin1EEEvNS_4cuda6detail10TensorInfoIKT_T0_EEjPjjS8_iijT1_PSB_Ps.has_indirect_call, 0
	.section	.AMDGPU.csdata,"",@progbits
; Kernel info:
; codeLenInByte = 1244
; TotalNumSgprs: 29
; NumVgprs: 14
; ScratchSize: 0
; MemoryBound: 0
; FloatMode: 240
; IeeeMode: 1
; LDSByteSize: 1024 bytes/workgroup (compile time only)
; SGPRBlocks: 3
; VGPRBlocks: 3
; NumSGPRsForWavesPerEU: 29
; NumVGPRsForWavesPerEU: 14
; Occupancy: 10
; WaveLimiterHint : 1
; COMPUTE_PGM_RSRC2:SCRATCH_EN: 0
; COMPUTE_PGM_RSRC2:USER_SGPR: 6
; COMPUTE_PGM_RSRC2:TRAP_HANDLER: 0
; COMPUTE_PGM_RSRC2:TGID_X_EN: 1
; COMPUTE_PGM_RSRC2:TGID_Y_EN: 1
; COMPUTE_PGM_RSRC2:TGID_Z_EN: 1
; COMPUTE_PGM_RSRC2:TIDIG_COMP_CNT: 0
	.section	.text._ZN2at6native6mbtopk10gatherTopKIdjLin1EEEvNS_4cuda6detail10TensorInfoIKT_T0_EES8_S8_bjS8_NS5_IS6_S8_EES8_NS5_IlS8_EES8_jjPS6_PjSD_j,"axG",@progbits,_ZN2at6native6mbtopk10gatherTopKIdjLin1EEEvNS_4cuda6detail10TensorInfoIKT_T0_EES8_S8_bjS8_NS5_IS6_S8_EES8_NS5_IlS8_EES8_jjPS6_PjSD_j,comdat
	.protected	_ZN2at6native6mbtopk10gatherTopKIdjLin1EEEvNS_4cuda6detail10TensorInfoIKT_T0_EES8_S8_bjS8_NS5_IS6_S8_EES8_NS5_IlS8_EES8_jjPS6_PjSD_j ; -- Begin function _ZN2at6native6mbtopk10gatherTopKIdjLin1EEEvNS_4cuda6detail10TensorInfoIKT_T0_EES8_S8_bjS8_NS5_IS6_S8_EES8_NS5_IlS8_EES8_jjPS6_PjSD_j
	.globl	_ZN2at6native6mbtopk10gatherTopKIdjLin1EEEvNS_4cuda6detail10TensorInfoIKT_T0_EES8_S8_bjS8_NS5_IS6_S8_EES8_NS5_IlS8_EES8_jjPS6_PjSD_j
	.p2align	8
	.type	_ZN2at6native6mbtopk10gatherTopKIdjLin1EEEvNS_4cuda6detail10TensorInfoIKT_T0_EES8_S8_bjS8_NS5_IS6_S8_EES8_NS5_IlS8_EES8_jjPS6_PjSD_j,@function
_ZN2at6native6mbtopk10gatherTopKIdjLin1EEEvNS_4cuda6detail10TensorInfoIKT_T0_EES8_S8_bjS8_NS5_IS6_S8_EES8_NS5_IlS8_EES8_jjPS6_PjSD_j: ; @_ZN2at6native6mbtopk10gatherTopKIdjLin1EEEvNS_4cuda6detail10TensorInfoIKT_T0_EES8_S8_bjS8_NS5_IS6_S8_EES8_NS5_IlS8_EES8_jjPS6_PjSD_j
; %bb.0:
	s_load_dwordx2 s[0:1], s[4:5], 0x2d8
	s_load_dword s2, s[4:5], 0x2d0
	s_waitcnt lgkmcnt(0)
	s_mul_i32 s1, s1, s8
	s_add_i32 s1, s1, s7
	s_mul_i32 s12, s1, s0
	s_add_i32 s12, s12, s6
	s_cmp_ge_u32 s12, s2
	s_cbranch_scc1 .LBB77_49
; %bb.1:
	s_load_dwordx4 s[8:11], s[4:5], 0x2a8
	s_load_dword s0, s[4:5], 0xd0
	s_mov_b32 s7, 0
	s_waitcnt lgkmcnt(0)
	v_cvt_f32_u32_e32 v1, s10
	s_sub_i32 s1, 0, s10
	v_rcp_iflag_f32_e32 v1, v1
	v_mul_f32_e32 v1, 0x4f7ffffe, v1
	v_cvt_u32_f32_e32 v1, v1
	v_readfirstlane_b32 s2, v1
	s_mul_i32 s1, s1, s2
	s_mul_hi_u32 s1, s2, s1
	s_add_i32 s2, s2, s1
	s_mul_hi_u32 s1, s12, s2
	s_mul_i32 s2, s1, s10
	s_sub_i32 s2, s12, s2
	s_add_i32 s3, s1, 1
	s_sub_i32 s6, s2, s10
	s_cmp_ge_u32 s2, s10
	s_cselect_b32 s1, s3, s1
	s_cselect_b32 s2, s6, s2
	s_add_i32 s3, s1, 1
	s_cmp_ge_u32 s2, s10
	s_cselect_b32 s20, s3, s1
	s_cmp_lt_i32 s0, 2
	s_mov_b32 s6, s20
	s_cbranch_scc1 .LBB77_4
; %bb.2:
	s_add_i32 s6, s0, -1
	s_add_i32 s2, s0, 1
	s_lshl_b64 s[0:1], s[6:7], 2
	s_add_u32 s0, s4, s0
	s_addc_u32 s1, s5, s1
	s_add_u32 s0, s0, 8
	s_addc_u32 s1, s1, 0
	s_mov_b32 s6, s20
.LBB77_3:                               ; =>This Inner Loop Header: Depth=1
	s_load_dword s3, s[0:1], 0x0
	s_load_dword s13, s[0:1], 0x64
	s_mov_b32 s11, s6
	s_waitcnt lgkmcnt(0)
	v_cvt_f32_u32_e32 v1, s3
	s_sub_i32 s6, 0, s3
	v_rcp_iflag_f32_e32 v1, v1
	v_mul_f32_e32 v1, 0x4f7ffffe, v1
	v_cvt_u32_f32_e32 v1, v1
	v_readfirstlane_b32 s14, v1
	s_mul_i32 s6, s6, s14
	s_mul_hi_u32 s6, s14, s6
	s_add_i32 s14, s14, s6
	s_mul_hi_u32 s6, s11, s14
	s_mul_i32 s14, s6, s3
	s_sub_i32 s14, s11, s14
	s_add_i32 s15, s6, 1
	s_sub_i32 s16, s14, s3
	s_cmp_ge_u32 s14, s3
	s_cselect_b32 s6, s15, s6
	s_cselect_b32 s14, s16, s14
	s_add_i32 s15, s6, 1
	s_cmp_ge_u32 s14, s3
	s_cselect_b32 s6, s15, s6
	s_mul_i32 s3, s6, s3
	s_sub_i32 s3, s11, s3
	s_mul_i32 s3, s13, s3
	s_add_i32 s2, s2, -1
	s_add_i32 s7, s3, s7
	s_add_u32 s0, s0, -4
	s_addc_u32 s1, s1, -1
	s_cmp_gt_u32 s2, 2
	s_cbranch_scc1 .LBB77_3
.LBB77_4:
	s_load_dword s2, s[4:5], 0x1c0
	s_add_u32 s0, s4, 0xf0
	s_addc_u32 s1, s5, 0
	s_mov_b32 s23, 0
	s_mov_b32 s22, s20
	s_waitcnt lgkmcnt(0)
	s_cmp_lt_i32 s2, 2
	s_cbranch_scc1 .LBB77_7
; %bb.5:
	s_add_i32 s22, s2, -1
	s_add_i32 s11, s2, 1
	s_lshl_b64 s[2:3], s[22:23], 2
	s_add_u32 s2, s0, s2
	s_addc_u32 s3, s1, s3
	s_add_u32 s2, s2, 8
	s_addc_u32 s3, s3, 0
	s_mov_b32 s22, s20
.LBB77_6:                               ; =>This Inner Loop Header: Depth=1
	s_load_dword s13, s[2:3], 0x0
	s_load_dword s15, s[2:3], 0x64
	s_mov_b32 s14, s22
	s_waitcnt lgkmcnt(0)
	v_cvt_f32_u32_e32 v1, s13
	s_sub_i32 s16, 0, s13
	v_rcp_iflag_f32_e32 v1, v1
	v_mul_f32_e32 v1, 0x4f7ffffe, v1
	v_cvt_u32_f32_e32 v1, v1
	v_readfirstlane_b32 s17, v1
	s_mul_i32 s16, s16, s17
	s_mul_hi_u32 s16, s17, s16
	s_add_i32 s17, s17, s16
	s_mul_hi_u32 s16, s22, s17
	s_mul_i32 s17, s16, s13
	s_sub_i32 s17, s22, s17
	s_add_i32 s18, s16, 1
	s_sub_i32 s19, s17, s13
	s_cmp_ge_u32 s17, s13
	s_cselect_b32 s16, s18, s16
	s_cselect_b32 s17, s19, s17
	s_add_i32 s18, s16, 1
	s_cmp_ge_u32 s17, s13
	s_cselect_b32 s22, s18, s16
	s_mul_i32 s13, s22, s13
	s_sub_i32 s13, s14, s13
	s_mul_i32 s13, s15, s13
	s_add_i32 s11, s11, -1
	s_add_i32 s23, s13, s23
	s_add_u32 s2, s2, -4
	s_addc_u32 s3, s3, -1
	s_cmp_gt_u32 s11, 2
	s_cbranch_scc1 .LBB77_6
.LBB77_7:
	s_load_dword s33, s[4:5], 0x6c
	s_load_dword s13, s[4:5], 0x2a0
	s_add_u32 s2, s4, 0x1d0
	s_addc_u32 s3, s5, 0
	s_mov_b32 s25, 0
	s_mov_b32 s24, s20
	s_waitcnt lgkmcnt(0)
	s_cmp_lt_i32 s13, 2
	s_cbranch_scc1 .LBB77_10
; %bb.8:
	s_add_i32 s24, s13, -1
	s_add_i32 s11, s13, 1
	s_lshl_b64 s[14:15], s[24:25], 2
	s_add_u32 s2, s2, s14
	s_addc_u32 s3, s3, s15
	s_add_u32 s2, s2, 8
	s_addc_u32 s3, s3, 0
	s_mov_b32 s24, s20
.LBB77_9:                               ; =>This Inner Loop Header: Depth=1
	s_load_dword s13, s[2:3], 0x0
	s_load_dword s15, s[2:3], 0x64
	s_mov_b32 s14, s24
	s_waitcnt lgkmcnt(0)
	v_cvt_f32_u32_e32 v1, s13
	s_sub_i32 s16, 0, s13
	v_rcp_iflag_f32_e32 v1, v1
	v_mul_f32_e32 v1, 0x4f7ffffe, v1
	v_cvt_u32_f32_e32 v1, v1
	v_readfirstlane_b32 s17, v1
	s_mul_i32 s16, s16, s17
	s_mul_hi_u32 s16, s17, s16
	s_add_i32 s17, s17, s16
	s_mul_hi_u32 s16, s24, s17
	s_mul_i32 s17, s16, s13
	s_sub_i32 s17, s24, s17
	s_add_i32 s18, s16, 1
	s_sub_i32 s19, s17, s13
	s_cmp_ge_u32 s17, s13
	s_cselect_b32 s16, s18, s16
	s_cselect_b32 s17, s19, s17
	s_add_i32 s18, s16, 1
	s_cmp_ge_u32 s17, s13
	s_cselect_b32 s24, s18, s16
	s_mul_i32 s13, s24, s13
	s_sub_i32 s13, s14, s13
	s_mul_i32 s13, s15, s13
	s_add_i32 s11, s11, -1
	s_add_i32 s25, s13, s25
	s_add_u32 s2, s2, -4
	s_addc_u32 s3, s3, -1
	s_cmp_gt_u32 s11, 2
	s_cbranch_scc1 .LBB77_9
.LBB77_10:
	s_mul_i32 s16, s20, s10
	s_sub_i32 s11, s12, s16
	s_load_dwordx4 s[12:15], s[4:5], 0x2b8
	s_load_dwordx2 s[34:35], s[4:5], 0x0
	s_load_dwordx2 s[30:31], s[4:5], 0xf0
	;; [unrolled: 1-line block ×3, first 2 shown]
	s_mov_b32 s21, 0
	s_load_dword s42, s[0:1], 0x6c
	s_lshl_b64 s[0:1], s[20:21], 3
	s_waitcnt lgkmcnt(0)
	s_add_u32 s0, s12, s0
	s_addc_u32 s1, s13, s1
	s_load_dwordx2 s[28:29], s[0:1], 0x0
	v_cmp_ne_u32_e64 s[0:1], 0, v0
	v_cmp_eq_u32_e64 s[2:3], 0, v0
	s_and_saveexec_b64 s[12:13], s[2:3]
	s_cbranch_execz .LBB77_26
; %bb.11:
	s_load_dwordx2 s[36:37], s[4:5], 0x2c8
	s_mov_b32 s17, s21
	s_lshl_b64 s[38:39], s[16:17], 2
	s_add_u32 s16, s14, s38
	s_addc_u32 s17, s15, s39
	s_waitcnt lgkmcnt(0)
	s_add_u32 s18, s36, s38
	s_addc_u32 s19, s37, s39
	s_mov_b32 s20, 0
	s_mov_b32 s43, 0
	s_cmp_lt_u32 s10, 4
	s_cbranch_scc1 .LBB77_23
; %bb.12:
	s_mov_b32 s44, 0
.LBB77_13:                              ; =>This Inner Loop Header: Depth=1
	s_add_u32 s40, s14, s38
	s_addc_u32 s41, s15, s39
	s_load_dwordx4 s[16:19], s[40:41], 0x0
	s_add_u32 s40, s36, s38
	s_addc_u32 s41, s37, s39
	s_cmp_ge_u32 s44, s11
	s_cbranch_scc0 .LBB77_20
; %bb.14:                               ;   in Loop: Header=BB77_13 Depth=1
	s_add_i32 s45, s44, 1
	s_cmp_ge_u32 s45, s11
	s_cbranch_scc0 .LBB77_21
.LBB77_15:                              ;   in Loop: Header=BB77_13 Depth=1
	s_add_i32 s45, s45, 1
	s_cmp_ge_u32 s45, s11
	s_cbranch_scc0 .LBB77_22
.LBB77_16:                              ;   in Loop: Header=BB77_13 Depth=1
	s_add_i32 s45, s45, 1
	s_cmp_ge_u32 s45, s11
	s_cbranch_scc1 .LBB77_18
.LBB77_17:                              ;   in Loop: Header=BB77_13 Depth=1
	s_load_dword s40, s[40:41], 0xc
	s_waitcnt lgkmcnt(0)
	s_add_i32 s21, s21, s19
	s_add_i32 s20, s40, s20
.LBB77_18:                              ;   in Loop: Header=BB77_13 Depth=1
	s_waitcnt lgkmcnt(0)
	s_add_i32 s16, s16, s43
	s_add_i32 s16, s16, s17
	;; [unrolled: 1-line block ×4, first 2 shown]
	s_add_u32 s14, s14, 16
	s_addc_u32 s15, s15, 0
	s_add_u32 s36, s36, 16
	s_addc_u32 s37, s37, 0
	s_add_i32 s41, s45, 4
	s_add_u32 s18, s36, s38
	s_addc_u32 s19, s37, s39
	s_add_u32 s16, s14, s38
	s_addc_u32 s17, s15, s39
	s_add_i32 s40, s45, 1
	s_cmp_ge_u32 s41, s10
	s_cbranch_scc1 .LBB77_24
; %bb.19:                               ;   in Loop: Header=BB77_13 Depth=1
	s_mov_b32 s44, s40
	s_branch .LBB77_13
.LBB77_20:                              ;   in Loop: Header=BB77_13 Depth=1
	s_load_dword s45, s[40:41], 0x0
	s_waitcnt lgkmcnt(0)
	s_add_i32 s21, s16, s21
	s_add_i32 s20, s45, s20
	;; [unrolled: 1-line block ×3, first 2 shown]
	s_cmp_ge_u32 s45, s11
	s_cbranch_scc1 .LBB77_15
.LBB77_21:                              ;   in Loop: Header=BB77_13 Depth=1
	s_load_dword s46, s[40:41], 0x4
	s_waitcnt lgkmcnt(0)
	s_add_i32 s21, s21, s17
	s_add_i32 s20, s46, s20
	;; [unrolled: 1-line block ×3, first 2 shown]
	s_cmp_ge_u32 s45, s11
	s_cbranch_scc1 .LBB77_16
.LBB77_22:                              ;   in Loop: Header=BB77_13 Depth=1
	s_load_dword s46, s[40:41], 0x8
	s_waitcnt lgkmcnt(0)
	s_add_i32 s21, s21, s18
	s_add_i32 s20, s46, s20
	s_add_i32 s45, s45, 1
	s_cmp_ge_u32 s45, s11
	s_cbranch_scc0 .LBB77_17
	s_branch .LBB77_18
.LBB77_23:
	s_mov_b32 s14, 0
	s_cmp_ge_u32 s14, s10
	s_cbranch_scc0 .LBB77_47
	s_branch .LBB77_25
.LBB77_24:
	s_add_i32 s14, s44, 4
	s_cmp_ge_u32 s14, s10
	s_cbranch_scc0 .LBB77_47
.LBB77_25:
	v_mov_b32_e32 v1, s20
	v_mov_b32_e32 v2, s43
	;; [unrolled: 1-line block ×4, first 2 shown]
	ds_write_b96 v4, v[1:3] offset:1056
.LBB77_26:
	s_or_b64 exec, exec, s[12:13]
	s_load_dword s16, s[4:5], 0x23c
	s_load_dwordx4 s[12:15], s[4:5], 0xd8
	s_waitcnt lgkmcnt(0)
	s_mul_i32 s15, s9, s11
	s_lshl_b32 s15, s15, 8
	s_add_i32 s17, s11, 1
	s_mov_b32 s11, 0
	s_sub_i32 s18, s12, s15
	s_add_u32 s18, s18, 0xff
	s_addc_u32 s19, 0, 0
	s_lshr_b64 s[18:19], s[18:19], 8
	s_cmp_lt_u32 s17, s10
	s_cselect_b32 s9, s9, s18
	s_cmp_eq_u32 s9, 0
	s_barrier
	s_cbranch_scc1 .LBB77_49
; %bb.27:
	s_mul_i32 s10, s42, s22
	s_mul_i32 s6, s33, s6
	s_add_i32 s18, s10, s23
	s_add_i32 s10, s6, s7
	s_mul_i32 s6, s16, s24
	s_add_i32 s6, s6, s25
	s_lshl_b64 s[16:17], s[10:11], 3
	s_add_u32 s16, s34, s16
	s_mov_b32 s19, s11
	v_cmp_o_f64_e64 s[22:23], s[28:29], s[28:29]
	s_addc_u32 s17, s35, s17
	s_lshl_b64 s[18:19], s[18:19], 3
	v_mov_b32_e32 v5, 0
	s_add_u32 s18, s30, s18
	s_mov_b32 s7, s11
	ds_read_b96 v[1:3], v5 offset:1056
	s_addc_u32 s19, s31, s19
	s_lshl_b64 s[6:7], s[6:7], 3
	s_add_u32 s20, s26, s6
	s_addc_u32 s21, s27, s7
	s_ashr_i32 s6, s29, 31
	s_or_b32 s7, s6, 0x80000000
	s_xor_b64 s[6:7], s[6:7], s[28:29]
	s_waitcnt lgkmcnt(0)
	v_add_u32_e32 v2, v1, v2
	v_lshrrev_b32_e32 v1, 3, v0
	s_and_b64 s[10:11], s[22:23], exec
	v_and_b32_e32 v1, 28, v1
	s_cselect_b32 s11, s7, -1
	s_cselect_b32 s10, s6, -1
	s_bitcmp1_b32 s14, 0
	s_load_dword s14, s[4:5], 0xe8
	s_load_dword s22, s[4:5], 0x1c8
	v_lshl_add_u32 v8, v0, 2, v1
	v_lshrrev_b32_e32 v1, 1, v0
	v_and_b32_e32 v9, 0x7c, v1
	v_add_u32_e32 v1, -1, v0
	v_lshrrev_b32_e32 v4, 3, v1
	v_cmp_gt_u32_e64 s[4:5], 64, v0
	v_lshlrev_b32_e32 v10, 4, v0
	v_and_b32_e32 v4, 0x1ffffffc, v4
	v_add_u32_e32 v0, s15, v0
	v_lshl_add_u32 v11, v1, 2, v4
	s_waitcnt lgkmcnt(0)
	v_mul_lo_u32 v4, s14, v0
	v_mbcnt_lo_u32_b32 v1, -1, 0
	s_cselect_b64 s[6:7], -1, 0
	s_lshl_b32 s23, s14, 8
	v_mbcnt_hi_u32_b32 v12, -1, v1
                                        ; implicit-def: $vgpr6_vgpr7
	s_branch .LBB77_30
.LBB77_28:                              ;   in Loop: Header=BB77_30 Depth=1
	s_or_b64 exec, exec, s[14:15]
	v_add_u32_e32 v2, v15, v2
.LBB77_29:                              ;   in Loop: Header=BB77_30 Depth=1
	s_add_i32 s9, s9, -1
	v_add_u32_e32 v3, v14, v3
	v_add_u32_e32 v4, s23, v4
	s_cmp_lg_u32 s9, 0
	v_add_u32_e32 v0, 0x100, v0
	s_cbranch_scc0 .LBB77_49
.LBB77_30:                              ; =>This Inner Loop Header: Depth=1
	v_cmp_gt_u32_e32 vcc, s12, v0
	v_mov_b32_e32 v1, 0
	v_mov_b32_e32 v13, 0
	s_and_saveexec_b64 s[14:15], vcc
	s_cbranch_execz .LBB77_32
; %bb.31:                               ;   in Loop: Header=BB77_30 Depth=1
	v_lshlrev_b64 v[6:7], 3, v[4:5]
	v_mov_b32_e32 v1, s17
	v_add_co_u32_e32 v6, vcc, s16, v6
	v_addc_co_u32_e32 v7, vcc, v1, v7, vcc
	global_load_dwordx2 v[6:7], v[6:7], off
	s_waitcnt vmcnt(0)
	v_cmp_o_f64_e32 vcc, v[6:7], v[6:7]
	v_ashrrev_i32_e32 v1, 31, v7
	v_or_b32_e32 v13, 0x80000000, v1
	v_xor_b32_e32 v13, v13, v7
	v_xor_b32_e32 v1, v1, v6
	v_cndmask_b32_e32 v14, -1, v13, vcc
	v_cndmask_b32_e32 v13, -1, v1, vcc
	v_cmp_lt_u64_e32 vcc, s[10:11], v[13:14]
	v_cndmask_b32_e64 v1, 0, 1, vcc
	v_cmp_gt_u64_e32 vcc, s[10:11], v[13:14]
	v_cndmask_b32_e64 v15, 0, 1, vcc
	v_cmp_eq_u64_e32 vcc, s[10:11], v[13:14]
	v_cndmask_b32_e64 v1, v15, v1, s[6:7]
	v_and_b32_e32 v1, 1, v1
	v_cndmask_b32_e64 v13, 0, 1, vcc
.LBB77_32:                              ;   in Loop: Header=BB77_30 Depth=1
	s_or_b64 exec, exec, s[14:15]
	ds_write_b32 v8, v1
	s_waitcnt vmcnt(0) lgkmcnt(0)
	s_barrier
	s_and_saveexec_b64 s[14:15], s[4:5]
	s_cbranch_execz .LBB77_34
; %bb.33:                               ;   in Loop: Header=BB77_30 Depth=1
	v_add_u32_e32 v18, v9, v10
	ds_read2_b32 v[14:15], v18 offset1:1
	ds_read2_b32 v[16:17], v18 offset0:2 offset1:3
	v_and_b32_e32 v19, 15, v12
	v_cmp_ne_u32_e32 vcc, 0, v19
	s_waitcnt lgkmcnt(1)
	v_add_u32_e32 v15, v15, v14
	s_waitcnt lgkmcnt(0)
	v_add3_u32 v15, v15, v16, v17
	v_bfe_i32 v17, v12, 4, 1
	; wave barrier
	s_nop 0
	v_mov_b32_dpp v16, v15 row_shr:1 row_mask:0xf bank_mask:0xf
	v_cndmask_b32_e32 v16, 0, v16, vcc
	v_add_u32_e32 v15, v16, v15
	v_cmp_lt_u32_e32 vcc, 1, v19
	s_nop 0
	v_mov_b32_dpp v16, v15 row_shr:2 row_mask:0xf bank_mask:0xf
	v_cndmask_b32_e32 v16, 0, v16, vcc
	v_add_u32_e32 v15, v15, v16
	v_cmp_lt_u32_e32 vcc, 3, v19
	;; [unrolled: 5-line block ×4, first 2 shown]
	s_nop 0
	v_mov_b32_dpp v16, v15 row_bcast:15 row_mask:0xf bank_mask:0xf
	v_and_b32_e32 v16, v17, v16
	v_add_u32_e32 v15, v15, v16
	v_and_b32_e32 v17, 64, v12
	s_nop 0
	v_mov_b32_dpp v16, v15 row_bcast:31 row_mask:0xf bank_mask:0xf
	v_cndmask_b32_e32 v16, 0, v16, vcc
	v_add_u32_e32 v15, v15, v16
	v_add_u32_e32 v16, -1, v12
	v_cmp_lt_i32_e32 vcc, v16, v17
	v_cndmask_b32_e32 v16, v16, v12, vcc
	v_lshlrev_b32_e32 v16, 2, v16
	ds_bpermute_b32 v15, v16, v15
	s_waitcnt lgkmcnt(0)
	v_add_u32_e32 v14, v15, v14
	v_cndmask_b32_e64 v16, v14, v1, s[2:3]
	ds_write_b32 v18, v16
	; wave barrier
	ds_read2_b32 v[14:15], v18 offset0:1 offset1:2
	ds_read_b32 v17, v18 offset:12
	s_waitcnt lgkmcnt(1)
	v_add_u32_e32 v14, v14, v16
	v_add_u32_e32 v15, v15, v14
	ds_write2_b32 v18, v14, v15 offset0:1 offset1:2
	s_waitcnt lgkmcnt(1)
	v_add_u32_e32 v14, v17, v15
	ds_write_b32 v18, v14 offset:12
.LBB77_34:                              ;   in Loop: Header=BB77_30 Depth=1
	s_or_b64 exec, exec, s[14:15]
	v_mov_b32_e32 v15, 0
	s_waitcnt lgkmcnt(0)
	s_barrier
	s_and_saveexec_b64 s[14:15], s[0:1]
; %bb.35:                               ;   in Loop: Header=BB77_30 Depth=1
	ds_read_b32 v15, v11
; %bb.36:                               ;   in Loop: Header=BB77_30 Depth=1
	s_or_b64 exec, exec, s[14:15]
	ds_read_b32 v14, v5 offset:1048
	v_cmp_ne_u32_e32 vcc, 0, v1
	s_waitcnt lgkmcnt(0)
	s_barrier
	s_and_saveexec_b64 s[14:15], vcc
	s_cbranch_execz .LBB77_38
; %bb.37:                               ;   in Loop: Header=BB77_30 Depth=1
	v_add_u32_e32 v1, v15, v3
	v_mul_lo_u32 v15, v1, s22
	v_mov_b32_e32 v16, v5
	v_mov_b32_e32 v17, s19
	;; [unrolled: 1-line block ×3, first 2 shown]
	v_lshlrev_b64 v[15:16], 3, v[15:16]
	v_add_co_u32_e32 v15, vcc, s18, v15
	v_addc_co_u32_e32 v16, vcc, v17, v16, vcc
	v_mul_lo_u32 v17, v1, s8
	global_store_dwordx2 v[15:16], v[6:7], off
	v_mov_b32_e32 v1, v5
	v_lshlrev_b64 v[15:16], 3, v[17:18]
	v_mov_b32_e32 v17, s21
	v_add_co_u32_e32 v15, vcc, s20, v15
	v_addc_co_u32_e32 v16, vcc, v17, v16, vcc
	global_store_dwordx2 v[15:16], v[0:1], off
.LBB77_38:                              ;   in Loop: Header=BB77_30 Depth=1
	s_or_b64 exec, exec, s[14:15]
	v_cmp_le_u32_e32 vcc, s13, v2
	s_cbranch_vccnz .LBB77_29
; %bb.39:                               ;   in Loop: Header=BB77_30 Depth=1
	ds_write_b32 v8, v13
	s_waitcnt vmcnt(0) lgkmcnt(0)
	s_barrier
	s_and_saveexec_b64 s[14:15], s[4:5]
	s_cbranch_execz .LBB77_41
; %bb.40:                               ;   in Loop: Header=BB77_30 Depth=1
	v_add_u32_e32 v1, v9, v10
	ds_read2_b32 v[15:16], v1 offset1:1
	ds_read2_b32 v[17:18], v1 offset0:2 offset1:3
	v_and_b32_e32 v19, 15, v12
	v_cmp_ne_u32_e32 vcc, 0, v19
	s_waitcnt lgkmcnt(1)
	v_add_u32_e32 v16, v16, v15
	s_waitcnt lgkmcnt(0)
	v_add3_u32 v16, v16, v17, v18
	v_bfe_i32 v18, v12, 4, 1
	; wave barrier
	s_nop 0
	v_mov_b32_dpp v17, v16 row_shr:1 row_mask:0xf bank_mask:0xf
	v_cndmask_b32_e32 v17, 0, v17, vcc
	v_add_u32_e32 v16, v17, v16
	v_cmp_lt_u32_e32 vcc, 1, v19
	s_nop 0
	v_mov_b32_dpp v17, v16 row_shr:2 row_mask:0xf bank_mask:0xf
	v_cndmask_b32_e32 v17, 0, v17, vcc
	v_add_u32_e32 v16, v16, v17
	v_cmp_lt_u32_e32 vcc, 3, v19
	;; [unrolled: 5-line block ×4, first 2 shown]
	s_nop 0
	v_mov_b32_dpp v17, v16 row_bcast:15 row_mask:0xf bank_mask:0xf
	v_and_b32_e32 v17, v18, v17
	v_add_u32_e32 v16, v16, v17
	v_and_b32_e32 v18, 64, v12
	s_nop 0
	v_mov_b32_dpp v17, v16 row_bcast:31 row_mask:0xf bank_mask:0xf
	v_cndmask_b32_e32 v17, 0, v17, vcc
	v_add_u32_e32 v16, v16, v17
	v_add_u32_e32 v17, -1, v12
	v_cmp_lt_i32_e32 vcc, v17, v18
	v_cndmask_b32_e32 v17, v17, v12, vcc
	v_lshlrev_b32_e32 v17, 2, v17
	ds_bpermute_b32 v16, v17, v16
	s_waitcnt lgkmcnt(0)
	v_add_u32_e32 v15, v16, v15
	v_cndmask_b32_e64 v17, v15, v13, s[2:3]
	ds_write_b32 v1, v17
	; wave barrier
	ds_read2_b32 v[15:16], v1 offset0:1 offset1:2
	ds_read_b32 v18, v1 offset:12
	s_waitcnt lgkmcnt(1)
	v_add_u32_e32 v15, v15, v17
	v_add_u32_e32 v16, v16, v15
	ds_write2_b32 v1, v15, v16 offset0:1 offset1:2
	s_waitcnt lgkmcnt(1)
	v_add_u32_e32 v15, v18, v16
	ds_write_b32 v1, v15 offset:12
.LBB77_41:                              ;   in Loop: Header=BB77_30 Depth=1
	s_or_b64 exec, exec, s[14:15]
	v_mov_b32_e32 v1, 0
	s_waitcnt lgkmcnt(0)
	s_barrier
	s_and_saveexec_b64 s[14:15], s[0:1]
; %bb.42:                               ;   in Loop: Header=BB77_30 Depth=1
	ds_read_b32 v1, v11
; %bb.43:                               ;   in Loop: Header=BB77_30 Depth=1
	s_or_b64 exec, exec, s[14:15]
	ds_read_b32 v15, v5 offset:1048
	v_cmp_ne_u32_e32 vcc, 0, v13
	s_waitcnt lgkmcnt(0)
	s_barrier
	s_and_saveexec_b64 s[14:15], vcc
	s_cbranch_execz .LBB77_28
; %bb.44:                               ;   in Loop: Header=BB77_30 Depth=1
	v_add_u32_e32 v1, v1, v2
	v_cmp_gt_u32_e32 vcc, s13, v1
	s_and_b64 exec, exec, vcc
	s_cbranch_execz .LBB77_28
; %bb.45:                               ;   in Loop: Header=BB77_30 Depth=1
	v_mul_lo_u32 v16, v1, s22
	v_mov_b32_e32 v17, v5
	v_mul_lo_u32 v18, v1, s8
	v_mov_b32_e32 v13, s19
	v_lshlrev_b64 v[16:17], 3, v[16:17]
	v_mov_b32_e32 v19, v5
	v_add_co_u32_e32 v16, vcc, s18, v16
	v_addc_co_u32_e32 v17, vcc, v13, v17, vcc
	global_store_dwordx2 v[16:17], v[6:7], off
	v_lshlrev_b64 v[16:17], 3, v[18:19]
	v_mov_b32_e32 v13, s21
	v_add_co_u32_e32 v16, vcc, s20, v16
	v_mov_b32_e32 v1, v5
	v_addc_co_u32_e32 v17, vcc, v13, v17, vcc
	global_store_dwordx2 v[16:17], v[0:1], off
	s_branch .LBB77_28
.LBB77_46:                              ;   in Loop: Header=BB77_47 Depth=1
	s_add_u32 s16, s16, 4
	s_addc_u32 s17, s17, 0
	s_waitcnt lgkmcnt(0)
	s_add_i32 s43, s15, s43
	s_add_u32 s18, s18, 4
	s_addc_u32 s19, s19, 0
	s_add_i32 s14, s14, 1
	s_cmp_lt_u32 s14, s10
	s_cbranch_scc0 .LBB77_25
.LBB77_47:                              ; =>This Inner Loop Header: Depth=1
	s_load_dword s15, s[16:17], 0x0
	s_cmp_ge_u32 s14, s11
	s_cbranch_scc1 .LBB77_46
; %bb.48:                               ;   in Loop: Header=BB77_47 Depth=1
	s_load_dword s36, s[18:19], 0x0
	s_waitcnt lgkmcnt(0)
	s_add_i32 s21, s15, s21
	s_add_i32 s20, s36, s20
	s_branch .LBB77_46
.LBB77_49:
	s_endpgm
	.section	.rodata,"a",@progbits
	.p2align	6, 0x0
	.amdhsa_kernel _ZN2at6native6mbtopk10gatherTopKIdjLin1EEEvNS_4cuda6detail10TensorInfoIKT_T0_EES8_S8_bjS8_NS5_IS6_S8_EES8_NS5_IlS8_EES8_jjPS6_PjSD_j
		.amdhsa_group_segment_fixed_size 1068
		.amdhsa_private_segment_fixed_size 0
		.amdhsa_kernarg_size 984
		.amdhsa_user_sgpr_count 6
		.amdhsa_user_sgpr_private_segment_buffer 1
		.amdhsa_user_sgpr_dispatch_ptr 0
		.amdhsa_user_sgpr_queue_ptr 0
		.amdhsa_user_sgpr_kernarg_segment_ptr 1
		.amdhsa_user_sgpr_dispatch_id 0
		.amdhsa_user_sgpr_flat_scratch_init 0
		.amdhsa_user_sgpr_private_segment_size 0
		.amdhsa_uses_dynamic_stack 0
		.amdhsa_system_sgpr_private_segment_wavefront_offset 0
		.amdhsa_system_sgpr_workgroup_id_x 1
		.amdhsa_system_sgpr_workgroup_id_y 1
		.amdhsa_system_sgpr_workgroup_id_z 1
		.amdhsa_system_sgpr_workgroup_info 0
		.amdhsa_system_vgpr_workitem_id 0
		.amdhsa_next_free_vgpr 20
		.amdhsa_next_free_sgpr 47
		.amdhsa_reserve_vcc 1
		.amdhsa_reserve_flat_scratch 0
		.amdhsa_float_round_mode_32 0
		.amdhsa_float_round_mode_16_64 0
		.amdhsa_float_denorm_mode_32 3
		.amdhsa_float_denorm_mode_16_64 3
		.amdhsa_dx10_clamp 1
		.amdhsa_ieee_mode 1
		.amdhsa_fp16_overflow 0
		.amdhsa_exception_fp_ieee_invalid_op 0
		.amdhsa_exception_fp_denorm_src 0
		.amdhsa_exception_fp_ieee_div_zero 0
		.amdhsa_exception_fp_ieee_overflow 0
		.amdhsa_exception_fp_ieee_underflow 0
		.amdhsa_exception_fp_ieee_inexact 0
		.amdhsa_exception_int_div_zero 0
	.end_amdhsa_kernel
	.section	.text._ZN2at6native6mbtopk10gatherTopKIdjLin1EEEvNS_4cuda6detail10TensorInfoIKT_T0_EES8_S8_bjS8_NS5_IS6_S8_EES8_NS5_IlS8_EES8_jjPS6_PjSD_j,"axG",@progbits,_ZN2at6native6mbtopk10gatherTopKIdjLin1EEEvNS_4cuda6detail10TensorInfoIKT_T0_EES8_S8_bjS8_NS5_IS6_S8_EES8_NS5_IlS8_EES8_jjPS6_PjSD_j,comdat
.Lfunc_end77:
	.size	_ZN2at6native6mbtopk10gatherTopKIdjLin1EEEvNS_4cuda6detail10TensorInfoIKT_T0_EES8_S8_bjS8_NS5_IS6_S8_EES8_NS5_IlS8_EES8_jjPS6_PjSD_j, .Lfunc_end77-_ZN2at6native6mbtopk10gatherTopKIdjLin1EEEvNS_4cuda6detail10TensorInfoIKT_T0_EES8_S8_bjS8_NS5_IS6_S8_EES8_NS5_IlS8_EES8_jjPS6_PjSD_j
                                        ; -- End function
	.set _ZN2at6native6mbtopk10gatherTopKIdjLin1EEEvNS_4cuda6detail10TensorInfoIKT_T0_EES8_S8_bjS8_NS5_IS6_S8_EES8_NS5_IlS8_EES8_jjPS6_PjSD_j.num_vgpr, 20
	.set _ZN2at6native6mbtopk10gatherTopKIdjLin1EEEvNS_4cuda6detail10TensorInfoIKT_T0_EES8_S8_bjS8_NS5_IS6_S8_EES8_NS5_IlS8_EES8_jjPS6_PjSD_j.num_agpr, 0
	.set _ZN2at6native6mbtopk10gatherTopKIdjLin1EEEvNS_4cuda6detail10TensorInfoIKT_T0_EES8_S8_bjS8_NS5_IS6_S8_EES8_NS5_IlS8_EES8_jjPS6_PjSD_j.numbered_sgpr, 47
	.set _ZN2at6native6mbtopk10gatherTopKIdjLin1EEEvNS_4cuda6detail10TensorInfoIKT_T0_EES8_S8_bjS8_NS5_IS6_S8_EES8_NS5_IlS8_EES8_jjPS6_PjSD_j.num_named_barrier, 0
	.set _ZN2at6native6mbtopk10gatherTopKIdjLin1EEEvNS_4cuda6detail10TensorInfoIKT_T0_EES8_S8_bjS8_NS5_IS6_S8_EES8_NS5_IlS8_EES8_jjPS6_PjSD_j.private_seg_size, 0
	.set _ZN2at6native6mbtopk10gatherTopKIdjLin1EEEvNS_4cuda6detail10TensorInfoIKT_T0_EES8_S8_bjS8_NS5_IS6_S8_EES8_NS5_IlS8_EES8_jjPS6_PjSD_j.uses_vcc, 1
	.set _ZN2at6native6mbtopk10gatherTopKIdjLin1EEEvNS_4cuda6detail10TensorInfoIKT_T0_EES8_S8_bjS8_NS5_IS6_S8_EES8_NS5_IlS8_EES8_jjPS6_PjSD_j.uses_flat_scratch, 0
	.set _ZN2at6native6mbtopk10gatherTopKIdjLin1EEEvNS_4cuda6detail10TensorInfoIKT_T0_EES8_S8_bjS8_NS5_IS6_S8_EES8_NS5_IlS8_EES8_jjPS6_PjSD_j.has_dyn_sized_stack, 0
	.set _ZN2at6native6mbtopk10gatherTopKIdjLin1EEEvNS_4cuda6detail10TensorInfoIKT_T0_EES8_S8_bjS8_NS5_IS6_S8_EES8_NS5_IlS8_EES8_jjPS6_PjSD_j.has_recursion, 0
	.set _ZN2at6native6mbtopk10gatherTopKIdjLin1EEEvNS_4cuda6detail10TensorInfoIKT_T0_EES8_S8_bjS8_NS5_IS6_S8_EES8_NS5_IlS8_EES8_jjPS6_PjSD_j.has_indirect_call, 0
	.section	.AMDGPU.csdata,"",@progbits
; Kernel info:
; codeLenInByte = 2800
; TotalNumSgprs: 51
; NumVgprs: 20
; ScratchSize: 0
; MemoryBound: 0
; FloatMode: 240
; IeeeMode: 1
; LDSByteSize: 1068 bytes/workgroup (compile time only)
; SGPRBlocks: 6
; VGPRBlocks: 4
; NumSGPRsForWavesPerEU: 51
; NumVGPRsForWavesPerEU: 20
; Occupancy: 10
; WaveLimiterHint : 1
; COMPUTE_PGM_RSRC2:SCRATCH_EN: 0
; COMPUTE_PGM_RSRC2:USER_SGPR: 6
; COMPUTE_PGM_RSRC2:TRAP_HANDLER: 0
; COMPUTE_PGM_RSRC2:TGID_X_EN: 1
; COMPUTE_PGM_RSRC2:TGID_Y_EN: 1
; COMPUTE_PGM_RSRC2:TGID_Z_EN: 1
; COMPUTE_PGM_RSRC2:TIDIG_COMP_CNT: 0
	.section	.text._ZN2at6native6sbtopk10gatherTopKIdjLin1ELb0EEEvNS_4cuda6detail10TensorInfoIKT_T0_EES8_S8_bS8_S8_NS5_IS6_S8_EES8_NS5_IlS8_EES8_PS6_,"axG",@progbits,_ZN2at6native6sbtopk10gatherTopKIdjLin1ELb0EEEvNS_4cuda6detail10TensorInfoIKT_T0_EES8_S8_bS8_S8_NS5_IS6_S8_EES8_NS5_IlS8_EES8_PS6_,comdat
	.protected	_ZN2at6native6sbtopk10gatherTopKIdjLin1ELb0EEEvNS_4cuda6detail10TensorInfoIKT_T0_EES8_S8_bS8_S8_NS5_IS6_S8_EES8_NS5_IlS8_EES8_PS6_ ; -- Begin function _ZN2at6native6sbtopk10gatherTopKIdjLin1ELb0EEEvNS_4cuda6detail10TensorInfoIKT_T0_EES8_S8_bS8_S8_NS5_IS6_S8_EES8_NS5_IlS8_EES8_PS6_
	.globl	_ZN2at6native6sbtopk10gatherTopKIdjLin1ELb0EEEvNS_4cuda6detail10TensorInfoIKT_T0_EES8_S8_bS8_S8_NS5_IS6_S8_EES8_NS5_IlS8_EES8_PS6_
	.p2align	8
	.type	_ZN2at6native6sbtopk10gatherTopKIdjLin1ELb0EEEvNS_4cuda6detail10TensorInfoIKT_T0_EES8_S8_bS8_S8_NS5_IS6_S8_EES8_NS5_IlS8_EES8_PS6_,@function
_ZN2at6native6sbtopk10gatherTopKIdjLin1ELb0EEEvNS_4cuda6detail10TensorInfoIKT_T0_EES8_S8_bS8_S8_NS5_IS6_S8_EES8_NS5_IlS8_EES8_PS6_: ; @_ZN2at6native6sbtopk10gatherTopKIdjLin1ELb0EEEvNS_4cuda6detail10TensorInfoIKT_T0_EES8_S8_bS8_S8_NS5_IS6_S8_EES8_NS5_IlS8_EES8_PS6_
; %bb.0:
	s_load_dwordx2 s[14:15], s[4:5], 0x2b8
	s_load_dwordx4 s[28:31], s[4:5], 0xd8
	s_mov_b64 s[20:21], s[4:5]
	s_add_u32 s12, s20, 0x2b8
	s_addc_u32 s13, s21, 0
	s_waitcnt lgkmcnt(0)
	s_mul_i32 s0, s15, s8
	s_add_i32 s0, s0, s7
	s_mul_i32 s0, s0, s14
	s_add_i32 s47, s0, s6
	s_cmp_ge_u32 s47, s31
	s_cbranch_scc1 .LBB78_422
; %bb.1:
	s_load_dword s2, s[20:21], 0xd0
	s_load_dword s0, s[20:21], 0xe8
                                        ; implicit-def: $vgpr47 : SGPR spill to VGPR lane
	s_mov_b32 s1, 0
	s_waitcnt lgkmcnt(0)
	s_cmp_lt_i32 s2, 2
	v_writelane_b32 v47, s0, 0
	s_mov_b32 s0, s47
	s_cbranch_scc1 .LBB78_4
; %bb.2:
	s_add_i32 s0, s2, -1
	s_add_i32 s4, s2, 1
	s_lshl_b64 s[2:3], s[0:1], 2
	s_add_u32 s0, s20, s2
	s_addc_u32 s3, s21, s3
	s_add_u32 s2, s0, 8
	s_addc_u32 s3, s3, 0
	s_mov_b32 s0, s47
.LBB78_3:                               ; =>This Inner Loop Header: Depth=1
	s_load_dword s5, s[2:3], 0x0
	s_load_dword s8, s[2:3], 0x64
	s_mov_b32 s7, s0
	s_waitcnt lgkmcnt(0)
	v_cvt_f32_u32_e32 v1, s5
	s_sub_i32 s0, 0, s5
	v_rcp_iflag_f32_e32 v1, v1
	v_mul_f32_e32 v1, 0x4f7ffffe, v1
	v_cvt_u32_f32_e32 v1, v1
	v_readfirstlane_b32 s9, v1
	s_mul_i32 s0, s0, s9
	s_mul_hi_u32 s0, s9, s0
	s_add_i32 s9, s9, s0
	s_mul_hi_u32 s0, s7, s9
	s_mul_i32 s9, s0, s5
	s_sub_i32 s9, s7, s9
	s_add_i32 s10, s0, 1
	s_sub_i32 s11, s9, s5
	s_cmp_ge_u32 s9, s5
	s_cselect_b32 s0, s10, s0
	s_cselect_b32 s9, s11, s9
	s_add_i32 s10, s0, 1
	s_cmp_ge_u32 s9, s5
	s_cselect_b32 s0, s10, s0
	s_mul_i32 s5, s0, s5
	s_sub_i32 s5, s7, s5
	s_mul_i32 s5, s8, s5
	s_add_i32 s4, s4, -1
	s_add_i32 s1, s5, s1
	s_add_u32 s2, s2, -4
	s_addc_u32 s3, s3, -1
	s_cmp_gt_u32 s4, 2
	s_cbranch_scc1 .LBB78_3
.LBB78_4:
	s_load_dword s5, s[20:21], 0x1c0
	s_add_u32 s2, s20, 0xf0
	s_addc_u32 s3, s21, 0
	s_mov_b32 s27, 0
	s_mov_b32 s26, s47
	s_waitcnt lgkmcnt(0)
	s_cmp_lt_i32 s5, 2
	s_cbranch_scc1 .LBB78_7
; %bb.5:
	s_add_i32 s26, s5, -1
	s_add_i32 s4, s5, 1
	s_lshl_b64 s[8:9], s[26:27], 2
	s_add_u32 s5, s2, s8
	s_addc_u32 s7, s3, s9
	s_add_u32 s8, s5, 8
	s_addc_u32 s9, s7, 0
	s_mov_b32 s26, s47
.LBB78_6:                               ; =>This Inner Loop Header: Depth=1
	s_load_dword s5, s[8:9], 0x0
	s_load_dword s10, s[8:9], 0x64
	s_mov_b32 s7, s26
	s_waitcnt lgkmcnt(0)
	v_cvt_f32_u32_e32 v1, s5
	s_sub_i32 s11, 0, s5
	v_rcp_iflag_f32_e32 v1, v1
	v_mul_f32_e32 v1, 0x4f7ffffe, v1
	v_cvt_u32_f32_e32 v1, v1
	v_readfirstlane_b32 s15, v1
	s_mul_i32 s11, s11, s15
	s_mul_hi_u32 s11, s15, s11
	s_add_i32 s15, s15, s11
	s_mul_hi_u32 s11, s26, s15
	s_mul_i32 s15, s11, s5
	s_sub_i32 s15, s26, s15
	s_add_i32 s16, s11, 1
	s_sub_i32 s17, s15, s5
	s_cmp_ge_u32 s15, s5
	s_cselect_b32 s11, s16, s11
	s_cselect_b32 s15, s17, s15
	s_add_i32 s16, s11, 1
	s_cmp_ge_u32 s15, s5
	s_cselect_b32 s26, s16, s11
	s_mul_i32 s5, s26, s5
	s_sub_i32 s5, s7, s5
	s_mul_i32 s5, s10, s5
	s_add_i32 s4, s4, -1
	s_add_i32 s27, s5, s27
	s_add_u32 s8, s8, -4
	s_addc_u32 s9, s9, -1
	s_cmp_gt_u32 s4, 2
	s_cbranch_scc1 .LBB78_6
.LBB78_7:
	s_load_dword s4, s[20:21], 0x6c
	s_load_dword s9, s[20:21], 0x2a0
	s_add_u32 s7, s20, 0x1d0
	s_addc_u32 s8, s21, 0
	s_mov_b32 s35, 0
	s_waitcnt lgkmcnt(0)
	s_cmp_lt_i32 s9, 2
	s_cbranch_scc1 .LBB78_10
; %bb.8:
	s_add_i32 s34, s9, -1
	s_add_i32 s5, s9, 1
	s_lshl_b64 s[10:11], s[34:35], 2
	s_add_u32 s7, s7, s10
	s_addc_u32 s9, s8, s11
	s_add_u32 s8, s7, 8
	s_addc_u32 s9, s9, 0
.LBB78_9:                               ; =>This Inner Loop Header: Depth=1
	s_load_dword s7, s[8:9], 0x0
	s_load_dword s11, s[8:9], 0x64
	s_mov_b32 s10, s47
	s_waitcnt lgkmcnt(0)
	v_cvt_f32_u32_e32 v1, s7
	s_sub_i32 s15, 0, s7
	v_rcp_iflag_f32_e32 v1, v1
	v_mul_f32_e32 v1, 0x4f7ffffe, v1
	v_cvt_u32_f32_e32 v1, v1
	v_readfirstlane_b32 s16, v1
	s_mul_i32 s15, s15, s16
	s_mul_hi_u32 s15, s16, s15
	s_add_i32 s16, s16, s15
	s_mul_hi_u32 s15, s47, s16
	s_mul_i32 s16, s15, s7
	s_sub_i32 s16, s47, s16
	s_add_i32 s17, s15, 1
	s_sub_i32 s18, s16, s7
	s_cmp_ge_u32 s16, s7
	s_cselect_b32 s15, s17, s15
	s_cselect_b32 s16, s18, s16
	s_add_i32 s17, s15, 1
	s_cmp_ge_u32 s16, s7
	s_cselect_b32 s47, s17, s15
	s_mul_i32 s7, s47, s7
	s_sub_i32 s7, s10, s7
	s_mul_i32 s7, s11, s7
	s_add_i32 s5, s5, -1
	s_add_i32 s35, s7, s35
	s_add_u32 s8, s8, -4
	s_addc_u32 s9, s9, -1
	s_cmp_gt_u32 s5, 2
	s_cbranch_scc1 .LBB78_9
.LBB78_10:
	s_load_dword s2, s[2:3], 0x6c
	s_mov_b32 s41, 0
	v_cmp_eq_u32_e64 s[10:11], 0, v0
	s_waitcnt lgkmcnt(0)
	v_writelane_b32 v47, s2, 1
	s_load_dwordx2 s[2:3], s[20:21], 0x0
	s_load_dwordx2 s[8:9], s[20:21], 0xf0
	s_waitcnt lgkmcnt(0)
	v_writelane_b32 v47, s8, 2
	v_writelane_b32 v47, s9, 3
	s_load_dwordx2 s[8:9], s[20:21], 0x1d0
	s_waitcnt lgkmcnt(0)
	v_writelane_b32 v47, s8, 4
	v_writelane_b32 v47, s9, 5
	s_mov_b64 s[8:9], exec
	v_writelane_b32 v47, s10, 6
	v_writelane_b32 v47, s11, 7
	s_and_b64 s[10:11], s[8:9], s[10:11]
	s_mov_b64 exec, s[10:11]
; %bb.11:
	v_mov_b32_e32 v1, 0
	v_mov_b32_e32 v2, s28
	;; [unrolled: 1-line block ×3, first 2 shown]
	ds_write_b96 v1, v[1:3] offset:4096
; %bb.12:
	s_or_b64 exec, exec, s[8:9]
	s_mul_i32 s0, s4, s0
	s_add_i32 s40, s0, s1
	s_lshl_b64 s[0:1], s[40:41], 3
	s_add_u32 s34, s2, s0
	s_addc_u32 s40, s3, s1
	s_waitcnt lgkmcnt(0)
	s_barrier
	s_load_dword s0, s[12:13], 0xc
	s_bitcmp1_b32 s30, 0
	s_cselect_b64 s[2:3], -1, 0
	v_writelane_b32 v47, s2, 8
	v_writelane_b32 v47, s3, 9
	s_xor_b64 s[2:3], s[2:3], -1
	v_mbcnt_lo_u32_b32 v1, -1, 0
	v_writelane_b32 v47, s2, 10
	v_mbcnt_hi_u32_b32 v30, -1, v1
	v_writelane_b32 v47, s3, 11
	s_waitcnt lgkmcnt(0)
	s_and_b32 s33, s0, 0xffff
	v_cmp_gt_u32_e32 vcc, 64, v0
	v_cmp_gt_i32_e64 s[2:3], 4, v30
	s_lshl_b32 s15, s33, 2
	s_bfe_u32 s4, s0, 0xa0006
	s_and_b64 s[2:3], vcc, s[2:3]
	v_writelane_b32 v47, s2, 12
	s_cmpk_gt_u32 s28, 0x180
	v_writelane_b32 v47, s3, 13
	s_cselect_b64 s[2:3], -1, 0
	v_writelane_b32 v47, s2, 14
	v_writelane_b32 v47, s3, 15
	;; [unrolled: 1-line block ×3, first 2 shown]
	s_load_dword s7, s[20:21], 0xe8
	v_mov_b32_e32 v15, 0
	v_mov_b32_e32 v14, v15
	v_writelane_b32 v47, s21, 17
	v_cmp_gt_u32_e64 s[2:3], s28, v0
	s_waitcnt lgkmcnt(0)
	v_mul_lo_u32 v13, s7, v0
	v_writelane_b32 v47, s2, 18
	v_mov_b32_e32 v3, s40
	s_cmp_gt_u32 s33, 63
	v_lshlrev_b64 v[1:2], 3, v[13:14]
	v_writelane_b32 v47, s3, 19
	v_add_co_u32_e32 v11, vcc, s34, v1
	v_addc_co_u32_e32 v12, vcc, v3, v2, vcc
	s_cselect_b64 s[2:3], -1, 0
	v_lshlrev_b64 v[2:3], v30, -1
	v_writelane_b32 v47, s2, 20
	v_writelane_b32 v47, s3, 21
	v_cmp_gt_u32_e64 s[2:3], 2, v0
	v_not_b32_e32 v28, v2
	v_lshrrev_b32_e32 v2, 2, v0
	v_writelane_b32 v47, s2, 22
	v_and_b32_e32 v2, 0xf0, v2
	v_writelane_b32 v47, s3, 23
	s_add_i32 s2, s33, -1
	v_or_b32_e32 v33, 0xc00, v2
	v_cvt_f32_u32_e32 v2, s15
	v_writelane_b32 v47, s2, 24
	s_add_i32 s2, s2, s28
	s_cmp_lt_u32 s6, s14
	s_cselect_b32 s3, 12, 18
	s_add_u32 s8, s12, s3
	v_rcp_iflag_f32_e32 v2, v2
	s_addc_u32 s9, s13, 0
	s_add_i32 s3, s4, -1
	s_bfe_u32 s5, s33, 0x30006
	s_and_b32 s3, s3, 0xffff
	v_writelane_b32 v47, s8, 25
	s_cmp_gt_u32 s3, 6
	v_writelane_b32 v47, s9, 26
	s_cselect_b64 s[8:9], -1, 0
	v_mul_f32_e32 v2, 0x4f7ffffe, v2
	v_writelane_b32 v47, s8, 27
	s_and_b32 s14, s4, 0x3f8
	v_cvt_u32_f32_e32 v2, v2
	v_writelane_b32 v47, s9, 28
	s_cmp_lg_u32 s5, 0
	v_writelane_b32 v47, s5, 29
	s_cselect_b64 s[4:5], -1, 0
	v_writelane_b32 v47, s4, 30
	v_writelane_b32 v47, s5, 31
	s_sub_i32 s3, 0, s15
	v_readfirstlane_b32 s4, v2
	s_mul_i32 s3, s3, s4
	s_mul_hi_u32 s3, s4, s3
	s_add_i32 s3, s4, s3
	v_writelane_b32 v47, s3, 32
	s_mul_hi_u32 s3, s28, s3
	s_mul_i32 s3, s3, s15
	v_cvt_f32_u32_e32 v2, s33
	s_sub_i32 s3, s28, s3
	s_sub_i32 s4, s3, s15
	s_cmp_ge_u32 s3, s15
	s_cselect_b32 s3, s4, s3
	v_rcp_iflag_f32_e32 v4, v2
	s_sub_i32 s4, s3, s15
	s_cmp_ge_u32 s3, s15
	s_cselect_b32 s3, s4, s3
	v_lshlrev_b32_e32 v29, 2, v0
	s_sub_i32 s13, s28, s3
	v_mul_f32_e32 v4, 0x4f7ffffe, v4
	v_cmp_gt_u32_e64 s[4:5], s13, v29
	v_cvt_u32_f32_e32 v4, v4
	v_add_u32_e32 v34, s13, v0
	v_writelane_b32 v47, s4, 33
	v_writelane_b32 v47, s5, 34
	v_cmp_gt_u32_e64 s[4:5], s28, v34
	v_writelane_b32 v47, s4, 35
	v_writelane_b32 v47, s5, 36
	s_sub_i32 s4, 0, s33
	v_readfirstlane_b32 s5, v4
	s_mul_i32 s4, s4, s5
	v_mul_lo_u32 v14, v34, s7
	s_mul_hi_u32 s4, s5, s4
	s_add_i32 s4, s5, s4
	v_writelane_b32 v47, s4, 37
	s_mul_hi_u32 s4, s2, s4
	s_mul_i32 s4, s4, s33
	v_not_b32_e32 v27, v3
	v_lshlrev_b64 v[2:3], 3, v[14:15]
	s_sub_i32 s4, s2, s4
	s_sub_i32 s5, s4, s33
	v_add_co_u32_e32 v16, vcc, s34, v2
	s_cmp_ge_u32 s4, s33
	v_mul_lo_u32 v2, s7, v29
	s_cselect_b32 s4, s5, s4
	s_sub_i32 s5, s4, s33
	s_cmp_ge_u32 s4, s33
	s_cselect_b32 s4, s5, s4
	v_add_u32_e32 v35, s7, v2
	v_or_b32_e32 v2, 2, v29
	s_sub_i32 s12, s2, s4
	v_mul_lo_u32 v36, s7, v2
	v_or_b32_e32 v2, 3, v29
	s_add_i32 s2, s33, s28
	v_mul_lo_u32 v37, s7, v2
	v_add_u32_e32 v2, s2, v0
	v_subrev_u32_e32 v2, s3, v2
	v_mul_lo_u32 v39, s7, v2
	v_mov_b32_e32 v5, s40
	v_cmp_gt_u32_e64 s[4:5], s12, v0
	v_lshlrev_b32_e32 v31, 3, v0
	v_lshlrev_b32_e32 v1, 2, v30
	v_addc_co_u32_e32 v17, vcc, v5, v3, vcc
	v_writelane_b32 v47, s4, 38
	s_mul_i32 s46, s7, s33
	v_mov_b32_e32 v18, 0
	v_mov_b32_e32 v20, 0
	;; [unrolled: 1-line block ×3, first 2 shown]
	v_cmp_eq_u32_e64 s[0:1], 0, v30
	v_add_u32_e32 v32, 0xc00, v31
	v_and_b32_e32 v26, 0x100, v1
	v_writelane_b32 v47, s5, 39
	s_lshl_b32 s10, s46, 2
	v_lshlrev_b32_e32 v38, 2, v13
	v_lshlrev_b32_e32 v40, 5, v0
	s_lshl_b32 s11, s33, 5
	s_lshl_b32 s4, s33, 3
	v_or_b32_e32 v41, 0xc00, v1
	s_mov_b32 s5, 62
	s_mov_b64 s[54:55], 0
	v_mov_b32_e32 v42, s29
	v_mov_b32_e32 v19, 0
	;; [unrolled: 1-line block ×5, first 2 shown]
                                        ; implicit-def: $sgpr56_sgpr57
                                        ; implicit-def: $sgpr58_sgpr59
                                        ; implicit-def: $sgpr62_sgpr63
                                        ; implicit-def: $sgpr64_sgpr65
                                        ; implicit-def: $sgpr60_sgpr61
                                        ; implicit-def: $sgpr66_sgpr67
                                        ; implicit-def: $sgpr68_sgpr69
                                        ; implicit-def: $sgpr70_sgpr71
                                        ; implicit-def: $sgpr72_sgpr73
                                        ; implicit-def: $sgpr74_sgpr75
	s_branch .LBB78_15
.LBB78_13:                              ;   in Loop: Header=BB78_15 Depth=1
	s_or_b64 exec, exec, s[16:17]
	s_andn2_b64 s[16:17], s[74:75], exec
	s_and_b64 s[8:9], s[8:9], exec
	s_or_b64 s[74:75], s[16:17], s[8:9]
	s_andn2_b64 s[72:73], s[72:73], exec
	s_andn2_b64 s[70:71], s[70:71], exec
	s_andn2_b64 s[68:69], s[68:69], exec
	s_andn2_b64 s[66:67], s[66:67], exec
	s_orn2_b64 s[6:7], s[6:7], exec
	v_mov_b32_e32 v42, v44
.LBB78_14:                              ;   in Loop: Header=BB78_15 Depth=1
	s_or_b64 exec, exec, s[2:3]
	s_and_b64 s[2:3], exec, s[6:7]
	s_or_b64 s[54:55], s[2:3], s[54:55]
	s_andn2_b64 s[2:3], s[60:61], exec
	s_and_b64 s[6:7], s[74:75], exec
	s_or_b64 s[60:61], s[2:3], s[6:7]
	s_andn2_b64 s[2:3], s[64:65], exec
	s_and_b64 s[6:7], s[72:73], exec
	;; [unrolled: 3-line block ×5, first 2 shown]
	s_or_b64 s[56:57], s[2:3], s[6:7]
	s_andn2_b64 exec, exec, s[54:55]
	s_cbranch_execz .LBB78_418
.LBB78_15:                              ; =>This Loop Header: Depth=1
                                        ;     Child Loop BB78_21 Depth 2
                                        ;     Child Loop BB78_34 Depth 2
	;; [unrolled: 1-line block ×24, first 2 shown]
	ds_read_b64 v[3:4], v15 offset:4096
	s_waitcnt lgkmcnt(0)
	v_readfirstlane_b32 s24, v3
	s_cmp_lg_u32 s24, 0
	s_cbranch_scc1 .LBB78_42
; %bb.16:                               ;   in Loop: Header=BB78_15 Depth=1
	v_readlane_b32 s2, v47, 14
	v_readlane_b32 s3, v47, 15
	s_and_b64 vcc, exec, s[2:3]
	s_cbranch_vccz .LBB78_29
; %bb.17:                               ;   in Loop: Header=BB78_15 Depth=1
	s_movk_i32 s6, 0x181
	v_cmp_gt_u32_e32 vcc, s6, v4
	s_mov_b64 s[2:3], 0
	s_mov_b64 s[6:7], 0
	s_cbranch_vccz .LBB78_30
; %bb.18:                               ;   in Loop: Header=BB78_15 Depth=1
	s_mov_b64 s[8:9], exec
	v_readlane_b32 s6, v47, 18
	v_readlane_b32 s7, v47, 19
	s_and_b64 s[6:7], s[8:9], s[6:7]
	s_mov_b64 exec, s[6:7]
	s_cbranch_execz .LBB78_91
; %bb.19:                               ;   in Loop: Header=BB78_15 Depth=1
	v_readlane_b32 s6, v47, 25
	v_readlane_b32 s7, v47, 26
	s_nop 4
	global_load_ushort v1, v15, s[6:7]
	global_load_dwordx2 v[3:4], v[11:12], off
	v_readlane_b32 s6, v47, 16
	v_readlane_b32 s7, v47, 17
	s_load_dword s6, s[6:7], 0xe8
	s_mov_b64 s[16:17], 0
	v_mov_b32_e32 v10, v0
	s_waitcnt vmcnt(1)
	v_add_u32_e32 v7, v0, v1
	s_waitcnt lgkmcnt(0)
	v_mul_lo_u32 v14, s6, v7
	v_mul_lo_u32 v9, s6, v1
	s_branch .LBB78_21
.LBB78_20:                              ;   in Loop: Header=BB78_21 Depth=2
	s_or_b64 exec, exec, s[6:7]
	v_mov_b32_e32 v3, v7
	v_add_u32_e32 v14, v14, v9
	v_mov_b32_e32 v4, v8
	s_andn2_b64 exec, exec, s[16:17]
	s_cbranch_execz .LBB78_91
.LBB78_21:                              ;   Parent Loop BB78_15 Depth=1
                                        ; =>  This Inner Loop Header: Depth=2
	v_add_u32_e32 v10, v10, v1
	v_mov_b32_e32 v7, 0
	v_cmp_gt_u32_e64 s[6:7], s28, v10
	v_mov_b32_e32 v8, 0
	v_cmp_le_u32_e32 vcc, s28, v10
	s_and_saveexec_b64 s[18:19], s[6:7]
	s_cbranch_execz .LBB78_23
; %bb.22:                               ;   in Loop: Header=BB78_21 Depth=2
	v_lshlrev_b64 v[7:8], 3, v[14:15]
	s_waitcnt lgkmcnt(0)
	v_mov_b32_e32 v22, s40
	v_add_co_u32_e64 v7, s[6:7], s34, v7
	v_addc_co_u32_e64 v8, s[6:7], v22, v8, s[6:7]
	global_load_dwordx2 v[7:8], v[7:8], off
.LBB78_23:                              ;   in Loop: Header=BB78_21 Depth=2
	s_or_b64 exec, exec, s[18:19]
	s_waitcnt vmcnt(0)
	v_cmp_o_f64_e64 s[6:7], v[3:4], v[3:4]
	s_waitcnt lgkmcnt(0)
	v_ashrrev_i32_e32 v22, 31, v4
	v_or_b32_e32 v23, 0x80000000, v22
	v_xor_b32_e32 v23, v23, v4
	v_xor_b32_e32 v22, v22, v3
	v_cndmask_b32_e64 v23, -1, v23, s[6:7]
	v_cndmask_b32_e64 v22, -1, v22, s[6:7]
	v_and_b32_e32 v23, v23, v21
	v_and_b32_e32 v22, v22, v20
	v_cmp_eq_u64_e64 s[18:19], v[22:23], v[18:19]
	v_mov_b32_e32 v22, 0
	s_cmp_lg_u64 s[18:19], 0
	s_cselect_b64 s[6:7], -1, 0
	s_and_b64 s[6:7], s[0:1], s[6:7]
	s_and_saveexec_b64 s[20:21], s[6:7]
	s_cbranch_execz .LBB78_27
; %bb.24:                               ;   in Loop: Header=BB78_21 Depth=2
	s_mov_b64 s[24:25], exec
	v_mbcnt_lo_u32_b32 v22, s24, 0
	v_mbcnt_hi_u32_b32 v22, s25, v22
	s_bcnt1_i32_b64 s30, s[18:19]
	v_cmp_eq_u32_e64 s[6:7], 0, v22
                                        ; implicit-def: $vgpr23
	s_and_saveexec_b64 s[22:23], s[6:7]
; %bb.25:                               ;   in Loop: Header=BB78_21 Depth=2
	s_bcnt1_i32_b64 s6, s[24:25]
	s_mul_i32 s6, s30, s6
	v_mov_b32_e32 v23, s6
	ds_add_rtn_u32 v23, v15, v23 offset:4104
; %bb.26:                               ;   in Loop: Header=BB78_21 Depth=2
	s_or_b64 exec, exec, s[22:23]
	s_waitcnt lgkmcnt(0)
	v_readfirstlane_b32 s6, v23
	v_mov_b32_e32 v23, s6
	v_mad_u32_u24 v22, s30, v22, v23
.LBB78_27:                              ;   in Loop: Header=BB78_21 Depth=2
	s_or_b64 exec, exec, s[20:21]
	ds_bpermute_b32 v22, v26, v22
	s_and_b64 s[6:7], exec, vcc
	s_or_b64 s[16:17], s[6:7], s[16:17]
	s_and_saveexec_b64 s[6:7], s[18:19]
	s_cbranch_execz .LBB78_20
; %bb.28:                               ;   in Loop: Header=BB78_21 Depth=2
	v_and_b32_e32 v24, s18, v28
	v_and_b32_e32 v23, s19, v27
	v_bcnt_u32_b32 v24, v24, 0
	v_bcnt_u32_b32 v23, v23, v24
	v_lshlrev_b32_e32 v23, 3, v23
	s_waitcnt lgkmcnt(0)
	v_lshl_add_u32 v22, v22, 3, v23
	ds_write_b64 v22, v[3:4]
	s_branch .LBB78_20
.LBB78_29:                              ;   in Loop: Header=BB78_15 Depth=1
	s_mov_b64 s[2:3], -1
	s_mov_b64 s[6:7], 0
.LBB78_30:                              ;   in Loop: Header=BB78_15 Depth=1
	s_and_b64 vcc, exec, s[2:3]
	s_cbranch_vccz .LBB78_40
.LBB78_31:                              ;   in Loop: Header=BB78_15 Depth=1
	s_mov_b64 s[2:3], exec
	v_readlane_b32 s6, v47, 18
	v_readlane_b32 s7, v47, 19
	s_and_b64 s[6:7], s[2:3], s[6:7]
	s_mov_b64 exec, s[6:7]
	s_cbranch_execz .LBB78_37
; %bb.32:                               ;   in Loop: Header=BB78_15 Depth=1
	v_readlane_b32 s6, v47, 25
	v_readlane_b32 s7, v47, 26
	s_nop 4
	global_load_ushort v1, v15, s[6:7]
	global_load_dwordx2 v[3:4], v[11:12], off
	v_mov_b32_e32 v9, v0
	s_waitcnt vmcnt(1)
	v_add_u32_e32 v7, v0, v1
	v_cmp_gt_u32_e32 vcc, s28, v7
	s_and_saveexec_b64 s[6:7], vcc
	s_cbranch_execz .LBB78_36
; %bb.33:                               ;   in Loop: Header=BB78_15 Depth=1
	v_readlane_b32 s8, v47, 16
	v_readlane_b32 s9, v47, 17
	s_load_dword s8, s[8:9], 0xe8
	v_lshlrev_b32_e32 v10, 3, v1
	v_mov_b32_e32 v23, v31
	v_mov_b32_e32 v9, v0
	s_waitcnt lgkmcnt(0)
	v_mul_lo_u32 v14, s8, v7
	v_mul_lo_u32 v22, s8, v1
	s_mov_b64 s[8:9], 0
.LBB78_34:                              ;   Parent Loop BB78_15 Depth=1
                                        ; =>  This Inner Loop Header: Depth=2
	v_lshlrev_b64 v[7:8], 3, v[14:15]
	v_mov_b32_e32 v24, s40
	v_add_co_u32_e32 v7, vcc, s34, v7
	v_addc_co_u32_e32 v8, vcc, v24, v8, vcc
	global_load_dwordx2 v[7:8], v[7:8], off
	v_add_u32_e32 v9, v9, v1
	s_waitcnt vmcnt(1)
	ds_write_b64 v23, v[3:4]
	v_add_u32_e32 v3, v1, v9
	v_cmp_le_u32_e32 vcc, s28, v3
	v_add_u32_e32 v23, v23, v10
	v_add_u32_e32 v14, v14, v22
	s_or_b64 s[8:9], vcc, s[8:9]
	s_waitcnt vmcnt(0)
	v_mov_b32_e32 v3, v7
	v_mov_b32_e32 v4, v8
	s_andn2_b64 exec, exec, s[8:9]
	s_cbranch_execnz .LBB78_34
; %bb.35:                               ;   in Loop: Header=BB78_15 Depth=1
	s_or_b64 exec, exec, s[8:9]
	v_mov_b32_e32 v3, v7
	v_mov_b32_e32 v4, v8
.LBB78_36:                              ;   in Loop: Header=BB78_15 Depth=1
	s_or_b64 exec, exec, s[6:7]
	v_lshlrev_b32_e32 v1, 3, v9
	s_waitcnt vmcnt(0)
	ds_write_b64 v1, v[3:4]
.LBB78_37:                              ;   in Loop: Header=BB78_15 Depth=1
	s_or_b64 exec, exec, s[2:3]
	s_waitcnt lgkmcnt(0)
	s_barrier
	s_mov_b64 s[2:3], exec
	v_readlane_b32 s6, v47, 6
	v_readlane_b32 s7, v47, 7
	s_and_b64 s[6:7], s[2:3], s[6:7]
	s_mov_b64 exec, s[6:7]
; %bb.38:                               ;   in Loop: Header=BB78_15 Depth=1
	v_mov_b32_e32 v1, s28
	ds_write_b32 v15, v1 offset:4096
; %bb.39:                               ;   in Loop: Header=BB78_15 Depth=1
	s_or_b64 exec, exec, s[2:3]
	s_mov_b64 s[6:7], -1
	s_waitcnt lgkmcnt(0)
	s_barrier
.LBB78_40:                              ;   in Loop: Header=BB78_15 Depth=1
	s_mov_b32 s24, 0
	s_and_b64 vcc, exec, s[6:7]
	s_cbranch_vccz .LBB78_42
; %bb.41:                               ;   in Loop: Header=BB78_15 Depth=1
	ds_read_b32 v1, v15 offset:4096
	s_waitcnt lgkmcnt(0)
	v_readfirstlane_b32 s24, v1
.LBB78_42:                              ;   in Loop: Header=BB78_15 Depth=1
	s_cmp_lt_i32 s24, 1
	s_mov_b64 s[2:3], -1
                                        ; implicit-def: $vgpr7
	s_cbranch_scc1 .LBB78_52
; %bb.43:                               ;   in Loop: Header=BB78_15 Depth=1
	s_and_b64 vcc, exec, s[2:3]
	s_cbranch_vccnz .LBB78_63
.LBB78_44:                              ;   in Loop: Header=BB78_15 Depth=1
	s_lshl_b32 s6, s41, 6
	s_and_saveexec_b64 s[2:3], s[0:1]
.LBB78_45:                              ;   in Loop: Header=BB78_15 Depth=1
	v_lshl_add_u32 v1, s6, 2, v33
	ds_write_b128 v1, v[7:10]
.LBB78_46:                              ;   in Loop: Header=BB78_15 Depth=1
	s_or_b64 exec, exec, s[2:3]
	s_waitcnt lgkmcnt(0)
	s_barrier
	s_mov_b64 s[2:3], exec
	v_readlane_b32 s8, v47, 12
	v_readlane_b32 s9, v47, 13
	s_and_b64 s[8:9], s[2:3], s[8:9]
	s_mov_b64 exec, s[8:9]
	s_cbranch_execz .LBB78_77
; %bb.47:                               ;   in Loop: Header=BB78_15 Depth=1
	v_readlane_b32 s8, v47, 20
	v_readlane_b32 s9, v47, 21
	s_andn2_b64 vcc, exec, s[8:9]
	v_mov_b32_e32 v1, 0
	s_cbranch_vccnz .LBB78_76
; %bb.48:                               ;   in Loop: Header=BB78_15 Depth=1
	v_readlane_b32 s8, v47, 27
	v_readlane_b32 s9, v47, 28
	s_andn2_b64 vcc, exec, s[8:9]
	s_cbranch_vccnz .LBB78_72
; %bb.49:                               ;   in Loop: Header=BB78_15 Depth=1
	v_lshl_add_u32 v3, s41, 8, v41
	s_mov_b32 s7, 0
	v_mov_b32_e32 v1, 0
.LBB78_50:                              ;   Parent Loop BB78_15 Depth=1
                                        ; =>  This Inner Loop Header: Depth=2
	ds_read2_b32 v[7:8], v3 offset1:4
	ds_read2_b32 v[9:10], v3 offset0:8 offset1:12
	ds_read2_b32 v[22:23], v3 offset0:16 offset1:20
	;; [unrolled: 1-line block ×3, first 2 shown]
	s_add_i32 s7, s7, 8
	s_waitcnt lgkmcnt(3)
	v_add3_u32 v1, v7, v1, v8
	s_waitcnt lgkmcnt(2)
	v_add3_u32 v1, v9, v1, v10
	;; [unrolled: 2-line block ×3, first 2 shown]
	v_add_u32_e32 v3, 0x80, v3
	s_cmp_eq_u32 s14, s7
	s_waitcnt lgkmcnt(0)
	v_add3_u32 v1, v24, v1, v25
	s_cbranch_scc0 .LBB78_50
; %bb.51:                               ;   in Loop: Header=BB78_15 Depth=1
	s_mov_b32 s7, s14
	s_branch .LBB78_73
.LBB78_52:                              ;   in Loop: Header=BB78_15 Depth=1
	v_mov_b32_e32 v7, 0
	v_mov_b32_e32 v8, 0
	;; [unrolled: 1-line block ×4, first 2 shown]
	s_mov_b64 s[76:77], exec
	v_readlane_b32 s2, v47, 33
	v_readlane_b32 s3, v47, 34
	s_and_b64 s[2:3], s[76:77], s[2:3]
	s_mov_b64 exec, s[2:3]
	s_cbranch_execz .LBB78_56
; %bb.53:                               ;   in Loop: Header=BB78_15 Depth=1
	s_mov_b32 s2, 0
	s_mov_b64 s[78:79], 0
	s_mov_b32 s3, 0
	s_mov_b32 s8, 0
	;; [unrolled: 1-line block ×4, first 2 shown]
	v_mov_b32_e32 v1, v29
.LBB78_54:                              ;   Parent Loop BB78_15 Depth=1
                                        ; =>  This Inner Loop Header: Depth=2
	v_add_u32_e32 v14, s2, v38
	v_lshlrev_b64 v[3:4], 3, v[14:15]
	v_mov_b32_e32 v24, s40
	v_add_co_u32_e32 v3, vcc, s34, v3
	v_addc_co_u32_e32 v4, vcc, v24, v4, vcc
	global_load_dwordx2 v[3:4], v[3:4], off
	v_add_u32_e32 v14, s2, v35
	v_lshlrev_b64 v[7:8], 3, v[14:15]
	v_add_u32_e32 v14, s2, v36
	v_add_co_u32_e32 v7, vcc, s34, v7
	v_addc_co_u32_e32 v8, vcc, v24, v8, vcc
	global_load_dwordx2 v[7:8], v[7:8], off
	v_lshlrev_b64 v[9:10], 3, v[14:15]
	v_add_u32_e32 v14, s2, v37
	v_add_co_u32_e32 v9, vcc, s34, v9
	v_addc_co_u32_e32 v10, vcc, v24, v10, vcc
	global_load_dwordx2 v[9:10], v[9:10], off
	;; [unrolled: 5-line block ×3, first 2 shown]
	s_add_i32 s2, s2, s10
	s_waitcnt vmcnt(3)
	v_cmp_o_f64_e32 vcc, v[3:4], v[3:4]
	v_ashrrev_i32_e32 v14, 31, v4
	v_or_b32_e32 v24, 0x80000000, v14
	v_xor_b32_e32 v4, v24, v4
	v_xor_b32_e32 v3, v14, v3
	s_waitcnt vmcnt(2)
	v_ashrrev_i32_e32 v14, 31, v8
	v_cndmask_b32_e32 v4, -1, v4, vcc
	v_cndmask_b32_e32 v3, -1, v3, vcc
	v_cmp_o_f64_e32 vcc, v[7:8], v[7:8]
	v_or_b32_e32 v24, 0x80000000, v14
	v_xor_b32_e32 v8, v24, v8
	v_xor_b32_e32 v7, v14, v7
	v_cndmask_b32_e32 v25, -1, v8, vcc
	v_cndmask_b32_e32 v24, -1, v7, vcc
	s_waitcnt vmcnt(1)
	v_cmp_o_f64_e32 vcc, v[9:10], v[9:10]
	v_ashrrev_i32_e32 v7, 31, v10
	v_or_b32_e32 v8, 0x80000000, v7
	v_xor_b32_e32 v8, v8, v10
	v_xor_b32_e32 v7, v7, v9
	v_cndmask_b32_e32 v10, -1, v8, vcc
	v_cndmask_b32_e32 v9, -1, v7, vcc
	s_waitcnt vmcnt(0)
	v_cmp_o_f64_e32 vcc, v[22:23], v[22:23]
	v_ashrrev_i32_e32 v7, 31, v23
	v_or_b32_e32 v8, 0x80000000, v7
	v_xor_b32_e32 v8, v8, v23
	v_xor_b32_e32 v7, v7, v22
	v_and_b32_e32 v23, v4, v21
	v_and_b32_e32 v22, v3, v20
	v_lshrrev_b64 v[3:4], s5, v[3:4]
	v_cndmask_b32_e32 v8, -1, v8, vcc
	v_and_b32_e32 v14, 3, v3
	v_lshrrev_b64 v[3:4], s5, v[24:25]
	v_cndmask_b32_e32 v7, -1, v7, vcc
	v_cmp_eq_u64_e32 vcc, v[22:23], v[18:19]
	v_and_b32_e32 v23, v25, v21
	v_and_b32_e32 v22, v24, v20
	v_cmp_eq_u64_e64 s[6:7], 0, v[14:15]
	v_cmp_eq_u64_e64 s[18:19], v[22:23], v[18:19]
	v_and_b32_e32 v23, v10, v21
	v_and_b32_e32 v22, v9, v20
	;; [unrolled: 1-line block ×3, first 2 shown]
	v_mov_b32_e32 v4, v15
	v_lshrrev_b64 v[9:10], s5, v[9:10]
	s_and_b64 s[30:31], vcc, s[6:7]
	v_cmp_eq_u64_e64 s[6:7], 0, v[3:4]
	v_cmp_eq_u64_e64 s[20:21], v[22:23], v[18:19]
	v_and_b32_e32 v23, v8, v21
	v_and_b32_e32 v22, v7, v20
	v_and_b32_e32 v9, 3, v9
	v_mov_b32_e32 v10, v15
	v_lshrrev_b64 v[7:8], s5, v[7:8]
	s_and_b64 s[36:37], s[18:19], s[6:7]
	v_cmp_eq_u64_e64 s[6:7], 0, v[9:10]
	v_and_b32_e32 v7, 3, v7
	v_mov_b32_e32 v8, v15
	v_cmp_eq_u64_e64 s[22:23], v[22:23], v[18:19]
	s_and_b64 s[38:39], s[20:21], s[6:7]
	v_cmp_eq_u64_e64 s[6:7], 0, v[7:8]
	v_cndmask_b32_e64 v22, 0, 1, s[30:31]
	s_and_b64 s[42:43], s[22:23], s[6:7]
	v_cmp_ne_u32_e64 s[6:7], 0, v22
	v_cndmask_b32_e64 v22, 0, 1, s[36:37]
	s_bcnt1_i32_b64 s17, s[6:7]
	v_cmp_ne_u32_e64 s[6:7], 0, v22
	v_cndmask_b32_e64 v22, 0, 1, s[38:39]
	s_bcnt1_i32_b64 s25, s[6:7]
	;; [unrolled: 3-line block ×3, first 2 shown]
	v_cmp_ne_u32_e64 s[6:7], 0, v22
	s_bcnt1_i32_b64 s6, s[6:7]
	s_add_i32 s7, s16, s17
	s_add_i32 s7, s7, s25
	;; [unrolled: 1-line block ×4, first 2 shown]
	v_cmp_eq_u64_e64 s[6:7], 1, v[14:15]
	s_and_b64 s[30:31], vcc, s[6:7]
	v_cmp_eq_u64_e64 s[6:7], 1, v[3:4]
	v_cndmask_b32_e64 v22, 0, 1, s[30:31]
	s_and_b64 s[36:37], s[18:19], s[6:7]
	v_cmp_eq_u64_e64 s[6:7], 1, v[9:10]
	s_and_b64 s[38:39], s[20:21], s[6:7]
	v_cmp_eq_u64_e64 s[6:7], 1, v[7:8]
	s_and_b64 s[42:43], s[22:23], s[6:7]
	v_cmp_ne_u32_e64 s[6:7], 0, v22
	v_cndmask_b32_e64 v22, 0, 1, s[36:37]
	s_bcnt1_i32_b64 s17, s[6:7]
	v_cmp_ne_u32_e64 s[6:7], 0, v22
	v_cndmask_b32_e64 v22, 0, 1, s[38:39]
	s_bcnt1_i32_b64 s25, s[6:7]
	;; [unrolled: 3-line block ×3, first 2 shown]
	v_cmp_ne_u32_e64 s[6:7], 0, v22
	s_bcnt1_i32_b64 s6, s[6:7]
	s_add_i32 s7, s9, s17
	s_add_i32 s7, s7, s25
	;; [unrolled: 1-line block ×4, first 2 shown]
	v_cmp_eq_u64_e64 s[6:7], 2, v[14:15]
	s_and_b64 s[30:31], vcc, s[6:7]
	v_cmp_eq_u64_e64 s[6:7], 2, v[3:4]
	v_cndmask_b32_e64 v22, 0, 1, s[30:31]
	s_and_b64 s[36:37], s[18:19], s[6:7]
	v_cmp_eq_u64_e64 s[6:7], 2, v[9:10]
	s_and_b64 s[38:39], s[20:21], s[6:7]
	v_cmp_eq_u64_e64 s[6:7], 2, v[7:8]
	s_and_b64 s[42:43], s[22:23], s[6:7]
	v_cmp_ne_u32_e64 s[6:7], 0, v22
	v_cndmask_b32_e64 v22, 0, 1, s[36:37]
	s_bcnt1_i32_b64 s17, s[6:7]
	v_cmp_ne_u32_e64 s[6:7], 0, v22
	v_cndmask_b32_e64 v22, 0, 1, s[38:39]
	s_bcnt1_i32_b64 s25, s[6:7]
	;; [unrolled: 3-line block ×3, first 2 shown]
	v_cmp_ne_u32_e64 s[6:7], 0, v22
	s_bcnt1_i32_b64 s6, s[6:7]
	s_add_i32 s7, s8, s17
	s_add_i32 s7, s7, s25
	;; [unrolled: 1-line block ×4, first 2 shown]
	v_cmp_eq_u64_e64 s[6:7], 3, v[14:15]
	s_and_b64 s[6:7], vcc, s[6:7]
	v_cmp_eq_u64_e32 vcc, 3, v[3:4]
	v_cndmask_b32_e64 v3, 0, 1, s[6:7]
	s_and_b64 s[18:19], s[18:19], vcc
	v_cmp_eq_u64_e32 vcc, 3, v[9:10]
	v_mov_b32_e32 v9, s8
	s_and_b64 s[20:21], s[20:21], vcc
	v_cmp_eq_u64_e32 vcc, 3, v[7:8]
	v_mov_b32_e32 v7, s16
	s_and_b64 s[22:23], s[22:23], vcc
	v_cmp_ne_u32_e32 vcc, 0, v3
	v_cndmask_b32_e64 v3, 0, 1, s[18:19]
	s_bcnt1_i32_b64 s6, vcc
	v_cmp_ne_u32_e32 vcc, 0, v3
	v_cndmask_b32_e64 v3, 0, 1, s[20:21]
	s_bcnt1_i32_b64 s7, vcc
	v_cmp_ne_u32_e32 vcc, 0, v3
	v_cndmask_b32_e64 v3, 0, 1, s[22:23]
	s_add_i32 s3, s3, s6
	s_bcnt1_i32_b64 s17, vcc
	v_cmp_ne_u32_e32 vcc, 0, v3
	s_add_i32 s3, s3, s7
	s_bcnt1_i32_b64 s18, vcc
	s_add_i32 s3, s3, s17
	s_add_i32 s3, s3, s18
	v_cmp_le_u32_e32 vcc, s13, v1
	s_or_b64 s[78:79], vcc, s[78:79]
	v_mov_b32_e32 v8, s9
	v_mov_b32_e32 v10, s3
	s_andn2_b64 exec, exec, s[78:79]
	s_cbranch_execnz .LBB78_54
; %bb.55:                               ;   in Loop: Header=BB78_15 Depth=1
	s_or_b64 exec, exec, s[78:79]
.LBB78_56:                              ;   in Loop: Header=BB78_15 Depth=1
	s_or_b64 exec, exec, s[76:77]
	s_mov_b64 s[2:3], exec
	v_readlane_b32 s6, v47, 35
	v_readlane_b32 s7, v47, 36
	s_and_b64 s[6:7], s[2:3], s[6:7]
	s_mov_b64 exec, s[6:7]
	s_cbranch_execz .LBB78_62
; %bb.57:                               ;   in Loop: Header=BB78_15 Depth=1
	global_load_dwordx2 v[24:25], v[16:17], off
	s_mov_b64 s[8:9], 0
	v_mov_b32_e32 v3, v39
	v_mov_b32_e32 v1, v34
	s_branch .LBB78_59
.LBB78_58:                              ;   in Loop: Header=BB78_59 Depth=2
	s_or_b64 exec, exec, s[16:17]
	s_waitcnt vmcnt(0)
	v_cmp_o_f64_e64 s[6:7], v[24:25], v[24:25]
	v_ashrrev_i32_e32 v4, 31, v25
	v_or_b32_e32 v14, 0x80000000, v4
	v_xor_b32_e32 v14, v14, v25
	v_xor_b32_e32 v4, v4, v24
	s_and_b64 s[16:17], exec, vcc
	s_or_b64 s[8:9], s[16:17], s[8:9]
	v_add_u32_e32 v3, s46, v3
	v_cndmask_b32_e64 v25, -1, v14, s[6:7]
	v_cndmask_b32_e64 v24, -1, v4, s[6:7]
	v_and_b32_e32 v44, v25, v21
	v_and_b32_e32 v43, v24, v20
	v_lshrrev_b64 v[24:25], s5, v[24:25]
	v_cmp_eq_u64_e32 vcc, v[43:44], v[18:19]
	v_and_b32_e32 v14, 3, v24
	v_cmp_eq_u64_e64 s[6:7], 0, v[14:15]
	v_mov_b32_e32 v25, v23
	s_and_b64 s[6:7], vcc, s[6:7]
	v_cndmask_b32_e64 v4, 0, 1, s[6:7]
	v_cmp_ne_u32_e64 s[6:7], 0, v4
	s_bcnt1_i32_b64 s16, s[6:7]
	v_cmp_eq_u64_e64 s[6:7], 1, v[14:15]
	v_add_u32_e32 v7, s16, v7
	s_and_b64 s[6:7], vcc, s[6:7]
	v_cndmask_b32_e64 v4, 0, 1, s[6:7]
	v_cmp_ne_u32_e64 s[6:7], 0, v4
	s_bcnt1_i32_b64 s16, s[6:7]
	v_cmp_eq_u64_e64 s[6:7], 2, v[14:15]
	v_add_u32_e32 v8, s16, v8
	;; [unrolled: 6-line block ×3, first 2 shown]
	s_and_b64 s[6:7], vcc, s[6:7]
	v_cndmask_b32_e64 v4, 0, 1, s[6:7]
	v_cmp_ne_u32_e32 vcc, 0, v4
	s_bcnt1_i32_b64 s6, vcc
	v_add_u32_e32 v10, s6, v10
	v_mov_b32_e32 v24, v22
	s_andn2_b64 exec, exec, s[8:9]
	s_cbranch_execz .LBB78_61
.LBB78_59:                              ;   Parent Loop BB78_15 Depth=1
                                        ; =>  This Inner Loop Header: Depth=2
	v_add_u32_e32 v1, s33, v1
	v_mov_b32_e32 v22, 0
	v_cmp_gt_u32_e64 s[6:7], s28, v1
	v_mov_b32_e32 v23, 0
	v_cmp_le_u32_e32 vcc, s28, v1
	s_and_saveexec_b64 s[16:17], s[6:7]
	s_cbranch_execz .LBB78_58
; %bb.60:                               ;   in Loop: Header=BB78_59 Depth=2
	v_mov_b32_e32 v4, v15
	v_lshlrev_b64 v[22:23], 3, v[3:4]
	v_mov_b32_e32 v4, s40
	v_add_co_u32_e64 v22, s[6:7], s34, v22
	v_addc_co_u32_e64 v23, s[6:7], v4, v23, s[6:7]
	global_load_dwordx2 v[22:23], v[22:23], off
	s_branch .LBB78_58
.LBB78_61:                              ;   in Loop: Header=BB78_15 Depth=1
	s_or_b64 exec, exec, s[8:9]
.LBB78_62:                              ;   in Loop: Header=BB78_15 Depth=1
	s_or_b64 exec, exec, s[2:3]
	s_branch .LBB78_44
.LBB78_63:                              ;   in Loop: Header=BB78_15 Depth=1
	v_readlane_b32 s2, v47, 32
	s_mul_hi_u32 s2, s24, s2
	s_mul_i32 s2, s2, s15
	s_sub_i32 s2, s24, s2
	s_sub_i32 s3, s2, s15
	s_cmp_ge_u32 s2, s15
	s_cselect_b32 s2, s3, s2
	s_sub_i32 s3, s2, s15
	s_cmp_ge_u32 s2, s15
	s_cselect_b32 s2, s3, s2
	s_sub_i32 s2, s24, s2
	v_cmp_gt_u32_e32 vcc, s2, v29
	v_mov_b32_e32 v7, 0
	v_mov_b32_e32 v8, 0
	;; [unrolled: 1-line block ×4, first 2 shown]
	s_and_saveexec_b64 s[76:77], vcc
	s_cbranch_execz .LBB78_67
; %bb.64:                               ;   in Loop: Header=BB78_15 Depth=1
	s_mov_b32 s3, 0
	s_mov_b64 s[78:79], 0
	v_mov_b32_e32 v1, v40
	s_mov_b32 s8, 0
	s_mov_b32 s9, 0
	;; [unrolled: 1-line block ×3, first 2 shown]
	v_mov_b32_e32 v22, v29
.LBB78_65:                              ;   Parent Loop BB78_15 Depth=1
                                        ; =>  This Inner Loop Header: Depth=2
	ds_read_b128 v[7:10], v1
	ds_read_b128 v[43:46], v1 offset:16
	v_add_u32_e32 v22, s15, v22
	v_add_u32_e32 v1, s11, v1
	s_waitcnt lgkmcnt(1)
	v_cmp_o_f64_e32 vcc, v[7:8], v[7:8]
	v_ashrrev_i32_e32 v3, 31, v8
	v_or_b32_e32 v4, 0x80000000, v3
	v_xor_b32_e32 v4, v4, v8
	v_xor_b32_e32 v3, v3, v7
	v_ashrrev_i32_e32 v7, 31, v10
	v_or_b32_e32 v8, 0x80000000, v7
	v_xor_b32_e32 v8, v8, v10
	v_cndmask_b32_e32 v4, -1, v4, vcc
	v_cndmask_b32_e32 v3, -1, v3, vcc
	v_cmp_o_f64_e32 vcc, v[9:10], v[9:10]
	v_xor_b32_e32 v7, v7, v9
	v_cndmask_b32_e32 v24, -1, v8, vcc
	v_cndmask_b32_e32 v23, -1, v7, vcc
	s_waitcnt lgkmcnt(0)
	v_cmp_o_f64_e32 vcc, v[43:44], v[43:44]
	v_ashrrev_i32_e32 v7, 31, v44
	v_or_b32_e32 v8, 0x80000000, v7
	v_xor_b32_e32 v8, v8, v44
	v_xor_b32_e32 v7, v7, v43
	v_and_b32_e32 v44, v4, v21
	v_and_b32_e32 v43, v3, v20
	v_lshrrev_b64 v[3:4], s5, v[3:4]
	v_cndmask_b32_e32 v10, -1, v8, vcc
	v_cndmask_b32_e32 v9, -1, v7, vcc
	v_cmp_o_f64_e32 vcc, v[45:46], v[45:46]
	v_ashrrev_i32_e32 v7, 31, v46
	v_or_b32_e32 v8, 0x80000000, v7
	v_xor_b32_e32 v8, v8, v46
	v_xor_b32_e32 v7, v7, v45
	v_and_b32_e32 v14, 3, v3
	v_lshrrev_b64 v[3:4], s5, v[23:24]
	v_cmp_eq_u64_e64 s[6:7], 0, v[14:15]
	v_cndmask_b32_e32 v8, -1, v8, vcc
	v_cndmask_b32_e32 v7, -1, v7, vcc
	v_cmp_eq_u64_e32 vcc, v[43:44], v[18:19]
	v_and_b32_e32 v44, v24, v21
	v_and_b32_e32 v43, v23, v20
	v_cmp_eq_u64_e64 s[18:19], v[43:44], v[18:19]
	v_and_b32_e32 v44, v10, v21
	v_and_b32_e32 v43, v9, v20
	;; [unrolled: 1-line block ×3, first 2 shown]
	v_mov_b32_e32 v4, v15
	v_lshrrev_b64 v[9:10], s5, v[9:10]
	s_and_b64 s[30:31], vcc, s[6:7]
	v_cmp_eq_u64_e64 s[6:7], 0, v[3:4]
	v_cmp_eq_u64_e64 s[20:21], v[43:44], v[18:19]
	v_and_b32_e32 v44, v8, v21
	v_and_b32_e32 v43, v7, v20
	;; [unrolled: 1-line block ×3, first 2 shown]
	v_mov_b32_e32 v10, v15
	v_lshrrev_b64 v[7:8], s5, v[7:8]
	s_and_b64 s[36:37], s[18:19], s[6:7]
	v_cmp_eq_u64_e64 s[6:7], 0, v[9:10]
	v_and_b32_e32 v7, 3, v7
	v_mov_b32_e32 v8, v15
	v_cmp_eq_u64_e64 s[22:23], v[43:44], v[18:19]
	s_and_b64 s[38:39], s[20:21], s[6:7]
	v_cmp_eq_u64_e64 s[6:7], 0, v[7:8]
	v_cndmask_b32_e64 v23, 0, 1, s[30:31]
	s_and_b64 s[42:43], s[22:23], s[6:7]
	v_cmp_ne_u32_e64 s[6:7], 0, v23
	v_cndmask_b32_e64 v23, 0, 1, s[36:37]
	s_bcnt1_i32_b64 s17, s[6:7]
	v_cmp_ne_u32_e64 s[6:7], 0, v23
	v_cndmask_b32_e64 v23, 0, 1, s[38:39]
	s_bcnt1_i32_b64 s25, s[6:7]
	v_cmp_ne_u32_e64 s[6:7], 0, v23
	v_cndmask_b32_e64 v23, 0, 1, s[42:43]
	s_bcnt1_i32_b64 s30, s[6:7]
	v_cmp_ne_u32_e64 s[6:7], 0, v23
	s_bcnt1_i32_b64 s6, s[6:7]
	s_add_i32 s7, s16, s17
	s_add_i32 s7, s7, s25
	;; [unrolled: 1-line block ×4, first 2 shown]
	v_cmp_eq_u64_e64 s[6:7], 1, v[14:15]
	s_and_b64 s[30:31], vcc, s[6:7]
	v_cmp_eq_u64_e64 s[6:7], 1, v[3:4]
	v_cndmask_b32_e64 v23, 0, 1, s[30:31]
	s_and_b64 s[36:37], s[18:19], s[6:7]
	v_cmp_eq_u64_e64 s[6:7], 1, v[9:10]
	s_and_b64 s[38:39], s[20:21], s[6:7]
	v_cmp_eq_u64_e64 s[6:7], 1, v[7:8]
	s_and_b64 s[42:43], s[22:23], s[6:7]
	v_cmp_ne_u32_e64 s[6:7], 0, v23
	v_cndmask_b32_e64 v23, 0, 1, s[36:37]
	s_bcnt1_i32_b64 s17, s[6:7]
	v_cmp_ne_u32_e64 s[6:7], 0, v23
	v_cndmask_b32_e64 v23, 0, 1, s[38:39]
	s_bcnt1_i32_b64 s25, s[6:7]
	;; [unrolled: 3-line block ×3, first 2 shown]
	v_cmp_ne_u32_e64 s[6:7], 0, v23
	s_bcnt1_i32_b64 s6, s[6:7]
	s_add_i32 s7, s9, s17
	s_add_i32 s7, s7, s25
	;; [unrolled: 1-line block ×4, first 2 shown]
	v_cmp_eq_u64_e64 s[6:7], 2, v[14:15]
	s_and_b64 s[30:31], vcc, s[6:7]
	v_cmp_eq_u64_e64 s[6:7], 2, v[3:4]
	v_cndmask_b32_e64 v23, 0, 1, s[30:31]
	s_and_b64 s[36:37], s[18:19], s[6:7]
	v_cmp_eq_u64_e64 s[6:7], 2, v[9:10]
	s_and_b64 s[38:39], s[20:21], s[6:7]
	v_cmp_eq_u64_e64 s[6:7], 2, v[7:8]
	s_and_b64 s[42:43], s[22:23], s[6:7]
	v_cmp_ne_u32_e64 s[6:7], 0, v23
	v_cndmask_b32_e64 v23, 0, 1, s[36:37]
	s_bcnt1_i32_b64 s17, s[6:7]
	v_cmp_ne_u32_e64 s[6:7], 0, v23
	v_cndmask_b32_e64 v23, 0, 1, s[38:39]
	s_bcnt1_i32_b64 s25, s[6:7]
	;; [unrolled: 3-line block ×3, first 2 shown]
	v_cmp_ne_u32_e64 s[6:7], 0, v23
	s_bcnt1_i32_b64 s6, s[6:7]
	s_add_i32 s7, s8, s17
	s_add_i32 s7, s7, s25
	;; [unrolled: 1-line block ×4, first 2 shown]
	v_cmp_eq_u64_e64 s[6:7], 3, v[14:15]
	s_and_b64 s[6:7], vcc, s[6:7]
	v_cmp_eq_u64_e32 vcc, 3, v[3:4]
	v_cndmask_b32_e64 v3, 0, 1, s[6:7]
	s_and_b64 s[18:19], s[18:19], vcc
	v_cmp_eq_u64_e32 vcc, 3, v[9:10]
	v_mov_b32_e32 v9, s8
	s_and_b64 s[20:21], s[20:21], vcc
	v_cmp_eq_u64_e32 vcc, 3, v[7:8]
	v_mov_b32_e32 v7, s16
	s_and_b64 s[22:23], s[22:23], vcc
	v_cmp_ne_u32_e32 vcc, 0, v3
	v_cndmask_b32_e64 v3, 0, 1, s[18:19]
	s_bcnt1_i32_b64 s6, vcc
	v_cmp_ne_u32_e32 vcc, 0, v3
	v_cndmask_b32_e64 v3, 0, 1, s[20:21]
	s_bcnt1_i32_b64 s7, vcc
	v_cmp_ne_u32_e32 vcc, 0, v3
	v_cndmask_b32_e64 v3, 0, 1, s[22:23]
	s_add_i32 s3, s3, s6
	s_bcnt1_i32_b64 s17, vcc
	v_cmp_ne_u32_e32 vcc, 0, v3
	s_add_i32 s3, s3, s7
	s_bcnt1_i32_b64 s18, vcc
	s_add_i32 s3, s3, s17
	s_add_i32 s3, s3, s18
	v_cmp_le_u32_e32 vcc, s2, v22
	s_or_b64 s[78:79], vcc, s[78:79]
	v_mov_b32_e32 v8, s9
	v_mov_b32_e32 v10, s3
	s_andn2_b64 exec, exec, s[78:79]
	s_cbranch_execnz .LBB78_65
; %bb.66:                               ;   in Loop: Header=BB78_15 Depth=1
	s_or_b64 exec, exec, s[78:79]
.LBB78_67:                              ;   in Loop: Header=BB78_15 Depth=1
	s_or_b64 exec, exec, s[76:77]
	v_add_u32_e32 v1, s2, v0
	v_cmp_gt_u32_e32 vcc, s24, v1
	s_and_saveexec_b64 s[18:19], vcc
	s_cbranch_execz .LBB78_71
; %bb.68:                               ;   in Loop: Header=BB78_15 Depth=1
	v_lshlrev_b32_e32 v3, 3, v1
	s_mov_b64 s[20:21], 0
.LBB78_69:                              ;   Parent Loop BB78_15 Depth=1
                                        ; =>  This Inner Loop Header: Depth=2
	ds_read_b64 v[22:23], v3
	v_add_u32_e32 v1, s33, v1
	v_add_u32_e32 v3, s4, v3
	s_waitcnt lgkmcnt(0)
	v_cmp_o_f64_e32 vcc, v[22:23], v[22:23]
	v_ashrrev_i32_e32 v4, 31, v23
	v_or_b32_e32 v14, 0x80000000, v4
	v_xor_b32_e32 v14, v14, v23
	v_xor_b32_e32 v4, v4, v22
	v_cndmask_b32_e32 v23, -1, v14, vcc
	v_cndmask_b32_e32 v22, -1, v4, vcc
	v_and_b32_e32 v25, v23, v21
	v_and_b32_e32 v24, v22, v20
	v_lshrrev_b64 v[22:23], s5, v[22:23]
	v_cmp_eq_u64_e32 vcc, v[24:25], v[18:19]
	v_and_b32_e32 v14, 3, v22
	v_cmp_eq_u64_e64 s[6:7], 0, v[14:15]
	s_and_b64 s[2:3], vcc, s[6:7]
	v_cndmask_b32_e64 v4, 0, 1, s[2:3]
	v_cmp_ne_u32_e64 s[6:7], 0, v4
	s_bcnt1_i32_b64 s2, s[6:7]
	v_cmp_eq_u64_e64 s[6:7], 1, v[14:15]
	v_add_u32_e32 v7, s2, v7
	s_and_b64 s[2:3], vcc, s[6:7]
	v_cndmask_b32_e64 v4, 0, 1, s[2:3]
	v_cmp_ne_u32_e64 s[6:7], 0, v4
	s_bcnt1_i32_b64 s2, s[6:7]
	v_cmp_eq_u64_e64 s[6:7], 2, v[14:15]
	v_add_u32_e32 v8, s2, v8
	;; [unrolled: 6-line block ×3, first 2 shown]
	s_and_b64 s[2:3], vcc, s[6:7]
	v_cndmask_b32_e64 v4, 0, 1, s[2:3]
	v_cmp_ne_u32_e32 vcc, 0, v4
	s_bcnt1_i32_b64 s2, vcc
	v_cmp_le_u32_e32 vcc, s24, v1
	v_add_u32_e32 v10, s2, v10
	s_or_b64 s[20:21], vcc, s[20:21]
	s_andn2_b64 exec, exec, s[20:21]
	s_cbranch_execnz .LBB78_69
; %bb.70:                               ;   in Loop: Header=BB78_15 Depth=1
	s_or_b64 exec, exec, s[20:21]
.LBB78_71:                              ;   in Loop: Header=BB78_15 Depth=1
	s_or_b64 exec, exec, s[18:19]
	s_lshl_b32 s6, s41, 6
	s_and_saveexec_b64 s[2:3], s[0:1]
	s_cbranch_execnz .LBB78_45
	s_branch .LBB78_46
.LBB78_72:                              ;   in Loop: Header=BB78_15 Depth=1
	v_mov_b32_e32 v1, 0
	s_mov_b32 s7, 0
.LBB78_73:                              ;   in Loop: Header=BB78_15 Depth=1
	v_readlane_b32 s8, v47, 30
	v_readlane_b32 s9, v47, 31
	s_andn2_b64 vcc, exec, s[8:9]
	s_cbranch_vccnz .LBB78_76
; %bb.74:                               ;   in Loop: Header=BB78_15 Depth=1
	s_lshl_b32 s8, s41, 8
	s_lshl_b32 s7, s7, 4
	s_add_i32 s8, s8, s7
	v_add_u32_e32 v3, s8, v41
	v_readlane_b32 s7, v47, 29
.LBB78_75:                              ;   Parent Loop BB78_15 Depth=1
                                        ; =>  This Inner Loop Header: Depth=2
	ds_read_b32 v4, v3
	s_add_i32 s7, s7, -1
	v_add_u32_e32 v3, 16, v3
	s_cmp_lg_u32 s7, 0
	s_waitcnt lgkmcnt(0)
	v_add_u32_e32 v1, v4, v1
	s_cbranch_scc1 .LBB78_75
.LBB78_76:                              ;   in Loop: Header=BB78_15 Depth=1
	v_add_lshl_u32 v3, s6, v30, 2
	ds_write_b32 v3, v1 offset:3072
.LBB78_77:                              ;   in Loop: Header=BB78_15 Depth=1
	s_or_b64 exec, exec, s[2:3]
	s_lshl_b32 s2, s6, 2
	v_mov_b32_e32 v1, s2
	s_waitcnt lgkmcnt(0)
	s_barrier
	ds_read_b128 v[7:10], v1 offset:3072
	v_readlane_b32 s2, v47, 10
	s_lshl_b64 s[22:23], 3, s5
	v_readlane_b32 s3, v47, 11
	s_not_b64 s[76:77], s[22:23]
	s_waitcnt lgkmcnt(0)
	v_readfirstlane_b32 s30, v7
	v_readfirstlane_b32 s31, v8
	;; [unrolled: 1-line block ×4, first 2 shown]
	v_cmp_eq_u32_e64 s[18:19], 1, v42
	s_mov_b64 s[86:87], -1
	s_mov_b64 s[20:21], 0
	s_andn2_b64 vcc, exec, s[2:3]
	s_mov_b64 s[80:81], 0
	s_mov_b64 s[78:79], 0
                                        ; implicit-def: $sgpr82_sgpr83
                                        ; implicit-def: $sgpr84_sgpr85
                                        ; implicit-def: $vgpr44
                                        ; implicit-def: $vgpr43
                                        ; implicit-def: $vgpr22_vgpr23
                                        ; implicit-def: $vgpr24_vgpr25
                                        ; implicit-def: $vgpr9_vgpr10
	s_cbranch_vccnz .LBB78_247
; %bb.78:                               ;   in Loop: Header=BB78_15 Depth=1
	s_cmp_eq_u32 s30, 1
	s_cselect_b64 s[2:3], -1, 0
	v_mov_b32_e32 v23, v19
	v_mov_b32_e32 v25, v21
	;; [unrolled: 1-line block ×3, first 2 shown]
	s_and_b64 s[6:7], s[2:3], s[18:19]
	s_mov_b64 s[2:3], -1
	v_mov_b32_e32 v22, v18
	v_mov_b32_e32 v24, v20
	;; [unrolled: 1-line block ×3, first 2 shown]
                                        ; implicit-def: $sgpr84_sgpr85
                                        ; implicit-def: $sgpr82_sgpr83
	s_and_saveexec_b64 s[24:25], s[6:7]
	s_cbranch_execz .LBB78_109
; %bb.79:                               ;   in Loop: Header=BB78_15 Depth=1
	ds_read_b32 v1, v15 offset:4096
	s_waitcnt lgkmcnt(0)
	s_barrier
	v_readfirstlane_b32 s48, v1
	s_mov_b64 s[2:3], exec
	v_readlane_b32 s8, v47, 22
	v_readlane_b32 s9, v47, 23
	s_and_b64 s[8:9], s[2:3], s[8:9]
	s_mov_b64 exec, s[8:9]
; %bb.80:                               ;   in Loop: Header=BB78_15 Depth=1
	v_mov_b32_e32 v14, v15
	ds_write_b64 v32, v[14:15]
; %bb.81:                               ;   in Loop: Header=BB78_15 Depth=1
	s_or_b64 exec, exec, s[2:3]
	v_and_b32_e32 v23, s77, v19
	v_and_b32_e32 v22, s76, v18
	v_or_b32_e32 v25, s23, v21
	v_or_b32_e32 v24, s22, v20
	s_mov_b64 s[82:83], -1
	s_mov_b64 s[84:85], 0
	s_cmp_eq_u32 s48, 0
	s_mov_b64 s[2:3], 0
	s_mov_b64 s[16:17], -1
	s_waitcnt lgkmcnt(0)
	s_barrier
                                        ; implicit-def: $vgpr9_vgpr10
	s_cbranch_scc1 .LBB78_96
; %bb.82:                               ;   in Loop: Header=BB78_15 Depth=1
	v_readlane_b32 s2, v47, 24
	s_add_i32 s2, s48, s2
	v_readlane_b32 s3, v47, 37
	s_mul_hi_u32 s3, s2, s3
	s_mul_i32 s3, s3, s33
	s_sub_i32 s3, s2, s3
	s_sub_i32 s8, s3, s33
	s_cmp_ge_u32 s3, s33
	s_cselect_b32 s3, s8, s3
	s_sub_i32 s8, s3, s33
	s_cmp_ge_u32 s3, s33
	s_cselect_b32 s3, s8, s3
	s_sub_i32 s49, s2, s3
	v_cmp_gt_u32_e32 vcc, s49, v0
	s_mov_b64 s[16:17], 0
	s_mov_b64 s[2:3], 0
                                        ; implicit-def: $vgpr9_vgpr10
	s_and_saveexec_b64 s[8:9], vcc
	s_cbranch_execz .LBB78_95
; %bb.83:                               ;   in Loop: Header=BB78_15 Depth=1
	v_mov_b32_e32 v14, v31
	v_mov_b32_e32 v43, v0
                                        ; implicit-def: $sgpr36_sgpr37
	s_branch .LBB78_87
.LBB78_84:                              ;   in Loop: Header=BB78_87 Depth=2
	s_or_b64 exec, exec, s[38:39]
	s_waitcnt lgkmcnt(0)
	s_barrier
	ds_read_b128 v[7:10], v15 offset:3072
	s_waitcnt lgkmcnt(0)
	s_barrier
	v_cmp_neq_f64_e32 vcc, 0, v[7:8]
	s_cbranch_vccnz .LBB78_90
; %bb.85:                               ;   in Loop: Header=BB78_87 Depth=2
	v_add_u32_e32 v43, s33, v43
	v_cmp_le_u32_e32 vcc, s49, v43
	v_add_u32_e32 v14, s4, v14
	s_mov_b64 s[38:39], 0
	s_orn2_b64 s[44:45], vcc, exec
.LBB78_86:                              ;   in Loop: Header=BB78_87 Depth=2
	s_and_b64 s[44:45], exec, s[44:45]
	s_or_b64 s[2:3], s[44:45], s[2:3]
	s_andn2_b64 s[36:37], s[36:37], exec
	s_and_b64 s[38:39], s[38:39], exec
	s_or_b64 s[36:37], s[36:37], s[38:39]
	s_andn2_b64 exec, exec, s[2:3]
	s_cbranch_execz .LBB78_94
.LBB78_87:                              ;   Parent Loop BB78_15 Depth=1
                                        ; =>  This Inner Loop Header: Depth=2
	v_cmp_gt_u32_e32 vcc, s48, v43
	s_and_saveexec_b64 s[38:39], vcc
	s_cbranch_execz .LBB78_84
; %bb.88:                               ;   in Loop: Header=BB78_87 Depth=2
	ds_read_b64 v[3:4], v14
	s_waitcnt lgkmcnt(0)
	v_cmp_o_f64_e32 vcc, v[3:4], v[3:4]
	v_ashrrev_i32_e32 v1, 31, v4
	v_or_b32_e32 v7, 0x80000000, v1
	v_xor_b32_e32 v7, v7, v4
	v_xor_b32_e32 v1, v1, v3
	v_cndmask_b32_e32 v7, -1, v7, vcc
	v_cndmask_b32_e32 v1, -1, v1, vcc
	v_and_b32_e32 v8, v7, v25
	v_and_b32_e32 v7, v1, v24
	v_cmp_eq_u64_e32 vcc, v[7:8], v[22:23]
	s_and_b64 exec, exec, vcc
	s_cbranch_execz .LBB78_84
; %bb.89:                               ;   in Loop: Header=BB78_87 Depth=2
	v_mov_b32_e32 v1, v15
	ds_write_b128 v15, v[1:4] offset:3072
	s_branch .LBB78_84
.LBB78_90:                              ;   in Loop: Header=BB78_87 Depth=2
	s_mov_b64 s[44:45], -1
                                        ; implicit-def: $vgpr43
                                        ; implicit-def: $vgpr14
	s_mov_b64 s[38:39], -1
	s_branch .LBB78_86
.LBB78_91:                              ;   in Loop: Header=BB78_15 Depth=1
	s_or_b64 exec, exec, s[8:9]
	s_waitcnt lgkmcnt(0)
	s_barrier
	s_mov_b64 s[6:7], exec
	v_readlane_b32 s8, v47, 6
	v_readlane_b32 s9, v47, 7
	s_and_b64 s[8:9], s[6:7], s[8:9]
	s_mov_b64 exec, s[8:9]
	s_cbranch_execz .LBB78_93
; %bb.92:                               ;   in Loop: Header=BB78_15 Depth=1
	ds_read_b32 v1, v15 offset:4104
	s_waitcnt lgkmcnt(0)
	ds_write_b32 v15, v1 offset:4096
.LBB78_93:                              ;   in Loop: Header=BB78_15 Depth=1
	s_or_b64 exec, exec, s[6:7]
	s_waitcnt lgkmcnt(0)
	s_barrier
	s_mov_b64 s[6:7], -1
	s_and_b64 vcc, exec, s[2:3]
	s_cbranch_vccnz .LBB78_31
	s_branch .LBB78_40
.LBB78_94:                              ;   in Loop: Header=BB78_15 Depth=1
	s_or_b64 exec, exec, s[2:3]
	s_and_b64 s[2:3], s[36:37], exec
.LBB78_95:                              ;   in Loop: Header=BB78_15 Depth=1
	s_or_b64 exec, exec, s[8:9]
.LBB78_96:                              ;   in Loop: Header=BB78_15 Depth=1
	s_and_b64 vcc, exec, s[16:17]
	s_cbranch_vccz .LBB78_108
; %bb.97:                               ;   in Loop: Header=BB78_15 Depth=1
                                        ; implicit-def: $vgpr9_vgpr10
	s_mov_b64 s[8:9], exec
	v_readlane_b32 s16, v47, 38
	v_readlane_b32 s17, v47, 39
	s_and_b64 s[16:17], s[8:9], s[16:17]
	s_mov_b64 exec, s[16:17]
	s_cbranch_execz .LBB78_107
; %bb.98:                               ;   in Loop: Header=BB78_15 Depth=1
	s_mov_b64 s[36:37], 0
	v_mov_b32_e32 v14, v13
	v_mov_b32_e32 v43, v0
                                        ; implicit-def: $sgpr16_sgpr17
	s_branch .LBB78_102
.LBB78_99:                              ;   in Loop: Header=BB78_102 Depth=2
	s_or_b64 exec, exec, s[38:39]
	s_waitcnt lgkmcnt(0)
	s_barrier
	ds_read_b128 v[7:10], v15 offset:3072
	s_waitcnt lgkmcnt(0)
	s_barrier
	v_cmp_neq_f64_e32 vcc, 0, v[7:8]
	s_cbranch_vccnz .LBB78_105
; %bb.100:                              ;   in Loop: Header=BB78_102 Depth=2
	v_add_u32_e32 v43, s33, v43
	v_cmp_le_u32_e32 vcc, s12, v43
	v_add_u32_e32 v14, s46, v14
	s_mov_b64 s[38:39], 0
	s_orn2_b64 s[44:45], vcc, exec
.LBB78_101:                             ;   in Loop: Header=BB78_102 Depth=2
	s_and_b64 s[44:45], exec, s[44:45]
	s_or_b64 s[36:37], s[44:45], s[36:37]
	s_andn2_b64 s[16:17], s[16:17], exec
	s_and_b64 s[38:39], s[38:39], exec
	s_or_b64 s[16:17], s[16:17], s[38:39]
	s_andn2_b64 exec, exec, s[36:37]
	s_cbranch_execz .LBB78_106
.LBB78_102:                             ;   Parent Loop BB78_15 Depth=1
                                        ; =>  This Inner Loop Header: Depth=2
	v_cmp_gt_u32_e32 vcc, s28, v43
	s_and_saveexec_b64 s[38:39], vcc
	s_cbranch_execz .LBB78_99
; %bb.103:                              ;   in Loop: Header=BB78_102 Depth=2
	v_lshlrev_b64 v[3:4], 3, v[14:15]
	v_mov_b32_e32 v1, s40
	v_add_co_u32_e32 v3, vcc, s34, v3
	v_addc_co_u32_e32 v4, vcc, v1, v4, vcc
	global_load_dwordx2 v[3:4], v[3:4], off
	s_waitcnt vmcnt(0)
	v_cmp_o_f64_e32 vcc, v[3:4], v[3:4]
	v_ashrrev_i32_e32 v1, 31, v4
	v_or_b32_e32 v7, 0x80000000, v1
	v_xor_b32_e32 v7, v7, v4
	v_xor_b32_e32 v1, v1, v3
	v_cndmask_b32_e32 v7, -1, v7, vcc
	v_cndmask_b32_e32 v1, -1, v1, vcc
	v_and_b32_e32 v8, v7, v25
	v_and_b32_e32 v7, v1, v24
	v_cmp_eq_u64_e32 vcc, v[7:8], v[22:23]
	s_and_b64 exec, exec, vcc
	s_cbranch_execz .LBB78_99
; %bb.104:                              ;   in Loop: Header=BB78_102 Depth=2
	v_mov_b32_e32 v1, v15
	ds_write_b128 v15, v[1:4] offset:3072
	s_branch .LBB78_99
.LBB78_105:                             ;   in Loop: Header=BB78_102 Depth=2
	s_mov_b64 s[44:45], -1
                                        ; implicit-def: $vgpr43
	s_mov_b64 s[38:39], -1
	s_branch .LBB78_101
.LBB78_106:                             ;   in Loop: Header=BB78_15 Depth=1
	s_or_b64 exec, exec, s[36:37]
	s_andn2_b64 s[2:3], s[2:3], exec
	s_and_b64 s[16:17], s[16:17], exec
	s_or_b64 s[2:3], s[2:3], s[16:17]
.LBB78_107:                             ;   in Loop: Header=BB78_15 Depth=1
	s_or_b64 exec, exec, s[8:9]
	s_mov_b64 s[82:83], 0
	s_mov_b64 s[84:85], -1
.LBB78_108:                             ;   in Loop: Header=BB78_15 Depth=1
	s_orn2_b64 s[2:3], s[2:3], exec
.LBB78_109:                             ;   in Loop: Header=BB78_15 Depth=1
	s_or_b64 exec, exec, s[24:25]
	s_mov_b64 s[86:87], 0
	s_mov_b64 s[80:81], 0
	;; [unrolled: 1-line block ×3, first 2 shown]
                                        ; implicit-def: $vgpr44
                                        ; implicit-def: $vgpr43
	s_and_saveexec_b64 s[88:89], s[2:3]
	s_cbranch_execz .LBB78_246
; %bb.110:                              ;   in Loop: Header=BB78_15 Depth=1
	s_xor_b64 s[8:9], s[6:7], -1
	s_mov_b64 s[6:7], 0
	v_mov_b32_e32 v44, 1
	v_mov_b32_e32 v43, 1
	s_and_saveexec_b64 s[2:3], s[8:9]
	s_cbranch_execz .LBB78_119
; %bb.111:                              ;   in Loop: Header=BB78_15 Depth=1
	v_cmp_ge_u32_e32 vcc, s30, v42
	s_and_saveexec_b64 s[6:7], vcc
	s_xor_b64 s[6:7], exec, s[6:7]
	s_cbranch_execz .LBB78_116
; %bb.112:                              ;   in Loop: Header=BB78_15 Depth=1
	ds_read_b32 v1, v15 offset:4096
	v_and_b32_e32 v23, s77, v23
	v_and_b32_e32 v22, s76, v22
	v_or_b32_e32 v25, s23, v25
	v_or_b32_e32 v24, s22, v24
	s_waitcnt lgkmcnt(0)
	v_cmp_ne_u32_e32 vcc, 0, v1
	s_cbranch_vccnz .LBB78_116
; %bb.113:                              ;   in Loop: Header=BB78_15 Depth=1
	s_mov_b64 s[8:9], exec
	v_readlane_b32 s16, v47, 6
	v_readlane_b32 s17, v47, 7
	s_and_b64 s[16:17], s[8:9], s[16:17]
	s_mov_b64 exec, s[16:17]
; %bb.114:                              ;   in Loop: Header=BB78_15 Depth=1
	v_mov_b32_e32 v1, s30
	ds_write_b32 v15, v1 offset:4100
; %bb.115:                              ;   in Loop: Header=BB78_15 Depth=1
	s_or_b64 exec, exec, s[8:9]
	s_waitcnt lgkmcnt(0)
	s_barrier
.LBB78_116:                             ;   in Loop: Header=BB78_15 Depth=1
	s_or_saveexec_b64 s[6:7], s[6:7]
	s_mov_b64 s[8:9], 0
	v_mov_b32_e32 v43, 8
	v_mov_b32_e32 v44, v42
	s_xor_b64 exec, exec, s[6:7]
; %bb.117:                              ;   in Loop: Header=BB78_15 Depth=1
	s_mov_b64 s[8:9], exec
	v_subrev_u32_e32 v44, s30, v42
	v_mov_b32_e32 v43, 0
; %bb.118:                              ;   in Loop: Header=BB78_15 Depth=1
	s_or_b64 exec, exec, s[6:7]
	s_and_b64 s[6:7], s[8:9], exec
.LBB78_119:                             ;   in Loop: Header=BB78_15 Depth=1
	s_or_b64 exec, exec, s[2:3]
	s_mov_b64 s[2:3], -1
                                        ; implicit-def: $sgpr78_sgpr79
                                        ; implicit-def: $sgpr80_sgpr81
	s_and_saveexec_b64 s[8:9], s[6:7]
	s_xor_b64 s[6:7], exec, s[8:9]
	s_cbranch_execz .LBB78_243
; %bb.120:                              ;   in Loop: Header=BB78_15 Depth=1
	s_cmp_eq_u32 s31, 1
	s_cselect_b64 s[2:3], -1, 0
	v_cmp_eq_u32_e32 vcc, 1, v44
	s_and_b64 s[24:25], s[2:3], vcc
	s_mov_b64 s[2:3], -1
                                        ; implicit-def: $sgpr80_sgpr81
                                        ; implicit-def: $sgpr78_sgpr79
	s_and_saveexec_b64 s[36:37], s[24:25]
	s_cbranch_execz .LBB78_148
; %bb.121:                              ;   in Loop: Header=BB78_15 Depth=1
	ds_read_b32 v1, v15 offset:4096
	s_waitcnt lgkmcnt(0)
	s_barrier
	v_readfirstlane_b32 s50, v1
	s_mov_b64 s[2:3], exec
	v_readlane_b32 s8, v47, 22
	v_readlane_b32 s9, v47, 23
	s_and_b64 s[8:9], s[2:3], s[8:9]
	s_mov_b64 exec, s[8:9]
; %bb.122:                              ;   in Loop: Header=BB78_15 Depth=1
	v_mov_b32_e32 v14, v15
	ds_write_b64 v32, v[14:15]
; %bb.123:                              ;   in Loop: Header=BB78_15 Depth=1
	s_or_b64 exec, exec, s[2:3]
	s_lshl_b64 s[2:3], 1, s5
	v_and_b32_e32 v1, s77, v23
	v_and_b32_e32 v3, s76, v22
	v_or_b32_e32 v23, s3, v1
	v_or_b32_e32 v22, s2, v3
	;; [unrolled: 1-line block ×4, first 2 shown]
	s_mov_b64 s[78:79], -1
	s_mov_b64 s[80:81], 0
	s_cmp_eq_u32 s50, 0
	s_mov_b64 s[2:3], 0
	s_mov_b64 s[16:17], -1
	s_waitcnt lgkmcnt(0)
	s_barrier
                                        ; implicit-def: $vgpr9_vgpr10
	s_cbranch_scc1 .LBB78_135
; %bb.124:                              ;   in Loop: Header=BB78_15 Depth=1
	v_readlane_b32 s2, v47, 24
	s_add_i32 s2, s50, s2
	v_readlane_b32 s3, v47, 37
	s_mul_hi_u32 s3, s2, s3
	s_mul_i32 s3, s3, s33
	s_sub_i32 s3, s2, s3
	s_sub_i32 s8, s3, s33
	s_cmp_ge_u32 s3, s33
	s_cselect_b32 s3, s8, s3
	s_sub_i32 s8, s3, s33
	s_cmp_ge_u32 s3, s33
	s_cselect_b32 s3, s8, s3
	s_sub_i32 s51, s2, s3
	v_cmp_gt_u32_e32 vcc, s51, v0
	s_mov_b64 s[16:17], 0
	s_mov_b64 s[2:3], 0
                                        ; implicit-def: $vgpr9_vgpr10
	s_and_saveexec_b64 s[8:9], vcc
	s_cbranch_execz .LBB78_134
; %bb.125:                              ;   in Loop: Header=BB78_15 Depth=1
	v_mov_b32_e32 v14, v31
	v_mov_b32_e32 v45, v0
                                        ; implicit-def: $sgpr38_sgpr39
	s_branch .LBB78_129
.LBB78_126:                             ;   in Loop: Header=BB78_129 Depth=2
	s_or_b64 exec, exec, s[44:45]
	s_waitcnt lgkmcnt(0)
	s_barrier
	ds_read_b128 v[7:10], v15 offset:3072
	s_waitcnt lgkmcnt(0)
	s_barrier
	v_cmp_neq_f64_e32 vcc, 0, v[7:8]
	s_cbranch_vccnz .LBB78_132
; %bb.127:                              ;   in Loop: Header=BB78_129 Depth=2
	v_add_u32_e32 v45, s33, v45
	v_cmp_le_u32_e32 vcc, s51, v45
	v_add_u32_e32 v14, s4, v14
	s_mov_b64 s[44:45], 0
	s_orn2_b64 s[48:49], vcc, exec
.LBB78_128:                             ;   in Loop: Header=BB78_129 Depth=2
	s_and_b64 s[48:49], exec, s[48:49]
	s_or_b64 s[2:3], s[48:49], s[2:3]
	s_andn2_b64 s[38:39], s[38:39], exec
	s_and_b64 s[44:45], s[44:45], exec
	s_or_b64 s[38:39], s[38:39], s[44:45]
	s_andn2_b64 exec, exec, s[2:3]
	s_cbranch_execz .LBB78_133
.LBB78_129:                             ;   Parent Loop BB78_15 Depth=1
                                        ; =>  This Inner Loop Header: Depth=2
	v_cmp_gt_u32_e32 vcc, s50, v45
	s_and_saveexec_b64 s[44:45], vcc
	s_cbranch_execz .LBB78_126
; %bb.130:                              ;   in Loop: Header=BB78_129 Depth=2
	ds_read_b64 v[3:4], v14
	s_waitcnt lgkmcnt(0)
	v_cmp_o_f64_e32 vcc, v[3:4], v[3:4]
	v_ashrrev_i32_e32 v1, 31, v4
	v_or_b32_e32 v7, 0x80000000, v1
	v_xor_b32_e32 v7, v7, v4
	v_xor_b32_e32 v1, v1, v3
	v_cndmask_b32_e32 v7, -1, v7, vcc
	v_cndmask_b32_e32 v1, -1, v1, vcc
	v_and_b32_e32 v8, v7, v25
	v_and_b32_e32 v7, v1, v24
	v_cmp_eq_u64_e32 vcc, v[7:8], v[22:23]
	s_and_b64 exec, exec, vcc
	s_cbranch_execz .LBB78_126
; %bb.131:                              ;   in Loop: Header=BB78_129 Depth=2
	v_mov_b32_e32 v1, v15
	ds_write_b128 v15, v[1:4] offset:3072
	s_branch .LBB78_126
.LBB78_132:                             ;   in Loop: Header=BB78_129 Depth=2
	s_mov_b64 s[48:49], -1
                                        ; implicit-def: $vgpr45
                                        ; implicit-def: $vgpr14
	s_mov_b64 s[44:45], -1
	s_branch .LBB78_128
.LBB78_133:                             ;   in Loop: Header=BB78_15 Depth=1
	s_or_b64 exec, exec, s[2:3]
	s_and_b64 s[2:3], s[38:39], exec
.LBB78_134:                             ;   in Loop: Header=BB78_15 Depth=1
	s_or_b64 exec, exec, s[8:9]
.LBB78_135:                             ;   in Loop: Header=BB78_15 Depth=1
	s_and_b64 vcc, exec, s[16:17]
	s_cbranch_vccz .LBB78_147
; %bb.136:                              ;   in Loop: Header=BB78_15 Depth=1
                                        ; implicit-def: $vgpr9_vgpr10
	s_mov_b64 s[8:9], exec
	v_readlane_b32 s16, v47, 38
	v_readlane_b32 s17, v47, 39
	s_and_b64 s[16:17], s[8:9], s[16:17]
	s_mov_b64 exec, s[16:17]
	s_cbranch_execz .LBB78_146
; %bb.137:                              ;   in Loop: Header=BB78_15 Depth=1
	s_mov_b64 s[16:17], 0
	v_mov_b32_e32 v14, v13
	v_mov_b32_e32 v45, v0
                                        ; implicit-def: $sgpr38_sgpr39
	s_branch .LBB78_141
.LBB78_138:                             ;   in Loop: Header=BB78_141 Depth=2
	s_or_b64 exec, exec, s[44:45]
	s_waitcnt lgkmcnt(0)
	s_barrier
	ds_read_b128 v[7:10], v15 offset:3072
	s_waitcnt lgkmcnt(0)
	s_barrier
	v_cmp_eq_f64_e32 vcc, 0, v[7:8]
	s_cbranch_vccz .LBB78_144
; %bb.139:                              ;   in Loop: Header=BB78_141 Depth=2
	v_add_u32_e32 v45, s33, v45
	v_cmp_le_u32_e32 vcc, s12, v45
	v_add_u32_e32 v14, s46, v14
	s_mov_b64 s[44:45], 0
	s_orn2_b64 s[48:49], vcc, exec
.LBB78_140:                             ;   in Loop: Header=BB78_141 Depth=2
	s_and_b64 s[48:49], exec, s[48:49]
	s_or_b64 s[16:17], s[48:49], s[16:17]
	s_andn2_b64 s[38:39], s[38:39], exec
	s_and_b64 s[44:45], s[44:45], exec
	s_or_b64 s[38:39], s[38:39], s[44:45]
	s_andn2_b64 exec, exec, s[16:17]
	s_cbranch_execz .LBB78_145
.LBB78_141:                             ;   Parent Loop BB78_15 Depth=1
                                        ; =>  This Inner Loop Header: Depth=2
	v_cmp_gt_u32_e32 vcc, s28, v45
	s_and_saveexec_b64 s[44:45], vcc
	s_cbranch_execz .LBB78_138
; %bb.142:                              ;   in Loop: Header=BB78_141 Depth=2
	v_lshlrev_b64 v[3:4], 3, v[14:15]
	v_mov_b32_e32 v1, s40
	v_add_co_u32_e32 v3, vcc, s34, v3
	v_addc_co_u32_e32 v4, vcc, v1, v4, vcc
	global_load_dwordx2 v[3:4], v[3:4], off
	s_waitcnt vmcnt(0)
	v_cmp_o_f64_e32 vcc, v[3:4], v[3:4]
	v_ashrrev_i32_e32 v1, 31, v4
	v_or_b32_e32 v7, 0x80000000, v1
	v_xor_b32_e32 v7, v7, v4
	v_xor_b32_e32 v1, v1, v3
	v_cndmask_b32_e32 v7, -1, v7, vcc
	v_cndmask_b32_e32 v1, -1, v1, vcc
	v_and_b32_e32 v8, v7, v25
	v_and_b32_e32 v7, v1, v24
	v_cmp_eq_u64_e32 vcc, v[7:8], v[22:23]
	s_and_b64 exec, exec, vcc
	s_cbranch_execz .LBB78_138
; %bb.143:                              ;   in Loop: Header=BB78_141 Depth=2
	v_mov_b32_e32 v1, v15
	ds_write_b128 v15, v[1:4] offset:3072
	s_branch .LBB78_138
.LBB78_144:                             ;   in Loop: Header=BB78_141 Depth=2
	s_mov_b64 s[48:49], -1
                                        ; implicit-def: $vgpr45
	s_mov_b64 s[44:45], -1
	s_branch .LBB78_140
.LBB78_145:                             ;   in Loop: Header=BB78_15 Depth=1
	s_or_b64 exec, exec, s[16:17]
	s_andn2_b64 s[2:3], s[2:3], exec
	s_and_b64 s[16:17], s[38:39], exec
	s_or_b64 s[2:3], s[2:3], s[16:17]
.LBB78_146:                             ;   in Loop: Header=BB78_15 Depth=1
	s_or_b64 exec, exec, s[8:9]
	s_mov_b64 s[78:79], 0
	s_mov_b64 s[80:81], -1
.LBB78_147:                             ;   in Loop: Header=BB78_15 Depth=1
	s_orn2_b64 s[2:3], s[2:3], exec
.LBB78_148:                             ;   in Loop: Header=BB78_15 Depth=1
	s_or_b64 exec, exec, s[36:37]
	s_mov_b64 s[8:9], 0
	s_and_saveexec_b64 s[90:91], s[2:3]
	s_cbranch_execz .LBB78_242
; %bb.149:                              ;   in Loop: Header=BB78_15 Depth=1
	s_xor_b64 s[16:17], s[24:25], -1
	v_mov_b32_e32 v45, 1
	v_mov_b32_e32 v43, 1
	s_and_saveexec_b64 s[2:3], s[16:17]
	s_cbranch_execz .LBB78_158
; %bb.150:                              ;   in Loop: Header=BB78_15 Depth=1
	v_cmp_ge_u32_e32 vcc, s31, v44
	s_and_saveexec_b64 s[8:9], vcc
	s_xor_b64 s[8:9], exec, s[8:9]
	s_cbranch_execz .LBB78_155
; %bb.151:                              ;   in Loop: Header=BB78_15 Depth=1
	s_lshl_b64 s[16:17], 1, s5
	v_and_b32_e32 v1, s77, v23
	v_or_b32_e32 v23, s17, v1
	ds_read_b32 v1, v15 offset:4096
	v_and_b32_e32 v3, s76, v22
	v_or_b32_e32 v22, s16, v3
	v_or_b32_e32 v25, s23, v25
	;; [unrolled: 1-line block ×3, first 2 shown]
	s_waitcnt lgkmcnt(0)
	v_cmp_ne_u32_e32 vcc, 0, v1
	s_cbranch_vccnz .LBB78_155
; %bb.152:                              ;   in Loop: Header=BB78_15 Depth=1
	s_mov_b64 s[16:17], exec
	v_readlane_b32 s24, v47, 6
	v_readlane_b32 s25, v47, 7
	s_and_b64 s[24:25], s[16:17], s[24:25]
	s_mov_b64 exec, s[24:25]
; %bb.153:                              ;   in Loop: Header=BB78_15 Depth=1
	v_mov_b32_e32 v1, s31
	ds_write_b32 v15, v1 offset:4100
; %bb.154:                              ;   in Loop: Header=BB78_15 Depth=1
	s_or_b64 exec, exec, s[16:17]
	s_waitcnt lgkmcnt(0)
	s_barrier
.LBB78_155:                             ;   in Loop: Header=BB78_15 Depth=1
	s_or_saveexec_b64 s[8:9], s[8:9]
	s_mov_b64 s[16:17], 0
	v_mov_b32_e32 v43, 8
	s_xor_b64 exec, exec, s[8:9]
; %bb.156:                              ;   in Loop: Header=BB78_15 Depth=1
	s_mov_b64 s[16:17], exec
	v_subrev_u32_e32 v44, s31, v44
	v_mov_b32_e32 v43, 0
; %bb.157:                              ;   in Loop: Header=BB78_15 Depth=1
	s_or_b64 exec, exec, s[8:9]
	s_and_b64 s[8:9], s[16:17], exec
	v_mov_b32_e32 v45, v44
.LBB78_158:                             ;   in Loop: Header=BB78_15 Depth=1
	s_or_b64 exec, exec, s[2:3]
	s_mov_b64 s[2:3], -1
                                        ; implicit-def: $sgpr94_sgpr95
                                        ; implicit-def: $sgpr36_sgpr37
	s_and_saveexec_b64 s[92:93], s[8:9]
	s_cbranch_execz .LBB78_241
; %bb.159:                              ;   in Loop: Header=BB78_15 Depth=1
	s_cmp_eq_u32 s42, 1
	s_cselect_b64 s[2:3], -1, 0
	v_cmp_eq_u32_e32 vcc, 1, v45
	s_and_b64 s[24:25], s[2:3], vcc
	s_mov_b64 s[2:3], -1
                                        ; implicit-def: $sgpr36_sgpr37
                                        ; implicit-def: $sgpr94_sgpr95
	s_and_saveexec_b64 s[38:39], s[24:25]
	s_cbranch_execz .LBB78_187
; %bb.160:                              ;   in Loop: Header=BB78_15 Depth=1
	ds_read_b32 v1, v15 offset:4096
	s_waitcnt lgkmcnt(0)
	s_barrier
	v_readfirstlane_b32 s52, v1
	s_mov_b64 s[2:3], exec
	v_readlane_b32 s8, v47, 22
	v_readlane_b32 s9, v47, 23
	s_and_b64 s[8:9], s[2:3], s[8:9]
	s_mov_b64 exec, s[8:9]
; %bb.161:                              ;   in Loop: Header=BB78_15 Depth=1
	v_mov_b32_e32 v14, v15
	ds_write_b64 v32, v[14:15]
; %bb.162:                              ;   in Loop: Header=BB78_15 Depth=1
	s_or_b64 exec, exec, s[2:3]
	s_lshl_b64 s[2:3], 2, s5
	v_and_b32_e32 v1, s77, v23
	v_and_b32_e32 v3, s76, v22
	v_or_b32_e32 v23, s3, v1
	v_or_b32_e32 v22, s2, v3
	;; [unrolled: 1-line block ×4, first 2 shown]
	s_mov_b64 s[94:95], -1
	s_mov_b64 s[36:37], 0
	s_cmp_eq_u32 s52, 0
	s_mov_b64 s[2:3], 0
	s_mov_b64 s[16:17], -1
	s_waitcnt lgkmcnt(0)
	s_barrier
                                        ; implicit-def: $vgpr9_vgpr10
	s_cbranch_scc1 .LBB78_174
; %bb.163:                              ;   in Loop: Header=BB78_15 Depth=1
	v_readlane_b32 s2, v47, 24
	s_add_i32 s2, s52, s2
	v_readlane_b32 s3, v47, 37
	s_mul_hi_u32 s3, s2, s3
	s_mul_i32 s3, s3, s33
	s_sub_i32 s3, s2, s3
	s_sub_i32 s8, s3, s33
	s_cmp_ge_u32 s3, s33
	s_cselect_b32 s3, s8, s3
	s_sub_i32 s8, s3, s33
	s_cmp_ge_u32 s3, s33
	s_cselect_b32 s3, s8, s3
	s_sub_i32 s53, s2, s3
	v_cmp_gt_u32_e32 vcc, s53, v0
	s_mov_b64 s[16:17], 0
	s_mov_b64 s[2:3], 0
                                        ; implicit-def: $vgpr9_vgpr10
	s_and_saveexec_b64 s[8:9], vcc
	s_cbranch_execz .LBB78_173
; %bb.164:                              ;   in Loop: Header=BB78_15 Depth=1
	v_mov_b32_e32 v14, v31
	v_mov_b32_e32 v44, v0
                                        ; implicit-def: $sgpr44_sgpr45
	s_branch .LBB78_168
.LBB78_165:                             ;   in Loop: Header=BB78_168 Depth=2
	s_or_b64 exec, exec, s[48:49]
	s_waitcnt lgkmcnt(0)
	s_barrier
	ds_read_b128 v[7:10], v15 offset:3072
	s_waitcnt lgkmcnt(0)
	s_barrier
	v_cmp_neq_f64_e32 vcc, 0, v[7:8]
	s_cbranch_vccnz .LBB78_171
; %bb.166:                              ;   in Loop: Header=BB78_168 Depth=2
	v_add_u32_e32 v44, s33, v44
	v_cmp_le_u32_e32 vcc, s53, v44
	v_add_u32_e32 v14, s4, v14
	s_mov_b64 s[48:49], 0
	s_orn2_b64 s[50:51], vcc, exec
.LBB78_167:                             ;   in Loop: Header=BB78_168 Depth=2
	s_and_b64 s[50:51], exec, s[50:51]
	s_or_b64 s[2:3], s[50:51], s[2:3]
	s_andn2_b64 s[44:45], s[44:45], exec
	s_and_b64 s[48:49], s[48:49], exec
	s_or_b64 s[44:45], s[44:45], s[48:49]
	s_andn2_b64 exec, exec, s[2:3]
	s_cbranch_execz .LBB78_172
.LBB78_168:                             ;   Parent Loop BB78_15 Depth=1
                                        ; =>  This Inner Loop Header: Depth=2
	v_cmp_gt_u32_e32 vcc, s52, v44
	s_and_saveexec_b64 s[48:49], vcc
	s_cbranch_execz .LBB78_165
; %bb.169:                              ;   in Loop: Header=BB78_168 Depth=2
	ds_read_b64 v[3:4], v14
	s_waitcnt lgkmcnt(0)
	v_cmp_o_f64_e32 vcc, v[3:4], v[3:4]
	v_ashrrev_i32_e32 v1, 31, v4
	v_or_b32_e32 v7, 0x80000000, v1
	v_xor_b32_e32 v7, v7, v4
	v_xor_b32_e32 v1, v1, v3
	v_cndmask_b32_e32 v7, -1, v7, vcc
	v_cndmask_b32_e32 v1, -1, v1, vcc
	v_and_b32_e32 v8, v7, v25
	v_and_b32_e32 v7, v1, v24
	v_cmp_eq_u64_e32 vcc, v[7:8], v[22:23]
	s_and_b64 exec, exec, vcc
	s_cbranch_execz .LBB78_165
; %bb.170:                              ;   in Loop: Header=BB78_168 Depth=2
	v_mov_b32_e32 v1, v15
	ds_write_b128 v15, v[1:4] offset:3072
	s_branch .LBB78_165
.LBB78_171:                             ;   in Loop: Header=BB78_168 Depth=2
	s_mov_b64 s[50:51], -1
                                        ; implicit-def: $vgpr44
                                        ; implicit-def: $vgpr14
	s_mov_b64 s[48:49], -1
	s_branch .LBB78_167
.LBB78_172:                             ;   in Loop: Header=BB78_15 Depth=1
	s_or_b64 exec, exec, s[2:3]
	s_and_b64 s[2:3], s[44:45], exec
.LBB78_173:                             ;   in Loop: Header=BB78_15 Depth=1
	s_or_b64 exec, exec, s[8:9]
.LBB78_174:                             ;   in Loop: Header=BB78_15 Depth=1
	s_and_b64 vcc, exec, s[16:17]
	s_cbranch_vccz .LBB78_186
; %bb.175:                              ;   in Loop: Header=BB78_15 Depth=1
                                        ; implicit-def: $vgpr9_vgpr10
	s_mov_b64 s[8:9], exec
	v_readlane_b32 s16, v47, 38
	v_readlane_b32 s17, v47, 39
	s_and_b64 s[16:17], s[8:9], s[16:17]
	s_mov_b64 exec, s[16:17]
	s_cbranch_execz .LBB78_185
; %bb.176:                              ;   in Loop: Header=BB78_15 Depth=1
	s_mov_b64 s[16:17], 0
	v_mov_b32_e32 v14, v13
	v_mov_b32_e32 v44, v0
                                        ; implicit-def: $sgpr36_sgpr37
	s_branch .LBB78_180
.LBB78_177:                             ;   in Loop: Header=BB78_180 Depth=2
	s_or_b64 exec, exec, s[44:45]
	s_waitcnt lgkmcnt(0)
	s_barrier
	ds_read_b128 v[7:10], v15 offset:3072
	s_waitcnt lgkmcnt(0)
	s_barrier
	v_cmp_eq_f64_e32 vcc, 0, v[7:8]
	s_cbranch_vccz .LBB78_183
; %bb.178:                              ;   in Loop: Header=BB78_180 Depth=2
	v_add_u32_e32 v44, s33, v44
	v_cmp_le_u32_e32 vcc, s12, v44
	v_add_u32_e32 v14, s46, v14
	s_mov_b64 s[44:45], 0
	s_orn2_b64 s[48:49], vcc, exec
.LBB78_179:                             ;   in Loop: Header=BB78_180 Depth=2
	s_and_b64 s[48:49], exec, s[48:49]
	s_or_b64 s[16:17], s[48:49], s[16:17]
	s_andn2_b64 s[36:37], s[36:37], exec
	s_and_b64 s[44:45], s[44:45], exec
	s_or_b64 s[36:37], s[36:37], s[44:45]
	s_andn2_b64 exec, exec, s[16:17]
	s_cbranch_execz .LBB78_184
.LBB78_180:                             ;   Parent Loop BB78_15 Depth=1
                                        ; =>  This Inner Loop Header: Depth=2
	v_cmp_gt_u32_e32 vcc, s28, v44
	s_and_saveexec_b64 s[44:45], vcc
	s_cbranch_execz .LBB78_177
; %bb.181:                              ;   in Loop: Header=BB78_180 Depth=2
	v_lshlrev_b64 v[3:4], 3, v[14:15]
	v_mov_b32_e32 v1, s40
	v_add_co_u32_e32 v3, vcc, s34, v3
	v_addc_co_u32_e32 v4, vcc, v1, v4, vcc
	global_load_dwordx2 v[3:4], v[3:4], off
	s_waitcnt vmcnt(0)
	v_cmp_o_f64_e32 vcc, v[3:4], v[3:4]
	v_ashrrev_i32_e32 v1, 31, v4
	v_or_b32_e32 v7, 0x80000000, v1
	v_xor_b32_e32 v7, v7, v4
	v_xor_b32_e32 v1, v1, v3
	v_cndmask_b32_e32 v7, -1, v7, vcc
	v_cndmask_b32_e32 v1, -1, v1, vcc
	v_and_b32_e32 v8, v7, v25
	v_and_b32_e32 v7, v1, v24
	v_cmp_eq_u64_e32 vcc, v[7:8], v[22:23]
	s_and_b64 exec, exec, vcc
	s_cbranch_execz .LBB78_177
; %bb.182:                              ;   in Loop: Header=BB78_180 Depth=2
	v_mov_b32_e32 v1, v15
	ds_write_b128 v15, v[1:4] offset:3072
	s_branch .LBB78_177
.LBB78_183:                             ;   in Loop: Header=BB78_180 Depth=2
	s_mov_b64 s[48:49], -1
                                        ; implicit-def: $vgpr44
	s_mov_b64 s[44:45], -1
	s_branch .LBB78_179
.LBB78_184:                             ;   in Loop: Header=BB78_15 Depth=1
	s_or_b64 exec, exec, s[16:17]
	s_andn2_b64 s[2:3], s[2:3], exec
	s_and_b64 s[16:17], s[36:37], exec
	s_or_b64 s[2:3], s[2:3], s[16:17]
.LBB78_185:                             ;   in Loop: Header=BB78_15 Depth=1
	s_or_b64 exec, exec, s[8:9]
	s_mov_b64 s[94:95], 0
	s_mov_b64 s[36:37], -1
.LBB78_186:                             ;   in Loop: Header=BB78_15 Depth=1
	s_orn2_b64 s[2:3], s[2:3], exec
.LBB78_187:                             ;   in Loop: Header=BB78_15 Depth=1
	s_or_b64 exec, exec, s[38:39]
	s_mov_b64 s[8:9], 0
	s_and_saveexec_b64 s[38:39], s[2:3]
	s_cbranch_execz .LBB78_240
; %bb.188:                              ;   in Loop: Header=BB78_15 Depth=1
	s_xor_b64 s[16:17], s[24:25], -1
	v_mov_b32_e32 v44, 1
	v_mov_b32_e32 v43, 1
	s_and_saveexec_b64 s[2:3], s[16:17]
	s_cbranch_execz .LBB78_197
; %bb.189:                              ;   in Loop: Header=BB78_15 Depth=1
	v_cmp_ge_u32_e32 vcc, s42, v45
	s_and_saveexec_b64 s[8:9], vcc
	s_xor_b64 s[8:9], exec, s[8:9]
	s_cbranch_execz .LBB78_194
; %bb.190:                              ;   in Loop: Header=BB78_15 Depth=1
	s_lshl_b64 s[16:17], 2, s5
	v_and_b32_e32 v1, s77, v23
	v_or_b32_e32 v23, s17, v1
	ds_read_b32 v1, v15 offset:4096
	v_and_b32_e32 v3, s76, v22
	v_or_b32_e32 v22, s16, v3
	v_or_b32_e32 v25, s23, v25
	;; [unrolled: 1-line block ×3, first 2 shown]
	s_waitcnt lgkmcnt(0)
	v_cmp_ne_u32_e32 vcc, 0, v1
	s_cbranch_vccnz .LBB78_194
; %bb.191:                              ;   in Loop: Header=BB78_15 Depth=1
	s_mov_b64 s[16:17], exec
	v_readlane_b32 s24, v47, 6
	v_readlane_b32 s25, v47, 7
	s_and_b64 s[24:25], s[16:17], s[24:25]
	s_mov_b64 exec, s[24:25]
; %bb.192:                              ;   in Loop: Header=BB78_15 Depth=1
	v_mov_b32_e32 v1, s42
	ds_write_b32 v15, v1 offset:4100
; %bb.193:                              ;   in Loop: Header=BB78_15 Depth=1
	s_or_b64 exec, exec, s[16:17]
	s_waitcnt lgkmcnt(0)
	s_barrier
.LBB78_194:                             ;   in Loop: Header=BB78_15 Depth=1
	s_or_saveexec_b64 s[8:9], s[8:9]
	s_mov_b64 s[16:17], 0
	v_mov_b32_e32 v43, 8
	s_xor_b64 exec, exec, s[8:9]
; %bb.195:                              ;   in Loop: Header=BB78_15 Depth=1
	s_mov_b64 s[16:17], exec
	v_subrev_u32_e32 v45, s42, v45
	v_mov_b32_e32 v43, 0
; %bb.196:                              ;   in Loop: Header=BB78_15 Depth=1
	s_or_b64 exec, exec, s[8:9]
	s_and_b64 s[8:9], s[16:17], exec
	v_mov_b32_e32 v44, v45
.LBB78_197:                             ;   in Loop: Header=BB78_15 Depth=1
	s_or_b64 exec, exec, s[2:3]
	s_mov_b64 s[2:3], -1
                                        ; implicit-def: $sgpr52_sgpr53
                                        ; implicit-def: $sgpr50_sgpr51
	s_and_saveexec_b64 s[24:25], s[8:9]
	s_cbranch_execz .LBB78_239
; %bb.198:                              ;   in Loop: Header=BB78_15 Depth=1
	s_cmp_eq_u32 s43, 1
	s_cselect_b64 s[2:3], -1, 0
	v_cmp_eq_u32_e32 vcc, 1, v44
	s_mov_b64 s[8:9], -1
	s_and_b64 s[16:17], s[2:3], vcc
                                        ; implicit-def: $sgpr52_sgpr53
                                        ; implicit-def: $sgpr50_sgpr51
	s_mov_b64 s[2:3], exec
	v_writelane_b32 v47, s16, 40
	v_writelane_b32 v47, s17, 41
	s_and_b64 s[16:17], s[2:3], s[16:17]
	s_mov_b64 exec, s[16:17]
	s_cbranch_execz .LBB78_227
; %bb.199:                              ;   in Loop: Header=BB78_15 Depth=1
	ds_read_b32 v1, v15 offset:4096
	s_waitcnt lgkmcnt(0)
	s_barrier
	v_readfirstlane_b32 s50, v1
	s_mov_b64 s[8:9], exec
	v_readlane_b32 s16, v47, 22
	v_readlane_b32 s17, v47, 23
	s_and_b64 s[16:17], s[8:9], s[16:17]
	s_mov_b64 exec, s[16:17]
; %bb.200:                              ;   in Loop: Header=BB78_15 Depth=1
	v_mov_b32_e32 v14, v15
	ds_write_b64 v32, v[14:15]
; %bb.201:                              ;   in Loop: Header=BB78_15 Depth=1
	s_or_b64 exec, exec, s[8:9]
	v_or_b32_e32 v23, s23, v23
	v_or_b32_e32 v22, s22, v22
	;; [unrolled: 1-line block ×4, first 2 shown]
	s_mov_b64 s[52:53], 0
	s_cmp_eq_u32 s50, 0
	s_mov_b64 s[16:17], 0
	s_mov_b64 s[8:9], -1
	s_waitcnt lgkmcnt(0)
	s_barrier
                                        ; implicit-def: $vgpr9_vgpr10
	s_cbranch_scc1 .LBB78_213
; %bb.202:                              ;   in Loop: Header=BB78_15 Depth=1
	v_readlane_b32 s8, v47, 24
	s_add_i32 s8, s50, s8
	v_readlane_b32 s9, v47, 37
	s_mul_hi_u32 s9, s8, s9
	s_mul_i32 s9, s9, s33
	s_sub_i32 s9, s8, s9
	s_sub_i32 s16, s9, s33
	s_cmp_ge_u32 s9, s33
	s_cselect_b32 s9, s16, s9
	s_sub_i32 s16, s9, s33
	s_cmp_ge_u32 s9, s33
	s_cselect_b32 s9, s16, s9
	s_sub_i32 s51, s8, s9
	s_mov_b64 s[8:9], 0
	s_mov_b64 s[16:17], 0
	v_cmp_gt_u32_e32 vcc, s51, v0
                                        ; implicit-def: $vgpr9_vgpr10
	s_mov_b64 s[44:45], exec
	v_writelane_b32 v47, s44, 42
	v_writelane_b32 v47, s45, 43
	s_and_b64 s[44:45], s[44:45], vcc
	s_mov_b64 exec, s[44:45]
	s_cbranch_execz .LBB78_212
; %bb.203:                              ;   in Loop: Header=BB78_15 Depth=1
	v_mov_b32_e32 v14, v31
	v_mov_b32_e32 v45, v0
                                        ; implicit-def: $sgpr48_sgpr49
	s_branch .LBB78_207
.LBB78_204:                             ;   in Loop: Header=BB78_207 Depth=2
	s_or_b64 exec, exec, s[44:45]
	s_waitcnt lgkmcnt(0)
	s_barrier
	ds_read_b128 v[7:10], v15 offset:3072
	s_waitcnt lgkmcnt(0)
	s_barrier
	v_cmp_neq_f64_e32 vcc, 0, v[7:8]
	s_cbranch_vccnz .LBB78_210
; %bb.205:                              ;   in Loop: Header=BB78_207 Depth=2
	v_add_u32_e32 v45, s33, v45
	v_cmp_le_u32_e32 vcc, s51, v45
	v_add_u32_e32 v14, s4, v14
	s_mov_b64 s[44:45], 0
	s_orn2_b64 vcc, vcc, exec
.LBB78_206:                             ;   in Loop: Header=BB78_207 Depth=2
	s_and_b64 vcc, exec, vcc
	s_or_b64 s[16:17], vcc, s[16:17]
	s_andn2_b64 s[48:49], s[48:49], exec
	s_and_b64 s[44:45], s[44:45], exec
	s_or_b64 s[48:49], s[48:49], s[44:45]
	s_andn2_b64 exec, exec, s[16:17]
	s_cbranch_execz .LBB78_211
.LBB78_207:                             ;   Parent Loop BB78_15 Depth=1
                                        ; =>  This Inner Loop Header: Depth=2
	v_cmp_gt_u32_e32 vcc, s50, v45
	s_and_saveexec_b64 s[44:45], vcc
	s_cbranch_execz .LBB78_204
; %bb.208:                              ;   in Loop: Header=BB78_207 Depth=2
	ds_read_b64 v[3:4], v14
	s_waitcnt lgkmcnt(0)
	v_cmp_o_f64_e32 vcc, v[3:4], v[3:4]
	v_ashrrev_i32_e32 v1, 31, v4
	v_or_b32_e32 v7, 0x80000000, v1
	v_xor_b32_e32 v7, v7, v4
	v_xor_b32_e32 v1, v1, v3
	v_cndmask_b32_e32 v7, -1, v7, vcc
	v_cndmask_b32_e32 v1, -1, v1, vcc
	v_and_b32_e32 v8, v7, v25
	v_and_b32_e32 v7, v1, v24
	v_cmp_eq_u64_e32 vcc, v[7:8], v[22:23]
	s_and_b64 exec, exec, vcc
	s_cbranch_execz .LBB78_204
; %bb.209:                              ;   in Loop: Header=BB78_207 Depth=2
	v_mov_b32_e32 v1, v15
	ds_write_b128 v15, v[1:4] offset:3072
	s_branch .LBB78_204
.LBB78_210:                             ;   in Loop: Header=BB78_207 Depth=2
	s_mov_b64 vcc, -1
                                        ; implicit-def: $vgpr45
                                        ; implicit-def: $vgpr14
	s_mov_b64 s[44:45], -1
	s_branch .LBB78_206
.LBB78_211:                             ;   in Loop: Header=BB78_15 Depth=1
	s_or_b64 exec, exec, s[16:17]
	s_and_b64 s[16:17], s[48:49], exec
.LBB78_212:                             ;   in Loop: Header=BB78_15 Depth=1
	v_readlane_b32 s44, v47, 42
	v_readlane_b32 s45, v47, 43
	s_or_b64 exec, exec, s[44:45]
.LBB78_213:                             ;   in Loop: Header=BB78_15 Depth=1
	s_and_b64 vcc, exec, s[8:9]
	s_cbranch_vccz .LBB78_223
; %bb.214:                              ;   in Loop: Header=BB78_15 Depth=1
                                        ; implicit-def: $vgpr9_vgpr10
	s_mov_b64 s[8:9], exec
	v_readlane_b32 s44, v47, 38
	v_readlane_b32 s45, v47, 39
	s_and_b64 s[44:45], s[8:9], s[44:45]
	s_mov_b64 exec, s[44:45]
	s_cbranch_execz .LBB78_225
; %bb.215:                              ;   in Loop: Header=BB78_15 Depth=1
	s_mov_b64 s[44:45], 0
	v_mov_b32_e32 v14, v13
	v_mov_b32_e32 v45, v0
                                        ; implicit-def: $sgpr50_sgpr51
	s_branch .LBB78_219
.LBB78_216:                             ;   in Loop: Header=BB78_219 Depth=2
	s_or_b64 exec, exec, s[48:49]
	s_waitcnt lgkmcnt(0)
	s_barrier
	ds_read_b128 v[7:10], v15 offset:3072
	s_waitcnt lgkmcnt(0)
	s_barrier
	v_cmp_eq_f64_e32 vcc, 0, v[7:8]
	s_cbranch_vccz .LBB78_222
; %bb.217:                              ;   in Loop: Header=BB78_219 Depth=2
	v_add_u32_e32 v45, s33, v45
	v_cmp_le_u32_e32 vcc, s12, v45
	v_add_u32_e32 v14, s46, v14
	s_mov_b64 s[48:49], 0
	s_orn2_b64 s[52:53], vcc, exec
.LBB78_218:                             ;   in Loop: Header=BB78_219 Depth=2
	s_and_b64 s[52:53], exec, s[52:53]
	s_or_b64 s[44:45], s[52:53], s[44:45]
	s_andn2_b64 s[50:51], s[50:51], exec
	s_and_b64 s[48:49], s[48:49], exec
	s_or_b64 s[50:51], s[50:51], s[48:49]
	s_andn2_b64 exec, exec, s[44:45]
	s_cbranch_execz .LBB78_224
.LBB78_219:                             ;   Parent Loop BB78_15 Depth=1
                                        ; =>  This Inner Loop Header: Depth=2
	v_cmp_gt_u32_e32 vcc, s28, v45
	s_and_saveexec_b64 s[48:49], vcc
	s_cbranch_execz .LBB78_216
; %bb.220:                              ;   in Loop: Header=BB78_219 Depth=2
	v_lshlrev_b64 v[3:4], 3, v[14:15]
	v_mov_b32_e32 v1, s40
	v_add_co_u32_e32 v3, vcc, s34, v3
	v_addc_co_u32_e32 v4, vcc, v1, v4, vcc
	global_load_dwordx2 v[3:4], v[3:4], off
	s_waitcnt vmcnt(0)
	v_cmp_o_f64_e32 vcc, v[3:4], v[3:4]
	v_ashrrev_i32_e32 v1, 31, v4
	v_or_b32_e32 v7, 0x80000000, v1
	v_xor_b32_e32 v7, v7, v4
	v_xor_b32_e32 v1, v1, v3
	v_cndmask_b32_e32 v7, -1, v7, vcc
	v_cndmask_b32_e32 v1, -1, v1, vcc
	v_and_b32_e32 v8, v7, v25
	v_and_b32_e32 v7, v1, v24
	v_cmp_eq_u64_e32 vcc, v[7:8], v[22:23]
	s_and_b64 exec, exec, vcc
	s_cbranch_execz .LBB78_216
; %bb.221:                              ;   in Loop: Header=BB78_219 Depth=2
	v_mov_b32_e32 v1, v15
	ds_write_b128 v15, v[1:4] offset:3072
	s_branch .LBB78_216
.LBB78_222:                             ;   in Loop: Header=BB78_219 Depth=2
	s_mov_b64 s[52:53], -1
                                        ; implicit-def: $vgpr45
	s_mov_b64 s[48:49], -1
	s_branch .LBB78_218
.LBB78_223:                             ;   in Loop: Header=BB78_15 Depth=1
	s_mov_b64 s[50:51], -1
	s_branch .LBB78_226
.LBB78_224:                             ;   in Loop: Header=BB78_15 Depth=1
	s_or_b64 exec, exec, s[44:45]
	s_andn2_b64 s[16:17], s[16:17], exec
	s_and_b64 s[44:45], s[50:51], exec
	s_or_b64 s[16:17], s[16:17], s[44:45]
.LBB78_225:                             ;   in Loop: Header=BB78_15 Depth=1
	s_or_b64 exec, exec, s[8:9]
	s_mov_b64 s[50:51], 0
	s_mov_b64 s[52:53], -1
.LBB78_226:                             ;   in Loop: Header=BB78_15 Depth=1
	s_orn2_b64 s[8:9], s[16:17], exec
.LBB78_227:                             ;   in Loop: Header=BB78_15 Depth=1
	s_or_b64 exec, exec, s[2:3]
	s_mov_b64 s[16:17], 0
	s_and_saveexec_b64 s[2:3], s[8:9]
	s_cbranch_execz .LBB78_238
; %bb.228:                              ;   in Loop: Header=BB78_15 Depth=1
	v_readlane_b32 s8, v47, 40
	v_readlane_b32 s9, v47, 41
	s_xor_b64 s[16:17], s[8:9], -1
	v_mov_b32_e32 v43, 1
	v_mov_b32_e32 v1, 1
	s_and_saveexec_b64 s[8:9], s[16:17]
	s_cbranch_execz .LBB78_237
; %bb.229:                              ;   in Loop: Header=BB78_15 Depth=1
	v_cmp_ge_u32_e32 vcc, s43, v44
	s_and_saveexec_b64 s[16:17], vcc
	s_xor_b64 s[16:17], exec, s[16:17]
	s_cbranch_execz .LBB78_234
; %bb.230:                              ;   in Loop: Header=BB78_15 Depth=1
	ds_read_b32 v1, v15 offset:4096
	v_or_b32_e32 v23, s23, v23
	v_or_b32_e32 v22, s22, v22
	;; [unrolled: 1-line block ×4, first 2 shown]
	s_waitcnt lgkmcnt(0)
	v_cmp_ne_u32_e32 vcc, 0, v1
	s_cbranch_vccnz .LBB78_234
; %bb.231:                              ;   in Loop: Header=BB78_15 Depth=1
	s_mov_b64 s[44:45], exec
	v_readlane_b32 s48, v47, 6
	v_readlane_b32 s49, v47, 7
	s_and_b64 s[48:49], s[44:45], s[48:49]
	s_mov_b64 exec, s[48:49]
; %bb.232:                              ;   in Loop: Header=BB78_15 Depth=1
	v_mov_b32_e32 v1, s43
	ds_write_b32 v15, v1 offset:4100
; %bb.233:                              ;   in Loop: Header=BB78_15 Depth=1
	s_or_b64 exec, exec, s[44:45]
	s_waitcnt lgkmcnt(0)
	s_barrier
.LBB78_234:                             ;   in Loop: Header=BB78_15 Depth=1
	s_andn2_saveexec_b64 s[16:17], s[16:17]
; %bb.235:                              ;   in Loop: Header=BB78_15 Depth=1
	v_subrev_u32_e32 v44, s43, v44
; %bb.236:                              ;   in Loop: Header=BB78_15 Depth=1
	s_or_b64 exec, exec, s[16:17]
	v_mov_b32_e32 v43, 8
	v_mov_b32_e32 v1, v44
.LBB78_237:                             ;   in Loop: Header=BB78_15 Depth=1
	s_or_b64 exec, exec, s[8:9]
	s_mov_b64 s[16:17], exec
	v_mov_b32_e32 v44, v1
.LBB78_238:                             ;   in Loop: Header=BB78_15 Depth=1
	s_or_b64 exec, exec, s[2:3]
	s_orn2_b64 s[2:3], s[16:17], exec
.LBB78_239:                             ;   in Loop: Header=BB78_15 Depth=1
	s_or_b64 exec, exec, s[24:25]
	s_andn2_b64 s[8:9], s[36:37], exec
	s_and_b64 s[16:17], s[52:53], exec
	s_or_b64 s[36:37], s[8:9], s[16:17]
	s_andn2_b64 s[8:9], s[94:95], exec
	s_and_b64 s[16:17], s[50:51], exec
	s_or_b64 s[94:95], s[8:9], s[16:17]
	s_and_b64 s[8:9], s[2:3], exec
	v_mov_b32_e32 v45, v44
.LBB78_240:                             ;   in Loop: Header=BB78_15 Depth=1
	s_or_b64 exec, exec, s[38:39]
	s_orn2_b64 s[2:3], s[8:9], exec
.LBB78_241:                             ;   in Loop: Header=BB78_15 Depth=1
	s_or_b64 exec, exec, s[92:93]
	s_andn2_b64 s[8:9], s[80:81], exec
	s_and_b64 s[16:17], s[36:37], exec
	s_or_b64 s[80:81], s[8:9], s[16:17]
	s_andn2_b64 s[8:9], s[78:79], exec
	s_and_b64 s[16:17], s[94:95], exec
	s_or_b64 s[78:79], s[8:9], s[16:17]
	s_and_b64 s[8:9], s[2:3], exec
	v_mov_b32_e32 v44, v45
.LBB78_242:                             ;   in Loop: Header=BB78_15 Depth=1
	s_or_b64 exec, exec, s[90:91]
	s_orn2_b64 s[2:3], s[8:9], exec
.LBB78_243:                             ;   in Loop: Header=BB78_15 Depth=1
	s_or_b64 exec, exec, s[6:7]
	s_mov_b64 s[6:7], 0
	s_mov_b64 s[8:9], 0
	s_and_saveexec_b64 s[16:17], s[2:3]
	s_xor_b64 s[2:3], exec, s[16:17]
; %bb.244:                              ;   in Loop: Header=BB78_15 Depth=1
	v_cmp_eq_u32_e32 vcc, 8, v43
	v_cmp_ne_u32_e64 s[6:7], 8, v43
	s_and_b64 s[8:9], s[6:7], exec
	s_and_b64 s[6:7], vcc, exec
; %bb.245:                              ;   in Loop: Header=BB78_15 Depth=1
	s_or_b64 exec, exec, s[2:3]
	s_andn2_b64 s[2:3], s[84:85], exec
	s_and_b64 s[16:17], s[80:81], exec
	s_or_b64 s[84:85], s[2:3], s[16:17]
	s_andn2_b64 s[2:3], s[82:83], exec
	s_and_b64 s[16:17], s[78:79], exec
	s_or_b64 s[82:83], s[2:3], s[16:17]
	s_and_b64 s[78:79], s[8:9], exec
	s_and_b64 s[80:81], s[6:7], exec
.LBB78_246:                             ;   in Loop: Header=BB78_15 Depth=1
	s_or_b64 exec, exec, s[88:89]
.LBB78_247:                             ;   in Loop: Header=BB78_15 Depth=1
	s_and_b64 vcc, exec, s[86:87]
	s_cbranch_vccz .LBB78_261
; %bb.248:                              ;   in Loop: Header=BB78_15 Depth=1
	s_cmp_eq_u32 s43, 1
	s_cselect_b64 s[2:3], -1, 0
	s_and_b64 s[6:7], s[2:3], s[18:19]
	s_mov_b64 s[2:3], -1
                                        ; implicit-def: $sgpr18_sgpr19
                                        ; implicit-def: $sgpr20_sgpr21
	s_and_saveexec_b64 s[24:25], s[6:7]
	s_cbranch_execz .LBB78_277
; %bb.249:                              ;   in Loop: Header=BB78_15 Depth=1
	ds_read_b32 v1, v15 offset:4096
	s_waitcnt lgkmcnt(0)
	s_barrier
	v_readfirstlane_b32 s48, v1
	s_mov_b64 s[2:3], exec
	v_readlane_b32 s8, v47, 22
	v_readlane_b32 s9, v47, 23
	s_and_b64 s[8:9], s[2:3], s[8:9]
	s_mov_b64 exec, s[8:9]
; %bb.250:                              ;   in Loop: Header=BB78_15 Depth=1
	v_mov_b32_e32 v14, v15
	ds_write_b64 v32, v[14:15]
; %bb.251:                              ;   in Loop: Header=BB78_15 Depth=1
	s_or_b64 exec, exec, s[2:3]
	v_or_b32_e32 v19, s23, v19
	v_or_b32_e32 v18, s22, v18
	;; [unrolled: 1-line block ×4, first 2 shown]
	s_mov_b64 s[20:21], -1
	s_mov_b64 s[18:19], 0
	s_cmp_eq_u32 s48, 0
	s_mov_b64 s[2:3], 0
	s_mov_b64 s[8:9], -1
	s_waitcnt lgkmcnt(0)
	s_barrier
                                        ; implicit-def: $vgpr5_vgpr6
	s_cbranch_scc1 .LBB78_264
; %bb.252:                              ;   in Loop: Header=BB78_15 Depth=1
	v_readlane_b32 s2, v47, 24
	s_add_i32 s2, s48, s2
	v_readlane_b32 s3, v47, 37
	s_mul_hi_u32 s3, s2, s3
	s_mul_i32 s3, s3, s33
	s_sub_i32 s3, s2, s3
	s_sub_i32 s8, s3, s33
	s_cmp_ge_u32 s3, s33
	s_cselect_b32 s3, s8, s3
	s_sub_i32 s8, s3, s33
	s_cmp_ge_u32 s3, s33
	s_cselect_b32 s3, s8, s3
	s_sub_i32 s49, s2, s3
	v_cmp_gt_u32_e32 vcc, s49, v0
	s_mov_b64 s[8:9], 0
	s_mov_b64 s[2:3], 0
                                        ; implicit-def: $vgpr5_vgpr6
	s_and_saveexec_b64 s[16:17], vcc
	s_cbranch_execz .LBB78_263
; %bb.253:                              ;   in Loop: Header=BB78_15 Depth=1
	v_mov_b32_e32 v7, v31
	v_mov_b32_e32 v8, v0
                                        ; implicit-def: $sgpr36_sgpr37
	s_branch .LBB78_257
.LBB78_254:                             ;   in Loop: Header=BB78_257 Depth=2
	s_or_b64 exec, exec, s[38:39]
	s_waitcnt lgkmcnt(0)
	s_barrier
	ds_read_b128 v[3:6], v15 offset:3072
	s_waitcnt lgkmcnt(0)
	s_barrier
	v_cmp_neq_f64_e32 vcc, 0, v[3:4]
	s_cbranch_vccnz .LBB78_260
; %bb.255:                              ;   in Loop: Header=BB78_257 Depth=2
	v_add_u32_e32 v8, s33, v8
	v_cmp_le_u32_e32 vcc, s49, v8
	v_add_u32_e32 v7, s4, v7
	s_mov_b64 s[38:39], 0
	s_orn2_b64 s[44:45], vcc, exec
.LBB78_256:                             ;   in Loop: Header=BB78_257 Depth=2
	s_and_b64 s[44:45], exec, s[44:45]
	s_or_b64 s[2:3], s[44:45], s[2:3]
	s_andn2_b64 s[36:37], s[36:37], exec
	s_and_b64 s[38:39], s[38:39], exec
	s_or_b64 s[36:37], s[36:37], s[38:39]
	s_andn2_b64 exec, exec, s[2:3]
	s_cbranch_execz .LBB78_262
.LBB78_257:                             ;   Parent Loop BB78_15 Depth=1
                                        ; =>  This Inner Loop Header: Depth=2
	v_cmp_gt_u32_e32 vcc, s48, v8
	s_and_saveexec_b64 s[38:39], vcc
	s_cbranch_execz .LBB78_254
; %bb.258:                              ;   in Loop: Header=BB78_257 Depth=2
	ds_read_b64 v[3:4], v7
	s_waitcnt lgkmcnt(0)
	v_cmp_o_f64_e32 vcc, v[3:4], v[3:4]
	v_ashrrev_i32_e32 v1, 31, v4
	v_or_b32_e32 v5, 0x80000000, v1
	v_xor_b32_e32 v5, v5, v4
	v_xor_b32_e32 v1, v1, v3
	v_cndmask_b32_e32 v5, -1, v5, vcc
	v_cndmask_b32_e32 v1, -1, v1, vcc
	v_and_b32_e32 v6, v5, v21
	v_and_b32_e32 v5, v1, v20
	v_cmp_eq_u64_e32 vcc, v[5:6], v[18:19]
	s_and_b64 exec, exec, vcc
	s_cbranch_execz .LBB78_254
; %bb.259:                              ;   in Loop: Header=BB78_257 Depth=2
	v_mov_b32_e32 v1, v15
	ds_write_b128 v15, v[1:4] offset:3072
	s_branch .LBB78_254
.LBB78_260:                             ;   in Loop: Header=BB78_257 Depth=2
	s_mov_b64 s[44:45], -1
                                        ; implicit-def: $vgpr8
                                        ; implicit-def: $vgpr7
	s_mov_b64 s[38:39], -1
	s_branch .LBB78_256
.LBB78_261:                             ;   in Loop: Header=BB78_15 Depth=1
	v_mov_b32_e32 v18, v22
	v_mov_b32_e32 v20, v24
	;; [unrolled: 1-line block ×3, first 2 shown]
	s_mov_b64 s[18:19], 0
	v_mov_b32_e32 v19, v23
	v_mov_b32_e32 v21, v25
	;; [unrolled: 1-line block ×3, first 2 shown]
	s_and_saveexec_b64 s[2:3], s[80:81]
	s_cbranch_execnz .LBB78_414
	s_branch .LBB78_415
.LBB78_262:                             ;   in Loop: Header=BB78_15 Depth=1
	s_or_b64 exec, exec, s[2:3]
	s_and_b64 s[2:3], s[36:37], exec
.LBB78_263:                             ;   in Loop: Header=BB78_15 Depth=1
	s_or_b64 exec, exec, s[16:17]
.LBB78_264:                             ;   in Loop: Header=BB78_15 Depth=1
	s_and_b64 vcc, exec, s[8:9]
	s_cbranch_vccz .LBB78_276
; %bb.265:                              ;   in Loop: Header=BB78_15 Depth=1
                                        ; implicit-def: $vgpr5_vgpr6
	s_mov_b64 s[8:9], exec
	v_readlane_b32 s16, v47, 38
	v_readlane_b32 s17, v47, 39
	s_and_b64 s[16:17], s[8:9], s[16:17]
	s_mov_b64 exec, s[16:17]
	s_cbranch_execz .LBB78_275
; %bb.266:                              ;   in Loop: Header=BB78_15 Depth=1
	s_mov_b64 s[18:19], 0
	v_mov_b32_e32 v14, v13
	v_mov_b32_e32 v7, v0
                                        ; implicit-def: $sgpr16_sgpr17
	s_branch .LBB78_270
.LBB78_267:                             ;   in Loop: Header=BB78_270 Depth=2
	s_or_b64 exec, exec, s[20:21]
	s_waitcnt lgkmcnt(0)
	s_barrier
	ds_read_b128 v[3:6], v15 offset:3072
	s_waitcnt lgkmcnt(0)
	s_barrier
	v_cmp_neq_f64_e32 vcc, 0, v[3:4]
	s_cbranch_vccnz .LBB78_273
; %bb.268:                              ;   in Loop: Header=BB78_270 Depth=2
	v_add_u32_e32 v7, s33, v7
	v_cmp_le_u32_e32 vcc, s12, v7
	v_add_u32_e32 v14, s46, v14
	s_mov_b64 s[20:21], 0
	s_orn2_b64 s[36:37], vcc, exec
.LBB78_269:                             ;   in Loop: Header=BB78_270 Depth=2
	s_and_b64 s[36:37], exec, s[36:37]
	s_or_b64 s[18:19], s[36:37], s[18:19]
	s_andn2_b64 s[16:17], s[16:17], exec
	s_and_b64 s[20:21], s[20:21], exec
	s_or_b64 s[16:17], s[16:17], s[20:21]
	s_andn2_b64 exec, exec, s[18:19]
	s_cbranch_execz .LBB78_274
.LBB78_270:                             ;   Parent Loop BB78_15 Depth=1
                                        ; =>  This Inner Loop Header: Depth=2
	v_cmp_gt_u32_e32 vcc, s28, v7
	s_and_saveexec_b64 s[20:21], vcc
	s_cbranch_execz .LBB78_267
; %bb.271:                              ;   in Loop: Header=BB78_270 Depth=2
	v_lshlrev_b64 v[3:4], 3, v[14:15]
	v_mov_b32_e32 v1, s40
	v_add_co_u32_e32 v3, vcc, s34, v3
	v_addc_co_u32_e32 v4, vcc, v1, v4, vcc
	global_load_dwordx2 v[3:4], v[3:4], off
	s_waitcnt vmcnt(0)
	v_cmp_o_f64_e32 vcc, v[3:4], v[3:4]
	v_ashrrev_i32_e32 v1, 31, v4
	v_or_b32_e32 v5, 0x80000000, v1
	v_xor_b32_e32 v5, v5, v4
	v_xor_b32_e32 v1, v1, v3
	v_cndmask_b32_e32 v5, -1, v5, vcc
	v_cndmask_b32_e32 v1, -1, v1, vcc
	v_and_b32_e32 v6, v5, v21
	v_and_b32_e32 v5, v1, v20
	v_cmp_eq_u64_e32 vcc, v[5:6], v[18:19]
	s_and_b64 exec, exec, vcc
	s_cbranch_execz .LBB78_267
; %bb.272:                              ;   in Loop: Header=BB78_270 Depth=2
	v_mov_b32_e32 v1, v15
	ds_write_b128 v15, v[1:4] offset:3072
	s_branch .LBB78_267
.LBB78_273:                             ;   in Loop: Header=BB78_270 Depth=2
	s_mov_b64 s[36:37], -1
                                        ; implicit-def: $vgpr7
	s_mov_b64 s[20:21], -1
	s_branch .LBB78_269
.LBB78_274:                             ;   in Loop: Header=BB78_15 Depth=1
	s_or_b64 exec, exec, s[18:19]
	s_andn2_b64 s[2:3], s[2:3], exec
	s_and_b64 s[16:17], s[16:17], exec
	s_or_b64 s[2:3], s[2:3], s[16:17]
.LBB78_275:                             ;   in Loop: Header=BB78_15 Depth=1
	s_or_b64 exec, exec, s[8:9]
	s_mov_b64 s[20:21], 0
	s_mov_b64 s[18:19], -1
.LBB78_276:                             ;   in Loop: Header=BB78_15 Depth=1
	s_orn2_b64 s[2:3], s[2:3], exec
.LBB78_277:                             ;   in Loop: Header=BB78_15 Depth=1
	s_or_b64 exec, exec, s[24:25]
                                        ; implicit-def: $vgpr44
                                        ; implicit-def: $vgpr43
	s_and_saveexec_b64 s[82:83], s[2:3]
	s_cbranch_execz .LBB78_413
; %bb.278:                              ;   in Loop: Header=BB78_15 Depth=1
	s_xor_b64 s[8:9], s[6:7], -1
	s_mov_b64 s[6:7], 0
	v_mov_b32_e32 v44, 1
	v_mov_b32_e32 v43, 1
	s_and_saveexec_b64 s[2:3], s[8:9]
	s_cbranch_execz .LBB78_287
; %bb.279:                              ;   in Loop: Header=BB78_15 Depth=1
	v_cmp_ge_u32_e32 vcc, s43, v42
	s_and_saveexec_b64 s[6:7], vcc
	s_xor_b64 s[6:7], exec, s[6:7]
	s_cbranch_execz .LBB78_284
; %bb.280:                              ;   in Loop: Header=BB78_15 Depth=1
	ds_read_b32 v1, v15 offset:4096
	v_or_b32_e32 v19, s23, v19
	v_or_b32_e32 v18, s22, v18
	;; [unrolled: 1-line block ×4, first 2 shown]
	s_waitcnt lgkmcnt(0)
	v_cmp_ne_u32_e32 vcc, 0, v1
	s_cbranch_vccnz .LBB78_284
; %bb.281:                              ;   in Loop: Header=BB78_15 Depth=1
	s_mov_b64 s[8:9], exec
	v_readlane_b32 s16, v47, 6
	v_readlane_b32 s17, v47, 7
	s_and_b64 s[16:17], s[8:9], s[16:17]
	s_mov_b64 exec, s[16:17]
; %bb.282:                              ;   in Loop: Header=BB78_15 Depth=1
	v_mov_b32_e32 v1, s43
	ds_write_b32 v15, v1 offset:4100
; %bb.283:                              ;   in Loop: Header=BB78_15 Depth=1
	s_or_b64 exec, exec, s[8:9]
	s_waitcnt lgkmcnt(0)
	s_barrier
.LBB78_284:                             ;   in Loop: Header=BB78_15 Depth=1
	s_or_saveexec_b64 s[6:7], s[6:7]
	s_mov_b64 s[8:9], 0
	v_mov_b32_e32 v43, 5
	s_xor_b64 exec, exec, s[6:7]
; %bb.285:                              ;   in Loop: Header=BB78_15 Depth=1
	v_subrev_u32_e32 v42, s43, v42
	v_mov_b32_e32 v43, 0
	s_mov_b64 s[8:9], exec
; %bb.286:                              ;   in Loop: Header=BB78_15 Depth=1
	s_or_b64 exec, exec, s[6:7]
	s_and_b64 s[6:7], s[8:9], exec
	v_mov_b32_e32 v44, v42
.LBB78_287:                             ;   in Loop: Header=BB78_15 Depth=1
	s_or_b64 exec, exec, s[2:3]
	s_mov_b64 s[2:3], -1
                                        ; implicit-def: $sgpr84_sgpr85
                                        ; implicit-def: $sgpr86_sgpr87
	s_and_saveexec_b64 s[8:9], s[6:7]
	s_xor_b64 s[6:7], exec, s[8:9]
	s_cbranch_execz .LBB78_410
; %bb.288:                              ;   in Loop: Header=BB78_15 Depth=1
	s_cmp_eq_u32 s42, 1
	s_cselect_b64 s[2:3], -1, 0
	v_cmp_eq_u32_e32 vcc, 1, v44
	s_and_b64 s[24:25], s[2:3], vcc
	s_mov_b64 s[2:3], -1
                                        ; implicit-def: $sgpr86_sgpr87
                                        ; implicit-def: $sgpr84_sgpr85
	s_and_saveexec_b64 s[36:37], s[24:25]
	s_cbranch_execz .LBB78_316
; %bb.289:                              ;   in Loop: Header=BB78_15 Depth=1
	ds_read_b32 v1, v15 offset:4096
	s_waitcnt lgkmcnt(0)
	s_barrier
	v_readfirstlane_b32 s43, v1
	s_mov_b64 s[2:3], exec
	v_readlane_b32 s8, v47, 22
	v_readlane_b32 s9, v47, 23
	s_and_b64 s[8:9], s[2:3], s[8:9]
	s_mov_b64 exec, s[8:9]
; %bb.290:                              ;   in Loop: Header=BB78_15 Depth=1
	v_mov_b32_e32 v14, v15
	ds_write_b64 v32, v[14:15]
; %bb.291:                              ;   in Loop: Header=BB78_15 Depth=1
	s_or_b64 exec, exec, s[2:3]
	s_lshl_b64 s[2:3], 2, s5
	v_and_b32_e32 v1, s77, v19
	v_and_b32_e32 v3, s76, v18
	v_or_b32_e32 v19, s3, v1
	v_or_b32_e32 v18, s2, v3
	;; [unrolled: 1-line block ×4, first 2 shown]
	s_mov_b64 s[84:85], -1
	s_mov_b64 s[86:87], 0
	s_cmp_eq_u32 s43, 0
	s_mov_b64 s[2:3], 0
	s_mov_b64 s[8:9], -1
	s_waitcnt lgkmcnt(0)
	s_barrier
                                        ; implicit-def: $vgpr5_vgpr6
	s_cbranch_scc1 .LBB78_303
; %bb.292:                              ;   in Loop: Header=BB78_15 Depth=1
	v_readlane_b32 s2, v47, 24
	s_add_i32 s2, s43, s2
	v_readlane_b32 s3, v47, 37
	s_mul_hi_u32 s3, s2, s3
	s_mul_i32 s3, s3, s33
	s_sub_i32 s3, s2, s3
	s_sub_i32 s8, s3, s33
	s_cmp_ge_u32 s3, s33
	s_cselect_b32 s3, s8, s3
	s_sub_i32 s8, s3, s33
	s_cmp_ge_u32 s3, s33
	s_cselect_b32 s3, s8, s3
	s_sub_i32 s50, s2, s3
	v_cmp_gt_u32_e32 vcc, s50, v0
	s_mov_b64 s[8:9], 0
	s_mov_b64 s[2:3], 0
                                        ; implicit-def: $vgpr5_vgpr6
	s_and_saveexec_b64 s[16:17], vcc
	s_cbranch_execz .LBB78_302
; %bb.293:                              ;   in Loop: Header=BB78_15 Depth=1
	v_mov_b32_e32 v7, v31
	v_mov_b32_e32 v8, v0
                                        ; implicit-def: $sgpr38_sgpr39
	s_branch .LBB78_297
.LBB78_294:                             ;   in Loop: Header=BB78_297 Depth=2
	s_or_b64 exec, exec, s[44:45]
	s_waitcnt lgkmcnt(0)
	s_barrier
	ds_read_b128 v[3:6], v15 offset:3072
	s_waitcnt lgkmcnt(0)
	s_barrier
	v_cmp_neq_f64_e32 vcc, 0, v[3:4]
	s_cbranch_vccnz .LBB78_300
; %bb.295:                              ;   in Loop: Header=BB78_297 Depth=2
	v_add_u32_e32 v8, s33, v8
	v_cmp_le_u32_e32 vcc, s50, v8
	v_add_u32_e32 v7, s4, v7
	s_mov_b64 s[44:45], 0
	s_orn2_b64 s[48:49], vcc, exec
.LBB78_296:                             ;   in Loop: Header=BB78_297 Depth=2
	s_and_b64 s[48:49], exec, s[48:49]
	s_or_b64 s[2:3], s[48:49], s[2:3]
	s_andn2_b64 s[38:39], s[38:39], exec
	s_and_b64 s[44:45], s[44:45], exec
	s_or_b64 s[38:39], s[38:39], s[44:45]
	s_andn2_b64 exec, exec, s[2:3]
	s_cbranch_execz .LBB78_301
.LBB78_297:                             ;   Parent Loop BB78_15 Depth=1
                                        ; =>  This Inner Loop Header: Depth=2
	v_cmp_gt_u32_e32 vcc, s43, v8
	s_and_saveexec_b64 s[44:45], vcc
	s_cbranch_execz .LBB78_294
; %bb.298:                              ;   in Loop: Header=BB78_297 Depth=2
	ds_read_b64 v[3:4], v7
	s_waitcnt lgkmcnt(0)
	v_cmp_o_f64_e32 vcc, v[3:4], v[3:4]
	v_ashrrev_i32_e32 v1, 31, v4
	v_or_b32_e32 v5, 0x80000000, v1
	v_xor_b32_e32 v5, v5, v4
	v_xor_b32_e32 v1, v1, v3
	v_cndmask_b32_e32 v5, -1, v5, vcc
	v_cndmask_b32_e32 v1, -1, v1, vcc
	v_and_b32_e32 v6, v5, v21
	v_and_b32_e32 v5, v1, v20
	v_cmp_eq_u64_e32 vcc, v[5:6], v[18:19]
	s_and_b64 exec, exec, vcc
	s_cbranch_execz .LBB78_294
; %bb.299:                              ;   in Loop: Header=BB78_297 Depth=2
	v_mov_b32_e32 v1, v15
	ds_write_b128 v15, v[1:4] offset:3072
	s_branch .LBB78_294
.LBB78_300:                             ;   in Loop: Header=BB78_297 Depth=2
	s_mov_b64 s[48:49], -1
                                        ; implicit-def: $vgpr8
                                        ; implicit-def: $vgpr7
	s_mov_b64 s[44:45], -1
	s_branch .LBB78_296
.LBB78_301:                             ;   in Loop: Header=BB78_15 Depth=1
	s_or_b64 exec, exec, s[2:3]
	s_and_b64 s[2:3], s[38:39], exec
.LBB78_302:                             ;   in Loop: Header=BB78_15 Depth=1
	s_or_b64 exec, exec, s[16:17]
.LBB78_303:                             ;   in Loop: Header=BB78_15 Depth=1
	s_and_b64 vcc, exec, s[8:9]
	s_cbranch_vccz .LBB78_315
; %bb.304:                              ;   in Loop: Header=BB78_15 Depth=1
                                        ; implicit-def: $vgpr5_vgpr6
	s_mov_b64 s[8:9], exec
	v_readlane_b32 s16, v47, 38
	v_readlane_b32 s17, v47, 39
	s_and_b64 s[16:17], s[8:9], s[16:17]
	s_mov_b64 exec, s[16:17]
	s_cbranch_execz .LBB78_314
; %bb.305:                              ;   in Loop: Header=BB78_15 Depth=1
	s_mov_b64 s[16:17], 0
	v_mov_b32_e32 v14, v13
	v_mov_b32_e32 v7, v0
                                        ; implicit-def: $sgpr38_sgpr39
	s_branch .LBB78_309
.LBB78_306:                             ;   in Loop: Header=BB78_309 Depth=2
	s_or_b64 exec, exec, s[44:45]
	s_waitcnt lgkmcnt(0)
	s_barrier
	ds_read_b128 v[3:6], v15 offset:3072
	s_waitcnt lgkmcnt(0)
	s_barrier
	v_cmp_eq_f64_e32 vcc, 0, v[3:4]
	s_cbranch_vccz .LBB78_312
; %bb.307:                              ;   in Loop: Header=BB78_309 Depth=2
	v_add_u32_e32 v7, s33, v7
	v_cmp_le_u32_e32 vcc, s12, v7
	v_add_u32_e32 v14, s46, v14
	s_mov_b64 s[44:45], 0
	s_orn2_b64 s[48:49], vcc, exec
.LBB78_308:                             ;   in Loop: Header=BB78_309 Depth=2
	s_and_b64 s[48:49], exec, s[48:49]
	s_or_b64 s[16:17], s[48:49], s[16:17]
	s_andn2_b64 s[38:39], s[38:39], exec
	s_and_b64 s[44:45], s[44:45], exec
	s_or_b64 s[38:39], s[38:39], s[44:45]
	s_andn2_b64 exec, exec, s[16:17]
	s_cbranch_execz .LBB78_313
.LBB78_309:                             ;   Parent Loop BB78_15 Depth=1
                                        ; =>  This Inner Loop Header: Depth=2
	v_cmp_gt_u32_e32 vcc, s28, v7
	s_and_saveexec_b64 s[44:45], vcc
	s_cbranch_execz .LBB78_306
; %bb.310:                              ;   in Loop: Header=BB78_309 Depth=2
	v_lshlrev_b64 v[3:4], 3, v[14:15]
	v_mov_b32_e32 v1, s40
	v_add_co_u32_e32 v3, vcc, s34, v3
	v_addc_co_u32_e32 v4, vcc, v1, v4, vcc
	global_load_dwordx2 v[3:4], v[3:4], off
	s_waitcnt vmcnt(0)
	v_cmp_o_f64_e32 vcc, v[3:4], v[3:4]
	v_ashrrev_i32_e32 v1, 31, v4
	v_or_b32_e32 v5, 0x80000000, v1
	v_xor_b32_e32 v5, v5, v4
	v_xor_b32_e32 v1, v1, v3
	v_cndmask_b32_e32 v5, -1, v5, vcc
	v_cndmask_b32_e32 v1, -1, v1, vcc
	v_and_b32_e32 v6, v5, v21
	v_and_b32_e32 v5, v1, v20
	v_cmp_eq_u64_e32 vcc, v[5:6], v[18:19]
	s_and_b64 exec, exec, vcc
	s_cbranch_execz .LBB78_306
; %bb.311:                              ;   in Loop: Header=BB78_309 Depth=2
	v_mov_b32_e32 v1, v15
	ds_write_b128 v15, v[1:4] offset:3072
	s_branch .LBB78_306
.LBB78_312:                             ;   in Loop: Header=BB78_309 Depth=2
	s_mov_b64 s[48:49], -1
                                        ; implicit-def: $vgpr7
	s_mov_b64 s[44:45], -1
	s_branch .LBB78_308
.LBB78_313:                             ;   in Loop: Header=BB78_15 Depth=1
	s_or_b64 exec, exec, s[16:17]
	s_andn2_b64 s[2:3], s[2:3], exec
	s_and_b64 s[16:17], s[38:39], exec
	s_or_b64 s[2:3], s[2:3], s[16:17]
.LBB78_314:                             ;   in Loop: Header=BB78_15 Depth=1
	s_or_b64 exec, exec, s[8:9]
	s_mov_b64 s[84:85], 0
	s_mov_b64 s[86:87], -1
.LBB78_315:                             ;   in Loop: Header=BB78_15 Depth=1
	s_orn2_b64 s[2:3], s[2:3], exec
.LBB78_316:                             ;   in Loop: Header=BB78_15 Depth=1
	s_or_b64 exec, exec, s[36:37]
	s_mov_b64 s[8:9], 0
	s_and_saveexec_b64 s[88:89], s[2:3]
	s_cbranch_execz .LBB78_409
; %bb.317:                              ;   in Loop: Header=BB78_15 Depth=1
	s_xor_b64 s[16:17], s[24:25], -1
	v_mov_b32_e32 v7, 1
	v_mov_b32_e32 v43, 1
	s_and_saveexec_b64 s[2:3], s[16:17]
	s_cbranch_execz .LBB78_326
; %bb.318:                              ;   in Loop: Header=BB78_15 Depth=1
	v_cmp_ge_u32_e32 vcc, s42, v44
	s_and_saveexec_b64 s[8:9], vcc
	s_xor_b64 s[8:9], exec, s[8:9]
	s_cbranch_execz .LBB78_323
; %bb.319:                              ;   in Loop: Header=BB78_15 Depth=1
	s_lshl_b64 s[16:17], 2, s5
	v_and_b32_e32 v1, s77, v19
	v_or_b32_e32 v19, s17, v1
	ds_read_b32 v1, v15 offset:4096
	v_and_b32_e32 v3, s76, v18
	v_or_b32_e32 v18, s16, v3
	v_or_b32_e32 v21, s23, v21
	;; [unrolled: 1-line block ×3, first 2 shown]
	s_waitcnt lgkmcnt(0)
	v_cmp_ne_u32_e32 vcc, 0, v1
	s_cbranch_vccnz .LBB78_323
; %bb.320:                              ;   in Loop: Header=BB78_15 Depth=1
	s_mov_b64 s[16:17], exec
	v_readlane_b32 s24, v47, 6
	v_readlane_b32 s25, v47, 7
	s_and_b64 s[24:25], s[16:17], s[24:25]
	s_mov_b64 exec, s[24:25]
; %bb.321:                              ;   in Loop: Header=BB78_15 Depth=1
	v_mov_b32_e32 v1, s42
	ds_write_b32 v15, v1 offset:4100
; %bb.322:                              ;   in Loop: Header=BB78_15 Depth=1
	s_or_b64 exec, exec, s[16:17]
	s_waitcnt lgkmcnt(0)
	s_barrier
.LBB78_323:                             ;   in Loop: Header=BB78_15 Depth=1
	s_or_saveexec_b64 s[8:9], s[8:9]
	s_mov_b64 s[16:17], 0
	v_mov_b32_e32 v43, 5
	s_xor_b64 exec, exec, s[8:9]
; %bb.324:                              ;   in Loop: Header=BB78_15 Depth=1
	v_subrev_u32_e32 v44, s42, v44
	v_mov_b32_e32 v43, 0
	s_mov_b64 s[16:17], exec
; %bb.325:                              ;   in Loop: Header=BB78_15 Depth=1
	s_or_b64 exec, exec, s[8:9]
	s_and_b64 s[8:9], s[16:17], exec
	v_mov_b32_e32 v7, v44
.LBB78_326:                             ;   in Loop: Header=BB78_15 Depth=1
	s_or_b64 exec, exec, s[2:3]
	s_mov_b64 s[2:3], -1
                                        ; implicit-def: $sgpr92_sgpr93
                                        ; implicit-def: $sgpr94_sgpr95
	s_and_saveexec_b64 s[90:91], s[8:9]
	s_cbranch_execz .LBB78_408
; %bb.327:                              ;   in Loop: Header=BB78_15 Depth=1
	s_cmp_eq_u32 s31, 1
	s_cselect_b64 s[2:3], -1, 0
	v_cmp_eq_u32_e32 vcc, 1, v7
	s_and_b64 s[24:25], s[2:3], vcc
	s_mov_b64 s[2:3], -1
                                        ; implicit-def: $sgpr94_sgpr95
                                        ; implicit-def: $sgpr92_sgpr93
	s_and_saveexec_b64 s[36:37], s[24:25]
	s_cbranch_execz .LBB78_355
; %bb.328:                              ;   in Loop: Header=BB78_15 Depth=1
	ds_read_b32 v1, v15 offset:4096
	s_waitcnt lgkmcnt(0)
	s_barrier
	v_readfirstlane_b32 s42, v1
	s_mov_b64 s[2:3], exec
	v_readlane_b32 s8, v47, 22
	v_readlane_b32 s9, v47, 23
	s_and_b64 s[8:9], s[2:3], s[8:9]
	s_mov_b64 exec, s[8:9]
; %bb.329:                              ;   in Loop: Header=BB78_15 Depth=1
	v_mov_b32_e32 v14, v15
	ds_write_b64 v32, v[14:15]
; %bb.330:                              ;   in Loop: Header=BB78_15 Depth=1
	s_or_b64 exec, exec, s[2:3]
	s_lshl_b64 s[2:3], 1, s5
	v_and_b32_e32 v1, s77, v19
	v_and_b32_e32 v3, s76, v18
	v_or_b32_e32 v19, s3, v1
	v_or_b32_e32 v18, s2, v3
	;; [unrolled: 1-line block ×4, first 2 shown]
	s_mov_b64 s[92:93], -1
	s_mov_b64 s[94:95], 0
	s_cmp_eq_u32 s42, 0
	s_mov_b64 s[2:3], 0
	s_mov_b64 s[8:9], -1
	s_waitcnt lgkmcnt(0)
	s_barrier
                                        ; implicit-def: $vgpr5_vgpr6
	s_cbranch_scc1 .LBB78_342
; %bb.331:                              ;   in Loop: Header=BB78_15 Depth=1
	v_readlane_b32 s2, v47, 24
	s_add_i32 s2, s42, s2
	v_readlane_b32 s3, v47, 37
	s_mul_hi_u32 s3, s2, s3
	s_mul_i32 s3, s3, s33
	s_sub_i32 s3, s2, s3
	s_sub_i32 s8, s3, s33
	s_cmp_ge_u32 s3, s33
	s_cselect_b32 s3, s8, s3
	s_sub_i32 s8, s3, s33
	s_cmp_ge_u32 s3, s33
	s_cselect_b32 s3, s8, s3
	s_sub_i32 s43, s2, s3
	v_cmp_gt_u32_e32 vcc, s43, v0
	s_mov_b64 s[8:9], 0
	s_mov_b64 s[2:3], 0
                                        ; implicit-def: $vgpr5_vgpr6
	s_and_saveexec_b64 s[16:17], vcc
	s_cbranch_execz .LBB78_341
; %bb.332:                              ;   in Loop: Header=BB78_15 Depth=1
	v_mov_b32_e32 v8, v31
	v_mov_b32_e32 v9, v0
                                        ; implicit-def: $sgpr38_sgpr39
	s_branch .LBB78_336
.LBB78_333:                             ;   in Loop: Header=BB78_336 Depth=2
	s_or_b64 exec, exec, s[44:45]
	s_waitcnt lgkmcnt(0)
	s_barrier
	ds_read_b128 v[3:6], v15 offset:3072
	s_waitcnt lgkmcnt(0)
	s_barrier
	v_cmp_neq_f64_e32 vcc, 0, v[3:4]
	s_cbranch_vccnz .LBB78_339
; %bb.334:                              ;   in Loop: Header=BB78_336 Depth=2
	v_add_u32_e32 v9, s33, v9
	v_cmp_le_u32_e32 vcc, s43, v9
	v_add_u32_e32 v8, s4, v8
	s_mov_b64 s[44:45], 0
	s_orn2_b64 s[48:49], vcc, exec
.LBB78_335:                             ;   in Loop: Header=BB78_336 Depth=2
	s_and_b64 s[48:49], exec, s[48:49]
	s_or_b64 s[2:3], s[48:49], s[2:3]
	s_andn2_b64 s[38:39], s[38:39], exec
	s_and_b64 s[44:45], s[44:45], exec
	s_or_b64 s[38:39], s[38:39], s[44:45]
	s_andn2_b64 exec, exec, s[2:3]
	s_cbranch_execz .LBB78_340
.LBB78_336:                             ;   Parent Loop BB78_15 Depth=1
                                        ; =>  This Inner Loop Header: Depth=2
	v_cmp_gt_u32_e32 vcc, s42, v9
	s_and_saveexec_b64 s[44:45], vcc
	s_cbranch_execz .LBB78_333
; %bb.337:                              ;   in Loop: Header=BB78_336 Depth=2
	ds_read_b64 v[3:4], v8
	s_waitcnt lgkmcnt(0)
	v_cmp_o_f64_e32 vcc, v[3:4], v[3:4]
	v_ashrrev_i32_e32 v1, 31, v4
	v_or_b32_e32 v5, 0x80000000, v1
	v_xor_b32_e32 v5, v5, v4
	v_xor_b32_e32 v1, v1, v3
	v_cndmask_b32_e32 v5, -1, v5, vcc
	v_cndmask_b32_e32 v1, -1, v1, vcc
	v_and_b32_e32 v6, v5, v21
	v_and_b32_e32 v5, v1, v20
	v_cmp_eq_u64_e32 vcc, v[5:6], v[18:19]
	s_and_b64 exec, exec, vcc
	s_cbranch_execz .LBB78_333
; %bb.338:                              ;   in Loop: Header=BB78_336 Depth=2
	v_mov_b32_e32 v1, v15
	ds_write_b128 v15, v[1:4] offset:3072
	s_branch .LBB78_333
.LBB78_339:                             ;   in Loop: Header=BB78_336 Depth=2
	s_mov_b64 s[48:49], -1
                                        ; implicit-def: $vgpr9
                                        ; implicit-def: $vgpr8
	s_mov_b64 s[44:45], -1
	s_branch .LBB78_335
.LBB78_340:                             ;   in Loop: Header=BB78_15 Depth=1
	s_or_b64 exec, exec, s[2:3]
	s_and_b64 s[2:3], s[38:39], exec
.LBB78_341:                             ;   in Loop: Header=BB78_15 Depth=1
	s_or_b64 exec, exec, s[16:17]
.LBB78_342:                             ;   in Loop: Header=BB78_15 Depth=1
	s_and_b64 vcc, exec, s[8:9]
	s_cbranch_vccz .LBB78_354
; %bb.343:                              ;   in Loop: Header=BB78_15 Depth=1
                                        ; implicit-def: $vgpr5_vgpr6
	s_mov_b64 s[8:9], exec
	v_readlane_b32 s16, v47, 38
	v_readlane_b32 s17, v47, 39
	s_and_b64 s[16:17], s[8:9], s[16:17]
	s_mov_b64 exec, s[16:17]
	s_cbranch_execz .LBB78_353
; %bb.344:                              ;   in Loop: Header=BB78_15 Depth=1
	s_mov_b64 s[16:17], 0
	v_mov_b32_e32 v14, v13
	v_mov_b32_e32 v8, v0
                                        ; implicit-def: $sgpr38_sgpr39
	s_branch .LBB78_348
.LBB78_345:                             ;   in Loop: Header=BB78_348 Depth=2
	s_or_b64 exec, exec, s[44:45]
	s_waitcnt lgkmcnt(0)
	s_barrier
	ds_read_b128 v[3:6], v15 offset:3072
	s_waitcnt lgkmcnt(0)
	s_barrier
	v_cmp_eq_f64_e32 vcc, 0, v[3:4]
	s_cbranch_vccz .LBB78_351
; %bb.346:                              ;   in Loop: Header=BB78_348 Depth=2
	v_add_u32_e32 v8, s33, v8
	v_cmp_le_u32_e32 vcc, s12, v8
	v_add_u32_e32 v14, s46, v14
	s_mov_b64 s[44:45], 0
	s_orn2_b64 s[48:49], vcc, exec
.LBB78_347:                             ;   in Loop: Header=BB78_348 Depth=2
	s_and_b64 s[42:43], exec, s[48:49]
	s_or_b64 s[16:17], s[42:43], s[16:17]
	s_andn2_b64 s[38:39], s[38:39], exec
	s_and_b64 s[42:43], s[44:45], exec
	s_or_b64 s[38:39], s[38:39], s[42:43]
	s_andn2_b64 exec, exec, s[16:17]
	s_cbranch_execz .LBB78_352
.LBB78_348:                             ;   Parent Loop BB78_15 Depth=1
                                        ; =>  This Inner Loop Header: Depth=2
	v_cmp_gt_u32_e32 vcc, s28, v8
	s_and_saveexec_b64 s[44:45], vcc
	s_cbranch_execz .LBB78_345
; %bb.349:                              ;   in Loop: Header=BB78_348 Depth=2
	v_lshlrev_b64 v[3:4], 3, v[14:15]
	v_mov_b32_e32 v1, s40
	v_add_co_u32_e32 v3, vcc, s34, v3
	v_addc_co_u32_e32 v4, vcc, v1, v4, vcc
	global_load_dwordx2 v[3:4], v[3:4], off
	s_waitcnt vmcnt(0)
	v_cmp_o_f64_e32 vcc, v[3:4], v[3:4]
	v_ashrrev_i32_e32 v1, 31, v4
	v_or_b32_e32 v5, 0x80000000, v1
	v_xor_b32_e32 v5, v5, v4
	v_xor_b32_e32 v1, v1, v3
	v_cndmask_b32_e32 v5, -1, v5, vcc
	v_cndmask_b32_e32 v1, -1, v1, vcc
	v_and_b32_e32 v6, v5, v21
	v_and_b32_e32 v5, v1, v20
	v_cmp_eq_u64_e32 vcc, v[5:6], v[18:19]
	s_and_b64 exec, exec, vcc
	s_cbranch_execz .LBB78_345
; %bb.350:                              ;   in Loop: Header=BB78_348 Depth=2
	v_mov_b32_e32 v1, v15
	ds_write_b128 v15, v[1:4] offset:3072
	s_branch .LBB78_345
.LBB78_351:                             ;   in Loop: Header=BB78_348 Depth=2
	s_mov_b64 s[48:49], -1
                                        ; implicit-def: $vgpr8
	s_mov_b64 s[44:45], -1
	s_branch .LBB78_347
.LBB78_352:                             ;   in Loop: Header=BB78_15 Depth=1
	s_or_b64 exec, exec, s[16:17]
	s_andn2_b64 s[2:3], s[2:3], exec
	s_and_b64 s[16:17], s[38:39], exec
	s_or_b64 s[2:3], s[2:3], s[16:17]
.LBB78_353:                             ;   in Loop: Header=BB78_15 Depth=1
	s_or_b64 exec, exec, s[8:9]
	s_mov_b64 s[92:93], 0
	s_mov_b64 s[94:95], -1
.LBB78_354:                             ;   in Loop: Header=BB78_15 Depth=1
	s_orn2_b64 s[2:3], s[2:3], exec
.LBB78_355:                             ;   in Loop: Header=BB78_15 Depth=1
	s_or_b64 exec, exec, s[36:37]
	s_mov_b64 s[8:9], 0
	s_and_saveexec_b64 s[36:37], s[2:3]
	s_cbranch_execz .LBB78_407
; %bb.356:                              ;   in Loop: Header=BB78_15 Depth=1
	s_xor_b64 s[16:17], s[24:25], -1
	v_mov_b32_e32 v8, 1
	v_mov_b32_e32 v43, 1
	s_and_saveexec_b64 s[2:3], s[16:17]
	s_cbranch_execz .LBB78_365
; %bb.357:                              ;   in Loop: Header=BB78_15 Depth=1
	v_cmp_ge_u32_e32 vcc, s31, v7
	s_and_saveexec_b64 s[8:9], vcc
	s_xor_b64 s[8:9], exec, s[8:9]
	s_cbranch_execz .LBB78_362
; %bb.358:                              ;   in Loop: Header=BB78_15 Depth=1
	s_lshl_b64 s[16:17], 1, s5
	v_and_b32_e32 v1, s77, v19
	v_or_b32_e32 v19, s17, v1
	ds_read_b32 v1, v15 offset:4096
	v_and_b32_e32 v3, s76, v18
	v_or_b32_e32 v18, s16, v3
	v_or_b32_e32 v21, s23, v21
	;; [unrolled: 1-line block ×3, first 2 shown]
	s_waitcnt lgkmcnt(0)
	v_cmp_ne_u32_e32 vcc, 0, v1
	s_cbranch_vccnz .LBB78_362
; %bb.359:                              ;   in Loop: Header=BB78_15 Depth=1
	s_mov_b64 s[16:17], exec
	v_readlane_b32 s24, v47, 6
	v_readlane_b32 s25, v47, 7
	s_and_b64 s[24:25], s[16:17], s[24:25]
	s_mov_b64 exec, s[24:25]
; %bb.360:                              ;   in Loop: Header=BB78_15 Depth=1
	v_mov_b32_e32 v1, s31
	ds_write_b32 v15, v1 offset:4100
; %bb.361:                              ;   in Loop: Header=BB78_15 Depth=1
	s_or_b64 exec, exec, s[16:17]
	s_waitcnt lgkmcnt(0)
	s_barrier
.LBB78_362:                             ;   in Loop: Header=BB78_15 Depth=1
	s_or_saveexec_b64 s[8:9], s[8:9]
	s_mov_b64 s[16:17], 0
	v_mov_b32_e32 v43, 5
	s_xor_b64 exec, exec, s[8:9]
; %bb.363:                              ;   in Loop: Header=BB78_15 Depth=1
	v_subrev_u32_e32 v7, s31, v7
	v_mov_b32_e32 v43, 0
	s_mov_b64 s[16:17], exec
; %bb.364:                              ;   in Loop: Header=BB78_15 Depth=1
	s_or_b64 exec, exec, s[8:9]
	s_and_b64 s[8:9], s[16:17], exec
	v_mov_b32_e32 v8, v7
.LBB78_365:                             ;   in Loop: Header=BB78_15 Depth=1
	s_or_b64 exec, exec, s[2:3]
	s_mov_b64 s[2:3], -1
                                        ; implicit-def: $sgpr50_sgpr51
                                        ; implicit-def: $sgpr48_sgpr49
	s_and_saveexec_b64 s[38:39], s[8:9]
	s_cbranch_execz .LBB78_406
; %bb.366:                              ;   in Loop: Header=BB78_15 Depth=1
	s_cmp_eq_u32 s30, 1
	s_cselect_b64 s[2:3], -1, 0
	v_cmp_eq_u32_e32 vcc, 1, v8
	s_mov_b64 s[8:9], -1
	s_and_b64 s[2:3], s[2:3], vcc
                                        ; implicit-def: $sgpr50_sgpr51
                                        ; implicit-def: $sgpr48_sgpr49
	s_mov_b64 s[52:53], exec
	v_writelane_b32 v47, s2, 40
	v_writelane_b32 v47, s3, 41
	s_and_b64 s[2:3], s[52:53], s[2:3]
	s_mov_b64 exec, s[2:3]
	s_cbranch_execz .LBB78_394
; %bb.367:                              ;   in Loop: Header=BB78_15 Depth=1
	ds_read_b32 v1, v15 offset:4096
	s_waitcnt lgkmcnt(0)
	s_barrier
	v_readfirstlane_b32 s31, v1
	s_mov_b64 s[2:3], exec
	v_readlane_b32 s8, v47, 22
	v_readlane_b32 s9, v47, 23
	s_and_b64 s[8:9], s[2:3], s[8:9]
	s_mov_b64 exec, s[8:9]
; %bb.368:                              ;   in Loop: Header=BB78_15 Depth=1
	v_mov_b32_e32 v14, v15
	ds_write_b64 v32, v[14:15]
; %bb.369:                              ;   in Loop: Header=BB78_15 Depth=1
	s_or_b64 exec, exec, s[2:3]
	v_and_b32_e32 v19, s77, v19
	v_and_b32_e32 v18, s76, v18
	v_or_b32_e32 v21, s23, v21
	v_or_b32_e32 v20, s22, v20
	s_mov_b64 s[48:49], -1
	s_mov_b64 s[50:51], 0
	s_cmp_eq_u32 s31, 0
	s_mov_b64 s[2:3], 0
	s_mov_b64 s[8:9], -1
	s_waitcnt lgkmcnt(0)
	s_barrier
                                        ; implicit-def: $vgpr5_vgpr6
	s_cbranch_scc1 .LBB78_381
; %bb.370:                              ;   in Loop: Header=BB78_15 Depth=1
	v_readlane_b32 s2, v47, 24
	s_add_i32 s2, s31, s2
	v_readlane_b32 s3, v47, 37
	s_mul_hi_u32 s3, s2, s3
	s_mul_i32 s3, s3, s33
	s_sub_i32 s3, s2, s3
	s_sub_i32 s8, s3, s33
	s_cmp_ge_u32 s3, s33
	s_cselect_b32 s3, s8, s3
	s_sub_i32 s8, s3, s33
	s_cmp_ge_u32 s3, s33
	s_cselect_b32 s3, s8, s3
	s_sub_i32 s42, s2, s3
	v_cmp_gt_u32_e32 vcc, s42, v0
	s_mov_b64 s[8:9], 0
	s_mov_b64 s[2:3], 0
                                        ; implicit-def: $vgpr5_vgpr6
	s_and_saveexec_b64 s[16:17], vcc
	s_cbranch_execz .LBB78_380
; %bb.371:                              ;   in Loop: Header=BB78_15 Depth=1
	v_mov_b32_e32 v7, v31
	v_mov_b32_e32 v9, v0
                                        ; implicit-def: $sgpr44_sgpr45
	s_branch .LBB78_375
.LBB78_372:                             ;   in Loop: Header=BB78_375 Depth=2
	s_or_b64 exec, exec, s[24:25]
	s_waitcnt lgkmcnt(0)
	s_barrier
	ds_read_b128 v[3:6], v15 offset:3072
	s_waitcnt lgkmcnt(0)
	s_barrier
	v_cmp_neq_f64_e32 vcc, 0, v[3:4]
	s_cbranch_vccnz .LBB78_378
; %bb.373:                              ;   in Loop: Header=BB78_375 Depth=2
	v_add_u32_e32 v9, s33, v9
	v_cmp_le_u32_e32 vcc, s42, v9
	v_add_u32_e32 v7, s4, v7
	s_mov_b64 s[24:25], 0
	s_orn2_b64 vcc, vcc, exec
.LBB78_374:                             ;   in Loop: Header=BB78_375 Depth=2
	s_and_b64 vcc, exec, vcc
	s_or_b64 s[2:3], vcc, s[2:3]
	s_andn2_b64 s[44:45], s[44:45], exec
	s_and_b64 s[24:25], s[24:25], exec
	s_or_b64 s[44:45], s[44:45], s[24:25]
	s_andn2_b64 exec, exec, s[2:3]
	s_cbranch_execz .LBB78_379
.LBB78_375:                             ;   Parent Loop BB78_15 Depth=1
                                        ; =>  This Inner Loop Header: Depth=2
	v_cmp_gt_u32_e32 vcc, s31, v9
	s_and_saveexec_b64 s[24:25], vcc
	s_cbranch_execz .LBB78_372
; %bb.376:                              ;   in Loop: Header=BB78_375 Depth=2
	ds_read_b64 v[3:4], v7
	s_waitcnt lgkmcnt(0)
	v_cmp_o_f64_e32 vcc, v[3:4], v[3:4]
	v_ashrrev_i32_e32 v1, 31, v4
	v_or_b32_e32 v5, 0x80000000, v1
	v_xor_b32_e32 v5, v5, v4
	v_xor_b32_e32 v1, v1, v3
	v_cndmask_b32_e32 v5, -1, v5, vcc
	v_cndmask_b32_e32 v1, -1, v1, vcc
	v_and_b32_e32 v6, v5, v21
	v_and_b32_e32 v5, v1, v20
	v_cmp_eq_u64_e32 vcc, v[5:6], v[18:19]
	s_and_b64 exec, exec, vcc
	s_cbranch_execz .LBB78_372
; %bb.377:                              ;   in Loop: Header=BB78_375 Depth=2
	v_mov_b32_e32 v1, v15
	ds_write_b128 v15, v[1:4] offset:3072
	s_branch .LBB78_372
.LBB78_378:                             ;   in Loop: Header=BB78_375 Depth=2
	s_mov_b64 vcc, -1
                                        ; implicit-def: $vgpr9
                                        ; implicit-def: $vgpr7
	s_mov_b64 s[24:25], -1
	s_branch .LBB78_374
.LBB78_379:                             ;   in Loop: Header=BB78_15 Depth=1
	s_or_b64 exec, exec, s[2:3]
	s_and_b64 s[2:3], s[44:45], exec
.LBB78_380:                             ;   in Loop: Header=BB78_15 Depth=1
	s_or_b64 exec, exec, s[16:17]
.LBB78_381:                             ;   in Loop: Header=BB78_15 Depth=1
	s_and_b64 vcc, exec, s[8:9]
	s_cbranch_vccz .LBB78_393
; %bb.382:                              ;   in Loop: Header=BB78_15 Depth=1
                                        ; implicit-def: $vgpr5_vgpr6
	s_mov_b64 s[8:9], exec
	v_readlane_b32 s16, v47, 38
	v_readlane_b32 s17, v47, 39
	s_and_b64 s[16:17], s[8:9], s[16:17]
	s_mov_b64 exec, s[16:17]
	s_cbranch_execz .LBB78_392
; %bb.383:                              ;   in Loop: Header=BB78_15 Depth=1
	s_mov_b64 s[16:17], 0
	v_mov_b32_e32 v14, v13
	v_mov_b32_e32 v7, v0
                                        ; implicit-def: $sgpr44_sgpr45
	s_branch .LBB78_387
.LBB78_384:                             ;   in Loop: Header=BB78_387 Depth=2
	s_or_b64 exec, exec, s[48:49]
	s_waitcnt lgkmcnt(0)
	s_barrier
	ds_read_b128 v[3:6], v15 offset:3072
	s_waitcnt lgkmcnt(0)
	s_barrier
	v_cmp_eq_f64_e32 vcc, 0, v[3:4]
	s_cbranch_vccz .LBB78_390
; %bb.385:                              ;   in Loop: Header=BB78_387 Depth=2
	v_add_u32_e32 v7, s33, v7
	v_cmp_le_u32_e32 vcc, s12, v7
	v_add_u32_e32 v14, s46, v14
	s_mov_b64 s[24:25], 0
	s_orn2_b64 s[48:49], vcc, exec
.LBB78_386:                             ;   in Loop: Header=BB78_387 Depth=2
	s_and_b64 s[42:43], exec, s[48:49]
	s_or_b64 s[16:17], s[42:43], s[16:17]
	s_andn2_b64 s[42:43], s[44:45], exec
	s_and_b64 s[24:25], s[24:25], exec
	s_or_b64 s[44:45], s[42:43], s[24:25]
	s_andn2_b64 exec, exec, s[16:17]
	s_cbranch_execz .LBB78_391
.LBB78_387:                             ;   Parent Loop BB78_15 Depth=1
                                        ; =>  This Inner Loop Header: Depth=2
	v_cmp_gt_u32_e32 vcc, s28, v7
	s_and_saveexec_b64 s[48:49], vcc
	s_cbranch_execz .LBB78_384
; %bb.388:                              ;   in Loop: Header=BB78_387 Depth=2
	v_lshlrev_b64 v[3:4], 3, v[14:15]
	v_mov_b32_e32 v1, s40
	v_add_co_u32_e32 v3, vcc, s34, v3
	v_addc_co_u32_e32 v4, vcc, v1, v4, vcc
	global_load_dwordx2 v[3:4], v[3:4], off
	s_waitcnt vmcnt(0)
	v_cmp_o_f64_e32 vcc, v[3:4], v[3:4]
	v_ashrrev_i32_e32 v1, 31, v4
	v_or_b32_e32 v5, 0x80000000, v1
	v_xor_b32_e32 v5, v5, v4
	v_xor_b32_e32 v1, v1, v3
	v_cndmask_b32_e32 v5, -1, v5, vcc
	v_cndmask_b32_e32 v1, -1, v1, vcc
	v_and_b32_e32 v6, v5, v21
	v_and_b32_e32 v5, v1, v20
	v_cmp_eq_u64_e32 vcc, v[5:6], v[18:19]
	s_and_b64 exec, exec, vcc
	s_cbranch_execz .LBB78_384
; %bb.389:                              ;   in Loop: Header=BB78_387 Depth=2
	v_mov_b32_e32 v1, v15
	ds_write_b128 v15, v[1:4] offset:3072
	s_branch .LBB78_384
.LBB78_390:                             ;   in Loop: Header=BB78_387 Depth=2
	s_mov_b64 s[48:49], -1
                                        ; implicit-def: $vgpr7
	s_mov_b64 s[24:25], -1
	s_branch .LBB78_386
.LBB78_391:                             ;   in Loop: Header=BB78_15 Depth=1
	s_or_b64 exec, exec, s[16:17]
	s_andn2_b64 s[2:3], s[2:3], exec
	s_and_b64 s[16:17], s[44:45], exec
	s_or_b64 s[2:3], s[2:3], s[16:17]
.LBB78_392:                             ;   in Loop: Header=BB78_15 Depth=1
	s_or_b64 exec, exec, s[8:9]
	s_mov_b64 s[48:49], 0
	s_mov_b64 s[50:51], -1
.LBB78_393:                             ;   in Loop: Header=BB78_15 Depth=1
	s_orn2_b64 s[8:9], s[2:3], exec
.LBB78_394:                             ;   in Loop: Header=BB78_15 Depth=1
	s_or_b64 exec, exec, s[52:53]
	s_mov_b64 s[16:17], 0
	s_and_saveexec_b64 s[2:3], s[8:9]
	s_cbranch_execz .LBB78_405
; %bb.395:                              ;   in Loop: Header=BB78_15 Depth=1
	v_readlane_b32 s8, v47, 40
	v_readlane_b32 s9, v47, 41
	s_xor_b64 s[16:17], s[8:9], -1
	v_mov_b32_e32 v43, 1
	v_mov_b32_e32 v1, 1
	s_and_saveexec_b64 s[8:9], s[16:17]
	s_cbranch_execz .LBB78_404
; %bb.396:                              ;   in Loop: Header=BB78_15 Depth=1
	v_cmp_ge_u32_e32 vcc, s30, v8
	s_and_saveexec_b64 s[16:17], vcc
	s_xor_b64 s[16:17], exec, s[16:17]
	s_cbranch_execz .LBB78_401
; %bb.397:                              ;   in Loop: Header=BB78_15 Depth=1
	ds_read_b32 v1, v15 offset:4096
	v_and_b32_e32 v19, s77, v19
	v_and_b32_e32 v18, s76, v18
	v_or_b32_e32 v21, s23, v21
	v_or_b32_e32 v20, s22, v20
	s_waitcnt lgkmcnt(0)
	v_cmp_ne_u32_e32 vcc, 0, v1
	s_cbranch_vccnz .LBB78_401
; %bb.398:                              ;   in Loop: Header=BB78_15 Depth=1
	s_mov_b64 s[22:23], exec
	v_readlane_b32 s24, v47, 6
	v_readlane_b32 s25, v47, 7
	s_and_b64 s[24:25], s[22:23], s[24:25]
	s_mov_b64 exec, s[24:25]
; %bb.399:                              ;   in Loop: Header=BB78_15 Depth=1
	v_mov_b32_e32 v1, s30
	ds_write_b32 v15, v1 offset:4100
; %bb.400:                              ;   in Loop: Header=BB78_15 Depth=1
	s_or_b64 exec, exec, s[22:23]
	s_waitcnt lgkmcnt(0)
	s_barrier
.LBB78_401:                             ;   in Loop: Header=BB78_15 Depth=1
	s_andn2_saveexec_b64 s[16:17], s[16:17]
; %bb.402:                              ;   in Loop: Header=BB78_15 Depth=1
	v_subrev_u32_e32 v8, s30, v8
; %bb.403:                              ;   in Loop: Header=BB78_15 Depth=1
	s_or_b64 exec, exec, s[16:17]
	v_mov_b32_e32 v43, 5
	v_mov_b32_e32 v1, v8
.LBB78_404:                             ;   in Loop: Header=BB78_15 Depth=1
	s_or_b64 exec, exec, s[8:9]
	s_mov_b64 s[16:17], exec
	v_mov_b32_e32 v8, v1
.LBB78_405:                             ;   in Loop: Header=BB78_15 Depth=1
	s_or_b64 exec, exec, s[2:3]
	s_orn2_b64 s[2:3], s[16:17], exec
.LBB78_406:                             ;   in Loop: Header=BB78_15 Depth=1
	s_or_b64 exec, exec, s[38:39]
	s_andn2_b64 s[8:9], s[94:95], exec
	s_and_b64 s[16:17], s[50:51], exec
	s_or_b64 s[94:95], s[8:9], s[16:17]
	s_andn2_b64 s[8:9], s[92:93], exec
	s_and_b64 s[16:17], s[48:49], exec
	s_or_b64 s[92:93], s[8:9], s[16:17]
	s_and_b64 s[8:9], s[2:3], exec
	v_mov_b32_e32 v7, v8
.LBB78_407:                             ;   in Loop: Header=BB78_15 Depth=1
	s_or_b64 exec, exec, s[36:37]
	s_orn2_b64 s[2:3], s[8:9], exec
.LBB78_408:                             ;   in Loop: Header=BB78_15 Depth=1
	s_or_b64 exec, exec, s[90:91]
	s_andn2_b64 s[8:9], s[86:87], exec
	s_and_b64 s[16:17], s[94:95], exec
	s_or_b64 s[86:87], s[8:9], s[16:17]
	s_andn2_b64 s[8:9], s[84:85], exec
	s_and_b64 s[16:17], s[92:93], exec
	s_or_b64 s[84:85], s[8:9], s[16:17]
	s_and_b64 s[8:9], s[2:3], exec
	v_mov_b32_e32 v44, v7
.LBB78_409:                             ;   in Loop: Header=BB78_15 Depth=1
	s_or_b64 exec, exec, s[88:89]
	s_orn2_b64 s[2:3], s[8:9], exec
.LBB78_410:                             ;   in Loop: Header=BB78_15 Depth=1
	s_or_b64 exec, exec, s[6:7]
	s_mov_b64 s[6:7], s[80:81]
	s_mov_b64 s[8:9], s[78:79]
	s_and_saveexec_b64 s[16:17], s[2:3]
; %bb.411:                              ;   in Loop: Header=BB78_15 Depth=1
	v_cmp_ne_u32_e64 s[6:7], 5, v43
	v_cmp_eq_u32_e32 vcc, 5, v43
	s_andn2_b64 s[2:3], s[78:79], exec
	s_and_b64 s[6:7], s[6:7], exec
	s_or_b64 s[8:9], s[2:3], s[6:7]
	s_andn2_b64 s[2:3], s[80:81], exec
	s_and_b64 s[6:7], vcc, exec
	s_or_b64 s[6:7], s[2:3], s[6:7]
; %bb.412:                              ;   in Loop: Header=BB78_15 Depth=1
	s_or_b64 exec, exec, s[16:17]
	s_andn2_b64 s[2:3], s[18:19], exec
	s_and_b64 s[16:17], s[86:87], exec
	s_or_b64 s[18:19], s[2:3], s[16:17]
	s_andn2_b64 s[2:3], s[20:21], exec
	s_and_b64 s[16:17], s[84:85], exec
	s_or_b64 s[20:21], s[2:3], s[16:17]
	;; [unrolled: 3-line block ×4, first 2 shown]
.LBB78_413:                             ;   in Loop: Header=BB78_15 Depth=1
	s_or_b64 exec, exec, s[82:83]
	s_mov_b64 s[82:83], 0
	s_mov_b64 s[84:85], 0
	s_and_saveexec_b64 s[2:3], s[80:81]
.LBB78_414:                             ;   in Loop: Header=BB78_15 Depth=1
	v_mov_b32_e32 v43, 0
	s_or_b64 s[78:79], s[78:79], exec
.LBB78_415:                             ;   in Loop: Header=BB78_15 Depth=1
	s_or_b64 exec, exec, s[2:3]
	s_andn2_b64 s[2:3], s[72:73], exec
	s_and_b64 s[8:9], s[18:19], exec
	s_or_b64 s[72:73], s[2:3], s[8:9]
	s_andn2_b64 s[2:3], s[70:71], exec
	s_and_b64 s[8:9], s[20:21], exec
	s_or_b64 s[70:71], s[2:3], s[8:9]
	;; [unrolled: 3-line block ×3, first 2 shown]
	s_andn2_b64 s[2:3], s[66:67], exec
	s_and_b64 s[8:9], s[82:83], exec
	s_mov_b64 s[6:7], -1
	s_andn2_b64 s[74:75], s[74:75], exec
	s_or_b64 s[66:67], s[2:3], s[8:9]
	v_mov_b32_e32 v42, v44
	s_and_saveexec_b64 s[2:3], s[78:79]
	s_xor_b64 s[2:3], exec, s[2:3]
	s_cbranch_execz .LBB78_14
; %bb.416:                              ;   in Loop: Header=BB78_15 Depth=1
	v_cmp_eq_u32_e32 vcc, 0, v43
	s_mov_b64 s[8:9], -1
	s_and_saveexec_b64 s[16:17], vcc
	s_cbranch_execz .LBB78_13
; %bb.417:                              ;   in Loop: Header=BB78_15 Depth=1
	s_xor_b32 s41, s41, 1
	s_add_i32 s18, s5, -2
	s_cmp_eq_u32 s5, 0
	s_cselect_b64 s[6:7], -1, 0
	s_xor_b64 s[8:9], exec, -1
	s_orn2_b64 s[6:7], s[6:7], exec
	s_mov_b32 s5, s18
	s_branch .LBB78_13
.LBB78_418:
	s_or_b64 exec, exec, s[54:55]
	s_xor_b64 s[6:7], s[64:65], -1
	s_xor_b64 s[14:15], s[62:63], -1
	;; [unrolled: 1-line block ×5, first 2 shown]
	s_mov_b64 s[8:9], 0
	s_and_saveexec_b64 s[10:11], s[4:5]
	s_xor_b64 s[10:11], exec, s[10:11]
	s_cbranch_execnz .LBB78_423
; %bb.419:
	s_andn2_saveexec_b64 s[0:1], s[10:11]
	s_cbranch_execnz .LBB78_442
.LBB78_420:
	s_or_b64 exec, exec, s[0:1]
	s_and_saveexec_b64 s[0:1], s[8:9]
.LBB78_421:
	; divergent unreachable
.LBB78_422:
	s_endpgm
.LBB78_423:
	s_and_saveexec_b64 s[4:5], s[12:13]
	s_xor_b64 s[12:13], exec, s[4:5]
	s_cbranch_execz .LBB78_440
; %bb.424:
	s_and_saveexec_b64 s[4:5], s[14:15]
	s_xor_b64 s[14:15], exec, s[4:5]
	s_cbranch_execz .LBB78_438
; %bb.425:
	;; [unrolled: 4-line block ×3, first 2 shown]
	s_and_saveexec_b64 s[4:5], s[2:3]
	s_xor_b64 s[2:3], exec, s[4:5]
; %bb.427:
	v_lshrrev_b32_e32 v1, 31, v19
	v_add_co_u32_e32 v1, vcc, -1, v1
	v_addc_co_u32_e64 v2, s[4:5], 0, -1, vcc
	v_or_b32_e32 v2, 0x80000000, v2
	v_xor_b32_e32 v6, v2, v19
	v_xor_b32_e32 v5, v1, v18
; %bb.428:
	s_or_b64 exec, exec, s[2:3]
	s_mov_b64 s[2:3], exec
	v_readlane_b32 s4, v47, 6
	v_readlane_b32 s5, v47, 7
	;; [unrolled: 1-line block ×4, first 2 shown]
	s_and_b64 s[4:5], s[2:3], s[4:5]
	v_readlane_b32 s7, v47, 17
	v_readlane_b32 s45, v47, 9
	s_mov_b64 exec, s[4:5]
; %bb.429:
	v_mov_b32_e32 v1, 0
	ds_write_b32 v1, v1 offset:4108
; %bb.430:
	s_or_b64 exec, exec, s[2:3]
	v_mov_b32_e32 v7, 0
	v_mov_b32_e32 v8, 0
	s_waitcnt lgkmcnt(0)
	s_barrier
	s_mov_b64 s[2:3], exec
	v_readlane_b32 s4, v47, 18
	v_readlane_b32 s5, v47, 19
	s_and_b64 s[4:5], s[2:3], s[4:5]
	s_mov_b64 exec, s[4:5]
	s_cbranch_execz .LBB78_432
; %bb.431:
	global_load_dwordx2 v[7:8], v[11:12], off
.LBB78_432:
	s_or_b64 exec, exec, s[2:3]
	s_load_dword s3, s[6:7], 0x23c
	v_cmp_o_f64_e32 vcc, v[5:6], v[5:6]
	v_readlane_b32 s2, v47, 1
	s_mul_i32 s2, s2, s26
	s_add_i32 s36, s28, 63
	s_waitcnt lgkmcnt(0)
	s_mul_i32 s3, s3, s47
	s_add_i32 s2, s2, s27
	s_add_i32 s4, s3, s35
	s_mov_b32 s3, 0
	s_andn2_b32 s36, s36, 63
	s_load_dword s37, s[6:7], 0x2a8
	s_load_dword s38, s[6:7], 0x1c8
	s_lshl_b64 s[6:7], s[2:3], 3
	v_readlane_b32 s8, v47, 2
	v_ashrrev_i32_e32 v1, 31, v6
	v_readlane_b32 s9, v47, 3
	s_add_u32 s35, s8, s6
	s_mov_b32 s5, s3
	v_or_b32_e32 v2, 0x80000000, v1
	s_addc_u32 s39, s9, s7
	s_lshl_b64 s[2:3], s[4:5], 3
	v_readlane_b32 s4, v47, 4
	v_xor_b32_e32 v2, v2, v6
	v_xor_b32_e32 v1, v1, v5
	v_readlane_b32 s5, v47, 5
	s_add_u32 s41, s4, s2
	v_cndmask_b32_e32 v3, -1, v2, vcc
	v_cndmask_b32_e32 v2, -1, v1, vcc
	s_addc_u32 s42, s5, s3
	v_cmp_gt_u32_e32 vcc, s36, v0
	s_mov_b64 s[18:19], -1
	s_mov_b64 s[2:3], 0
	s_mov_b64 s[4:5], 0
	s_and_saveexec_b64 s[8:9], vcc
	s_cbranch_execnz .LBB78_443
; %bb.433:
	s_or_b64 exec, exec, s[8:9]
	s_and_saveexec_b64 s[6:7], s[18:19]
	s_cbranch_execnz .LBB78_460
.LBB78_434:
	s_or_b64 exec, exec, s[6:7]
	s_and_saveexec_b64 s[0:1], s[4:5]
	s_xor_b64 s[0:1], exec, s[0:1]
	s_cbranch_execnz .LBB78_485
.LBB78_435:
	s_or_b64 exec, exec, s[0:1]
	s_and_b64 s[8:9], s[2:3], exec
.LBB78_436:
	s_andn2_saveexec_b64 s[0:1], s[16:17]
	s_cbranch_execnz .LBB78_487
.LBB78_437:
	s_or_b64 exec, exec, s[0:1]
	s_and_b64 s[8:9], s[8:9], exec
.LBB78_438:
	s_andn2_saveexec_b64 s[0:1], s[14:15]
	s_cbranch_execnz .LBB78_486
.LBB78_439:
	s_or_b64 exec, exec, s[0:1]
	s_and_b64 s[8:9], s[8:9], exec
.LBB78_440:
	s_andn2_saveexec_b64 s[0:1], s[12:13]
	s_cbranch_execnz .LBB78_481
.LBB78_441:
	s_or_b64 exec, exec, s[0:1]
	s_and_b64 s[8:9], s[8:9], exec
	s_andn2_saveexec_b64 s[0:1], s[10:11]
	s_cbranch_execz .LBB78_420
.LBB78_442:
	s_or_b64 s[8:9], s[8:9], exec
	s_trap 2
	s_or_b64 exec, exec, s[0:1]
	s_and_saveexec_b64 s[0:1], s[8:9]
	s_cbranch_execnz .LBB78_421
	s_branch .LBB78_422
.LBB78_443:
	v_add_u32_e32 v1, s33, v0
	v_readlane_b32 s4, v47, 0
	v_mul_lo_u32 v4, s4, v1
	s_mov_b64 s[18:19], 0
	v_mov_b32_e32 v5, 0
	v_mov_b32_e32 v6, v0
                                        ; implicit-def: $sgpr20_sgpr21
                                        ; implicit-def: $vgpr13
	s_branch .LBB78_445
.LBB78_444:                             ;   in Loop: Header=BB78_445 Depth=1
	s_or_b64 exec, exec, s[24:25]
	s_xor_b64 s[4:5], s[22:23], -1
	s_and_b64 s[6:7], exec, s[6:7]
	s_or_b64 s[18:19], s[6:7], s[18:19]
	s_andn2_b64 s[6:7], s[20:21], exec
	s_and_b64 s[4:5], s[4:5], exec
	s_waitcnt vmcnt(0)
	v_mov_b32_e32 v7, v9
	s_or_b64 s[20:21], s[6:7], s[4:5]
	v_mov_b32_e32 v8, v10
	v_mov_b32_e32 v6, v1
	s_andn2_b64 exec, exec, s[18:19]
	s_cbranch_execz .LBB78_459
.LBB78_445:                             ; =>This Inner Loop Header: Depth=1
	v_add_u32_e32 v1, s33, v6
	v_mov_b32_e32 v9, 0
	v_mov_b32_e32 v10, 0
	v_cmp_gt_u32_e64 s[4:5], s28, v1
	s_and_saveexec_b64 s[6:7], s[4:5]
	s_cbranch_execz .LBB78_447
; %bb.446:                              ;   in Loop: Header=BB78_445 Depth=1
	v_lshlrev_b64 v[9:10], 3, v[4:5]
	v_mov_b32_e32 v14, s40
	v_add_co_u32_e64 v9, s[4:5], s34, v9
	v_addc_co_u32_e64 v10, s[4:5], v14, v10, s[4:5]
	global_load_dwordx2 v[9:10], v[9:10], off
.LBB78_447:                             ;   in Loop: Header=BB78_445 Depth=1
	s_or_b64 exec, exec, s[6:7]
	v_cmp_gt_u32_e64 s[4:5], s28, v6
	s_mov_b64 s[22:23], 0
	s_and_saveexec_b64 s[6:7], s[4:5]
	s_cbranch_execz .LBB78_449
; %bb.448:                              ;   in Loop: Header=BB78_445 Depth=1
	s_waitcnt vmcnt(0)
	v_cmp_o_f64_e64 s[4:5], v[7:8], v[7:8]
	v_ashrrev_i32_e32 v14, 31, v8
	v_or_b32_e32 v15, 0x80000000, v14
	v_xor_b32_e32 v15, v15, v8
	v_xor_b32_e32 v14, v14, v7
	v_cndmask_b32_e64 v15, -1, v15, s[4:5]
	v_cndmask_b32_e64 v14, -1, v14, s[4:5]
	v_cmp_gt_u64_e64 s[4:5], v[14:15], v[2:3]
	v_cndmask_b32_e64 v16, 0, 1, s[4:5]
	v_cmp_lt_u64_e64 s[4:5], v[14:15], v[2:3]
	v_cndmask_b32_e64 v14, 0, 1, s[4:5]
	v_cndmask_b32_e64 v14, v14, v16, s[44:45]
	v_and_b32_e32 v14, 1, v14
	v_cmp_eq_u32_e64 s[4:5], 1, v14
	s_and_b64 s[22:23], s[4:5], exec
.LBB78_449:                             ;   in Loop: Header=BB78_445 Depth=1
	s_or_b64 exec, exec, s[6:7]
	v_cndmask_b32_e64 v14, 0, 1, s[22:23]
	v_cmp_ne_u32_e64 s[4:5], 0, v14
	s_cmp_lg_u64 s[4:5], 0
	s_cselect_b64 s[6:7], -1, 0
	s_and_b64 s[6:7], s[0:1], s[6:7]
	s_and_saveexec_b64 s[24:25], s[6:7]
	s_cbranch_execz .LBB78_453
; %bb.450:                              ;   in Loop: Header=BB78_445 Depth=1
	s_mov_b64 s[30:31], exec
	s_waitcnt lgkmcnt(0)
	v_mbcnt_lo_u32_b32 v13, s30, 0
	v_mbcnt_hi_u32_b32 v13, s31, v13
	s_bcnt1_i32_b64 s43, s[4:5]
	v_cmp_eq_u32_e64 s[6:7], 0, v13
                                        ; implicit-def: $vgpr14
	s_and_saveexec_b64 s[26:27], s[6:7]
; %bb.451:                              ;   in Loop: Header=BB78_445 Depth=1
	s_bcnt1_i32_b64 s6, s[30:31]
	s_mul_i32 s6, s43, s6
	v_mov_b32_e32 v14, s6
	ds_add_rtn_u32 v14, v5, v14 offset:4108
; %bb.452:                              ;   in Loop: Header=BB78_445 Depth=1
	s_or_b64 exec, exec, s[26:27]
	s_waitcnt lgkmcnt(0)
	v_readfirstlane_b32 s6, v14
	v_mov_b32_e32 v14, s6
	v_mad_u32_u24 v13, s43, v13, v14
.LBB78_453:                             ;   in Loop: Header=BB78_445 Depth=1
	s_or_b64 exec, exec, s[24:25]
	s_waitcnt lgkmcnt(0)
	ds_bpermute_b32 v13, v26, v13
	s_mov_b64 s[6:7], -1
	s_mov_b64 s[26:27], -1
	s_and_saveexec_b64 s[24:25], s[22:23]
	s_cbranch_execz .LBB78_457
; %bb.454:                              ;   in Loop: Header=BB78_445 Depth=1
	v_and_b32_e32 v15, s4, v28
	v_and_b32_e32 v14, s5, v27
	v_bcnt_u32_b32 v15, v15, 0
	v_bcnt_u32_b32 v14, v14, v15
	s_waitcnt lgkmcnt(0)
	v_add_u32_e32 v14, v13, v14
	v_cmp_gt_u32_e64 s[4:5], s29, v14
	s_mov_b64 s[22:23], 0
	s_and_saveexec_b64 s[26:27], s[4:5]
	s_cbranch_execz .LBB78_456
; %bb.455:                              ;   in Loop: Header=BB78_445 Depth=1
	v_mul_lo_u32 v15, v14, s38
	v_mov_b32_e32 v16, v5
	v_mul_lo_u32 v14, v14, s37
	v_mov_b32_e32 v17, s39
	v_lshlrev_b64 v[15:16], 3, v[15:16]
	s_mov_b64 s[22:23], exec
	v_add_co_u32_e64 v15, s[4:5], s35, v15
	v_addc_co_u32_e64 v16, s[4:5], v17, v16, s[4:5]
	s_waitcnt vmcnt(0)
	global_store_dwordx2 v[15:16], v[7:8], off
	v_mov_b32_e32 v15, v5
	v_lshlrev_b64 v[14:15], 3, v[14:15]
	v_mov_b32_e32 v8, s42
	v_add_co_u32_e64 v14, s[4:5], s41, v14
	v_mov_b32_e32 v7, v5
	v_addc_co_u32_e64 v15, s[4:5], v8, v15, s[4:5]
	global_store_dwordx2 v[14:15], v[6:7], off
.LBB78_456:                             ;   in Loop: Header=BB78_445 Depth=1
	s_or_b64 exec, exec, s[26:27]
	s_orn2_b64 s[26:27], s[22:23], exec
.LBB78_457:                             ;   in Loop: Header=BB78_445 Depth=1
	s_or_b64 exec, exec, s[24:25]
	s_mov_b64 s[22:23], -1
	s_and_saveexec_b64 s[24:25], s[26:27]
	s_cbranch_execz .LBB78_444
; %bb.458:                              ;   in Loop: Header=BB78_445 Depth=1
	v_cmp_le_u32_e64 s[4:5], s36, v1
	v_add_u32_e32 v4, s46, v4
	s_xor_b64 s[22:23], exec, -1
	s_orn2_b64 s[6:7], s[4:5], exec
	s_branch .LBB78_444
.LBB78_459:
	s_or_b64 exec, exec, s[18:19]
	s_mov_b64 s[4:5], exec
	s_orn2_b64 s[18:19], s[20:21], exec
	s_or_b64 exec, exec, s[8:9]
	s_and_saveexec_b64 s[6:7], s[18:19]
	s_cbranch_execz .LBB78_434
.LBB78_460:
	s_waitcnt vmcnt(0)
	v_mov_b32_e32 v8, 0
	v_mov_b32_e32 v9, 0
	s_waitcnt lgkmcnt(0)
	s_barrier
	s_mov_b64 s[2:3], exec
	v_readlane_b32 s8, v47, 18
	v_readlane_b32 s9, v47, 19
	s_and_b64 s[8:9], s[2:3], s[8:9]
	s_mov_b64 exec, s[8:9]
	s_cbranch_execz .LBB78_462
; %bb.461:
	global_load_dwordx2 v[8:9], v[11:12], off
.LBB78_462:
	s_or_b64 exec, exec, s[2:3]
	s_mov_b64 s[2:3], 0
	s_and_saveexec_b64 s[8:9], vcc
	s_cbranch_execz .LBB78_484
; %bb.463:
	v_add_u32_e32 v1, s33, v0
	v_readlane_b32 s2, v47, 0
	v_mul_lo_u32 v4, s2, v1
	s_mov_b64 s[18:19], 0
	v_mov_b32_e32 v5, 0
                                        ; implicit-def: $sgpr20_sgpr21
                                        ; implicit-def: $vgpr11
	s_branch .LBB78_466
.LBB78_464:                             ;   in Loop: Header=BB78_466 Depth=1
	s_or_b64 exec, exec, s[24:25]
	s_orn2_b64 s[26:27], s[30:31], exec
	s_orn2_b64 s[24:25], s[22:23], exec
.LBB78_465:                             ;   in Loop: Header=BB78_466 Depth=1
	s_or_b64 exec, exec, s[2:3]
	s_xor_b64 s[2:3], s[26:27], -1
	s_and_b64 s[22:23], exec, s[24:25]
	s_or_b64 s[18:19], s[22:23], s[18:19]
	s_andn2_b64 s[20:21], s[20:21], exec
	s_and_b64 s[2:3], s[2:3], exec
	s_waitcnt vmcnt(0)
	v_mov_b32_e32 v9, v7
	s_or_b64 s[20:21], s[20:21], s[2:3]
	v_mov_b32_e32 v0, v10
	v_mov_b32_e32 v8, v6
	s_andn2_b64 exec, exec, s[18:19]
	s_cbranch_execz .LBB78_482
.LBB78_466:                             ; =>This Inner Loop Header: Depth=1
	v_add_u32_e32 v10, s33, v0
	v_mov_b32_e32 v6, 0
	v_mov_b32_e32 v7, 0
	v_cmp_gt_u32_e32 vcc, s28, v10
	s_and_saveexec_b64 s[2:3], vcc
	s_cbranch_execz .LBB78_468
; %bb.467:                              ;   in Loop: Header=BB78_466 Depth=1
	v_lshlrev_b64 v[6:7], 3, v[4:5]
	v_mov_b32_e32 v1, s40
	v_add_co_u32_e32 v6, vcc, s34, v6
	v_addc_co_u32_e32 v7, vcc, v1, v7, vcc
	global_load_dwordx2 v[6:7], v[6:7], off
.LBB78_468:                             ;   in Loop: Header=BB78_466 Depth=1
	s_or_b64 exec, exec, s[2:3]
	v_cmp_gt_u32_e32 vcc, s28, v0
	s_mov_b64 s[22:23], 0
	s_and_saveexec_b64 s[2:3], vcc
	s_cbranch_execz .LBB78_470
; %bb.469:                              ;   in Loop: Header=BB78_466 Depth=1
	s_waitcnt vmcnt(0)
	v_cmp_o_f64_e32 vcc, v[8:9], v[8:9]
	v_ashrrev_i32_e32 v1, 31, v9
	v_or_b32_e32 v12, 0x80000000, v1
	v_xor_b32_e32 v12, v12, v9
	v_xor_b32_e32 v1, v1, v8
	v_cndmask_b32_e32 v13, -1, v12, vcc
	v_cndmask_b32_e32 v12, -1, v1, vcc
	v_cmp_eq_u64_e32 vcc, v[12:13], v[2:3]
	s_and_b64 s[22:23], vcc, exec
.LBB78_470:                             ;   in Loop: Header=BB78_466 Depth=1
	s_or_b64 exec, exec, s[2:3]
	v_cndmask_b32_e64 v1, 0, 1, s[22:23]
	v_cmp_ne_u32_e32 vcc, 0, v1
	s_cmp_lg_u64 vcc, 0
	s_cselect_b64 s[2:3], -1, 0
	s_and_b64 s[2:3], s[0:1], s[2:3]
	s_and_saveexec_b64 s[24:25], s[2:3]
	s_cbranch_execz .LBB78_474
; %bb.471:                              ;   in Loop: Header=BB78_466 Depth=1
	s_mov_b64 s[30:31], exec
	v_mbcnt_lo_u32_b32 v1, s30, 0
	v_mbcnt_hi_u32_b32 v1, s31, v1
	s_bcnt1_i32_b64 s43, vcc
	v_cmp_eq_u32_e64 s[2:3], 0, v1
                                        ; implicit-def: $vgpr11
	s_and_saveexec_b64 s[26:27], s[2:3]
; %bb.472:                              ;   in Loop: Header=BB78_466 Depth=1
	s_bcnt1_i32_b64 s2, s[30:31]
	s_mul_i32 s2, s43, s2
	v_mov_b32_e32 v11, s2
	ds_add_rtn_u32 v11, v5, v11 offset:4108
; %bb.473:                              ;   in Loop: Header=BB78_466 Depth=1
	s_or_b64 exec, exec, s[26:27]
	s_waitcnt lgkmcnt(0)
	v_readfirstlane_b32 s2, v11
	v_mov_b32_e32 v11, s2
	v_mad_u32_u24 v11, s43, v1, v11
.LBB78_474:                             ;   in Loop: Header=BB78_466 Depth=1
	s_or_b64 exec, exec, s[24:25]
	ds_bpermute_b32 v11, v26, v11
	s_cmp_eq_u64 vcc, 0
	s_cselect_b64 s[26:27], -1, 0
	s_mov_b64 s[24:25], -1
	s_waitcnt lgkmcnt(0)
	v_cmp_gt_u32_e64 s[2:3], s29, v11
	s_or_b64 s[30:31], s[26:27], s[2:3]
	s_mov_b64 s[26:27], -1
	s_and_saveexec_b64 s[2:3], s[30:31]
	s_cbranch_execz .LBB78_465
; %bb.475:                              ;   in Loop: Header=BB78_466 Depth=1
	v_and_b32_e32 v12, vcc_lo, v28
	v_and_b32_e32 v1, vcc_hi, v27
	v_bcnt_u32_b32 v12, v12, 0
	v_bcnt_u32_b32 v1, v1, v12
	v_sub_u32_e32 v12, s29, v11
	v_cmp_gt_u32_e32 vcc, v12, v1
	s_and_b64 s[44:45], s[22:23], vcc
	s_mov_b64 s[22:23], -1
	s_mov_b64 s[30:31], -1
	s_and_saveexec_b64 s[24:25], s[44:45]
	s_cbranch_execz .LBB78_479
; %bb.476:                              ;   in Loop: Header=BB78_466 Depth=1
	v_add_u32_e32 v1, v11, v1
	v_cmp_gt_u32_e32 vcc, s29, v1
	s_mov_b64 s[26:27], 0
	s_and_saveexec_b64 s[30:31], vcc
	s_cbranch_execz .LBB78_478
; %bb.477:                              ;   in Loop: Header=BB78_466 Depth=1
	v_mul_lo_u32 v12, v1, s38
	v_mov_b32_e32 v13, v5
	v_mul_lo_u32 v14, v1, s37
	v_mov_b32_e32 v1, s39
	v_lshlrev_b64 v[12:13], 3, v[12:13]
	v_mov_b32_e32 v15, v5
	v_add_co_u32_e32 v12, vcc, s35, v12
	v_addc_co_u32_e32 v13, vcc, v1, v13, vcc
	s_waitcnt vmcnt(0)
	global_store_dwordx2 v[12:13], v[8:9], off
	v_lshlrev_b64 v[8:9], 3, v[14:15]
	v_mov_b32_e32 v12, s42
	v_add_co_u32_e32 v8, vcc, s41, v8
	s_mov_b64 s[26:27], exec
	v_mov_b32_e32 v1, v5
	v_addc_co_u32_e32 v9, vcc, v12, v9, vcc
	global_store_dwordx2 v[8:9], v[0:1], off
.LBB78_478:                             ;   in Loop: Header=BB78_466 Depth=1
	s_or_b64 exec, exec, s[30:31]
	s_xor_b64 s[30:31], exec, -1
	s_orn2_b64 s[26:27], s[26:27], exec
.LBB78_479:                             ;   in Loop: Header=BB78_466 Depth=1
	s_or_b64 exec, exec, s[24:25]
	s_and_saveexec_b64 s[24:25], s[26:27]
	s_cbranch_execz .LBB78_464
; %bb.480:                              ;   in Loop: Header=BB78_466 Depth=1
	v_cmp_le_u32_e32 vcc, s36, v10
	v_add_u32_e32 v4, s46, v4
	s_or_b64 s[30:31], s[30:31], exec
	s_orn2_b64 s[22:23], vcc, exec
	s_branch .LBB78_464
.LBB78_481:
	s_or_b64 s[8:9], s[8:9], exec
	s_trap 2
	s_branch .LBB78_441
.LBB78_482:
	s_or_b64 exec, exec, s[18:19]
	s_mov_b64 s[0:1], 0
	s_and_saveexec_b64 s[2:3], s[20:21]
	s_xor_b64 s[2:3], exec, s[2:3]
	s_cbranch_execnz .LBB78_488
.LBB78_483:
	s_or_b64 exec, exec, s[2:3]
	s_and_b64 s[2:3], s[0:1], exec
.LBB78_484:
	s_or_b64 exec, exec, s[8:9]
	s_and_b64 s[2:3], s[2:3], exec
	s_andn2_b64 s[4:5], s[4:5], exec
	s_or_b64 exec, exec, s[6:7]
	s_and_saveexec_b64 s[0:1], s[4:5]
	s_xor_b64 s[0:1], exec, s[0:1]
	s_cbranch_execz .LBB78_435
.LBB78_485:
	s_trap 2
	s_or_b64 s[2:3], s[2:3], exec
	s_branch .LBB78_435
.LBB78_486:
	s_or_b64 s[8:9], s[8:9], exec
	s_trap 2
	s_branch .LBB78_439
.LBB78_487:
	s_trap 2
	s_or_b64 s[8:9], s[8:9], exec
	s_branch .LBB78_437
.LBB78_488:
	s_mov_b64 s[0:1], exec
	s_trap 2
	s_branch .LBB78_483
	.section	.rodata,"a",@progbits
	.p2align	6, 0x0
	.amdhsa_kernel _ZN2at6native6sbtopk10gatherTopKIdjLin1ELb0EEEvNS_4cuda6detail10TensorInfoIKT_T0_EES8_S8_bS8_S8_NS5_IS6_S8_EES8_NS5_IlS8_EES8_PS6_
		.amdhsa_group_segment_fixed_size 4112
		.amdhsa_private_segment_fixed_size 0
		.amdhsa_kernarg_size 952
		.amdhsa_user_sgpr_count 6
		.amdhsa_user_sgpr_private_segment_buffer 1
		.amdhsa_user_sgpr_dispatch_ptr 0
		.amdhsa_user_sgpr_queue_ptr 0
		.amdhsa_user_sgpr_kernarg_segment_ptr 1
		.amdhsa_user_sgpr_dispatch_id 0
		.amdhsa_user_sgpr_flat_scratch_init 0
		.amdhsa_user_sgpr_private_segment_size 0
		.amdhsa_uses_dynamic_stack 0
		.amdhsa_system_sgpr_private_segment_wavefront_offset 0
		.amdhsa_system_sgpr_workgroup_id_x 1
		.amdhsa_system_sgpr_workgroup_id_y 1
		.amdhsa_system_sgpr_workgroup_id_z 1
		.amdhsa_system_sgpr_workgroup_info 0
		.amdhsa_system_vgpr_workitem_id 0
		.amdhsa_next_free_vgpr 48
		.amdhsa_next_free_sgpr 96
		.amdhsa_reserve_vcc 1
		.amdhsa_reserve_flat_scratch 0
		.amdhsa_float_round_mode_32 0
		.amdhsa_float_round_mode_16_64 0
		.amdhsa_float_denorm_mode_32 3
		.amdhsa_float_denorm_mode_16_64 3
		.amdhsa_dx10_clamp 1
		.amdhsa_ieee_mode 1
		.amdhsa_fp16_overflow 0
		.amdhsa_exception_fp_ieee_invalid_op 0
		.amdhsa_exception_fp_denorm_src 0
		.amdhsa_exception_fp_ieee_div_zero 0
		.amdhsa_exception_fp_ieee_overflow 0
		.amdhsa_exception_fp_ieee_underflow 0
		.amdhsa_exception_fp_ieee_inexact 0
		.amdhsa_exception_int_div_zero 0
	.end_amdhsa_kernel
	.section	.text._ZN2at6native6sbtopk10gatherTopKIdjLin1ELb0EEEvNS_4cuda6detail10TensorInfoIKT_T0_EES8_S8_bS8_S8_NS5_IS6_S8_EES8_NS5_IlS8_EES8_PS6_,"axG",@progbits,_ZN2at6native6sbtopk10gatherTopKIdjLin1ELb0EEEvNS_4cuda6detail10TensorInfoIKT_T0_EES8_S8_bS8_S8_NS5_IS6_S8_EES8_NS5_IlS8_EES8_PS6_,comdat
.Lfunc_end78:
	.size	_ZN2at6native6sbtopk10gatherTopKIdjLin1ELb0EEEvNS_4cuda6detail10TensorInfoIKT_T0_EES8_S8_bS8_S8_NS5_IS6_S8_EES8_NS5_IlS8_EES8_PS6_, .Lfunc_end78-_ZN2at6native6sbtopk10gatherTopKIdjLin1ELb0EEEvNS_4cuda6detail10TensorInfoIKT_T0_EES8_S8_bS8_S8_NS5_IS6_S8_EES8_NS5_IlS8_EES8_PS6_
                                        ; -- End function
	.set _ZN2at6native6sbtopk10gatherTopKIdjLin1ELb0EEEvNS_4cuda6detail10TensorInfoIKT_T0_EES8_S8_bS8_S8_NS5_IS6_S8_EES8_NS5_IlS8_EES8_PS6_.num_vgpr, 48
	.set _ZN2at6native6sbtopk10gatherTopKIdjLin1ELb0EEEvNS_4cuda6detail10TensorInfoIKT_T0_EES8_S8_bS8_S8_NS5_IS6_S8_EES8_NS5_IlS8_EES8_PS6_.num_agpr, 0
	.set _ZN2at6native6sbtopk10gatherTopKIdjLin1ELb0EEEvNS_4cuda6detail10TensorInfoIKT_T0_EES8_S8_bS8_S8_NS5_IS6_S8_EES8_NS5_IlS8_EES8_PS6_.numbered_sgpr, 96
	.set _ZN2at6native6sbtopk10gatherTopKIdjLin1ELb0EEEvNS_4cuda6detail10TensorInfoIKT_T0_EES8_S8_bS8_S8_NS5_IS6_S8_EES8_NS5_IlS8_EES8_PS6_.num_named_barrier, 0
	.set _ZN2at6native6sbtopk10gatherTopKIdjLin1ELb0EEEvNS_4cuda6detail10TensorInfoIKT_T0_EES8_S8_bS8_S8_NS5_IS6_S8_EES8_NS5_IlS8_EES8_PS6_.private_seg_size, 0
	.set _ZN2at6native6sbtopk10gatherTopKIdjLin1ELb0EEEvNS_4cuda6detail10TensorInfoIKT_T0_EES8_S8_bS8_S8_NS5_IS6_S8_EES8_NS5_IlS8_EES8_PS6_.uses_vcc, 1
	.set _ZN2at6native6sbtopk10gatherTopKIdjLin1ELb0EEEvNS_4cuda6detail10TensorInfoIKT_T0_EES8_S8_bS8_S8_NS5_IS6_S8_EES8_NS5_IlS8_EES8_PS6_.uses_flat_scratch, 0
	.set _ZN2at6native6sbtopk10gatherTopKIdjLin1ELb0EEEvNS_4cuda6detail10TensorInfoIKT_T0_EES8_S8_bS8_S8_NS5_IS6_S8_EES8_NS5_IlS8_EES8_PS6_.has_dyn_sized_stack, 0
	.set _ZN2at6native6sbtopk10gatherTopKIdjLin1ELb0EEEvNS_4cuda6detail10TensorInfoIKT_T0_EES8_S8_bS8_S8_NS5_IS6_S8_EES8_NS5_IlS8_EES8_PS6_.has_recursion, 0
	.set _ZN2at6native6sbtopk10gatherTopKIdjLin1ELb0EEEvNS_4cuda6detail10TensorInfoIKT_T0_EES8_S8_bS8_S8_NS5_IS6_S8_EES8_NS5_IlS8_EES8_PS6_.has_indirect_call, 0
	.section	.AMDGPU.csdata,"",@progbits
; Kernel info:
; codeLenInByte = 16292
; TotalNumSgprs: 100
; NumVgprs: 48
; ScratchSize: 0
; MemoryBound: 0
; FloatMode: 240
; IeeeMode: 1
; LDSByteSize: 4112 bytes/workgroup (compile time only)
; SGPRBlocks: 12
; VGPRBlocks: 11
; NumSGPRsForWavesPerEU: 100
; NumVGPRsForWavesPerEU: 48
; Occupancy: 5
; WaveLimiterHint : 1
; COMPUTE_PGM_RSRC2:SCRATCH_EN: 0
; COMPUTE_PGM_RSRC2:USER_SGPR: 6
; COMPUTE_PGM_RSRC2:TRAP_HANDLER: 0
; COMPUTE_PGM_RSRC2:TGID_X_EN: 1
; COMPUTE_PGM_RSRC2:TGID_Y_EN: 1
; COMPUTE_PGM_RSRC2:TGID_Z_EN: 1
; COMPUTE_PGM_RSRC2:TIDIG_COMP_CNT: 0
	.section	.text._ZN2at6native6mbtopk23computeBlockDigitCountsIfjjLi1EEEvNS_4cuda6detail10TensorInfoIKT_T0_EEjPjjS8_iijT1_PSB_Ps,"axG",@progbits,_ZN2at6native6mbtopk23computeBlockDigitCountsIfjjLi1EEEvNS_4cuda6detail10TensorInfoIKT_T0_EEjPjjS8_iijT1_PSB_Ps,comdat
	.protected	_ZN2at6native6mbtopk23computeBlockDigitCountsIfjjLi1EEEvNS_4cuda6detail10TensorInfoIKT_T0_EEjPjjS8_iijT1_PSB_Ps ; -- Begin function _ZN2at6native6mbtopk23computeBlockDigitCountsIfjjLi1EEEvNS_4cuda6detail10TensorInfoIKT_T0_EEjPjjS8_iijT1_PSB_Ps
	.globl	_ZN2at6native6mbtopk23computeBlockDigitCountsIfjjLi1EEEvNS_4cuda6detail10TensorInfoIKT_T0_EEjPjjS8_iijT1_PSB_Ps
	.p2align	8
	.type	_ZN2at6native6mbtopk23computeBlockDigitCountsIfjjLi1EEEvNS_4cuda6detail10TensorInfoIKT_T0_EEjPjjS8_iijT1_PSB_Ps,@function
_ZN2at6native6mbtopk23computeBlockDigitCountsIfjjLi1EEEvNS_4cuda6detail10TensorInfoIKT_T0_EEjPjjS8_iijT1_PSB_Ps: ; @_ZN2at6native6mbtopk23computeBlockDigitCountsIfjjLi1EEEvNS_4cuda6detail10TensorInfoIKT_T0_EEjPjjS8_iijT1_PSB_Ps
; %bb.0:
	s_load_dwordx2 s[10:11], s[4:5], 0xf8
	s_load_dwordx4 s[12:15], s[4:5], 0xe8
	s_load_dwordx2 s[0:1], s[4:5], 0x110
	s_waitcnt lgkmcnt(0)
	v_cvt_f32_u32_e32 v1, s10
	s_sub_i32 s2, 0, s10
	s_mul_i32 s1, s1, s8
	s_add_i32 s1, s1, s7
	v_rcp_iflag_f32_e32 v1, v1
	s_mul_i32 s16, s1, s0
	s_add_i32 s16, s16, s6
	s_mov_b32 s7, 0
	v_mul_f32_e32 v1, 0x4f7ffffe, v1
	v_cvt_u32_f32_e32 v1, v1
	v_readfirstlane_b32 s0, v1
	s_mul_i32 s2, s2, s0
	s_mul_hi_u32 s1, s0, s2
	s_add_i32 s0, s0, s1
	s_mul_hi_u32 s0, s16, s0
	s_mul_i32 s1, s0, s10
	s_sub_i32 s1, s16, s1
	s_add_i32 s2, s0, 1
	s_sub_i32 s3, s1, s10
	s_cmp_ge_u32 s1, s10
	s_cselect_b32 s0, s2, s0
	s_cselect_b32 s1, s3, s1
	s_add_i32 s2, s0, 1
	s_cmp_ge_u32 s1, s10
	s_cselect_b32 s6, s2, s0
	s_cmp_ge_u32 s6, s12
	s_cbranch_scc1 .LBB79_27
; %bb.1:
	s_load_dwordx4 s[0:3], s[4:5], 0x100
	s_lshl_b64 s[8:9], s[6:7], 2
	s_movk_i32 s7, 0x100
	v_cmp_gt_u32_e32 vcc, s7, v0
	v_lshlrev_b32_e32 v3, 2, v0
	s_waitcnt lgkmcnt(0)
	s_add_u32 s0, s0, s8
	s_addc_u32 s1, s1, s9
	s_and_saveexec_b64 s[8:9], vcc
; %bb.2:
	v_mov_b32_e32 v1, 0
	ds_write_b32 v3, v1
; %bb.3:
	s_or_b64 exec, exec, s[8:9]
	s_load_dword s8, s[4:5], 0xd8
	s_mul_i32 s7, s6, s10
	s_sub_i32 s7, s16, s7
	s_add_i32 s9, s7, 1
	s_mul_i32 s7, s15, s7
	s_lshl_b32 s17, s7, 8
	s_waitcnt lgkmcnt(0)
	s_sub_i32 s7, s8, s17
	s_add_u32 s18, s7, 0xff
	s_addc_u32 s19, 0, 0
	s_lshr_b64 s[18:19], s[18:19], 8
	s_cmp_lt_u32 s9, s10
	s_cselect_b32 s15, s15, s18
	s_cmp_lt_i32 s15, 1
	s_mov_b32 s7, 0
	s_barrier
	s_cbranch_scc1 .LBB79_25
; %bb.4:
	s_load_dword s10, s[4:5], 0x6c
	s_load_dwordx2 s[18:19], s[4:5], 0x0
	s_load_dword s9, s[0:1], 0x0
	s_waitcnt lgkmcnt(0)
	s_mul_i32 s6, s10, s6
	s_lshl_b64 s[0:1], s[6:7], 2
	s_add_u32 s6, s18, s0
	s_addc_u32 s10, s19, s1
	s_and_b32 s12, s14, 0xff
	s_cmp_lt_u32 s15, 4
	s_cbranch_scc1 .LBB79_19
; %bb.5:
	v_add_u32_e32 v1, s17, v0
	v_add_u32_e32 v2, 0x200, v1
	;; [unrolled: 1-line block ×3, first 2 shown]
	v_mul_lo_u32 v6, s13, v2
	v_add_u32_e32 v2, 0x100, v1
	v_mul_lo_u32 v5, s13, v4
	v_mul_lo_u32 v7, s13, v2
	v_mul_lo_u32 v8, s13, v1
	s_and_b32 s7, s15, 0x7ffffffc
	s_lshl_b32 s14, s13, 10
	s_mov_b32 s18, 0
	v_mov_b32_e32 v2, 0
	v_mov_b32_e32 v9, 1
	v_bfrev_b32_e32 v10, 1
	s_mov_b32 s19, 0
	s_branch .LBB79_7
.LBB79_6:                               ;   in Loop: Header=BB79_7 Depth=1
	s_or_b64 exec, exec, s[4:5]
	s_add_i32 s19, s19, 4
	s_add_i32 s18, s18, s14
	s_cmp_eq_u32 s7, s19
	v_add_u32_e32 v4, 0x400, v4
	s_cbranch_scc1 .LBB79_19
.LBB79_7:                               ; =>This Inner Loop Header: Depth=1
	v_add_u32_e32 v1, 0xfffffd00, v4
	v_cmp_gt_u32_e64 s[0:1], s8, v1
	s_and_saveexec_b64 s[4:5], s[0:1]
	s_cbranch_execz .LBB79_10
; %bb.8:                                ;   in Loop: Header=BB79_7 Depth=1
	v_add_u32_e32 v1, s18, v8
	v_lshlrev_b64 v[11:12], 2, v[1:2]
	v_mov_b32_e32 v1, s10
	v_add_co_u32_e64 v11, s[0:1], s6, v11
	v_addc_co_u32_e64 v12, s[0:1], v1, v12, s[0:1]
	global_load_dword v1, v[11:12], off
	s_waitcnt vmcnt(0)
	v_cmp_lt_i32_e64 s[0:1], -1, v1
	v_cndmask_b32_e64 v11, -1, v10, s[0:1]
	v_xor_b32_e32 v11, v11, v1
	v_cmp_o_f32_e64 s[0:1], v1, v1
	v_cndmask_b32_e64 v1, -1, v11, s[0:1]
	v_xor_b32_e32 v11, s9, v1
	v_and_b32_e32 v11, s11, v11
	v_cmp_eq_u32_e64 s[0:1], 0, v11
	s_and_b64 exec, exec, s[0:1]
; %bb.9:                                ;   in Loop: Header=BB79_7 Depth=1
	v_bfe_u32 v1, v1, s12, 8
	v_lshlrev_b32_e32 v1, 2, v1
	ds_add_u32 v1, v9
.LBB79_10:                              ;   in Loop: Header=BB79_7 Depth=1
	s_or_b64 exec, exec, s[4:5]
	v_add_u32_e32 v1, 0xfffffe00, v4
	v_cmp_gt_u32_e64 s[0:1], s8, v1
	s_and_saveexec_b64 s[4:5], s[0:1]
	s_cbranch_execz .LBB79_13
; %bb.11:                               ;   in Loop: Header=BB79_7 Depth=1
	v_add_u32_e32 v1, s18, v7
	v_lshlrev_b64 v[11:12], 2, v[1:2]
	v_mov_b32_e32 v1, s10
	v_add_co_u32_e64 v11, s[0:1], s6, v11
	v_addc_co_u32_e64 v12, s[0:1], v1, v12, s[0:1]
	global_load_dword v1, v[11:12], off
	s_waitcnt vmcnt(0)
	v_cmp_lt_i32_e64 s[0:1], -1, v1
	v_cndmask_b32_e64 v11, -1, v10, s[0:1]
	v_xor_b32_e32 v11, v11, v1
	v_cmp_o_f32_e64 s[0:1], v1, v1
	v_cndmask_b32_e64 v1, -1, v11, s[0:1]
	v_xor_b32_e32 v11, s9, v1
	v_and_b32_e32 v11, s11, v11
	v_cmp_eq_u32_e64 s[0:1], 0, v11
	s_and_b64 exec, exec, s[0:1]
; %bb.12:                               ;   in Loop: Header=BB79_7 Depth=1
	v_bfe_u32 v1, v1, s12, 8
	v_lshlrev_b32_e32 v1, 2, v1
	ds_add_u32 v1, v9
.LBB79_13:                              ;   in Loop: Header=BB79_7 Depth=1
	s_or_b64 exec, exec, s[4:5]
	v_add_u32_e32 v1, 0xffffff00, v4
	v_cmp_gt_u32_e64 s[0:1], s8, v1
	s_and_saveexec_b64 s[4:5], s[0:1]
	s_cbranch_execz .LBB79_16
; %bb.14:                               ;   in Loop: Header=BB79_7 Depth=1
	v_add_u32_e32 v1, s18, v6
	v_lshlrev_b64 v[11:12], 2, v[1:2]
	v_mov_b32_e32 v1, s10
	v_add_co_u32_e64 v11, s[0:1], s6, v11
	v_addc_co_u32_e64 v12, s[0:1], v1, v12, s[0:1]
	global_load_dword v1, v[11:12], off
	s_waitcnt vmcnt(0)
	v_cmp_lt_i32_e64 s[0:1], -1, v1
	v_cndmask_b32_e64 v11, -1, v10, s[0:1]
	v_xor_b32_e32 v11, v11, v1
	v_cmp_o_f32_e64 s[0:1], v1, v1
	v_cndmask_b32_e64 v1, -1, v11, s[0:1]
	v_xor_b32_e32 v11, s9, v1
	v_and_b32_e32 v11, s11, v11
	v_cmp_eq_u32_e64 s[0:1], 0, v11
	s_and_b64 exec, exec, s[0:1]
; %bb.15:                               ;   in Loop: Header=BB79_7 Depth=1
	v_bfe_u32 v1, v1, s12, 8
	v_lshlrev_b32_e32 v1, 2, v1
	ds_add_u32 v1, v9
.LBB79_16:                              ;   in Loop: Header=BB79_7 Depth=1
	s_or_b64 exec, exec, s[4:5]
	v_cmp_gt_u32_e64 s[0:1], s8, v4
	s_and_saveexec_b64 s[4:5], s[0:1]
	s_cbranch_execz .LBB79_6
; %bb.17:                               ;   in Loop: Header=BB79_7 Depth=1
	v_add_u32_e32 v1, s18, v5
	v_lshlrev_b64 v[11:12], 2, v[1:2]
	v_mov_b32_e32 v1, s10
	v_add_co_u32_e64 v11, s[0:1], s6, v11
	v_addc_co_u32_e64 v12, s[0:1], v1, v12, s[0:1]
	global_load_dword v1, v[11:12], off
	s_waitcnt vmcnt(0)
	v_cmp_lt_i32_e64 s[0:1], -1, v1
	v_cndmask_b32_e64 v11, -1, v10, s[0:1]
	v_xor_b32_e32 v11, v11, v1
	v_cmp_o_f32_e64 s[0:1], v1, v1
	v_cndmask_b32_e64 v1, -1, v11, s[0:1]
	v_xor_b32_e32 v11, s9, v1
	v_and_b32_e32 v11, s11, v11
	v_cmp_eq_u32_e64 s[0:1], 0, v11
	s_and_b64 exec, exec, s[0:1]
	s_cbranch_execz .LBB79_6
; %bb.18:                               ;   in Loop: Header=BB79_7 Depth=1
	v_bfe_u32 v1, v1, s12, 8
	v_lshlrev_b32_e32 v1, 2, v1
	ds_add_u32 v1, v9
	s_branch .LBB79_6
.LBB79_19:
	s_and_b32 s14, s15, 3
	s_cmp_eq_u32 s14, 0
	s_cbranch_scc1 .LBB79_25
; %bb.20:
	s_lshl_b32 s0, s7, 8
	s_add_i32 s0, s0, s17
	v_add_u32_e32 v4, s0, v0
	v_mul_lo_u32 v1, s13, v4
	s_lshl_b32 s7, s13, 8
	v_mov_b32_e32 v2, 0
	v_mov_b32_e32 v5, 1
	v_bfrev_b32_e32 v6, 1
	s_branch .LBB79_22
.LBB79_21:                              ;   in Loop: Header=BB79_22 Depth=1
	s_or_b64 exec, exec, s[4:5]
	s_add_i32 s14, s14, -1
	v_add_u32_e32 v1, s7, v1
	s_cmp_lg_u32 s14, 0
	v_add_u32_e32 v4, 0x100, v4
	s_cbranch_scc0 .LBB79_25
.LBB79_22:                              ; =>This Inner Loop Header: Depth=1
	v_cmp_gt_u32_e64 s[0:1], s8, v4
	s_and_saveexec_b64 s[4:5], s[0:1]
	s_cbranch_execz .LBB79_21
; %bb.23:                               ;   in Loop: Header=BB79_22 Depth=1
	v_lshlrev_b64 v[7:8], 2, v[1:2]
	v_mov_b32_e32 v9, s10
	v_add_co_u32_e64 v7, s[0:1], s6, v7
	v_addc_co_u32_e64 v8, s[0:1], v9, v8, s[0:1]
	global_load_dword v7, v[7:8], off
	s_waitcnt vmcnt(0)
	v_cmp_lt_i32_e64 s[0:1], -1, v7
	v_cndmask_b32_e64 v8, -1, v6, s[0:1]
	v_xor_b32_e32 v8, v8, v7
	v_cmp_o_f32_e64 s[0:1], v7, v7
	v_cndmask_b32_e64 v7, -1, v8, s[0:1]
	v_xor_b32_e32 v8, s9, v7
	v_and_b32_e32 v8, s11, v8
	v_cmp_eq_u32_e64 s[0:1], 0, v8
	s_and_b64 exec, exec, s[0:1]
	s_cbranch_execz .LBB79_21
; %bb.24:                               ;   in Loop: Header=BB79_22 Depth=1
	v_bfe_u32 v7, v7, s12, 8
	v_lshlrev_b32_e32 v7, 2, v7
	ds_add_u32 v7, v5
	s_branch .LBB79_21
.LBB79_25:
	s_waitcnt lgkmcnt(0)
	s_barrier
	s_and_saveexec_b64 s[0:1], vcc
	s_cbranch_execz .LBB79_27
; %bb.26:
	v_lshl_or_b32 v0, s16, 8, v0
	v_mov_b32_e32 v1, 0
	ds_read_b32 v3, v3
	v_lshlrev_b64 v[0:1], 1, v[0:1]
	v_mov_b32_e32 v2, s3
	v_add_co_u32_e32 v0, vcc, s2, v0
	v_addc_co_u32_e32 v1, vcc, v2, v1, vcc
	s_waitcnt lgkmcnt(0)
	global_store_short v[0:1], v3, off
.LBB79_27:
	s_endpgm
	.section	.rodata,"a",@progbits
	.p2align	6, 0x0
	.amdhsa_kernel _ZN2at6native6mbtopk23computeBlockDigitCountsIfjjLi1EEEvNS_4cuda6detail10TensorInfoIKT_T0_EEjPjjS8_iijT1_PSB_Ps
		.amdhsa_group_segment_fixed_size 1024
		.amdhsa_private_segment_fixed_size 0
		.amdhsa_kernarg_size 528
		.amdhsa_user_sgpr_count 6
		.amdhsa_user_sgpr_private_segment_buffer 1
		.amdhsa_user_sgpr_dispatch_ptr 0
		.amdhsa_user_sgpr_queue_ptr 0
		.amdhsa_user_sgpr_kernarg_segment_ptr 1
		.amdhsa_user_sgpr_dispatch_id 0
		.amdhsa_user_sgpr_flat_scratch_init 0
		.amdhsa_user_sgpr_private_segment_size 0
		.amdhsa_uses_dynamic_stack 0
		.amdhsa_system_sgpr_private_segment_wavefront_offset 0
		.amdhsa_system_sgpr_workgroup_id_x 1
		.amdhsa_system_sgpr_workgroup_id_y 1
		.amdhsa_system_sgpr_workgroup_id_z 1
		.amdhsa_system_sgpr_workgroup_info 0
		.amdhsa_system_vgpr_workitem_id 0
		.amdhsa_next_free_vgpr 13
		.amdhsa_next_free_sgpr 20
		.amdhsa_reserve_vcc 1
		.amdhsa_reserve_flat_scratch 0
		.amdhsa_float_round_mode_32 0
		.amdhsa_float_round_mode_16_64 0
		.amdhsa_float_denorm_mode_32 3
		.amdhsa_float_denorm_mode_16_64 3
		.amdhsa_dx10_clamp 1
		.amdhsa_ieee_mode 1
		.amdhsa_fp16_overflow 0
		.amdhsa_exception_fp_ieee_invalid_op 0
		.amdhsa_exception_fp_denorm_src 0
		.amdhsa_exception_fp_ieee_div_zero 0
		.amdhsa_exception_fp_ieee_overflow 0
		.amdhsa_exception_fp_ieee_underflow 0
		.amdhsa_exception_fp_ieee_inexact 0
		.amdhsa_exception_int_div_zero 0
	.end_amdhsa_kernel
	.section	.text._ZN2at6native6mbtopk23computeBlockDigitCountsIfjjLi1EEEvNS_4cuda6detail10TensorInfoIKT_T0_EEjPjjS8_iijT1_PSB_Ps,"axG",@progbits,_ZN2at6native6mbtopk23computeBlockDigitCountsIfjjLi1EEEvNS_4cuda6detail10TensorInfoIKT_T0_EEjPjjS8_iijT1_PSB_Ps,comdat
.Lfunc_end79:
	.size	_ZN2at6native6mbtopk23computeBlockDigitCountsIfjjLi1EEEvNS_4cuda6detail10TensorInfoIKT_T0_EEjPjjS8_iijT1_PSB_Ps, .Lfunc_end79-_ZN2at6native6mbtopk23computeBlockDigitCountsIfjjLi1EEEvNS_4cuda6detail10TensorInfoIKT_T0_EEjPjjS8_iijT1_PSB_Ps
                                        ; -- End function
	.set _ZN2at6native6mbtopk23computeBlockDigitCountsIfjjLi1EEEvNS_4cuda6detail10TensorInfoIKT_T0_EEjPjjS8_iijT1_PSB_Ps.num_vgpr, 13
	.set _ZN2at6native6mbtopk23computeBlockDigitCountsIfjjLi1EEEvNS_4cuda6detail10TensorInfoIKT_T0_EEjPjjS8_iijT1_PSB_Ps.num_agpr, 0
	.set _ZN2at6native6mbtopk23computeBlockDigitCountsIfjjLi1EEEvNS_4cuda6detail10TensorInfoIKT_T0_EEjPjjS8_iijT1_PSB_Ps.numbered_sgpr, 20
	.set _ZN2at6native6mbtopk23computeBlockDigitCountsIfjjLi1EEEvNS_4cuda6detail10TensorInfoIKT_T0_EEjPjjS8_iijT1_PSB_Ps.num_named_barrier, 0
	.set _ZN2at6native6mbtopk23computeBlockDigitCountsIfjjLi1EEEvNS_4cuda6detail10TensorInfoIKT_T0_EEjPjjS8_iijT1_PSB_Ps.private_seg_size, 0
	.set _ZN2at6native6mbtopk23computeBlockDigitCountsIfjjLi1EEEvNS_4cuda6detail10TensorInfoIKT_T0_EEjPjjS8_iijT1_PSB_Ps.uses_vcc, 1
	.set _ZN2at6native6mbtopk23computeBlockDigitCountsIfjjLi1EEEvNS_4cuda6detail10TensorInfoIKT_T0_EEjPjjS8_iijT1_PSB_Ps.uses_flat_scratch, 0
	.set _ZN2at6native6mbtopk23computeBlockDigitCountsIfjjLi1EEEvNS_4cuda6detail10TensorInfoIKT_T0_EEjPjjS8_iijT1_PSB_Ps.has_dyn_sized_stack, 0
	.set _ZN2at6native6mbtopk23computeBlockDigitCountsIfjjLi1EEEvNS_4cuda6detail10TensorInfoIKT_T0_EEjPjjS8_iijT1_PSB_Ps.has_recursion, 0
	.set _ZN2at6native6mbtopk23computeBlockDigitCountsIfjjLi1EEEvNS_4cuda6detail10TensorInfoIKT_T0_EEjPjjS8_iijT1_PSB_Ps.has_indirect_call, 0
	.section	.AMDGPU.csdata,"",@progbits
; Kernel info:
; codeLenInByte = 1336
; TotalNumSgprs: 24
; NumVgprs: 13
; ScratchSize: 0
; MemoryBound: 0
; FloatMode: 240
; IeeeMode: 1
; LDSByteSize: 1024 bytes/workgroup (compile time only)
; SGPRBlocks: 2
; VGPRBlocks: 3
; NumSGPRsForWavesPerEU: 24
; NumVGPRsForWavesPerEU: 13
; Occupancy: 10
; WaveLimiterHint : 1
; COMPUTE_PGM_RSRC2:SCRATCH_EN: 0
; COMPUTE_PGM_RSRC2:USER_SGPR: 6
; COMPUTE_PGM_RSRC2:TRAP_HANDLER: 0
; COMPUTE_PGM_RSRC2:TGID_X_EN: 1
; COMPUTE_PGM_RSRC2:TGID_Y_EN: 1
; COMPUTE_PGM_RSRC2:TGID_Z_EN: 1
; COMPUTE_PGM_RSRC2:TIDIG_COMP_CNT: 0
	.section	.text._ZN2at6native6mbtopk29computeBlockwiseWithinKCountsIjfEEvPT_PsPjjibS6_PT0_S6_S4_S6_j,"axG",@progbits,_ZN2at6native6mbtopk29computeBlockwiseWithinKCountsIjfEEvPT_PsPjjibS6_PT0_S6_S4_S6_j,comdat
	.protected	_ZN2at6native6mbtopk29computeBlockwiseWithinKCountsIjfEEvPT_PsPjjibS6_PT0_S6_S4_S6_j ; -- Begin function _ZN2at6native6mbtopk29computeBlockwiseWithinKCountsIjfEEvPT_PsPjjibS6_PT0_S6_S4_S6_j
	.globl	_ZN2at6native6mbtopk29computeBlockwiseWithinKCountsIjfEEvPT_PsPjjibS6_PT0_S6_S4_S6_j
	.p2align	8
	.type	_ZN2at6native6mbtopk29computeBlockwiseWithinKCountsIjfEEvPT_PsPjjibS6_PT0_S6_S4_S6_j,@function
_ZN2at6native6mbtopk29computeBlockwiseWithinKCountsIjfEEvPT_PsPjjibS6_PT0_S6_S4_S6_j: ; @_ZN2at6native6mbtopk29computeBlockwiseWithinKCountsIjfEEvPT_PsPjjibS6_PT0_S6_S4_S6_j
; %bb.0:
	s_load_dwordx4 s[16:19], s[4:5], 0x18
	s_load_dword s2, s[4:5], 0x50
	s_load_dwordx2 s[0:1], s[4:5], 0x58
	s_waitcnt lgkmcnt(0)
	v_cvt_f32_u32_e32 v1, s16
	s_mul_i32 s1, s1, s8
	s_add_i32 s1, s1, s7
	v_rcp_iflag_f32_e32 v1, v1
	s_mul_i32 s0, s1, s0
	s_add_i32 s6, s0, s6
	s_cmp_ge_u32 s6, s2
	v_mul_f32_e32 v1, 0x4f7ffffe, v1
	v_cvt_u32_f32_e32 v1, v1
	v_readfirstlane_b32 s0, v1
	s_cbranch_scc1 .LBB80_40
; %bb.1:
	s_sub_i32 s1, 0, s16
	s_mul_i32 s1, s1, s0
	s_mul_hi_u32 s1, s0, s1
	s_add_i32 s0, s0, s1
	s_mul_hi_u32 s2, s6, s0
	s_mul_i32 s3, s2, s16
	s_sub_i32 s3, s6, s3
	s_add_i32 s8, s2, 1
	s_sub_i32 s9, s3, s16
	s_cmp_ge_u32 s3, s16
	s_load_dwordx4 s[20:23], s[4:5], 0x0
	s_load_dwordx2 s[0:1], s[4:5], 0x10
	s_cselect_b32 s2, s8, s2
	s_cselect_b32 s3, s9, s3
	s_add_i32 s8, s2, 1
	s_mov_b32 s7, 0
	s_cmp_ge_u32 s3, s16
	s_cselect_b32 s28, s8, s2
	s_mov_b32 s29, s7
	s_lshl_b64 s[24:25], s[28:29], 2
	s_waitcnt lgkmcnt(0)
	s_add_u32 s0, s0, s24
	s_movk_i32 s2, 0x100
	s_addc_u32 s1, s1, s25
	v_cmp_gt_u32_e64 s[2:3], s2, v0
	s_and_saveexec_b64 s[8:9], s[2:3]
	s_cbranch_execz .LBB80_8
; %bb.2:
	s_mul_i32 s10, s28, s16
	s_lshl_b32 s10, s10, 8
	s_mov_b32 s11, s7
	s_lshl_b64 s[10:11], s[10:11], 1
	s_add_u32 s10, s22, s10
	s_addc_u32 s11, s23, s11
	v_lshlrev_b32_e32 v1, 1, v0
	v_mov_b32_e32 v2, s11
	v_add_co_u32_e32 v1, vcc, s10, v1
	v_mov_b32_e32 v3, 0
	s_cmp_lt_u32 s16, 4
	v_addc_co_u32_e32 v2, vcc, 0, v2, vcc
	s_cbranch_scc1 .LBB80_41
; %bb.3:
	v_mov_b32_e32 v3, 0
	s_mov_b32 s10, 0
.LBB80_4:                               ; =>This Inner Loop Header: Depth=1
	global_load_sshort v4, v[1:2], off
	global_load_sshort v5, v[1:2], off offset:512
	global_load_sshort v6, v[1:2], off offset:1024
	;; [unrolled: 1-line block ×3, first 2 shown]
	s_mov_b32 s11, s10
	v_add_co_u32_e32 v1, vcc, 0x800, v1
	s_add_i32 s10, s10, 4
	s_add_i32 s11, s11, 7
	v_addc_co_u32_e32 v2, vcc, 0, v2, vcc
	s_cmp_ge_u32 s11, s16
	s_waitcnt vmcnt(2)
	v_add3_u32 v3, v3, v4, v5
	s_waitcnt vmcnt(0)
	v_add3_u32 v3, v3, v6, v7
	s_cbranch_scc0 .LBB80_4
; %bb.5:
	s_cmp_ge_u32 s10, s16
	s_cbranch_scc1 .LBB80_7
.LBB80_6:                               ; =>This Inner Loop Header: Depth=1
	global_load_sshort v4, v[1:2], off
	v_add_co_u32_e32 v1, vcc, 0x200, v1
	s_add_i32 s10, s10, 1
	v_addc_co_u32_e32 v2, vcc, 0, v2, vcc
	s_cmp_lt_u32 s10, s16
	s_waitcnt vmcnt(0)
	v_add_u32_e32 v3, v3, v4
	s_cbranch_scc1 .LBB80_6
.LBB80_7:
	v_lshlrev_b32_e32 v1, 2, v0
	ds_write_b32 v1, v3 offset:1056
.LBB80_8:
	s_or_b64 exec, exec, s[8:9]
	s_load_dword s19, s[0:1], 0x0
	v_mov_b32_e32 v3, 0
	s_waitcnt lgkmcnt(0)
	s_barrier
	s_and_saveexec_b64 s[0:1], s[2:3]
; %bb.9:
	v_lshlrev_b32_e32 v1, 2, v0
	ds_read_b32 v3, v1 offset:1056
; %bb.10:
	s_or_b64 exec, exec, s[0:1]
	v_lshrrev_b32_e32 v1, 3, v0
	v_and_b32_e32 v1, 28, v1
	v_lshl_add_u32 v2, v0, 2, v1
	v_cmp_gt_u32_e64 s[0:1], 64, v0
	v_mbcnt_lo_u32_b32 v1, -1, 0
	s_waitcnt lgkmcnt(0)
	ds_write_b32 v2, v3
	s_waitcnt lgkmcnt(0)
	s_barrier
	s_and_saveexec_b64 s[8:9], s[0:1]
	s_cbranch_execz .LBB80_12
; %bb.11:
	v_lshrrev_b32_e32 v4, 1, v0
	v_and_b32_e32 v4, 0x7c, v4
	v_lshl_add_u32 v8, v0, 4, v4
	ds_read2_b32 v[4:5], v8 offset1:1
	ds_read2_b32 v[6:7], v8 offset0:2 offset1:3
	v_mbcnt_hi_u32_b32 v9, -1, v1
	v_and_b32_e32 v10, 15, v9
	v_cmp_ne_u32_e32 vcc, 0, v10
	s_waitcnt lgkmcnt(1)
	v_add_u32_e32 v5, v5, v4
	s_waitcnt lgkmcnt(0)
	v_add3_u32 v5, v5, v6, v7
	v_bfe_i32 v7, v9, 4, 1
	s_nop 0
	v_mov_b32_dpp v6, v5 row_shr:1 row_mask:0xf bank_mask:0xf
	v_cndmask_b32_e32 v6, 0, v6, vcc
	v_add_u32_e32 v5, v6, v5
	v_cmp_lt_u32_e32 vcc, 1, v10
	; wave barrier
	s_nop 0
	v_mov_b32_dpp v6, v5 row_shr:2 row_mask:0xf bank_mask:0xf
	v_cndmask_b32_e32 v6, 0, v6, vcc
	v_add_u32_e32 v5, v5, v6
	v_cmp_lt_u32_e32 vcc, 3, v10
	s_nop 0
	v_mov_b32_dpp v6, v5 row_shr:4 row_mask:0xf bank_mask:0xf
	v_cndmask_b32_e32 v6, 0, v6, vcc
	v_add_u32_e32 v5, v5, v6
	v_cmp_lt_u32_e32 vcc, 7, v10
	;; [unrolled: 5-line block ×3, first 2 shown]
	s_nop 0
	v_mov_b32_dpp v6, v5 row_bcast:15 row_mask:0xf bank_mask:0xf
	v_and_b32_e32 v6, v7, v6
	v_add_u32_e32 v5, v5, v6
	v_and_b32_e32 v7, 64, v9
	s_nop 0
	v_mov_b32_dpp v6, v5 row_bcast:31 row_mask:0xf bank_mask:0xf
	v_cndmask_b32_e32 v6, 0, v6, vcc
	v_add_u32_e32 v5, v5, v6
	v_add_u32_e32 v6, -1, v9
	v_cmp_lt_i32_e32 vcc, v6, v7
	v_cndmask_b32_e32 v6, v6, v9, vcc
	v_lshlrev_b32_e32 v6, 2, v6
	ds_bpermute_b32 v5, v6, v5
	v_cmp_eq_u32_e32 vcc, 0, v0
	s_waitcnt lgkmcnt(0)
	v_add_u32_e32 v4, v5, v4
	v_cndmask_b32_e32 v5, v4, v3, vcc
	ds_write_b32 v8, v5
	; wave barrier
	ds_read2_b32 v[3:4], v8 offset0:1 offset1:2
	ds_read_b32 v6, v8 offset:12
	s_waitcnt lgkmcnt(1)
	v_add_u32_e32 v3, v3, v5
	v_add_u32_e32 v4, v4, v3
	ds_write2_b32 v8, v3, v4 offset0:1 offset1:2
	s_waitcnt lgkmcnt(1)
	v_add_u32_e32 v3, v6, v4
	ds_write_b32 v8, v3 offset:12
.LBB80_12:
	s_or_b64 exec, exec, s[8:9]
	s_waitcnt lgkmcnt(0)
	s_barrier
	ds_read_b32 v3, v2
	s_waitcnt lgkmcnt(0)
	s_barrier
	s_and_saveexec_b64 s[8:9], s[2:3]
; %bb.13:
	v_lshlrev_b32_e32 v2, 2, v0
	ds_write_b32 v2, v3 offset:1056
; %bb.14:
	s_or_b64 exec, exec, s[8:9]
	s_load_dwordx8 s[8:15], s[4:5], 0x28
	s_load_dwordx2 s[26:27], s[4:5], 0x48
	s_waitcnt lgkmcnt(0)
	s_barrier
	s_and_saveexec_b64 s[4:5], s[2:3]
	s_cbranch_execz .LBB80_23
; %bb.15:
	v_mov_b32_e32 v2, 0
	v_cmp_ne_u32_e32 vcc, 0, v0
	s_and_saveexec_b64 s[2:3], vcc
; %bb.16:
	v_lshlrev_b32_e32 v2, 2, v0
	ds_read_b32 v2, v2 offset:1052
; %bb.17:
	s_or_b64 exec, exec, s[2:3]
	s_waitcnt lgkmcnt(0)
	v_cmp_gt_u32_e32 vcc, s19, v2
	v_cmp_le_u32_e64 s[2:3], s19, v3
	s_and_b64 s[2:3], vcc, s[2:3]
	s_and_b64 exec, exec, s[2:3]
	s_cbranch_execz .LBB80_23
; %bb.18:
	s_add_u32 s2, s20, s24
	s_addc_u32 s3, s21, s25
	v_mov_b32_e32 v4, 0
	global_load_dword v3, v4, s[2:3]
	s_lshl_b32 s3, 0xff, s17
	v_not_b32_e32 v6, s3
	v_lshlrev_b32_e32 v5, s17, v0
	s_mul_i32 s2, s28, s16
	s_cmp_lg_u32 s6, s2
	s_waitcnt vmcnt(0)
	v_and_b32_e32 v3, v3, v6
	v_or_b32_e32 v3, v3, v5
	ds_write_b32 v4, v3 offset:2096
	s_cbranch_scc1 .LBB80_23
; %bb.19:
	s_add_u32 s2, s14, s24
	s_addc_u32 s3, s15, s25
	global_store_dword v4, v3, s[2:3]
	s_cmp_lt_i32 s17, 1
	s_mov_b64 s[2:3], -1
	s_cbranch_scc0 .LBB80_21
; %bb.20:
	v_bfrev_b32_e32 v4, 1
	v_cmp_lt_i32_e32 vcc, -1, v3
	v_cndmask_b32_e64 v4, v4, -1, vcc
	s_add_u32 s2, s10, s24
	v_xor_b32_e32 v3, v4, v3
	s_addc_u32 s3, s11, s25
	v_mov_b32_e32 v4, 0
	global_store_dword v4, v3, s[2:3]
	s_mov_b64 s[2:3], 0
.LBB80_21:
	s_andn2_b64 vcc, exec, s[2:3]
	s_cbranch_vccnz .LBB80_23
; %bb.22:
	s_add_u32 s2, s12, s24
	v_sub_u32_e32 v2, s19, v2
	s_addc_u32 s3, s13, s25
	v_mov_b32_e32 v3, 0
	global_store_dword v3, v2, s[2:3]
.LBB80_23:
	s_or_b64 exec, exec, s[4:5]
	v_mov_b32_e32 v2, 0
	s_waitcnt vmcnt(0) lgkmcnt(0)
	s_barrier
	ds_read_b32 v2, v2 offset:2096
	s_bitcmp0_b32 s18, 0
	s_waitcnt lgkmcnt(0)
	v_lshrrev_b32_e32 v2, s17, v2
	s_cbranch_scc0 .LBB80_25
; %bb.24:
	v_and_b32_e32 v3, 0xc0, v0
	v_cmp_lt_u32_sdwa s[10:11], v3, v2 src0_sel:DWORD src1_sel:BYTE_0
	v_cmp_lt_u32_sdwa s[4:5], v0, v2 src0_sel:DWORD src1_sel:BYTE_0
	s_cbranch_execz .LBB80_26
	s_branch .LBB80_27
.LBB80_25:
                                        ; implicit-def: $sgpr4_sgpr5
                                        ; implicit-def: $sgpr10_sgpr11
.LBB80_26:
	v_or_b32_e32 v3, 63, v0
	v_cmp_gt_u32_sdwa s[2:3], v3, v2 src0_sel:DWORD src1_sel:BYTE_0
	v_cmp_gt_u32_sdwa s[12:13], v0, v2 src0_sel:DWORD src1_sel:BYTE_0
	s_andn2_b64 s[4:5], s[4:5], exec
	s_and_b64 s[12:13], s[12:13], exec
	s_andn2_b64 s[10:11], s[10:11], exec
	s_and_b64 s[2:3], s[2:3], exec
	s_or_b64 s[4:5], s[4:5], s[12:13]
	s_or_b64 s[10:11], s[10:11], s[2:3]
.LBB80_27:
	v_mov_b32_e32 v2, 0
	s_and_saveexec_b64 s[2:3], s[10:11]
	s_cbranch_execz .LBB80_31
; %bb.28:
	v_mov_b32_e32 v2, 0
	s_and_saveexec_b64 s[10:11], s[4:5]
	s_cbranch_execz .LBB80_30
; %bb.29:
	s_lshl_b32 s4, s6, 8
	s_mov_b32 s5, 0
	s_lshl_b64 s[4:5], s[4:5], 1
	s_add_u32 s4, s22, s4
	s_addc_u32 s5, s23, s5
	v_lshlrev_b32_e32 v2, 1, v0
	global_load_sshort v2, v2, s[4:5]
.LBB80_30:
	s_or_b64 exec, exec, s[10:11]
	v_mbcnt_hi_u32_b32 v3, -1, v1
	v_mov_b32_e32 v4, 0x80
	v_lshl_or_b32 v4, v3, 2, v4
	s_waitcnt vmcnt(0)
	ds_bpermute_b32 v4, v4, v2
	v_and_b32_e32 v5, 63, v3
	v_cmp_gt_u32_e32 vcc, 48, v5
	v_cndmask_b32_e64 v6, 0, 16, vcc
	v_cmp_gt_u32_e32 vcc, 56, v5
	s_waitcnt lgkmcnt(0)
	v_add_u32_e32 v2, v4, v2
	v_add_lshl_u32 v4, v6, v3, 2
	ds_bpermute_b32 v4, v4, v2
	v_cndmask_b32_e64 v6, 0, 8, vcc
	v_add_lshl_u32 v6, v6, v3, 2
	v_cmp_gt_u32_e32 vcc, 60, v5
	s_waitcnt lgkmcnt(0)
	v_add_u32_e32 v2, v4, v2
	ds_bpermute_b32 v4, v6, v2
	v_cndmask_b32_e64 v6, 0, 4, vcc
	v_add_lshl_u32 v6, v6, v3, 2
	v_cmp_gt_u32_e32 vcc, 62, v5
	s_waitcnt lgkmcnt(0)
	v_add_u32_e32 v2, v4, v2
	ds_bpermute_b32 v4, v6, v2
	v_cndmask_b32_e64 v6, 0, 2, vcc
	v_add_lshl_u32 v6, v6, v3, 2
	v_cmp_ne_u32_e32 vcc, 63, v5
	v_addc_co_u32_e32 v3, vcc, 0, v3, vcc
	s_waitcnt lgkmcnt(0)
	v_add_u32_e32 v2, v4, v2
	ds_bpermute_b32 v4, v6, v2
	v_lshlrev_b32_e32 v3, 2, v3
	s_waitcnt lgkmcnt(0)
	v_add_u32_e32 v2, v4, v2
	ds_bpermute_b32 v3, v3, v2
	s_waitcnt lgkmcnt(0)
	v_add_u32_e32 v2, v3, v2
.LBB80_31:
	s_or_b64 exec, exec, s[2:3]
	v_and_b32_e32 v3, 63, v0
	v_cmp_eq_u32_e32 vcc, 0, v3
	s_and_saveexec_b64 s[2:3], vcc
; %bb.32:
	v_lshrrev_b32_e32 v3, 4, v0
	v_and_b32_e32 v3, 12, v3
	ds_write_b32 v3, v2 offset:2080
; %bb.33:
	s_or_b64 exec, exec, s[2:3]
	s_waitcnt lgkmcnt(0)
	s_barrier
	s_and_saveexec_b64 s[2:3], s[0:1]
	s_cbranch_execz .LBB80_40
; %bb.34:
	v_cmp_gt_u32_e32 vcc, 4, v0
	v_mov_b32_e32 v2, 0
	s_and_saveexec_b64 s[0:1], vcc
; %bb.35:
	v_lshlrev_b32_e32 v2, 2, v0
	ds_read_b32 v2, v2 offset:2080
; %bb.36:
	s_or_b64 exec, exec, s[0:1]
	v_mbcnt_hi_u32_b32 v1, -1, v1
	v_and_b32_e32 v3, 63, v1
	v_cmp_gt_u32_e32 vcc, 62, v3
	v_cndmask_b32_e64 v4, 0, 2, vcc
	v_add_lshl_u32 v4, v4, v1, 2
	s_waitcnt lgkmcnt(0)
	ds_bpermute_b32 v4, v4, v2
	v_cmp_ne_u32_e32 vcc, 63, v3
	v_addc_co_u32_e32 v3, vcc, 0, v1, vcc
	v_cmp_eq_u32_e32 vcc, 0, v0
	s_waitcnt lgkmcnt(0)
	v_add_u32_e32 v1, v4, v2
	v_lshlrev_b32_e32 v2, 2, v3
	ds_bpermute_b32 v2, v2, v1
	s_and_saveexec_b64 s[0:1], vcc
	s_cbranch_execz .LBB80_38
; %bb.37:
	s_lshl_b64 s[2:3], s[6:7], 2
	s_add_u32 s2, s8, s2
	s_addc_u32 s3, s9, s3
	v_mov_b32_e32 v3, 0
	global_load_dword v4, v3, s[2:3]
	s_waitcnt vmcnt(0) lgkmcnt(0)
	v_add3_u32 v1, v2, v1, v4
	global_store_dword v3, v1, s[2:3]
.LBB80_38:
	s_or_b64 exec, exec, s[0:1]
	v_or_b32_e32 v0, s17, v0
	v_cmp_eq_u32_e32 vcc, 0, v0
	s_and_b64 exec, exec, vcc
	s_cbranch_execz .LBB80_40
; %bb.39:
	v_mov_b32_e32 v0, 0
	ds_read_b32 v1, v0 offset:2096
	s_lshl_b32 s0, s6, 8
	s_mov_b32 s1, 0
	s_lshl_b64 s[0:1], s[0:1], 1
	s_add_u32 s0, s22, s0
	s_waitcnt lgkmcnt(1)
	v_mov_b32_e32 v2, 1
	s_addc_u32 s1, s23, s1
	s_waitcnt lgkmcnt(0)
	v_lshlrev_b32_sdwa v1, v2, v1 dst_sel:DWORD dst_unused:UNUSED_PAD src0_sel:DWORD src1_sel:BYTE_0
	global_load_sshort v1, v1, s[0:1]
	s_lshl_b64 s[0:1], s[6:7], 2
	s_add_u32 s0, s26, s0
	s_addc_u32 s1, s27, s1
	s_waitcnt vmcnt(0)
	global_store_dword v0, v1, s[0:1]
.LBB80_40:
	s_endpgm
.LBB80_41:
	s_mov_b32 s10, s7
	s_cmp_ge_u32 s10, s16
	s_cbranch_scc0 .LBB80_6
	s_branch .LBB80_7
	.section	.rodata,"a",@progbits
	.p2align	6, 0x0
	.amdhsa_kernel _ZN2at6native6mbtopk29computeBlockwiseWithinKCountsIjfEEvPT_PsPjjibS6_PT0_S6_S4_S6_j
		.amdhsa_group_segment_fixed_size 2100
		.amdhsa_private_segment_fixed_size 0
		.amdhsa_kernarg_size 344
		.amdhsa_user_sgpr_count 6
		.amdhsa_user_sgpr_private_segment_buffer 1
		.amdhsa_user_sgpr_dispatch_ptr 0
		.amdhsa_user_sgpr_queue_ptr 0
		.amdhsa_user_sgpr_kernarg_segment_ptr 1
		.amdhsa_user_sgpr_dispatch_id 0
		.amdhsa_user_sgpr_flat_scratch_init 0
		.amdhsa_user_sgpr_private_segment_size 0
		.amdhsa_uses_dynamic_stack 0
		.amdhsa_system_sgpr_private_segment_wavefront_offset 0
		.amdhsa_system_sgpr_workgroup_id_x 1
		.amdhsa_system_sgpr_workgroup_id_y 1
		.amdhsa_system_sgpr_workgroup_id_z 1
		.amdhsa_system_sgpr_workgroup_info 0
		.amdhsa_system_vgpr_workitem_id 0
		.amdhsa_next_free_vgpr 11
		.amdhsa_next_free_sgpr 30
		.amdhsa_reserve_vcc 1
		.amdhsa_reserve_flat_scratch 0
		.amdhsa_float_round_mode_32 0
		.amdhsa_float_round_mode_16_64 0
		.amdhsa_float_denorm_mode_32 3
		.amdhsa_float_denorm_mode_16_64 3
		.amdhsa_dx10_clamp 1
		.amdhsa_ieee_mode 1
		.amdhsa_fp16_overflow 0
		.amdhsa_exception_fp_ieee_invalid_op 0
		.amdhsa_exception_fp_denorm_src 0
		.amdhsa_exception_fp_ieee_div_zero 0
		.amdhsa_exception_fp_ieee_overflow 0
		.amdhsa_exception_fp_ieee_underflow 0
		.amdhsa_exception_fp_ieee_inexact 0
		.amdhsa_exception_int_div_zero 0
	.end_amdhsa_kernel
	.section	.text._ZN2at6native6mbtopk29computeBlockwiseWithinKCountsIjfEEvPT_PsPjjibS6_PT0_S6_S4_S6_j,"axG",@progbits,_ZN2at6native6mbtopk29computeBlockwiseWithinKCountsIjfEEvPT_PsPjjibS6_PT0_S6_S4_S6_j,comdat
.Lfunc_end80:
	.size	_ZN2at6native6mbtopk29computeBlockwiseWithinKCountsIjfEEvPT_PsPjjibS6_PT0_S6_S4_S6_j, .Lfunc_end80-_ZN2at6native6mbtopk29computeBlockwiseWithinKCountsIjfEEvPT_PsPjjibS6_PT0_S6_S4_S6_j
                                        ; -- End function
	.set _ZN2at6native6mbtopk29computeBlockwiseWithinKCountsIjfEEvPT_PsPjjibS6_PT0_S6_S4_S6_j.num_vgpr, 11
	.set _ZN2at6native6mbtopk29computeBlockwiseWithinKCountsIjfEEvPT_PsPjjibS6_PT0_S6_S4_S6_j.num_agpr, 0
	.set _ZN2at6native6mbtopk29computeBlockwiseWithinKCountsIjfEEvPT_PsPjjibS6_PT0_S6_S4_S6_j.numbered_sgpr, 30
	.set _ZN2at6native6mbtopk29computeBlockwiseWithinKCountsIjfEEvPT_PsPjjibS6_PT0_S6_S4_S6_j.num_named_barrier, 0
	.set _ZN2at6native6mbtopk29computeBlockwiseWithinKCountsIjfEEvPT_PsPjjibS6_PT0_S6_S4_S6_j.private_seg_size, 0
	.set _ZN2at6native6mbtopk29computeBlockwiseWithinKCountsIjfEEvPT_PsPjjibS6_PT0_S6_S4_S6_j.uses_vcc, 1
	.set _ZN2at6native6mbtopk29computeBlockwiseWithinKCountsIjfEEvPT_PsPjjibS6_PT0_S6_S4_S6_j.uses_flat_scratch, 0
	.set _ZN2at6native6mbtopk29computeBlockwiseWithinKCountsIjfEEvPT_PsPjjibS6_PT0_S6_S4_S6_j.has_dyn_sized_stack, 0
	.set _ZN2at6native6mbtopk29computeBlockwiseWithinKCountsIjfEEvPT_PsPjjibS6_PT0_S6_S4_S6_j.has_recursion, 0
	.set _ZN2at6native6mbtopk29computeBlockwiseWithinKCountsIjfEEvPT_PsPjjibS6_PT0_S6_S4_S6_j.has_indirect_call, 0
	.section	.AMDGPU.csdata,"",@progbits
; Kernel info:
; codeLenInByte = 1864
; TotalNumSgprs: 34
; NumVgprs: 11
; ScratchSize: 0
; MemoryBound: 0
; FloatMode: 240
; IeeeMode: 1
; LDSByteSize: 2100 bytes/workgroup (compile time only)
; SGPRBlocks: 4
; VGPRBlocks: 2
; NumSGPRsForWavesPerEU: 34
; NumVGPRsForWavesPerEU: 11
; Occupancy: 10
; WaveLimiterHint : 1
; COMPUTE_PGM_RSRC2:SCRATCH_EN: 0
; COMPUTE_PGM_RSRC2:USER_SGPR: 6
; COMPUTE_PGM_RSRC2:TRAP_HANDLER: 0
; COMPUTE_PGM_RSRC2:TGID_X_EN: 1
; COMPUTE_PGM_RSRC2:TGID_Y_EN: 1
; COMPUTE_PGM_RSRC2:TGID_Z_EN: 1
; COMPUTE_PGM_RSRC2:TIDIG_COMP_CNT: 0
	.section	.text._ZN2at6native6mbtopk10gatherTopKIfjLi1EEEvNS_4cuda6detail10TensorInfoIKT_T0_EES8_S8_bjS8_NS5_IS6_S8_EES8_NS5_IlS8_EES8_jjPS6_PjSD_j,"axG",@progbits,_ZN2at6native6mbtopk10gatherTopKIfjLi1EEEvNS_4cuda6detail10TensorInfoIKT_T0_EES8_S8_bjS8_NS5_IS6_S8_EES8_NS5_IlS8_EES8_jjPS6_PjSD_j,comdat
	.protected	_ZN2at6native6mbtopk10gatherTopKIfjLi1EEEvNS_4cuda6detail10TensorInfoIKT_T0_EES8_S8_bjS8_NS5_IS6_S8_EES8_NS5_IlS8_EES8_jjPS6_PjSD_j ; -- Begin function _ZN2at6native6mbtopk10gatherTopKIfjLi1EEEvNS_4cuda6detail10TensorInfoIKT_T0_EES8_S8_bjS8_NS5_IS6_S8_EES8_NS5_IlS8_EES8_jjPS6_PjSD_j
	.globl	_ZN2at6native6mbtopk10gatherTopKIfjLi1EEEvNS_4cuda6detail10TensorInfoIKT_T0_EES8_S8_bjS8_NS5_IS6_S8_EES8_NS5_IlS8_EES8_jjPS6_PjSD_j
	.p2align	8
	.type	_ZN2at6native6mbtopk10gatherTopKIfjLi1EEEvNS_4cuda6detail10TensorInfoIKT_T0_EES8_S8_bjS8_NS5_IS6_S8_EES8_NS5_IlS8_EES8_jjPS6_PjSD_j,@function
_ZN2at6native6mbtopk10gatherTopKIfjLi1EEEvNS_4cuda6detail10TensorInfoIKT_T0_EES8_S8_bjS8_NS5_IS6_S8_EES8_NS5_IlS8_EES8_jjPS6_PjSD_j: ; @_ZN2at6native6mbtopk10gatherTopKIfjLi1EEEvNS_4cuda6detail10TensorInfoIKT_T0_EES8_S8_bjS8_NS5_IS6_S8_EES8_NS5_IlS8_EES8_jjPS6_PjSD_j
; %bb.0:
	s_load_dwordx2 s[0:1], s[4:5], 0x2d8
	s_load_dword s2, s[4:5], 0x2d0
	s_waitcnt lgkmcnt(0)
	s_mul_i32 s1, s1, s8
	s_add_i32 s1, s1, s7
	s_mul_i32 s0, s1, s0
	s_add_i32 s0, s0, s6
	s_cmp_ge_u32 s0, s2
	s_cbranch_scc1 .LBB81_40
; %bb.1:
	s_load_dwordx8 s[8:15], s[4:5], 0x2a8
	s_mov_b32 s25, 0
	s_load_dwordx2 s[6:7], s[4:5], 0x1d0
	s_load_dwordx2 s[20:21], s[4:5], 0xf0
	;; [unrolled: 1-line block ×3, first 2 shown]
	s_waitcnt lgkmcnt(0)
	v_cvt_f32_u32_e32 v1, s10
	s_sub_i32 s1, 0, s10
	v_rcp_iflag_f32_e32 v1, v1
	v_mul_f32_e32 v1, 0x4f7ffffe, v1
	v_cvt_u32_f32_e32 v1, v1
	v_readfirstlane_b32 s2, v1
	s_mul_i32 s1, s1, s2
	s_mul_hi_u32 s1, s2, s1
	s_add_i32 s2, s2, s1
	s_mul_hi_u32 s1, s0, s2
	s_mul_i32 s2, s1, s10
	s_sub_i32 s2, s0, s2
	s_add_i32 s3, s1, 1
	s_sub_i32 s11, s2, s10
	s_cmp_ge_u32 s2, s10
	s_cselect_b32 s1, s3, s1
	s_cselect_b32 s2, s11, s2
	s_add_i32 s3, s1, 1
	s_cmp_ge_u32 s2, s10
	s_cselect_b32 s24, s3, s1
	s_mul_i32 s16, s24, s10
	s_sub_i32 s11, s0, s16
	s_lshl_b64 s[0:1], s[24:25], 2
	s_add_u32 s0, s12, s0
	s_addc_u32 s1, s13, s1
	s_load_dword s33, s[0:1], 0x0
	v_cmp_ne_u32_e64 s[0:1], 0, v0
	v_cmp_eq_u32_e64 s[2:3], 0, v0
	s_and_saveexec_b64 s[12:13], s[2:3]
	s_cbranch_execz .LBB81_17
; %bb.2:
	s_load_dwordx2 s[26:27], s[4:5], 0x2c8
	s_mov_b32 s17, s25
	s_lshl_b64 s[28:29], s[16:17], 2
	s_add_u32 s16, s14, s28
	s_addc_u32 s17, s15, s29
	s_waitcnt lgkmcnt(0)
	s_add_u32 s18, s26, s28
	s_addc_u32 s19, s27, s29
	s_cmp_lt_u32 s10, 4
	s_cbranch_scc1 .LBB81_14
; %bb.3:
	s_mov_b32 s34, s25
	s_mov_b32 s35, s25
	;; [unrolled: 1-line block ×3, first 2 shown]
.LBB81_4:                               ; =>This Inner Loop Header: Depth=1
	s_add_u32 s30, s14, s28
	s_addc_u32 s31, s15, s29
	s_load_dwordx4 s[16:19], s[30:31], 0x0
	s_add_u32 s30, s26, s28
	s_addc_u32 s31, s27, s29
	s_cmp_ge_u32 s36, s11
	s_cbranch_scc0 .LBB81_11
; %bb.5:                                ;   in Loop: Header=BB81_4 Depth=1
	s_add_i32 s37, s36, 1
	s_cmp_ge_u32 s37, s11
	s_cbranch_scc0 .LBB81_12
.LBB81_6:                               ;   in Loop: Header=BB81_4 Depth=1
	s_add_i32 s37, s37, 1
	s_cmp_ge_u32 s37, s11
	s_cbranch_scc0 .LBB81_13
.LBB81_7:                               ;   in Loop: Header=BB81_4 Depth=1
	s_add_i32 s37, s37, 1
	s_cmp_ge_u32 s37, s11
	s_cbranch_scc1 .LBB81_9
.LBB81_8:                               ;   in Loop: Header=BB81_4 Depth=1
	s_load_dword s30, s[30:31], 0xc
	s_waitcnt lgkmcnt(0)
	s_add_i32 s25, s25, s19
	s_add_i32 s34, s30, s34
.LBB81_9:                               ;   in Loop: Header=BB81_4 Depth=1
	s_waitcnt lgkmcnt(0)
	s_add_i32 s16, s16, s35
	s_add_i32 s16, s16, s17
	;; [unrolled: 1-line block ×4, first 2 shown]
	s_add_u32 s14, s14, 16
	s_addc_u32 s15, s15, 0
	s_add_u32 s26, s26, 16
	s_addc_u32 s27, s27, 0
	s_add_i32 s31, s37, 4
	s_add_u32 s18, s26, s28
	s_addc_u32 s19, s27, s29
	s_add_u32 s16, s14, s28
	s_addc_u32 s17, s15, s29
	s_add_i32 s30, s37, 1
	s_cmp_ge_u32 s31, s10
	s_cbranch_scc1 .LBB81_15
; %bb.10:                               ;   in Loop: Header=BB81_4 Depth=1
	s_mov_b32 s36, s30
	s_branch .LBB81_4
.LBB81_11:                              ;   in Loop: Header=BB81_4 Depth=1
	s_load_dword s37, s[30:31], 0x0
	s_waitcnt lgkmcnt(0)
	s_add_i32 s25, s16, s25
	s_add_i32 s34, s37, s34
	;; [unrolled: 1-line block ×3, first 2 shown]
	s_cmp_ge_u32 s37, s11
	s_cbranch_scc1 .LBB81_6
.LBB81_12:                              ;   in Loop: Header=BB81_4 Depth=1
	s_load_dword s38, s[30:31], 0x4
	s_waitcnt lgkmcnt(0)
	s_add_i32 s25, s25, s17
	s_add_i32 s34, s38, s34
	;; [unrolled: 1-line block ×3, first 2 shown]
	s_cmp_ge_u32 s37, s11
	s_cbranch_scc1 .LBB81_7
.LBB81_13:                              ;   in Loop: Header=BB81_4 Depth=1
	s_load_dword s38, s[30:31], 0x8
	s_waitcnt lgkmcnt(0)
	s_add_i32 s25, s25, s18
	s_add_i32 s34, s38, s34
	;; [unrolled: 1-line block ×3, first 2 shown]
	s_cmp_ge_u32 s37, s11
	s_cbranch_scc0 .LBB81_8
	s_branch .LBB81_9
.LBB81_14:
	s_mov_b32 s34, 0
	s_mov_b32 s35, 0
	;; [unrolled: 1-line block ×3, first 2 shown]
	s_cmp_ge_u32 s14, s10
	s_cbranch_scc0 .LBB81_38
	s_branch .LBB81_16
.LBB81_15:
	s_add_i32 s14, s36, 4
	s_cmp_ge_u32 s14, s10
	s_cbranch_scc0 .LBB81_38
.LBB81_16:
	v_mov_b32_e32 v1, s34
	v_mov_b32_e32 v2, s35
	;; [unrolled: 1-line block ×4, first 2 shown]
	ds_write_b96 v4, v[1:3] offset:1056
.LBB81_17:
	s_or_b64 exec, exec, s[12:13]
	s_load_dword s16, s[4:5], 0x23c
	s_load_dword s17, s[4:5], 0x15c
	;; [unrolled: 1-line block ×3, first 2 shown]
	s_load_dwordx4 s[12:15], s[4:5], 0xd8
	s_mul_i32 s19, s9, s11
	s_lshl_b32 s25, s19, 8
	s_waitcnt lgkmcnt(0)
	s_add_i32 s15, s11, 1
	s_mov_b32 s11, 0
	s_sub_i32 s19, s12, s25
	s_add_u32 s26, s19, 0xff
	s_addc_u32 s27, 0, 0
	s_lshr_b64 s[26:27], s[26:27], 8
	s_cmp_lt_u32 s15, s10
	s_cselect_b32 s9, s9, s26
	s_cmp_eq_u32 s9, 0
	s_barrier
	s_cbranch_scc1 .LBB81_40
; %bb.18:
	s_mul_i32 s10, s24, s18
	s_mul_i32 s18, s24, s17
	;; [unrolled: 1-line block ×3, first 2 shown]
	s_lshl_b64 s[16:17], s[10:11], 2
	s_add_u32 s15, s22, s16
	s_mov_b32 s19, s11
	s_addc_u32 s16, s23, s17
	s_lshl_b64 s[18:19], s[18:19], 2
	s_add_u32 s17, s20, s18
	s_mov_b32 s27, s11
	v_mov_b32_e32 v5, 0
	s_addc_u32 s18, s21, s19
	s_lshl_b64 s[10:11], s[26:27], 3
	ds_read_b96 v[1:3], v5 offset:1056
	s_add_u32 s19, s6, s10
	s_addc_u32 s20, s7, s11
	s_cmp_gt_i32 s33, -1
	s_cselect_b32 s10, 0x80000000, -1
	v_cmp_o_f32_e64 s[6:7], s33, s33
	s_xor_b32 s10, s10, s33
	s_waitcnt lgkmcnt(0)
	v_add_u32_e32 v2, v1, v2
	v_lshrrev_b32_e32 v1, 3, v0
	s_and_b64 s[6:7], s[6:7], exec
	v_and_b32_e32 v1, 28, v1
	s_cselect_b32 s21, s10, -1
	s_bitcmp1_b32 s14, 0
	s_load_dword s10, s[4:5], 0xe8
	s_load_dword s14, s[4:5], 0x1c8
	v_lshl_add_u32 v6, v0, 2, v1
	v_lshrrev_b32_e32 v1, 1, v0
	v_and_b32_e32 v7, 0x7c, v1
	v_add_u32_e32 v1, -1, v0
	v_lshrrev_b32_e32 v4, 3, v1
	v_cmp_gt_u32_e64 s[4:5], 64, v0
	v_lshlrev_b32_e32 v8, 4, v0
	v_and_b32_e32 v4, 0x1ffffffc, v4
	v_add_u32_e32 v0, s25, v0
	v_lshl_add_u32 v9, v1, 2, v4
	s_waitcnt lgkmcnt(0)
	v_mul_lo_u32 v4, s10, v0
	v_mbcnt_lo_u32_b32 v1, -1, 0
	s_cselect_b64 s[6:7], -1, 0
	s_lshl_b32 s22, s10, 8
	v_bfrev_b32_e32 v10, 1
	v_mbcnt_hi_u32_b32 v11, -1, v1
                                        ; implicit-def: $vgpr12
	s_branch .LBB81_21
.LBB81_19:                              ;   in Loop: Header=BB81_21 Depth=1
	s_or_b64 exec, exec, s[10:11]
	v_add_u32_e32 v2, v15, v2
.LBB81_20:                              ;   in Loop: Header=BB81_21 Depth=1
	s_add_i32 s9, s9, -1
	v_add_u32_e32 v3, v14, v3
	v_add_u32_e32 v4, s22, v4
	s_cmp_lg_u32 s9, 0
	v_add_u32_e32 v0, 0x100, v0
	s_cbranch_scc0 .LBB81_40
.LBB81_21:                              ; =>This Inner Loop Header: Depth=1
	v_cmp_gt_u32_e32 vcc, s12, v0
	v_mov_b32_e32 v1, 0
	v_mov_b32_e32 v13, 0
	s_and_saveexec_b64 s[10:11], vcc
	s_cbranch_execz .LBB81_23
; %bb.22:                               ;   in Loop: Header=BB81_21 Depth=1
	v_lshlrev_b64 v[12:13], 2, v[4:5]
	v_mov_b32_e32 v1, s16
	v_add_co_u32_e32 v12, vcc, s15, v12
	v_addc_co_u32_e32 v13, vcc, v1, v13, vcc
	global_load_dword v12, v[12:13], off
	s_waitcnt vmcnt(0)
	v_cmp_lt_i32_e32 vcc, -1, v12
	v_cndmask_b32_e32 v1, -1, v10, vcc
	v_xor_b32_e32 v1, v1, v12
	v_cmp_o_f32_e32 vcc, v12, v12
	v_cndmask_b32_e32 v13, -1, v1, vcc
	v_cmp_lt_u32_e32 vcc, s21, v13
	v_cndmask_b32_e64 v1, 0, 1, vcc
	v_cmp_gt_u32_e32 vcc, s21, v13
	v_cndmask_b32_e64 v14, 0, 1, vcc
	v_cndmask_b32_e64 v1, v14, v1, s[6:7]
	v_cmp_eq_u32_e32 vcc, s21, v13
	v_and_b32_e32 v1, 1, v1
	v_cndmask_b32_e64 v13, 0, 1, vcc
.LBB81_23:                              ;   in Loop: Header=BB81_21 Depth=1
	s_or_b64 exec, exec, s[10:11]
	ds_write_b32 v6, v1
	s_waitcnt vmcnt(0) lgkmcnt(0)
	s_barrier
	s_and_saveexec_b64 s[10:11], s[4:5]
	s_cbranch_execz .LBB81_25
; %bb.24:                               ;   in Loop: Header=BB81_21 Depth=1
	v_add_u32_e32 v18, v7, v8
	ds_read2_b32 v[14:15], v18 offset1:1
	ds_read2_b32 v[16:17], v18 offset0:2 offset1:3
	v_and_b32_e32 v19, 15, v11
	v_cmp_ne_u32_e32 vcc, 0, v19
	s_waitcnt lgkmcnt(1)
	v_add_u32_e32 v15, v15, v14
	s_waitcnt lgkmcnt(0)
	v_add3_u32 v15, v15, v16, v17
	v_bfe_i32 v17, v11, 4, 1
	; wave barrier
	s_nop 0
	v_mov_b32_dpp v16, v15 row_shr:1 row_mask:0xf bank_mask:0xf
	v_cndmask_b32_e32 v16, 0, v16, vcc
	v_add_u32_e32 v15, v16, v15
	v_cmp_lt_u32_e32 vcc, 1, v19
	s_nop 0
	v_mov_b32_dpp v16, v15 row_shr:2 row_mask:0xf bank_mask:0xf
	v_cndmask_b32_e32 v16, 0, v16, vcc
	v_add_u32_e32 v15, v15, v16
	v_cmp_lt_u32_e32 vcc, 3, v19
	;; [unrolled: 5-line block ×4, first 2 shown]
	s_nop 0
	v_mov_b32_dpp v16, v15 row_bcast:15 row_mask:0xf bank_mask:0xf
	v_and_b32_e32 v16, v17, v16
	v_add_u32_e32 v15, v15, v16
	v_and_b32_e32 v17, 64, v11
	s_nop 0
	v_mov_b32_dpp v16, v15 row_bcast:31 row_mask:0xf bank_mask:0xf
	v_cndmask_b32_e32 v16, 0, v16, vcc
	v_add_u32_e32 v15, v15, v16
	v_add_u32_e32 v16, -1, v11
	v_cmp_lt_i32_e32 vcc, v16, v17
	v_cndmask_b32_e32 v16, v16, v11, vcc
	v_lshlrev_b32_e32 v16, 2, v16
	ds_bpermute_b32 v15, v16, v15
	s_waitcnt lgkmcnt(0)
	v_add_u32_e32 v14, v15, v14
	v_cndmask_b32_e64 v16, v14, v1, s[2:3]
	ds_write_b32 v18, v16
	; wave barrier
	ds_read2_b32 v[14:15], v18 offset0:1 offset1:2
	ds_read_b32 v17, v18 offset:12
	s_waitcnt lgkmcnt(1)
	v_add_u32_e32 v14, v14, v16
	v_add_u32_e32 v15, v15, v14
	ds_write2_b32 v18, v14, v15 offset0:1 offset1:2
	s_waitcnt lgkmcnt(1)
	v_add_u32_e32 v14, v17, v15
	ds_write_b32 v18, v14 offset:12
.LBB81_25:                              ;   in Loop: Header=BB81_21 Depth=1
	s_or_b64 exec, exec, s[10:11]
	v_mov_b32_e32 v15, 0
	s_waitcnt lgkmcnt(0)
	s_barrier
	s_and_saveexec_b64 s[10:11], s[0:1]
; %bb.26:                               ;   in Loop: Header=BB81_21 Depth=1
	ds_read_b32 v15, v9
; %bb.27:                               ;   in Loop: Header=BB81_21 Depth=1
	s_or_b64 exec, exec, s[10:11]
	ds_read_b32 v14, v5 offset:1048
	v_cmp_ne_u32_e32 vcc, 0, v1
	s_waitcnt lgkmcnt(0)
	s_barrier
	s_and_saveexec_b64 s[10:11], vcc
	s_cbranch_execz .LBB81_29
; %bb.28:                               ;   in Loop: Header=BB81_21 Depth=1
	v_add_u32_e32 v1, v15, v3
	v_mul_lo_u32 v15, v1, s14
	v_mov_b32_e32 v16, v5
	v_mov_b32_e32 v17, s18
	;; [unrolled: 1-line block ×3, first 2 shown]
	v_lshlrev_b64 v[15:16], 2, v[15:16]
	v_add_co_u32_e32 v15, vcc, s17, v15
	v_addc_co_u32_e32 v16, vcc, v17, v16, vcc
	v_mul_lo_u32 v17, v1, s8
	global_store_dword v[15:16], v12, off
	v_mov_b32_e32 v1, v5
	v_lshlrev_b64 v[15:16], 3, v[17:18]
	v_mov_b32_e32 v17, s20
	v_add_co_u32_e32 v15, vcc, s19, v15
	v_addc_co_u32_e32 v16, vcc, v17, v16, vcc
	global_store_dwordx2 v[15:16], v[0:1], off
.LBB81_29:                              ;   in Loop: Header=BB81_21 Depth=1
	s_or_b64 exec, exec, s[10:11]
	v_cmp_le_u32_e32 vcc, s13, v2
	s_cbranch_vccnz .LBB81_20
; %bb.30:                               ;   in Loop: Header=BB81_21 Depth=1
	ds_write_b32 v6, v13
	s_waitcnt vmcnt(0) lgkmcnt(0)
	s_barrier
	s_and_saveexec_b64 s[10:11], s[4:5]
	s_cbranch_execz .LBB81_32
; %bb.31:                               ;   in Loop: Header=BB81_21 Depth=1
	v_add_u32_e32 v1, v7, v8
	ds_read2_b32 v[15:16], v1 offset1:1
	ds_read2_b32 v[17:18], v1 offset0:2 offset1:3
	v_and_b32_e32 v19, 15, v11
	v_cmp_ne_u32_e32 vcc, 0, v19
	s_waitcnt lgkmcnt(1)
	v_add_u32_e32 v16, v16, v15
	s_waitcnt lgkmcnt(0)
	v_add3_u32 v16, v16, v17, v18
	v_bfe_i32 v18, v11, 4, 1
	; wave barrier
	s_nop 0
	v_mov_b32_dpp v17, v16 row_shr:1 row_mask:0xf bank_mask:0xf
	v_cndmask_b32_e32 v17, 0, v17, vcc
	v_add_u32_e32 v16, v17, v16
	v_cmp_lt_u32_e32 vcc, 1, v19
	s_nop 0
	v_mov_b32_dpp v17, v16 row_shr:2 row_mask:0xf bank_mask:0xf
	v_cndmask_b32_e32 v17, 0, v17, vcc
	v_add_u32_e32 v16, v16, v17
	v_cmp_lt_u32_e32 vcc, 3, v19
	;; [unrolled: 5-line block ×4, first 2 shown]
	s_nop 0
	v_mov_b32_dpp v17, v16 row_bcast:15 row_mask:0xf bank_mask:0xf
	v_and_b32_e32 v17, v18, v17
	v_add_u32_e32 v16, v16, v17
	v_and_b32_e32 v18, 64, v11
	s_nop 0
	v_mov_b32_dpp v17, v16 row_bcast:31 row_mask:0xf bank_mask:0xf
	v_cndmask_b32_e32 v17, 0, v17, vcc
	v_add_u32_e32 v16, v16, v17
	v_add_u32_e32 v17, -1, v11
	v_cmp_lt_i32_e32 vcc, v17, v18
	v_cndmask_b32_e32 v17, v17, v11, vcc
	v_lshlrev_b32_e32 v17, 2, v17
	ds_bpermute_b32 v16, v17, v16
	s_waitcnt lgkmcnt(0)
	v_add_u32_e32 v15, v16, v15
	v_cndmask_b32_e64 v17, v15, v13, s[2:3]
	ds_write_b32 v1, v17
	; wave barrier
	ds_read2_b32 v[15:16], v1 offset0:1 offset1:2
	ds_read_b32 v18, v1 offset:12
	s_waitcnt lgkmcnt(1)
	v_add_u32_e32 v15, v15, v17
	v_add_u32_e32 v16, v16, v15
	ds_write2_b32 v1, v15, v16 offset0:1 offset1:2
	s_waitcnt lgkmcnt(1)
	v_add_u32_e32 v15, v18, v16
	ds_write_b32 v1, v15 offset:12
.LBB81_32:                              ;   in Loop: Header=BB81_21 Depth=1
	s_or_b64 exec, exec, s[10:11]
	v_mov_b32_e32 v1, 0
	s_waitcnt lgkmcnt(0)
	s_barrier
	s_and_saveexec_b64 s[10:11], s[0:1]
; %bb.33:                               ;   in Loop: Header=BB81_21 Depth=1
	ds_read_b32 v1, v9
; %bb.34:                               ;   in Loop: Header=BB81_21 Depth=1
	s_or_b64 exec, exec, s[10:11]
	ds_read_b32 v15, v5 offset:1048
	v_cmp_ne_u32_e32 vcc, 0, v13
	s_waitcnt lgkmcnt(0)
	s_barrier
	s_and_saveexec_b64 s[10:11], vcc
	s_cbranch_execz .LBB81_19
; %bb.35:                               ;   in Loop: Header=BB81_21 Depth=1
	v_add_u32_e32 v1, v1, v2
	v_cmp_gt_u32_e32 vcc, s13, v1
	s_and_b64 exec, exec, vcc
	s_cbranch_execz .LBB81_19
; %bb.36:                               ;   in Loop: Header=BB81_21 Depth=1
	v_mul_lo_u32 v16, v1, s14
	v_mov_b32_e32 v17, v5
	v_mul_lo_u32 v18, v1, s8
	v_mov_b32_e32 v13, s18
	v_lshlrev_b64 v[16:17], 2, v[16:17]
	v_mov_b32_e32 v19, v5
	v_add_co_u32_e32 v16, vcc, s17, v16
	v_addc_co_u32_e32 v17, vcc, v13, v17, vcc
	global_store_dword v[16:17], v12, off
	v_lshlrev_b64 v[16:17], 3, v[18:19]
	v_mov_b32_e32 v13, s20
	v_add_co_u32_e32 v16, vcc, s19, v16
	v_mov_b32_e32 v1, v5
	v_addc_co_u32_e32 v17, vcc, v13, v17, vcc
	global_store_dwordx2 v[16:17], v[0:1], off
	s_branch .LBB81_19
.LBB81_37:                              ;   in Loop: Header=BB81_38 Depth=1
	s_add_u32 s16, s16, 4
	s_addc_u32 s17, s17, 0
	s_waitcnt lgkmcnt(0)
	s_add_i32 s35, s15, s35
	s_add_u32 s18, s18, 4
	s_addc_u32 s19, s19, 0
	s_add_i32 s14, s14, 1
	s_cmp_lt_u32 s14, s10
	s_cbranch_scc0 .LBB81_16
.LBB81_38:                              ; =>This Inner Loop Header: Depth=1
	s_load_dword s15, s[16:17], 0x0
	s_cmp_ge_u32 s14, s11
	s_cbranch_scc1 .LBB81_37
; %bb.39:                               ;   in Loop: Header=BB81_38 Depth=1
	s_load_dword s26, s[18:19], 0x0
	s_waitcnt lgkmcnt(0)
	s_add_i32 s25, s15, s25
	s_add_i32 s34, s26, s34
	s_branch .LBB81_37
.LBB81_40:
	s_endpgm
	.section	.rodata,"a",@progbits
	.p2align	6, 0x0
	.amdhsa_kernel _ZN2at6native6mbtopk10gatherTopKIfjLi1EEEvNS_4cuda6detail10TensorInfoIKT_T0_EES8_S8_bjS8_NS5_IS6_S8_EES8_NS5_IlS8_EES8_jjPS6_PjSD_j
		.amdhsa_group_segment_fixed_size 1068
		.amdhsa_private_segment_fixed_size 0
		.amdhsa_kernarg_size 984
		.amdhsa_user_sgpr_count 6
		.amdhsa_user_sgpr_private_segment_buffer 1
		.amdhsa_user_sgpr_dispatch_ptr 0
		.amdhsa_user_sgpr_queue_ptr 0
		.amdhsa_user_sgpr_kernarg_segment_ptr 1
		.amdhsa_user_sgpr_dispatch_id 0
		.amdhsa_user_sgpr_flat_scratch_init 0
		.amdhsa_user_sgpr_private_segment_size 0
		.amdhsa_uses_dynamic_stack 0
		.amdhsa_system_sgpr_private_segment_wavefront_offset 0
		.amdhsa_system_sgpr_workgroup_id_x 1
		.amdhsa_system_sgpr_workgroup_id_y 1
		.amdhsa_system_sgpr_workgroup_id_z 1
		.amdhsa_system_sgpr_workgroup_info 0
		.amdhsa_system_vgpr_workitem_id 0
		.amdhsa_next_free_vgpr 20
		.amdhsa_next_free_sgpr 39
		.amdhsa_reserve_vcc 1
		.amdhsa_reserve_flat_scratch 0
		.amdhsa_float_round_mode_32 0
		.amdhsa_float_round_mode_16_64 0
		.amdhsa_float_denorm_mode_32 3
		.amdhsa_float_denorm_mode_16_64 3
		.amdhsa_dx10_clamp 1
		.amdhsa_ieee_mode 1
		.amdhsa_fp16_overflow 0
		.amdhsa_exception_fp_ieee_invalid_op 0
		.amdhsa_exception_fp_denorm_src 0
		.amdhsa_exception_fp_ieee_div_zero 0
		.amdhsa_exception_fp_ieee_overflow 0
		.amdhsa_exception_fp_ieee_underflow 0
		.amdhsa_exception_fp_ieee_inexact 0
		.amdhsa_exception_int_div_zero 0
	.end_amdhsa_kernel
	.section	.text._ZN2at6native6mbtopk10gatherTopKIfjLi1EEEvNS_4cuda6detail10TensorInfoIKT_T0_EES8_S8_bjS8_NS5_IS6_S8_EES8_NS5_IlS8_EES8_jjPS6_PjSD_j,"axG",@progbits,_ZN2at6native6mbtopk10gatherTopKIfjLi1EEEvNS_4cuda6detail10TensorInfoIKT_T0_EES8_S8_bjS8_NS5_IS6_S8_EES8_NS5_IlS8_EES8_jjPS6_PjSD_j,comdat
.Lfunc_end81:
	.size	_ZN2at6native6mbtopk10gatherTopKIfjLi1EEEvNS_4cuda6detail10TensorInfoIKT_T0_EES8_S8_bjS8_NS5_IS6_S8_EES8_NS5_IlS8_EES8_jjPS6_PjSD_j, .Lfunc_end81-_ZN2at6native6mbtopk10gatherTopKIfjLi1EEEvNS_4cuda6detail10TensorInfoIKT_T0_EES8_S8_bjS8_NS5_IS6_S8_EES8_NS5_IlS8_EES8_jjPS6_PjSD_j
                                        ; -- End function
	.set _ZN2at6native6mbtopk10gatherTopKIfjLi1EEEvNS_4cuda6detail10TensorInfoIKT_T0_EES8_S8_bjS8_NS5_IS6_S8_EES8_NS5_IlS8_EES8_jjPS6_PjSD_j.num_vgpr, 20
	.set _ZN2at6native6mbtopk10gatherTopKIfjLi1EEEvNS_4cuda6detail10TensorInfoIKT_T0_EES8_S8_bjS8_NS5_IS6_S8_EES8_NS5_IlS8_EES8_jjPS6_PjSD_j.num_agpr, 0
	.set _ZN2at6native6mbtopk10gatherTopKIfjLi1EEEvNS_4cuda6detail10TensorInfoIKT_T0_EES8_S8_bjS8_NS5_IS6_S8_EES8_NS5_IlS8_EES8_jjPS6_PjSD_j.numbered_sgpr, 39
	.set _ZN2at6native6mbtopk10gatherTopKIfjLi1EEEvNS_4cuda6detail10TensorInfoIKT_T0_EES8_S8_bjS8_NS5_IS6_S8_EES8_NS5_IlS8_EES8_jjPS6_PjSD_j.num_named_barrier, 0
	.set _ZN2at6native6mbtopk10gatherTopKIfjLi1EEEvNS_4cuda6detail10TensorInfoIKT_T0_EES8_S8_bjS8_NS5_IS6_S8_EES8_NS5_IlS8_EES8_jjPS6_PjSD_j.private_seg_size, 0
	.set _ZN2at6native6mbtopk10gatherTopKIfjLi1EEEvNS_4cuda6detail10TensorInfoIKT_T0_EES8_S8_bjS8_NS5_IS6_S8_EES8_NS5_IlS8_EES8_jjPS6_PjSD_j.uses_vcc, 1
	.set _ZN2at6native6mbtopk10gatherTopKIfjLi1EEEvNS_4cuda6detail10TensorInfoIKT_T0_EES8_S8_bjS8_NS5_IS6_S8_EES8_NS5_IlS8_EES8_jjPS6_PjSD_j.uses_flat_scratch, 0
	.set _ZN2at6native6mbtopk10gatherTopKIfjLi1EEEvNS_4cuda6detail10TensorInfoIKT_T0_EES8_S8_bjS8_NS5_IS6_S8_EES8_NS5_IlS8_EES8_jjPS6_PjSD_j.has_dyn_sized_stack, 0
	.set _ZN2at6native6mbtopk10gatherTopKIfjLi1EEEvNS_4cuda6detail10TensorInfoIKT_T0_EES8_S8_bjS8_NS5_IS6_S8_EES8_NS5_IlS8_EES8_jjPS6_PjSD_j.has_recursion, 0
	.set _ZN2at6native6mbtopk10gatherTopKIfjLi1EEEvNS_4cuda6detail10TensorInfoIKT_T0_EES8_S8_bjS8_NS5_IS6_S8_EES8_NS5_IlS8_EES8_jjPS6_PjSD_j.has_indirect_call, 0
	.section	.AMDGPU.csdata,"",@progbits
; Kernel info:
; codeLenInByte = 2140
; TotalNumSgprs: 43
; NumVgprs: 20
; ScratchSize: 0
; MemoryBound: 0
; FloatMode: 240
; IeeeMode: 1
; LDSByteSize: 1068 bytes/workgroup (compile time only)
; SGPRBlocks: 5
; VGPRBlocks: 4
; NumSGPRsForWavesPerEU: 43
; NumVGPRsForWavesPerEU: 20
; Occupancy: 10
; WaveLimiterHint : 1
; COMPUTE_PGM_RSRC2:SCRATCH_EN: 0
; COMPUTE_PGM_RSRC2:USER_SGPR: 6
; COMPUTE_PGM_RSRC2:TRAP_HANDLER: 0
; COMPUTE_PGM_RSRC2:TGID_X_EN: 1
; COMPUTE_PGM_RSRC2:TGID_Y_EN: 1
; COMPUTE_PGM_RSRC2:TGID_Z_EN: 1
; COMPUTE_PGM_RSRC2:TIDIG_COMP_CNT: 0
	.section	.text._ZN2at6native6sbtopk10gatherTopKIfjLi1ELb0EEEvNS_4cuda6detail10TensorInfoIKT_T0_EES8_S8_bS8_S8_NS5_IS6_S8_EES8_NS5_IlS8_EES8_PS6_,"axG",@progbits,_ZN2at6native6sbtopk10gatherTopKIfjLi1ELb0EEEvNS_4cuda6detail10TensorInfoIKT_T0_EES8_S8_bS8_S8_NS5_IS6_S8_EES8_NS5_IlS8_EES8_PS6_,comdat
	.protected	_ZN2at6native6sbtopk10gatherTopKIfjLi1ELb0EEEvNS_4cuda6detail10TensorInfoIKT_T0_EES8_S8_bS8_S8_NS5_IS6_S8_EES8_NS5_IlS8_EES8_PS6_ ; -- Begin function _ZN2at6native6sbtopk10gatherTopKIfjLi1ELb0EEEvNS_4cuda6detail10TensorInfoIKT_T0_EES8_S8_bS8_S8_NS5_IS6_S8_EES8_NS5_IlS8_EES8_PS6_
	.globl	_ZN2at6native6sbtopk10gatherTopKIfjLi1ELb0EEEvNS_4cuda6detail10TensorInfoIKT_T0_EES8_S8_bS8_S8_NS5_IS6_S8_EES8_NS5_IlS8_EES8_PS6_
	.p2align	8
	.type	_ZN2at6native6sbtopk10gatherTopKIfjLi1ELb0EEEvNS_4cuda6detail10TensorInfoIKT_T0_EES8_S8_bS8_S8_NS5_IS6_S8_EES8_NS5_IlS8_EES8_PS6_,@function
_ZN2at6native6sbtopk10gatherTopKIfjLi1ELb0EEEvNS_4cuda6detail10TensorInfoIKT_T0_EES8_S8_bS8_S8_NS5_IS6_S8_EES8_NS5_IlS8_EES8_PS6_: ; @_ZN2at6native6sbtopk10gatherTopKIfjLi1ELb0EEEvNS_4cuda6detail10TensorInfoIKT_T0_EES8_S8_bS8_S8_NS5_IS6_S8_EES8_NS5_IlS8_EES8_PS6_
; %bb.0:
	s_load_dwordx2 s[14:15], s[4:5], 0x2b8
	s_load_dwordx4 s[60:63], s[4:5], 0xd8
	s_add_u32 s12, s4, 0x2b8
	s_addc_u32 s13, s5, 0
	s_waitcnt lgkmcnt(0)
	s_mul_i32 s0, s15, s8
	s_add_i32 s0, s0, s7
	s_mul_i32 s0, s0, s14
	s_add_i32 s10, s0, s6
	s_cmp_ge_u32 s10, s63
	s_cbranch_scc1 .LBB82_413
; %bb.1:
	s_load_dwordx2 s[0:1], s[4:5], 0x1d0
                                        ; implicit-def: $vgpr47 : SGPR spill to VGPR lane
	s_mov_b32 s69, 0
	v_cmp_eq_u32_e64 s[8:9], 0, v0
	s_waitcnt lgkmcnt(0)
	v_writelane_b32 v47, s0, 0
	v_writelane_b32 v47, s1, 1
	s_load_dword s0, s[4:5], 0xe8
	s_waitcnt lgkmcnt(0)
	v_writelane_b32 v47, s0, 2
	s_load_dwordx2 s[0:1], s[4:5], 0xf0
	s_waitcnt lgkmcnt(0)
	v_writelane_b32 v47, s0, 3
	v_writelane_b32 v47, s1, 4
	s_load_dword s7, s[4:5], 0x6c
	s_load_dwordx2 s[0:1], s[4:5], 0x0
	s_mov_b64 s[2:3], exec
	v_writelane_b32 v47, s8, 5
	v_writelane_b32 v47, s9, 6
	s_and_b64 s[8:9], s[2:3], s[8:9]
	s_mov_b64 exec, s[8:9]
; %bb.2:
	v_mov_b32_e32 v1, 0
	v_mov_b32_e32 v2, s60
	;; [unrolled: 1-line block ×3, first 2 shown]
	ds_write_b96 v1, v[1:3] offset:4096
; %bb.3:
	s_or_b64 exec, exec, s[2:3]
	s_waitcnt lgkmcnt(0)
	s_mul_i32 s68, s7, s10
	s_lshl_b64 s[2:3], s[68:69], 2
	s_add_u32 s33, s0, s2
	s_barrier
	s_load_dword s0, s[12:13], 0xc
	s_addc_u32 s68, s1, s3
	s_bitcmp1_b32 s62, 0
	v_writelane_b32 v47, s10, 7
	s_cselect_b64 s[2:3], -1, 0
	v_mbcnt_lo_u32_b32 v1, -1, 0
	v_writelane_b32 v47, s2, 8
	v_mbcnt_hi_u32_b32 v19, -1, v1
	v_writelane_b32 v47, s3, 9
	s_xor_b64 s[62:63], s[2:3], -1
	s_waitcnt lgkmcnt(0)
	s_and_b32 s8, s0, 0xffff
	v_cmp_gt_u32_e32 vcc, 64, v0
	v_cmp_gt_i32_e64 s[2:3], 4, v19
	s_lshl_b32 s73, s8, 2
	s_bfe_u32 s9, s0, 0xa0006
	s_and_b64 s[70:71], vcc, s[2:3]
	s_cmpk_gt_u32 s60, 0x300
	s_cselect_b64 s[2:3], -1, 0
	v_writelane_b32 v47, s2, 10
	v_writelane_b32 v47, s3, 11
	;; [unrolled: 1-line block ×3, first 2 shown]
	s_load_dword s7, s[4:5], 0xe8
	v_mov_b32_e32 v9, 0
	v_mov_b32_e32 v8, v9
	v_writelane_b32 v47, s5, 13
	v_cmp_gt_u32_e64 s[2:3], s60, v0
	s_waitcnt lgkmcnt(0)
	v_mul_lo_u32 v7, s7, v0
	v_mov_b32_e32 v20, s68
	v_writelane_b32 v47, s2, 14
	s_cmp_gt_u32 s8, 63
	v_lshlrev_b64 v[1:2], 2, v[7:8]
	v_writelane_b32 v47, s3, 15
	v_add_co_u32_e32 v5, vcc, s33, v1
	v_addc_co_u32_e32 v6, vcc, v20, v2, vcc
	v_lshlrev_b64 v[2:3], v19, -1
	s_cselect_b64 s[2:3], -1, 0
	v_writelane_b32 v47, s2, 16
	v_not_b32_e32 v17, v2
	v_lshrrev_b32_e32 v2, 2, v0
	v_writelane_b32 v47, s3, 17
	s_add_i32 s2, s8, -1
	v_and_b32_e32 v2, 0xf0, v2
	v_writelane_b32 v47, s2, 18
	s_add_i32 s2, s2, s60
	v_or_b32_e32 v22, 0xc00, v2
	v_cvt_f32_u32_e32 v2, s73
	s_cmp_lt_u32 s6, s14
	s_cselect_b32 s3, 12, 18
	s_add_u32 s4, s12, s3
	s_addc_u32 s5, s13, 0
	v_rcp_iflag_f32_e32 v2, v2
	v_writelane_b32 v47, s4, 19
	s_add_i32 s3, s9, -1
	v_writelane_b32 v47, s5, 20
	s_bfe_u32 s4, s8, 0x30006
	s_and_b32 s3, s3, 0xffff
	s_cmp_gt_u32 s3, 6
	s_cselect_b64 s[12:13], -1, 0
	v_mul_f32_e32 v2, 0x4f7ffffe, v2
	v_writelane_b32 v47, s12, 21
	s_and_b32 s17, s9, 0x3f8
	v_cvt_u32_f32_e32 v2, v2
	v_writelane_b32 v47, s13, 22
	s_cmp_lg_u32 s4, 0
	v_writelane_b32 v47, s4, 23
	s_cselect_b64 s[4:5], -1, 0
	v_writelane_b32 v47, s4, 24
	v_writelane_b32 v47, s5, 25
	s_sub_i32 s3, 0, s73
	v_readfirstlane_b32 s4, v2
	s_mul_i32 s3, s3, s4
	s_mul_hi_u32 s3, s4, s3
	s_add_i32 s72, s4, s3
	s_mul_hi_u32 s3, s60, s72
	s_mul_i32 s3, s3, s73
	v_cvt_f32_u32_e32 v2, s8
	s_sub_i32 s3, s60, s3
	s_sub_i32 s4, s3, s73
	s_cmp_ge_u32 s3, s73
	s_cselect_b32 s3, s4, s3
	v_rcp_iflag_f32_e32 v4, v2
	s_sub_i32 s4, s3, s73
	s_cmp_ge_u32 s3, s73
	s_cselect_b32 s3, s4, s3
	v_lshlrev_b32_e32 v18, 2, v0
	s_sub_i32 s16, s60, s3
	v_mul_f32_e32 v4, 0x4f7ffffe, v4
	v_cmp_gt_u32_e64 s[4:5], s16, v18
	v_cvt_u32_f32_e32 v4, v4
	v_add_u32_e32 v23, s16, v0
	v_writelane_b32 v47, s4, 26
	v_writelane_b32 v47, s5, 27
	v_cmp_gt_u32_e64 s[4:5], s60, v23
	v_writelane_b32 v47, s4, 28
	v_writelane_b32 v47, s5, 29
	s_sub_i32 s4, 0, s8
	v_readfirstlane_b32 s5, v4
	s_mul_i32 s4, s4, s5
	v_mul_lo_u32 v8, v23, s7
	s_mul_hi_u32 s4, s5, s4
	s_add_i32 s4, s5, s4
	v_writelane_b32 v47, s4, 30
	s_mul_hi_u32 s4, s2, s4
	s_mul_i32 s4, s4, s8
	v_not_b32_e32 v16, v3
	v_lshlrev_b64 v[2:3], 2, v[8:9]
	s_sub_i32 s4, s2, s4
	s_sub_i32 s5, s4, s8
	v_add_co_u32_e32 v10, vcc, s33, v2
	s_cmp_ge_u32 s4, s8
	v_mul_lo_u32 v2, s7, v18
	s_cselect_b32 s4, s5, s4
	s_sub_i32 s5, s4, s8
	s_cmp_ge_u32 s4, s8
	s_cselect_b32 s4, s5, s4
	v_add_u32_e32 v25, s7, v2
	v_or_b32_e32 v2, 2, v18
	s_sub_i32 s4, s2, s4
	v_mul_lo_u32 v26, s7, v2
	v_or_b32_e32 v2, 3, v18
	s_add_i32 s2, s8, s60
	v_mul_lo_u32 v27, s7, v2
	v_add_u32_e32 v2, s2, v0
	v_subrev_u32_e32 v2, s3, v2
	v_mul_lo_u32 v29, s7, v2
	v_lshlrev_b32_e32 v1, 2, v19
	v_mov_b32_e32 v8, s68
	v_cmp_gt_u32_e64 s[12:13], s4, v0
	s_mul_i32 s9, s7, s8
	v_cmp_eq_u32_e64 s[0:1], 0, v19
	v_cmp_gt_u32_e64 s[10:11], 2, v0
	v_add_u32_e32 v21, 0xc00, v18
	v_and_b32_e32 v15, 0x100, v1
	v_addc_co_u32_e32 v11, vcc, v8, v3, vcc
	v_writelane_b32 v47, s12, 31
	s_lshl_b32 s5, s9, 2
	v_lshlrev_b32_e32 v28, 2, v7
	v_lshlrev_b32_e32 v30, 4, v0
	s_lshl_b32 s74, s8, 4
	v_or_b32_e32 v31, 0xc00, v1
	s_mov_b32 s75, 30
	s_mov_b64 s[82:83], 0
	v_mov_b32_e32 v34, s61
	v_bfrev_b32_e32 v32, 1
	v_mov_b32_e32 v24, 0
	v_mov_b32_e32 v33, 0
	v_mov_b32_e32 v12, 1.0
	v_mov_b32_e32 v14, 0
	v_writelane_b32 v47, s13, 32
                                        ; implicit-def: $sgpr84_sgpr85
                                        ; implicit-def: $sgpr86_sgpr87
                                        ; implicit-def: $sgpr90_sgpr91
                                        ; implicit-def: $sgpr92_sgpr93
                                        ; implicit-def: $sgpr88_sgpr89
                                        ; implicit-def: $sgpr94_sgpr95
                                        ; implicit-def: $sgpr64_sgpr65
                                        ; implicit-def: $sgpr66_sgpr67
                                        ; implicit-def: $sgpr20_sgpr21
                                        ; implicit-def: $sgpr76_sgpr77
	s_branch .LBB82_6
.LBB82_4:                               ;   in Loop: Header=BB82_6 Depth=1
	s_or_b64 exec, exec, s[22:23]
	s_andn2_b64 s[12:13], s[76:77], exec
	s_and_b64 s[14:15], s[18:19], exec
	s_or_b64 s[76:77], s[12:13], s[14:15]
	s_andn2_b64 s[20:21], s[20:21], exec
	s_andn2_b64 s[66:67], s[66:67], exec
	;; [unrolled: 1-line block ×4, first 2 shown]
	s_orn2_b64 s[6:7], s[6:7], exec
	v_mov_b32_e32 v34, v36
.LBB82_5:                               ;   in Loop: Header=BB82_6 Depth=1
	s_or_b64 exec, exec, s[2:3]
	s_and_b64 s[2:3], exec, s[6:7]
	s_or_b64 s[82:83], s[2:3], s[82:83]
	s_andn2_b64 s[2:3], s[88:89], exec
	s_and_b64 s[6:7], s[76:77], exec
	s_or_b64 s[88:89], s[2:3], s[6:7]
	s_andn2_b64 s[2:3], s[92:93], exec
	s_and_b64 s[6:7], s[20:21], exec
	;; [unrolled: 3-line block ×5, first 2 shown]
	s_or_b64 s[84:85], s[2:3], s[6:7]
	s_andn2_b64 exec, exec, s[82:83]
	s_cbranch_execz .LBB82_409
.LBB82_6:                               ; =>This Loop Header: Depth=1
                                        ;     Child Loop BB82_12 Depth 2
                                        ;     Child Loop BB82_25 Depth 2
	;; [unrolled: 1-line block ×24, first 2 shown]
	ds_read_b64 v[1:2], v9 offset:4096
	s_waitcnt lgkmcnt(0)
	v_readfirstlane_b32 s12, v1
	s_cmp_lg_u32 s12, 0
	s_cbranch_scc1 .LBB82_33
; %bb.7:                                ;   in Loop: Header=BB82_6 Depth=1
	v_readlane_b32 s2, v47, 10
	v_readlane_b32 s3, v47, 11
	s_and_b64 vcc, exec, s[2:3]
	s_cbranch_vccz .LBB82_20
; %bb.8:                                ;   in Loop: Header=BB82_6 Depth=1
	s_movk_i32 s2, 0x301
	v_cmp_gt_u32_e32 vcc, s2, v2
	s_mov_b64 s[22:23], 0
	s_mov_b64 s[2:3], 0
	s_cbranch_vccz .LBB82_21
; %bb.9:                                ;   in Loop: Header=BB82_6 Depth=1
	s_mov_b64 s[24:25], exec
	v_readlane_b32 s2, v47, 14
	v_readlane_b32 s3, v47, 15
	s_and_b64 s[2:3], s[24:25], s[2:3]
	s_mov_b64 exec, s[2:3]
	s_cbranch_execz .LBB82_82
; %bb.10:                               ;   in Loop: Header=BB82_6 Depth=1
	v_readlane_b32 s2, v47, 19
	v_readlane_b32 s3, v47, 20
	s_nop 4
	global_load_ushort v1, v9, s[2:3]
	global_load_dword v2, v[5:6], off
	v_readlane_b32 s2, v47, 12
	v_readlane_b32 s3, v47, 13
	s_load_dword s2, s[2:3], 0xe8
	s_mov_b64 s[26:27], 0
	v_mov_b32_e32 v4, v0
	s_waitcnt vmcnt(1)
	v_add_u32_e32 v3, v0, v1
	s_waitcnt lgkmcnt(0)
	v_mul_lo_u32 v8, s2, v3
	v_mul_lo_u32 v3, s2, v1
	s_branch .LBB82_12
.LBB82_11:                              ;   in Loop: Header=BB82_12 Depth=2
	s_or_b64 exec, exec, s[2:3]
	v_add_u32_e32 v8, v8, v3
	v_mov_b32_e32 v2, v13
	s_andn2_b64 exec, exec, s[26:27]
	s_cbranch_execz .LBB82_82
.LBB82_12:                              ;   Parent Loop BB82_6 Depth=1
                                        ; =>  This Inner Loop Header: Depth=2
	v_add_u32_e32 v4, v4, v1
	v_cmp_gt_u32_e64 s[6:7], s60, v4
	v_cmp_le_u32_e32 vcc, s60, v4
	s_waitcnt lgkmcnt(0)
	v_mov_b32_e32 v35, 0
	v_mov_b32_e32 v13, 0
	s_and_saveexec_b64 s[2:3], s[6:7]
	s_cbranch_execz .LBB82_14
; %bb.13:                               ;   in Loop: Header=BB82_12 Depth=2
	v_lshlrev_b64 v[36:37], 2, v[8:9]
	v_add_co_u32_e64 v36, s[6:7], s33, v36
	v_addc_co_u32_e64 v37, s[6:7], v20, v37, s[6:7]
	global_load_dword v13, v[36:37], off
.LBB82_14:                              ;   in Loop: Header=BB82_12 Depth=2
	s_or_b64 exec, exec, s[2:3]
	s_waitcnt vmcnt(0)
	v_cmp_lt_i32_e64 s[6:7], -1, v2
	v_cndmask_b32_e64 v36, -1, v32, s[6:7]
	v_xor_b32_e32 v36, v36, v2
	v_cmp_o_f32_e64 s[6:7], v2, v2
	v_cndmask_b32_e64 v36, -1, v36, s[6:7]
	v_and_b32_e32 v36, v36, v33
	v_cmp_eq_u32_e64 s[18:19], v36, v24
	s_cmp_lg_u64 s[18:19], 0
	s_cselect_b64 s[2:3], -1, 0
	s_and_b64 s[6:7], s[0:1], s[2:3]
	s_and_saveexec_b64 s[2:3], s[6:7]
	s_cbranch_execz .LBB82_18
; %bb.15:                               ;   in Loop: Header=BB82_12 Depth=2
	s_mov_b64 s[30:31], exec
	v_mbcnt_lo_u32_b32 v35, s30, 0
	v_mbcnt_hi_u32_b32 v35, s31, v35
	s_bcnt1_i32_b64 s12, s[18:19]
	v_cmp_eq_u32_e64 s[6:7], 0, v35
                                        ; implicit-def: $vgpr36
	s_and_saveexec_b64 s[28:29], s[6:7]
; %bb.16:                               ;   in Loop: Header=BB82_12 Depth=2
	s_bcnt1_i32_b64 s6, s[30:31]
	s_mul_i32 s6, s12, s6
	v_mov_b32_e32 v36, s6
	ds_add_rtn_u32 v36, v9, v36 offset:4104
; %bb.17:                               ;   in Loop: Header=BB82_12 Depth=2
	s_or_b64 exec, exec, s[28:29]
	s_waitcnt lgkmcnt(0)
	v_readfirstlane_b32 s6, v36
	v_mov_b32_e32 v36, s6
	v_mad_u32_u24 v35, s12, v35, v36
.LBB82_18:                              ;   in Loop: Header=BB82_12 Depth=2
	s_or_b64 exec, exec, s[2:3]
	ds_bpermute_b32 v35, v15, v35
	s_and_b64 s[2:3], exec, vcc
	s_or_b64 s[26:27], s[2:3], s[26:27]
	s_and_saveexec_b64 s[2:3], s[18:19]
	s_cbranch_execz .LBB82_11
; %bb.19:                               ;   in Loop: Header=BB82_12 Depth=2
	v_and_b32_e32 v37, s18, v17
	v_and_b32_e32 v36, s19, v16
	v_bcnt_u32_b32 v37, v37, 0
	v_bcnt_u32_b32 v36, v36, v37
	v_lshlrev_b32_e32 v36, 2, v36
	s_waitcnt lgkmcnt(0)
	v_lshl_add_u32 v35, v35, 2, v36
	ds_write_b32 v35, v2
	s_branch .LBB82_11
.LBB82_20:                              ;   in Loop: Header=BB82_6 Depth=1
	s_mov_b64 s[22:23], -1
	s_mov_b64 s[2:3], 0
.LBB82_21:                              ;   in Loop: Header=BB82_6 Depth=1
	s_and_b64 vcc, exec, s[22:23]
	s_cbranch_vccz .LBB82_31
.LBB82_22:                              ;   in Loop: Header=BB82_6 Depth=1
	s_mov_b64 s[2:3], exec
	v_readlane_b32 s6, v47, 14
	v_readlane_b32 s7, v47, 15
	s_and_b64 s[6:7], s[2:3], s[6:7]
	s_mov_b64 exec, s[6:7]
	s_cbranch_execz .LBB82_28
; %bb.23:                               ;   in Loop: Header=BB82_6 Depth=1
	v_readlane_b32 s6, v47, 19
	v_readlane_b32 s7, v47, 20
	s_nop 4
	global_load_ushort v1, v9, s[6:7]
	global_load_dword v2, v[5:6], off
	v_mov_b32_e32 v3, v0
	s_waitcnt vmcnt(1)
	v_add_u32_e32 v8, v0, v1
	v_cmp_gt_u32_e32 vcc, s60, v8
	s_and_saveexec_b64 s[6:7], vcc
	s_cbranch_execz .LBB82_27
; %bb.24:                               ;   in Loop: Header=BB82_6 Depth=1
	v_readlane_b32 s12, v47, 12
	v_readlane_b32 s13, v47, 13
	s_load_dword s12, s[12:13], 0xe8
	v_lshlrev_b32_e32 v4, 2, v1
	s_mov_b64 s[18:19], 0
	v_mov_b32_e32 v35, v18
	v_mov_b32_e32 v3, v0
	s_waitcnt lgkmcnt(0)
	v_mul_lo_u32 v8, s12, v8
	v_mul_lo_u32 v13, s12, v1
.LBB82_25:                              ;   Parent Loop BB82_6 Depth=1
                                        ; =>  This Inner Loop Header: Depth=2
	v_lshlrev_b64 v[36:37], 2, v[8:9]
	v_mov_b32_e32 v38, s68
	v_add_co_u32_e32 v36, vcc, s33, v36
	v_addc_co_u32_e32 v37, vcc, v38, v37, vcc
	global_load_dword v36, v[36:37], off
	v_add_u32_e32 v3, v3, v1
	s_waitcnt vmcnt(1)
	ds_write_b32 v35, v2
	v_add_u32_e32 v2, v1, v3
	v_cmp_le_u32_e32 vcc, s60, v2
	v_add_u32_e32 v35, v35, v4
	v_add_u32_e32 v8, v8, v13
	s_or_b64 s[18:19], vcc, s[18:19]
	s_waitcnt vmcnt(0)
	v_mov_b32_e32 v2, v36
	s_andn2_b64 exec, exec, s[18:19]
	s_cbranch_execnz .LBB82_25
; %bb.26:                               ;   in Loop: Header=BB82_6 Depth=1
	s_or_b64 exec, exec, s[18:19]
	v_mov_b32_e32 v2, v36
.LBB82_27:                              ;   in Loop: Header=BB82_6 Depth=1
	s_or_b64 exec, exec, s[6:7]
	v_lshlrev_b32_e32 v1, 2, v3
	s_waitcnt vmcnt(0)
	ds_write_b32 v1, v2
.LBB82_28:                              ;   in Loop: Header=BB82_6 Depth=1
	s_or_b64 exec, exec, s[2:3]
	s_waitcnt lgkmcnt(0)
	s_barrier
	s_mov_b64 s[2:3], exec
	v_readlane_b32 s6, v47, 5
	v_readlane_b32 s7, v47, 6
	s_and_b64 s[6:7], s[2:3], s[6:7]
	s_mov_b64 exec, s[6:7]
; %bb.29:                               ;   in Loop: Header=BB82_6 Depth=1
	v_mov_b32_e32 v1, s60
	ds_write_b32 v9, v1 offset:4096
; %bb.30:                               ;   in Loop: Header=BB82_6 Depth=1
	s_or_b64 exec, exec, s[2:3]
	s_mov_b64 s[2:3], -1
	s_waitcnt lgkmcnt(0)
	s_barrier
.LBB82_31:                              ;   in Loop: Header=BB82_6 Depth=1
	s_mov_b32 s12, 0
	s_and_b64 vcc, exec, s[2:3]
	s_cbranch_vccz .LBB82_33
; %bb.32:                               ;   in Loop: Header=BB82_6 Depth=1
	ds_read_b32 v1, v9 offset:4096
	s_waitcnt lgkmcnt(0)
	v_readfirstlane_b32 s12, v1
.LBB82_33:                              ;   in Loop: Header=BB82_6 Depth=1
	s_cmp_lt_i32 s12, 1
	s_mov_b64 s[2:3], -1
                                        ; implicit-def: $vgpr1
	s_cbranch_scc1 .LBB82_43
; %bb.34:                               ;   in Loop: Header=BB82_6 Depth=1
	s_and_b64 vcc, exec, s[2:3]
	s_cbranch_vccnz .LBB82_54
.LBB82_35:                              ;   in Loop: Header=BB82_6 Depth=1
	s_lshl_b32 s12, s69, 6
	s_and_saveexec_b64 s[2:3], s[0:1]
.LBB82_36:                              ;   in Loop: Header=BB82_6 Depth=1
	v_lshl_add_u32 v8, s12, 2, v22
	ds_write_b128 v8, v[1:4]
.LBB82_37:                              ;   in Loop: Header=BB82_6 Depth=1
	s_or_b64 exec, exec, s[2:3]
	s_waitcnt lgkmcnt(0)
	s_barrier
	s_and_saveexec_b64 s[6:7], s[70:71]
	s_cbranch_execz .LBB82_68
; %bb.38:                               ;   in Loop: Header=BB82_6 Depth=1
	v_readlane_b32 s2, v47, 16
	v_readlane_b32 s3, v47, 17
	s_andn2_b64 vcc, exec, s[2:3]
	v_mov_b32_e32 v1, 0
	s_cbranch_vccnz .LBB82_67
; %bb.39:                               ;   in Loop: Header=BB82_6 Depth=1
	v_readlane_b32 s2, v47, 21
	v_readlane_b32 s3, v47, 22
	s_andn2_b64 vcc, exec, s[2:3]
	s_cbranch_vccnz .LBB82_63
; %bb.40:                               ;   in Loop: Header=BB82_6 Depth=1
	v_lshl_add_u32 v2, s69, 8, v31
	s_mov_b32 s2, 0
	v_mov_b32_e32 v1, 0
.LBB82_41:                              ;   Parent Loop BB82_6 Depth=1
                                        ; =>  This Inner Loop Header: Depth=2
	ds_read2_b32 v[3:4], v2 offset1:4
	ds_read2_b32 v[35:36], v2 offset0:8 offset1:12
	ds_read2_b32 v[37:38], v2 offset0:16 offset1:20
	;; [unrolled: 1-line block ×3, first 2 shown]
	s_add_i32 s2, s2, 8
	s_waitcnt lgkmcnt(3)
	v_add3_u32 v1, v3, v1, v4
	s_waitcnt lgkmcnt(2)
	v_add3_u32 v1, v35, v1, v36
	;; [unrolled: 2-line block ×3, first 2 shown]
	v_add_u32_e32 v2, 0x80, v2
	s_cmp_eq_u32 s17, s2
	s_waitcnt lgkmcnt(0)
	v_add3_u32 v1, v39, v1, v40
	s_cbranch_scc0 .LBB82_41
; %bb.42:                               ;   in Loop: Header=BB82_6 Depth=1
	s_mov_b32 s2, s17
	s_branch .LBB82_64
.LBB82_43:                              ;   in Loop: Header=BB82_6 Depth=1
	v_mov_b32_e32 v1, 0
	v_mov_b32_e32 v2, 0
	;; [unrolled: 1-line block ×4, first 2 shown]
	s_mov_b64 s[48:49], exec
	v_readlane_b32 s2, v47, 26
	v_readlane_b32 s3, v47, 27
	s_and_b64 s[2:3], s[48:49], s[2:3]
	s_mov_b64 exec, s[2:3]
	s_cbranch_execz .LBB82_47
; %bb.44:                               ;   in Loop: Header=BB82_6 Depth=1
	s_mov_b32 s2, 0
	s_mov_b64 s[50:51], 0
	s_mov_b32 s3, 0
	s_mov_b32 s13, 0
	;; [unrolled: 1-line block ×4, first 2 shown]
	v_mov_b32_e32 v13, v18
.LBB82_45:                              ;   Parent Loop BB82_6 Depth=1
                                        ; =>  This Inner Loop Header: Depth=2
	v_add_u32_e32 v8, s2, v28
	v_lshlrev_b64 v[2:3], 2, v[8:9]
	v_add_u32_e32 v8, s2, v25
	v_mov_b32_e32 v1, s68
	v_lshlrev_b64 v[35:36], 2, v[8:9]
	v_add_co_u32_e64 v2, s[6:7], s33, v2
	v_add_u32_e32 v8, s2, v26
	v_addc_co_u32_e64 v3, s[6:7], v1, v3, s[6:7]
	v_lshlrev_b64 v[37:38], 2, v[8:9]
	global_load_dword v4, v[2:3], off
	v_add_co_u32_e64 v2, s[6:7], s33, v35
	v_add_u32_e32 v8, s2, v27
	v_addc_co_u32_e64 v3, s[6:7], v1, v36, s[6:7]
	v_lshlrev_b64 v[39:40], 2, v[8:9]
	global_load_dword v8, v[2:3], off
	v_add_co_u32_e64 v2, s[6:7], s33, v37
	v_addc_co_u32_e64 v3, s[6:7], v1, v38, s[6:7]
	global_load_dword v35, v[2:3], off
	v_add_co_u32_e64 v2, s[6:7], s33, v39
	v_addc_co_u32_e64 v3, s[6:7], v1, v40, s[6:7]
	global_load_dword v1, v[2:3], off
	v_add_u32_e32 v13, s73, v13
	v_cmp_le_u32_e32 vcc, s16, v13
	s_add_i32 s2, s2, s5
	s_waitcnt vmcnt(3)
	v_cmp_lt_i32_e64 s[6:7], -1, v4
	v_cndmask_b32_e64 v2, -1, v32, s[6:7]
	v_xor_b32_e32 v2, v2, v4
	s_waitcnt vmcnt(2)
	v_cmp_lt_i32_e64 s[6:7], -1, v8
	v_cndmask_b32_e64 v3, -1, v32, s[6:7]
	v_cmp_o_f32_e64 s[6:7], v4, v4
	v_cndmask_b32_e64 v2, -1, v2, s[6:7]
	v_xor_b32_e32 v3, v3, v8
	s_waitcnt vmcnt(1)
	v_cmp_lt_i32_e64 s[6:7], -1, v35
	v_cndmask_b32_e64 v4, -1, v32, s[6:7]
	v_cmp_o_f32_e64 s[6:7], v8, v8
	v_cndmask_b32_e64 v3, -1, v3, s[6:7]
	v_xor_b32_e32 v4, v4, v35
	s_waitcnt vmcnt(0)
	v_cmp_lt_i32_e64 s[6:7], -1, v1
	v_cndmask_b32_e64 v8, -1, v32, s[6:7]
	v_and_b32_e32 v36, v2, v33
	v_bfe_u32 v2, v2, s75, 2
	v_cmp_o_f32_e64 s[6:7], v35, v35
	v_cndmask_b32_e64 v4, -1, v4, s[6:7]
	v_cmp_eq_u32_e64 s[6:7], v36, v24
	v_cmp_eq_u32_e64 s[18:19], 0, v2
	v_and_b32_e32 v35, v3, v33
	v_bfe_u32 v3, v3, s75, 2
	v_cmp_eq_u32_e64 s[22:23], 1, v2
	s_and_b64 s[18:19], s[6:7], s[18:19]
	v_xor_b32_e32 v8, v8, v1
	v_cmp_eq_u32_e64 s[24:25], 2, v2
	v_cmp_eq_u32_e64 s[26:27], 3, v2
	v_cmp_o_f32_e64 s[28:29], v1, v1
	v_cmp_eq_u32_e64 s[30:31], 0, v3
	v_cmp_eq_u32_e64 s[34:35], 1, v3
	v_cmp_eq_u32_e64 s[36:37], 2, v3
	v_cmp_eq_u32_e64 s[38:39], 3, v3
	v_cndmask_b32_e64 v3, 0, 1, s[18:19]
	s_and_b64 s[18:19], s[6:7], s[22:23]
	v_cndmask_b32_e64 v1, -1, v8, s[28:29]
	v_cmp_eq_u32_e64 s[28:29], v35, v24
	v_and_b32_e32 v2, v4, v33
	v_bfe_u32 v4, v4, s75, 2
	v_cndmask_b32_e64 v8, 0, 1, s[18:19]
	s_and_b64 s[18:19], s[6:7], s[24:25]
	s_and_b64 s[6:7], s[6:7], s[26:27]
	v_cndmask_b32_e64 v35, 0, 1, s[18:19]
	v_cndmask_b32_e64 v36, 0, 1, s[6:7]
	v_cmp_eq_u32_e64 s[6:7], v2, v24
	v_and_b32_e32 v2, v1, v33
	v_bfe_u32 v1, v1, s75, 2
	v_cmp_eq_u32_e64 s[18:19], 0, v4
	s_and_b64 s[30:31], s[28:29], s[30:31]
	s_and_b64 s[34:35], s[28:29], s[34:35]
	;; [unrolled: 1-line block ×4, first 2 shown]
	v_cmp_eq_u32_e64 s[22:23], 1, v4
	v_cmp_eq_u32_e64 s[24:25], 2, v4
	;; [unrolled: 1-line block ×3, first 2 shown]
	v_cndmask_b32_e64 v4, 0, 1, s[34:35]
	v_cmp_ne_u32_e64 s[34:35], 0, v35
	v_cndmask_b32_e64 v35, 0, 1, s[28:29]
	v_cmp_eq_u32_e64 s[28:29], v2, v24
	v_cmp_eq_u32_e64 s[38:39], 0, v1
	s_and_b64 s[18:19], s[6:7], s[18:19]
	v_cmp_ne_u32_e64 s[40:41], 0, v3
	v_cndmask_b32_e64 v3, 0, 1, s[30:31]
	v_cmp_ne_u32_e64 s[30:31], 0, v8
	v_cmp_eq_u32_e64 s[42:43], 1, v1
	v_cmp_eq_u32_e64 s[44:45], 2, v1
	;; [unrolled: 1-line block ×3, first 2 shown]
	v_cndmask_b32_e64 v1, 0, 1, s[18:19]
	s_and_b64 s[22:23], s[6:7], s[22:23]
	s_and_b64 s[24:25], s[6:7], s[24:25]
	;; [unrolled: 1-line block ×4, first 2 shown]
	v_cndmask_b32_e64 v8, 0, 1, s[36:37]
	v_cmp_ne_u32_e64 s[36:37], 0, v36
	s_bcnt1_i32_b64 s52, s[40:41]
	s_bcnt1_i32_b64 s30, s[30:31]
	v_cmp_ne_u32_e64 s[18:19], 0, v4
	v_cndmask_b32_e64 v2, 0, 1, s[22:23]
	v_cndmask_b32_e64 v4, 0, 1, s[6:7]
	v_cmp_ne_u32_e64 s[6:7], 0, v1
	v_cndmask_b32_e64 v1, 0, 1, s[26:27]
	s_and_b64 s[26:27], s[28:29], s[42:43]
	v_cmp_ne_u32_e64 s[40:41], 0, v3
	s_bcnt1_i32_b64 s31, s[34:35]
	v_cmp_ne_u32_e64 s[22:23], 0, v8
	v_cndmask_b32_e64 v3, 0, 1, s[24:25]
	s_bcnt1_i32_b64 s34, s[36:37]
	s_add_i32 s36, s15, s52
	s_bcnt1_i32_b64 s37, s[18:19]
	v_cmp_ne_u32_e64 s[18:19], 0, v2
	v_cndmask_b32_e64 v2, 0, 1, s[26:27]
	s_add_i32 s26, s14, s30
	s_and_b64 s[14:15], s[28:29], s[44:45]
	v_cmp_ne_u32_e64 s[24:25], 0, v35
	s_bcnt1_i32_b64 s27, s[22:23]
	v_cmp_ne_u32_e64 s[22:23], 0, v3
	v_cndmask_b32_e64 v3, 0, 1, s[14:15]
	s_and_b64 s[14:15], s[28:29], s[46:47]
	s_bcnt1_i32_b64 s35, s[40:41]
	s_add_i32 s13, s13, s31
	s_bcnt1_i32_b64 s30, s[24:25]
	v_cmp_ne_u32_e64 s[24:25], 0, v4
	v_cndmask_b32_e64 v4, 0, 1, s[14:15]
	s_add_i32 s3, s3, s34
	s_bcnt1_i32_b64 s14, s[6:7]
	v_cmp_ne_u32_e64 s[6:7], 0, v1
	s_add_i32 s15, s36, s35
	s_bcnt1_i32_b64 s28, s[18:19]
	v_cmp_ne_u32_e64 s[18:19], 0, v2
	;; [unrolled: 3-line block ×4, first 2 shown]
	s_add_i32 s3, s3, s30
	s_bcnt1_i32_b64 s6, s[6:7]
	s_add_i32 s7, s15, s14
	s_bcnt1_i32_b64 s14, s[18:19]
	;; [unrolled: 2-line block ×4, first 2 shown]
	s_add_i32 s3, s3, s27
	s_add_i32 s15, s7, s6
	;; [unrolled: 1-line block ×5, first 2 shown]
	s_or_b64 s[50:51], vcc, s[50:51]
	v_mov_b32_e32 v1, s15
	v_mov_b32_e32 v2, s14
	;; [unrolled: 1-line block ×4, first 2 shown]
	s_andn2_b64 exec, exec, s[50:51]
	s_cbranch_execnz .LBB82_45
; %bb.46:                               ;   in Loop: Header=BB82_6 Depth=1
	s_or_b64 exec, exec, s[50:51]
.LBB82_47:                              ;   in Loop: Header=BB82_6 Depth=1
	s_or_b64 exec, exec, s[48:49]
	s_mov_b64 s[18:19], exec
	v_readlane_b32 s2, v47, 28
	v_readlane_b32 s3, v47, 29
	s_and_b64 s[2:3], s[18:19], s[2:3]
	s_mov_b64 exec, s[2:3]
	s_cbranch_execz .LBB82_53
; %bb.48:                               ;   in Loop: Header=BB82_6 Depth=1
	global_load_dword v35, v[10:11], off
	s_mov_b64 s[22:23], 0
	v_mov_b32_e32 v8, v29
	v_mov_b32_e32 v13, v23
	s_branch .LBB82_50
.LBB82_49:                              ;   in Loop: Header=BB82_50 Depth=2
	s_or_b64 exec, exec, s[2:3]
	s_and_b64 s[2:3], exec, vcc
	s_waitcnt vmcnt(0)
	v_cmp_lt_i32_e32 vcc, -1, v35
	v_cndmask_b32_e32 v37, -1, v32, vcc
	v_xor_b32_e32 v37, v37, v35
	v_cmp_o_f32_e32 vcc, v35, v35
	v_cndmask_b32_e32 v35, -1, v37, vcc
	v_and_b32_e32 v37, v35, v33
	v_bfe_u32 v35, v35, s75, 2
	s_or_b64 s[22:23], s[2:3], s[22:23]
	v_cmp_eq_u32_e32 vcc, v37, v24
	v_cmp_eq_u32_e64 s[6:7], 0, v35
	s_and_b64 s[2:3], vcc, s[6:7]
	v_cndmask_b32_e64 v37, 0, 1, s[2:3]
	v_cmp_ne_u32_e64 s[6:7], 0, v37
	s_bcnt1_i32_b64 s2, s[6:7]
	v_cmp_eq_u32_e64 s[6:7], 1, v35
	v_add_u32_e32 v1, s2, v1
	s_and_b64 s[2:3], vcc, s[6:7]
	v_cndmask_b32_e64 v37, 0, 1, s[2:3]
	v_cmp_ne_u32_e64 s[6:7], 0, v37
	s_bcnt1_i32_b64 s2, s[6:7]
	v_cmp_eq_u32_e64 s[6:7], 2, v35
	v_add_u32_e32 v2, s2, v2
	;; [unrolled: 6-line block ×3, first 2 shown]
	s_and_b64 s[2:3], vcc, s[6:7]
	v_cndmask_b32_e64 v35, 0, 1, s[2:3]
	v_cmp_ne_u32_e32 vcc, 0, v35
	s_bcnt1_i32_b64 s2, vcc
	v_add_u32_e32 v4, s2, v4
	v_add_u32_e32 v8, s9, v8
	v_mov_b32_e32 v35, v36
	s_andn2_b64 exec, exec, s[22:23]
	s_cbranch_execz .LBB82_52
.LBB82_50:                              ;   Parent Loop BB82_6 Depth=1
                                        ; =>  This Inner Loop Header: Depth=2
	v_add_u32_e32 v13, s8, v13
	v_cmp_gt_u32_e64 s[6:7], s60, v13
	v_cmp_le_u32_e32 vcc, s60, v13
	v_mov_b32_e32 v36, 0
	s_and_saveexec_b64 s[2:3], s[6:7]
	s_cbranch_execz .LBB82_49
; %bb.51:                               ;   in Loop: Header=BB82_50 Depth=2
	v_lshlrev_b64 v[36:37], 2, v[8:9]
	v_mov_b32_e32 v38, s68
	v_add_co_u32_e64 v36, s[6:7], s33, v36
	v_addc_co_u32_e64 v37, s[6:7], v38, v37, s[6:7]
	global_load_dword v36, v[36:37], off
	s_branch .LBB82_49
.LBB82_52:                              ;   in Loop: Header=BB82_6 Depth=1
	s_or_b64 exec, exec, s[22:23]
.LBB82_53:                              ;   in Loop: Header=BB82_6 Depth=1
	s_or_b64 exec, exec, s[18:19]
	s_branch .LBB82_35
.LBB82_54:                              ;   in Loop: Header=BB82_6 Depth=1
	s_mul_hi_u32 s2, s12, s72
	s_mul_i32 s2, s2, s73
	s_sub_i32 s2, s12, s2
	s_sub_i32 s3, s2, s73
	s_cmp_ge_u32 s2, s73
	s_cselect_b32 s2, s3, s2
	s_sub_i32 s3, s2, s73
	s_cmp_ge_u32 s2, s73
	s_cselect_b32 s2, s3, s2
	s_sub_i32 s2, s12, s2
	v_cmp_gt_u32_e32 vcc, s2, v18
	v_mov_b32_e32 v1, 0
	v_mov_b32_e32 v2, 0
	;; [unrolled: 1-line block ×4, first 2 shown]
	s_and_saveexec_b64 s[78:79], vcc
	s_cbranch_execz .LBB82_58
; %bb.55:                               ;   in Loop: Header=BB82_6 Depth=1
	s_mov_b32 s3, 0
	s_mov_b64 s[80:81], 0
	v_mov_b32_e32 v8, v30
	s_mov_b32 s13, 0
	s_mov_b32 s14, 0
	;; [unrolled: 1-line block ×3, first 2 shown]
	v_mov_b32_e32 v13, v18
.LBB82_56:                              ;   Parent Loop BB82_6 Depth=1
                                        ; =>  This Inner Loop Header: Depth=2
	ds_read_b128 v[1:4], v8
	v_add_u32_e32 v13, s73, v13
	v_cmp_le_u32_e32 vcc, s2, v13
	v_add_u32_e32 v8, s74, v8
	s_waitcnt lgkmcnt(0)
	v_cmp_lt_i32_e64 s[6:7], -1, v1
	v_cndmask_b32_e64 v35, -1, v32, s[6:7]
	v_cmp_lt_i32_e64 s[6:7], -1, v2
	v_cndmask_b32_e64 v36, -1, v32, s[6:7]
	;; [unrolled: 2-line block ×4, first 2 shown]
	v_xor_b32_e32 v36, v36, v2
	v_cmp_o_f32_e64 s[6:7], v2, v2
	v_xor_b32_e32 v2, v37, v3
	v_cmp_o_f32_e64 s[18:19], v3, v3
	;; [unrolled: 2-line block ×4, first 2 shown]
	v_cndmask_b32_e64 v1, -1, v4, s[24:25]
	v_cndmask_b32_e64 v4, -1, v36, s[6:7]
	v_and_b32_e32 v35, v1, v33
	v_bfe_u32 v1, v1, s75, 2
	v_cndmask_b32_e64 v2, -1, v2, s[18:19]
	v_and_b32_e32 v36, v4, v33
	v_bfe_u32 v4, v4, s75, 2
	v_cmp_eq_u32_e64 s[6:7], v35, v24
	v_cmp_eq_u32_e64 s[26:27], 0, v1
	v_cndmask_b32_e64 v3, -1, v3, s[22:23]
	v_and_b32_e32 v37, v2, v33
	v_bfe_u32 v2, v2, s75, 2
	v_cmp_eq_u32_e64 s[18:19], v36, v24
	v_cmp_eq_u32_e64 s[28:29], 0, v4
	s_and_b64 s[26:27], s[6:7], s[26:27]
	v_and_b32_e32 v38, v3, v33
	v_bfe_u32 v3, v3, s75, 2
	v_cmp_eq_u32_e64 s[22:23], v37, v24
	v_cmp_eq_u32_e64 s[30:31], 0, v2
	v_cmp_eq_u32_e64 s[36:37], 1, v1
	v_cmp_eq_u32_e64 s[44:45], 2, v1
	v_cmp_eq_u32_e64 s[52:53], 3, v1
	v_cndmask_b32_e64 v1, 0, 1, s[26:27]
	s_and_b64 s[26:27], s[18:19], s[28:29]
	v_cmp_eq_u32_e64 s[24:25], v38, v24
	v_cmp_eq_u32_e64 s[34:35], 0, v3
	;; [unrolled: 1-line block ×5, first 2 shown]
	v_cndmask_b32_e64 v2, 0, 1, s[26:27]
	s_and_b64 s[26:27], s[22:23], s[30:31]
	v_cmp_eq_u32_e64 s[42:43], 1, v3
	v_cmp_eq_u32_e64 s[50:51], 2, v3
	;; [unrolled: 1-line block ×3, first 2 shown]
	v_cndmask_b32_e64 v3, 0, 1, s[26:27]
	s_and_b64 s[26:27], s[24:25], s[34:35]
	v_cmp_eq_u32_e64 s[38:39], 1, v4
	v_cmp_eq_u32_e64 s[46:47], 2, v4
	;; [unrolled: 1-line block ×3, first 2 shown]
	v_cndmask_b32_e64 v4, 0, 1, s[26:27]
	s_and_b64 s[26:27], s[6:7], s[36:37]
	v_cndmask_b32_e64 v35, 0, 1, s[26:27]
	s_and_b64 s[26:27], s[18:19], s[38:39]
	;; [unrolled: 2-line block ×5, first 2 shown]
	s_and_b64 s[6:7], s[6:7], s[52:53]
	v_cndmask_b32_e64 v39, 0, 1, s[26:27]
	s_and_b64 s[26:27], s[18:19], s[46:47]
	v_cndmask_b32_e64 v43, 0, 1, s[6:7]
	;; [unrolled: 2-line block ×7, first 2 shown]
	v_cndmask_b32_e64 v46, 0, 1, s[6:7]
	v_cmp_ne_u32_e64 s[6:7], 0, v1
	v_cmp_ne_u32_e64 s[18:19], 0, v2
	;; [unrolled: 1-line block ×11, first 2 shown]
	s_bcnt1_i32_b64 s6, s[6:7]
	s_bcnt1_i32_b64 s7, s[18:19]
	;; [unrolled: 1-line block ×8, first 2 shown]
	v_cmp_ne_u32_e64 s[34:35], 0, v38
	v_cmp_ne_u32_e64 s[40:41], 0, v41
	;; [unrolled: 1-line block ×3, first 2 shown]
	s_bcnt1_i32_b64 s23, s[28:29]
	s_bcnt1_i32_b64 s27, s[38:39]
	;; [unrolled: 1-line block ×3, first 2 shown]
	s_add_i32 s6, s15, s6
	s_add_i32 s14, s14, s22
	;; [unrolled: 1-line block ×4, first 2 shown]
	v_cmp_ne_u32_e64 s[42:43], 0, v42
	v_cmp_ne_u32_e64 s[50:51], 0, v46
	s_bcnt1_i32_b64 s25, s[34:35]
	s_bcnt1_i32_b64 s28, s[40:41]
	;; [unrolled: 1-line block ×3, first 2 shown]
	s_add_i32 s6, s6, s7
	s_add_i32 s7, s14, s23
	s_add_i32 s13, s13, s27
	s_add_i32 s3, s3, s31
	s_bcnt1_i32_b64 s29, s[42:43]
	s_bcnt1_i32_b64 s35, s[50:51]
	s_add_i32 s6, s6, s18
	s_add_i32 s7, s7, s24
	;; [unrolled: 1-line block ×8, first 2 shown]
	s_or_b64 s[80:81], vcc, s[80:81]
	v_mov_b32_e32 v1, s15
	v_mov_b32_e32 v2, s14
	;; [unrolled: 1-line block ×4, first 2 shown]
	s_andn2_b64 exec, exec, s[80:81]
	s_cbranch_execnz .LBB82_56
; %bb.57:                               ;   in Loop: Header=BB82_6 Depth=1
	s_or_b64 exec, exec, s[80:81]
.LBB82_58:                              ;   in Loop: Header=BB82_6 Depth=1
	s_or_b64 exec, exec, s[78:79]
	v_add_u32_e32 v8, s2, v0
	v_cmp_gt_u32_e32 vcc, s12, v8
	s_and_saveexec_b64 s[28:29], vcc
	s_cbranch_execz .LBB82_62
; %bb.59:                               ;   in Loop: Header=BB82_6 Depth=1
	v_lshlrev_b32_e32 v13, 2, v8
	s_mov_b64 s[30:31], 0
.LBB82_60:                              ;   Parent Loop BB82_6 Depth=1
                                        ; =>  This Inner Loop Header: Depth=2
	ds_read_b32 v35, v13
	v_add_u32_e32 v8, s8, v8
	v_cmp_le_u32_e32 vcc, s12, v8
	v_add_u32_e32 v13, s73, v13
	s_waitcnt lgkmcnt(0)
	v_cmp_lt_i32_e64 s[6:7], -1, v35
	v_cndmask_b32_e64 v36, -1, v32, s[6:7]
	v_xor_b32_e32 v36, v36, v35
	v_cmp_o_f32_e64 s[6:7], v35, v35
	v_cndmask_b32_e64 v35, -1, v36, s[6:7]
	v_and_b32_e32 v36, v35, v33
	v_bfe_u32 v35, v35, s75, 2
	v_cmp_eq_u32_e64 s[6:7], v36, v24
	v_cmp_eq_u32_e64 s[18:19], 0, v35
	;; [unrolled: 1-line block ×3, first 2 shown]
	s_and_b64 s[2:3], s[6:7], s[18:19]
	v_cmp_eq_u32_e64 s[24:25], 2, v35
	v_cmp_eq_u32_e64 s[26:27], 3, v35
	v_cndmask_b32_e64 v35, 0, 1, s[2:3]
	s_and_b64 s[2:3], s[6:7], s[22:23]
	v_cndmask_b32_e64 v36, 0, 1, s[2:3]
	s_and_b64 s[2:3], s[6:7], s[24:25]
	;; [unrolled: 2-line block ×3, first 2 shown]
	v_cndmask_b32_e64 v38, 0, 1, s[2:3]
	v_cmp_ne_u32_e64 s[6:7], 0, v35
	v_cmp_ne_u32_e64 s[18:19], 0, v36
	;; [unrolled: 1-line block ×4, first 2 shown]
	s_bcnt1_i32_b64 s2, s[6:7]
	s_bcnt1_i32_b64 s3, s[18:19]
	;; [unrolled: 1-line block ×4, first 2 shown]
	v_add_u32_e32 v1, s2, v1
	v_add_u32_e32 v2, s3, v2
	;; [unrolled: 1-line block ×3, first 2 shown]
	s_or_b64 s[30:31], vcc, s[30:31]
	v_add_u32_e32 v4, s7, v4
	s_andn2_b64 exec, exec, s[30:31]
	s_cbranch_execnz .LBB82_60
; %bb.61:                               ;   in Loop: Header=BB82_6 Depth=1
	s_or_b64 exec, exec, s[30:31]
.LBB82_62:                              ;   in Loop: Header=BB82_6 Depth=1
	s_or_b64 exec, exec, s[28:29]
	s_lshl_b32 s12, s69, 6
	s_and_saveexec_b64 s[2:3], s[0:1]
	s_cbranch_execnz .LBB82_36
	s_branch .LBB82_37
.LBB82_63:                              ;   in Loop: Header=BB82_6 Depth=1
	v_mov_b32_e32 v1, 0
	s_mov_b32 s2, 0
.LBB82_64:                              ;   in Loop: Header=BB82_6 Depth=1
	v_readlane_b32 s14, v47, 24
	v_readlane_b32 s15, v47, 25
	s_andn2_b64 vcc, exec, s[14:15]
	s_cbranch_vccnz .LBB82_67
; %bb.65:                               ;   in Loop: Header=BB82_6 Depth=1
	s_lshl_b32 s3, s69, 8
	s_lshl_b32 s2, s2, 4
	s_add_i32 s3, s3, s2
	v_add_u32_e32 v2, s3, v31
	v_readlane_b32 s2, v47, 23
.LBB82_66:                              ;   Parent Loop BB82_6 Depth=1
                                        ; =>  This Inner Loop Header: Depth=2
	ds_read_b32 v3, v2
	s_add_i32 s2, s2, -1
	v_add_u32_e32 v2, 16, v2
	s_cmp_lg_u32 s2, 0
	s_waitcnt lgkmcnt(0)
	v_add_u32_e32 v1, v3, v1
	s_cbranch_scc1 .LBB82_66
.LBB82_67:                              ;   in Loop: Header=BB82_6 Depth=1
	v_add_lshl_u32 v2, s12, v19, 2
	ds_write_b32 v2, v1 offset:3072
.LBB82_68:                              ;   in Loop: Header=BB82_6 Depth=1
	s_or_b64 exec, exec, s[6:7]
	s_lshl_b32 s2, s12, 2
	v_mov_b32_e32 v1, s2
	s_waitcnt lgkmcnt(0)
	s_barrier
	ds_read_b128 v[1:4], v1 offset:3072
	s_lshl_b32 s13, 3, s75
	s_not_b32 s14, s13
	v_cmp_eq_u32_e64 s[18:19], 1, v34
	s_mov_b64 s[34:35], -1
	s_waitcnt lgkmcnt(0)
	v_readfirstlane_b32 s12, v1
	v_readfirstlane_b32 s15, v2
	;; [unrolled: 1-line block ×4, first 2 shown]
	s_mov_b64 s[22:23], 0
	s_andn2_b64 vcc, exec, s[62:63]
	s_mov_b64 s[26:27], 0
	s_mov_b64 s[24:25], 0
                                        ; implicit-def: $sgpr28_sgpr29
                                        ; implicit-def: $sgpr30_sgpr31
                                        ; implicit-def: $vgpr36
                                        ; implicit-def: $vgpr3
                                        ; implicit-def: $vgpr35
                                        ; implicit-def: $vgpr4
                                        ; implicit-def: $vgpr2
	s_cbranch_vccnz .LBB82_238
; %bb.69:                               ;   in Loop: Header=BB82_6 Depth=1
	s_cmp_eq_u32 s12, 1
	s_cselect_b64 s[2:3], -1, 0
	s_and_b64 s[6:7], s[2:3], s[18:19]
	s_mov_b64 s[2:3], -1
	v_mov_b32_e32 v35, v24
	v_mov_b32_e32 v4, v33
	;; [unrolled: 1-line block ×3, first 2 shown]
                                        ; implicit-def: $sgpr30_sgpr31
                                        ; implicit-def: $sgpr28_sgpr29
	s_and_saveexec_b64 s[24:25], s[6:7]
	s_cbranch_execz .LBB82_100
; %bb.70:                               ;   in Loop: Header=BB82_6 Depth=1
	ds_read_b32 v1, v9 offset:4096
	s_waitcnt lgkmcnt(0)
	s_barrier
	v_readfirstlane_b32 s42, v1
	s_and_saveexec_b64 s[2:3], s[10:11]
; %bb.71:                               ;   in Loop: Header=BB82_6 Depth=1
	ds_write_b32 v21, v9
; %bb.72:                               ;   in Loop: Header=BB82_6 Depth=1
	s_or_b64 exec, exec, s[2:3]
	v_and_b32_e32 v35, s14, v24
	v_or_b32_e32 v4, s13, v33
	s_mov_b64 s[28:29], -1
	s_mov_b64 s[30:31], 0
	s_cmp_eq_u32 s42, 0
	s_waitcnt lgkmcnt(0)
	s_barrier
                                        ; implicit-def: $vgpr2
	s_cbranch_scc1 .LBB82_87
; %bb.73:                               ;   in Loop: Header=BB82_6 Depth=1
	v_readlane_b32 s2, v47, 18
	s_add_i32 s2, s42, s2
	v_readlane_b32 s3, v47, 30
	s_mul_hi_u32 s3, s2, s3
	s_mul_i32 s3, s3, s8
	s_sub_i32 s3, s2, s3
	s_sub_i32 s26, s3, s8
	s_cmp_ge_u32 s3, s8
	s_cselect_b32 s3, s26, s3
	s_sub_i32 s26, s3, s8
	s_cmp_ge_u32 s3, s8
	s_cselect_b32 s3, s26, s3
	s_sub_i32 s43, s2, s3
	v_cmp_gt_u32_e32 vcc, s43, v0
	s_mov_b64 s[34:35], 0
	s_mov_b64 s[26:27], 0
                                        ; implicit-def: $vgpr2
	s_and_saveexec_b64 s[36:37], vcc
	s_cbranch_execz .LBB82_86
; %bb.74:                               ;   in Loop: Header=BB82_6 Depth=1
	v_mov_b32_e32 v3, v18
	v_mov_b32_e32 v8, v0
                                        ; implicit-def: $sgpr2_sgpr3
	s_branch .LBB82_78
.LBB82_75:                              ;   in Loop: Header=BB82_78 Depth=2
	s_or_b64 exec, exec, s[38:39]
	s_waitcnt lgkmcnt(0)
	s_barrier
	ds_read_b64 v[1:2], v9 offset:3072
	s_waitcnt lgkmcnt(0)
	s_barrier
	v_cmp_neq_f32_e32 vcc, 0, v1
	s_cbranch_vccnz .LBB82_81
; %bb.76:                               ;   in Loop: Header=BB82_78 Depth=2
	v_add_u32_e32 v8, s8, v8
	v_cmp_le_u32_e32 vcc, s43, v8
	v_add_u32_e32 v3, s73, v3
	s_mov_b64 s[38:39], 0
	s_orn2_b64 s[40:41], vcc, exec
.LBB82_77:                              ;   in Loop: Header=BB82_78 Depth=2
	s_and_b64 s[40:41], exec, s[40:41]
	s_or_b64 s[26:27], s[40:41], s[26:27]
	s_andn2_b64 s[2:3], s[2:3], exec
	s_and_b64 s[38:39], s[38:39], exec
	s_or_b64 s[2:3], s[2:3], s[38:39]
	s_andn2_b64 exec, exec, s[26:27]
	s_cbranch_execz .LBB82_85
.LBB82_78:                              ;   Parent Loop BB82_6 Depth=1
                                        ; =>  This Inner Loop Header: Depth=2
	v_cmp_gt_u32_e32 vcc, s42, v8
	s_and_saveexec_b64 s[38:39], vcc
	s_cbranch_execz .LBB82_75
; %bb.79:                               ;   in Loop: Header=BB82_78 Depth=2
	ds_read_b32 v13, v3
	s_waitcnt lgkmcnt(0)
	v_cmp_lt_i32_e32 vcc, -1, v13
	v_cndmask_b32_e32 v1, -1, v32, vcc
	v_xor_b32_e32 v1, v1, v13
	v_cmp_o_f32_e32 vcc, v13, v13
	v_cndmask_b32_e32 v1, -1, v1, vcc
	v_and_b32_e32 v1, v1, v4
	v_cmp_eq_u32_e32 vcc, v1, v35
	s_and_b64 exec, exec, vcc
	s_cbranch_execz .LBB82_75
; %bb.80:                               ;   in Loop: Header=BB82_78 Depth=2
	ds_write_b64 v9, v[12:13] offset:3072
	s_branch .LBB82_75
.LBB82_81:                              ;   in Loop: Header=BB82_78 Depth=2
	s_mov_b64 s[40:41], -1
                                        ; implicit-def: $vgpr8
                                        ; implicit-def: $vgpr3
	s_mov_b64 s[38:39], -1
	s_branch .LBB82_77
.LBB82_82:                              ;   in Loop: Header=BB82_6 Depth=1
	s_or_b64 exec, exec, s[24:25]
	s_waitcnt lgkmcnt(0)
	s_barrier
	s_mov_b64 s[2:3], exec
	v_readlane_b32 s6, v47, 5
	v_readlane_b32 s7, v47, 6
	s_and_b64 s[6:7], s[2:3], s[6:7]
	s_mov_b64 exec, s[6:7]
	s_cbranch_execz .LBB82_84
; %bb.83:                               ;   in Loop: Header=BB82_6 Depth=1
	ds_read_b32 v1, v9 offset:4104
	s_waitcnt lgkmcnt(0)
	ds_write_b32 v9, v1 offset:4096
.LBB82_84:                              ;   in Loop: Header=BB82_6 Depth=1
	s_or_b64 exec, exec, s[2:3]
	s_waitcnt lgkmcnt(0)
	s_barrier
	s_mov_b64 s[2:3], -1
	s_and_b64 vcc, exec, s[22:23]
	s_cbranch_vccnz .LBB82_22
	s_branch .LBB82_31
.LBB82_85:                              ;   in Loop: Header=BB82_6 Depth=1
	s_or_b64 exec, exec, s[26:27]
	s_and_b64 s[26:27], s[2:3], exec
.LBB82_86:                              ;   in Loop: Header=BB82_6 Depth=1
	s_or_b64 exec, exec, s[36:37]
.LBB82_87:                              ;   in Loop: Header=BB82_6 Depth=1
	s_and_b64 vcc, exec, s[34:35]
	s_cbranch_vccz .LBB82_99
; %bb.88:                               ;   in Loop: Header=BB82_6 Depth=1
                                        ; implicit-def: $vgpr2
	s_mov_b64 s[28:29], exec
	v_readlane_b32 s2, v47, 31
	v_readlane_b32 s3, v47, 32
	s_and_b64 s[2:3], s[28:29], s[2:3]
	s_mov_b64 exec, s[2:3]
	s_cbranch_execz .LBB82_98
; %bb.89:                               ;   in Loop: Header=BB82_6 Depth=1
	s_mov_b64 s[30:31], 0
	v_mov_b32_e32 v8, v7
	v_mov_b32_e32 v3, v0
                                        ; implicit-def: $sgpr34_sgpr35
	s_branch .LBB82_93
.LBB82_90:                              ;   in Loop: Header=BB82_93 Depth=2
	s_or_b64 exec, exec, s[2:3]
	s_waitcnt lgkmcnt(0)
	s_barrier
	ds_read_b64 v[1:2], v9 offset:3072
	s_waitcnt lgkmcnt(0)
	s_barrier
	v_cmp_neq_f32_e32 vcc, 0, v1
	s_cbranch_vccnz .LBB82_96
; %bb.91:                               ;   in Loop: Header=BB82_93 Depth=2
	v_add_u32_e32 v3, s8, v3
	v_cmp_le_u32_e32 vcc, s4, v3
	v_add_u32_e32 v8, s9, v8
	s_mov_b64 s[2:3], 0
	s_orn2_b64 s[36:37], vcc, exec
.LBB82_92:                              ;   in Loop: Header=BB82_93 Depth=2
	s_and_b64 s[36:37], exec, s[36:37]
	s_or_b64 s[30:31], s[36:37], s[30:31]
	s_andn2_b64 s[34:35], s[34:35], exec
	s_and_b64 s[2:3], s[2:3], exec
	s_or_b64 s[34:35], s[34:35], s[2:3]
	s_andn2_b64 exec, exec, s[30:31]
	s_cbranch_execz .LBB82_97
.LBB82_93:                              ;   Parent Loop BB82_6 Depth=1
                                        ; =>  This Inner Loop Header: Depth=2
	v_cmp_gt_u32_e32 vcc, s60, v3
	s_and_saveexec_b64 s[2:3], vcc
	s_cbranch_execz .LBB82_90
; %bb.94:                               ;   in Loop: Header=BB82_93 Depth=2
	v_lshlrev_b64 v[1:2], 2, v[8:9]
	v_mov_b32_e32 v13, s68
	v_add_co_u32_e32 v1, vcc, s33, v1
	v_addc_co_u32_e32 v2, vcc, v13, v2, vcc
	global_load_dword v13, v[1:2], off
	s_waitcnt vmcnt(0)
	v_cmp_lt_i32_e32 vcc, -1, v13
	v_cndmask_b32_e32 v1, -1, v32, vcc
	v_xor_b32_e32 v1, v1, v13
	v_cmp_o_f32_e32 vcc, v13, v13
	v_cndmask_b32_e32 v1, -1, v1, vcc
	v_and_b32_e32 v1, v1, v4
	v_cmp_eq_u32_e32 vcc, v1, v35
	s_and_b64 exec, exec, vcc
	s_cbranch_execz .LBB82_90
; %bb.95:                               ;   in Loop: Header=BB82_93 Depth=2
	ds_write_b64 v9, v[12:13] offset:3072
	s_branch .LBB82_90
.LBB82_96:                              ;   in Loop: Header=BB82_93 Depth=2
	s_mov_b64 s[36:37], -1
                                        ; implicit-def: $vgpr3
	s_mov_b64 s[2:3], -1
	s_branch .LBB82_92
.LBB82_97:                              ;   in Loop: Header=BB82_6 Depth=1
	s_or_b64 exec, exec, s[30:31]
	s_andn2_b64 s[2:3], s[26:27], exec
	s_and_b64 s[26:27], s[34:35], exec
	s_or_b64 s[26:27], s[2:3], s[26:27]
.LBB82_98:                              ;   in Loop: Header=BB82_6 Depth=1
	s_or_b64 exec, exec, s[28:29]
	s_mov_b64 s[28:29], 0
	s_mov_b64 s[30:31], -1
.LBB82_99:                              ;   in Loop: Header=BB82_6 Depth=1
	s_orn2_b64 s[2:3], s[26:27], exec
.LBB82_100:                             ;   in Loop: Header=BB82_6 Depth=1
	s_or_b64 exec, exec, s[24:25]
	s_mov_b64 s[34:35], 0
	s_mov_b64 s[26:27], 0
	;; [unrolled: 1-line block ×3, first 2 shown]
                                        ; implicit-def: $vgpr36
                                        ; implicit-def: $vgpr3
	s_and_saveexec_b64 s[36:37], s[2:3]
	s_cbranch_execz .LBB82_237
; %bb.101:                              ;   in Loop: Header=BB82_6 Depth=1
	s_xor_b64 s[2:3], s[6:7], -1
	s_mov_b64 s[38:39], 0
	v_mov_b32_e32 v36, 1
	v_mov_b32_e32 v3, 1
	s_and_saveexec_b64 s[6:7], s[2:3]
	s_cbranch_execz .LBB82_110
; %bb.102:                              ;   in Loop: Header=BB82_6 Depth=1
	v_cmp_ge_u32_e32 vcc, s12, v34
	s_and_saveexec_b64 s[2:3], vcc
	s_xor_b64 s[2:3], exec, s[2:3]
	s_cbranch_execz .LBB82_107
; %bb.103:                              ;   in Loop: Header=BB82_6 Depth=1
	ds_read_b32 v1, v9 offset:4096
	v_and_b32_e32 v35, s14, v35
	v_or_b32_e32 v4, s13, v4
	s_waitcnt lgkmcnt(0)
	v_cmp_ne_u32_e32 vcc, 0, v1
	s_cbranch_vccnz .LBB82_107
; %bb.104:                              ;   in Loop: Header=BB82_6 Depth=1
	s_mov_b64 s[24:25], exec
	v_readlane_b32 s26, v47, 5
	v_readlane_b32 s27, v47, 6
	s_and_b64 s[26:27], s[24:25], s[26:27]
	s_mov_b64 exec, s[26:27]
; %bb.105:                              ;   in Loop: Header=BB82_6 Depth=1
	v_mov_b32_e32 v1, s12
	ds_write_b32 v9, v1 offset:4100
; %bb.106:                              ;   in Loop: Header=BB82_6 Depth=1
	s_or_b64 exec, exec, s[24:25]
	s_waitcnt lgkmcnt(0)
	s_barrier
.LBB82_107:                             ;   in Loop: Header=BB82_6 Depth=1
	s_or_saveexec_b64 s[2:3], s[2:3]
	s_mov_b64 s[24:25], 0
	v_mov_b32_e32 v3, 8
	v_mov_b32_e32 v36, v34
	s_xor_b64 exec, exec, s[2:3]
; %bb.108:                              ;   in Loop: Header=BB82_6 Depth=1
	s_mov_b64 s[24:25], exec
	v_subrev_u32_e32 v36, s12, v34
	v_mov_b32_e32 v3, 0
; %bb.109:                              ;   in Loop: Header=BB82_6 Depth=1
	s_or_b64 exec, exec, s[2:3]
	s_and_b64 s[38:39], s[24:25], exec
.LBB82_110:                             ;   in Loop: Header=BB82_6 Depth=1
	s_or_b64 exec, exec, s[6:7]
	s_mov_b64 s[2:3], -1
                                        ; implicit-def: $sgpr24_sgpr25
                                        ; implicit-def: $sgpr26_sgpr27
	s_and_saveexec_b64 s[6:7], s[38:39]
	s_xor_b64 s[6:7], exec, s[6:7]
	s_cbranch_execz .LBB82_234
; %bb.111:                              ;   in Loop: Header=BB82_6 Depth=1
	s_cmp_eq_u32 s15, 1
	s_cselect_b64 s[2:3], -1, 0
	v_cmp_eq_u32_e32 vcc, 1, v36
	s_and_b64 s[40:41], s[2:3], vcc
	s_mov_b64 s[2:3], -1
                                        ; implicit-def: $sgpr26_sgpr27
                                        ; implicit-def: $sgpr24_sgpr25
	s_and_saveexec_b64 s[38:39], s[40:41]
	s_cbranch_execz .LBB82_139
; %bb.112:                              ;   in Loop: Header=BB82_6 Depth=1
	ds_read_b32 v1, v9 offset:4096
	s_waitcnt lgkmcnt(0)
	s_barrier
	v_readfirstlane_b32 s52, v1
	s_and_saveexec_b64 s[2:3], s[10:11]
; %bb.113:                              ;   in Loop: Header=BB82_6 Depth=1
	ds_write_b32 v21, v9
; %bb.114:                              ;   in Loop: Header=BB82_6 Depth=1
	s_or_b64 exec, exec, s[2:3]
	v_and_b32_e32 v1, s14, v35
	v_lshl_or_b32 v35, 1, s75, v1
	v_or_b32_e32 v4, s13, v4
	s_mov_b64 s[24:25], -1
	s_mov_b64 s[26:27], 0
	s_cmp_eq_u32 s52, 0
	s_mov_b64 s[42:43], 0
	s_mov_b64 s[44:45], -1
	s_waitcnt lgkmcnt(0)
	s_barrier
                                        ; implicit-def: $vgpr2
	s_cbranch_scc1 .LBB82_126
; %bb.115:                              ;   in Loop: Header=BB82_6 Depth=1
	v_readlane_b32 s2, v47, 18
	s_add_i32 s2, s52, s2
	v_readlane_b32 s3, v47, 30
	s_mul_hi_u32 s3, s2, s3
	s_mul_i32 s3, s3, s8
	s_sub_i32 s3, s2, s3
	s_sub_i32 s42, s3, s8
	s_cmp_ge_u32 s3, s8
	s_cselect_b32 s3, s42, s3
	s_sub_i32 s42, s3, s8
	s_cmp_ge_u32 s3, s8
	s_cselect_b32 s3, s42, s3
	s_sub_i32 s53, s2, s3
	v_cmp_gt_u32_e32 vcc, s53, v0
	s_mov_b64 s[44:45], 0
	s_mov_b64 s[42:43], 0
                                        ; implicit-def: $vgpr2
	s_and_saveexec_b64 s[46:47], vcc
	s_cbranch_execz .LBB82_125
; %bb.116:                              ;   in Loop: Header=BB82_6 Depth=1
	v_mov_b32_e32 v8, v18
	v_mov_b32_e32 v37, v0
                                        ; implicit-def: $sgpr48_sgpr49
	s_branch .LBB82_120
.LBB82_117:                             ;   in Loop: Header=BB82_120 Depth=2
	s_or_b64 exec, exec, s[2:3]
	s_waitcnt lgkmcnt(0)
	s_barrier
	ds_read_b64 v[1:2], v9 offset:3072
	s_waitcnt lgkmcnt(0)
	s_barrier
	v_cmp_neq_f32_e32 vcc, 0, v1
	s_cbranch_vccnz .LBB82_123
; %bb.118:                              ;   in Loop: Header=BB82_120 Depth=2
	v_add_u32_e32 v37, s8, v37
	v_cmp_le_u32_e32 vcc, s53, v37
	v_add_u32_e32 v8, s73, v8
	s_mov_b64 s[2:3], 0
	s_orn2_b64 s[50:51], vcc, exec
.LBB82_119:                             ;   in Loop: Header=BB82_120 Depth=2
	s_and_b64 s[50:51], exec, s[50:51]
	s_or_b64 s[42:43], s[50:51], s[42:43]
	s_andn2_b64 s[48:49], s[48:49], exec
	s_and_b64 s[2:3], s[2:3], exec
	s_or_b64 s[48:49], s[48:49], s[2:3]
	s_andn2_b64 exec, exec, s[42:43]
	s_cbranch_execz .LBB82_124
.LBB82_120:                             ;   Parent Loop BB82_6 Depth=1
                                        ; =>  This Inner Loop Header: Depth=2
	v_cmp_gt_u32_e32 vcc, s52, v37
	s_and_saveexec_b64 s[2:3], vcc
	s_cbranch_execz .LBB82_117
; %bb.121:                              ;   in Loop: Header=BB82_120 Depth=2
	ds_read_b32 v13, v8
	s_waitcnt lgkmcnt(0)
	v_cmp_lt_i32_e32 vcc, -1, v13
	v_cndmask_b32_e32 v1, -1, v32, vcc
	v_xor_b32_e32 v1, v1, v13
	v_cmp_o_f32_e32 vcc, v13, v13
	v_cndmask_b32_e32 v1, -1, v1, vcc
	v_and_b32_e32 v1, v1, v4
	v_cmp_eq_u32_e32 vcc, v1, v35
	s_and_b64 exec, exec, vcc
	s_cbranch_execz .LBB82_117
; %bb.122:                              ;   in Loop: Header=BB82_120 Depth=2
	ds_write_b64 v9, v[12:13] offset:3072
	s_branch .LBB82_117
.LBB82_123:                             ;   in Loop: Header=BB82_120 Depth=2
	s_mov_b64 s[50:51], -1
                                        ; implicit-def: $vgpr37
                                        ; implicit-def: $vgpr8
	s_mov_b64 s[2:3], -1
	s_branch .LBB82_119
.LBB82_124:                             ;   in Loop: Header=BB82_6 Depth=1
	s_or_b64 exec, exec, s[42:43]
	s_and_b64 s[42:43], s[48:49], exec
.LBB82_125:                             ;   in Loop: Header=BB82_6 Depth=1
	s_or_b64 exec, exec, s[46:47]
.LBB82_126:                             ;   in Loop: Header=BB82_6 Depth=1
	s_and_b64 vcc, exec, s[44:45]
	s_cbranch_vccz .LBB82_138
; %bb.127:                              ;   in Loop: Header=BB82_6 Depth=1
                                        ; implicit-def: $vgpr2
	s_mov_b64 s[24:25], exec
	v_readlane_b32 s2, v47, 31
	v_readlane_b32 s3, v47, 32
	s_and_b64 s[2:3], s[24:25], s[2:3]
	s_mov_b64 exec, s[2:3]
	s_cbranch_execz .LBB82_137
; %bb.128:                              ;   in Loop: Header=BB82_6 Depth=1
	s_mov_b64 s[26:27], 0
	v_mov_b32_e32 v8, v7
	v_mov_b32_e32 v37, v0
                                        ; implicit-def: $sgpr44_sgpr45
	s_branch .LBB82_132
.LBB82_129:                             ;   in Loop: Header=BB82_132 Depth=2
	s_or_b64 exec, exec, s[2:3]
	s_waitcnt lgkmcnt(0)
	s_barrier
	ds_read_b64 v[1:2], v9 offset:3072
	s_waitcnt lgkmcnt(0)
	s_barrier
	v_cmp_eq_f32_e32 vcc, 0, v1
	s_cbranch_vccz .LBB82_135
; %bb.130:                              ;   in Loop: Header=BB82_132 Depth=2
	v_add_u32_e32 v37, s8, v37
	v_cmp_le_u32_e32 vcc, s4, v37
	v_add_u32_e32 v8, s9, v8
	s_mov_b64 s[2:3], 0
	s_orn2_b64 s[46:47], vcc, exec
.LBB82_131:                             ;   in Loop: Header=BB82_132 Depth=2
	s_and_b64 s[46:47], exec, s[46:47]
	s_or_b64 s[26:27], s[46:47], s[26:27]
	s_andn2_b64 s[44:45], s[44:45], exec
	s_and_b64 s[2:3], s[2:3], exec
	s_or_b64 s[44:45], s[44:45], s[2:3]
	s_andn2_b64 exec, exec, s[26:27]
	s_cbranch_execz .LBB82_136
.LBB82_132:                             ;   Parent Loop BB82_6 Depth=1
                                        ; =>  This Inner Loop Header: Depth=2
	v_cmp_gt_u32_e32 vcc, s60, v37
	s_and_saveexec_b64 s[2:3], vcc
	s_cbranch_execz .LBB82_129
; %bb.133:                              ;   in Loop: Header=BB82_132 Depth=2
	v_lshlrev_b64 v[1:2], 2, v[8:9]
	v_mov_b32_e32 v13, s68
	v_add_co_u32_e32 v1, vcc, s33, v1
	v_addc_co_u32_e32 v2, vcc, v13, v2, vcc
	global_load_dword v13, v[1:2], off
	s_waitcnt vmcnt(0)
	v_cmp_lt_i32_e32 vcc, -1, v13
	v_cndmask_b32_e32 v1, -1, v32, vcc
	v_xor_b32_e32 v1, v1, v13
	v_cmp_o_f32_e32 vcc, v13, v13
	v_cndmask_b32_e32 v1, -1, v1, vcc
	v_and_b32_e32 v1, v1, v4
	v_cmp_eq_u32_e32 vcc, v1, v35
	s_and_b64 exec, exec, vcc
	s_cbranch_execz .LBB82_129
; %bb.134:                              ;   in Loop: Header=BB82_132 Depth=2
	ds_write_b64 v9, v[12:13] offset:3072
	s_branch .LBB82_129
.LBB82_135:                             ;   in Loop: Header=BB82_132 Depth=2
	s_mov_b64 s[46:47], -1
                                        ; implicit-def: $vgpr37
	s_mov_b64 s[2:3], -1
	s_branch .LBB82_131
.LBB82_136:                             ;   in Loop: Header=BB82_6 Depth=1
	s_or_b64 exec, exec, s[26:27]
	s_andn2_b64 s[2:3], s[42:43], exec
	s_and_b64 s[26:27], s[44:45], exec
	s_or_b64 s[42:43], s[2:3], s[26:27]
.LBB82_137:                             ;   in Loop: Header=BB82_6 Depth=1
	s_or_b64 exec, exec, s[24:25]
	s_mov_b64 s[24:25], 0
	s_mov_b64 s[26:27], -1
.LBB82_138:                             ;   in Loop: Header=BB82_6 Depth=1
	s_orn2_b64 s[2:3], s[42:43], exec
.LBB82_139:                             ;   in Loop: Header=BB82_6 Depth=1
	s_or_b64 exec, exec, s[38:39]
	s_mov_b64 s[42:43], 0
	s_and_saveexec_b64 s[38:39], s[2:3]
	s_cbranch_execz .LBB82_233
; %bb.140:                              ;   in Loop: Header=BB82_6 Depth=1
	s_xor_b64 s[2:3], s[40:41], -1
	s_mov_b64 s[46:47], 0
	v_mov_b32_e32 v37, 1
	v_mov_b32_e32 v3, 1
	s_and_saveexec_b64 s[40:41], s[2:3]
	s_cbranch_execz .LBB82_149
; %bb.141:                              ;   in Loop: Header=BB82_6 Depth=1
	v_cmp_ge_u32_e32 vcc, s15, v36
	s_and_saveexec_b64 s[2:3], vcc
	s_xor_b64 s[2:3], exec, s[2:3]
	s_cbranch_execz .LBB82_146
; %bb.142:                              ;   in Loop: Header=BB82_6 Depth=1
	ds_read_b32 v1, v9 offset:4096
	v_and_b32_e32 v3, s14, v35
	v_lshl_or_b32 v35, 1, s75, v3
	v_or_b32_e32 v4, s13, v4
	s_waitcnt lgkmcnt(0)
	v_cmp_ne_u32_e32 vcc, 0, v1
	s_cbranch_vccnz .LBB82_146
; %bb.143:                              ;   in Loop: Header=BB82_6 Depth=1
	s_mov_b64 s[42:43], exec
	v_readlane_b32 s44, v47, 5
	v_readlane_b32 s45, v47, 6
	s_and_b64 s[44:45], s[42:43], s[44:45]
	s_mov_b64 exec, s[44:45]
; %bb.144:                              ;   in Loop: Header=BB82_6 Depth=1
	v_mov_b32_e32 v1, s15
	ds_write_b32 v9, v1 offset:4100
; %bb.145:                              ;   in Loop: Header=BB82_6 Depth=1
	s_or_b64 exec, exec, s[42:43]
	s_waitcnt lgkmcnt(0)
	s_barrier
.LBB82_146:                             ;   in Loop: Header=BB82_6 Depth=1
	s_or_saveexec_b64 s[2:3], s[2:3]
	s_mov_b64 s[42:43], 0
	v_mov_b32_e32 v3, 8
	s_xor_b64 exec, exec, s[2:3]
; %bb.147:                              ;   in Loop: Header=BB82_6 Depth=1
	s_mov_b64 s[42:43], exec
	v_subrev_u32_e32 v36, s15, v36
	v_mov_b32_e32 v3, 0
; %bb.148:                              ;   in Loop: Header=BB82_6 Depth=1
	s_or_b64 exec, exec, s[2:3]
	s_and_b64 s[46:47], s[42:43], exec
	v_mov_b32_e32 v37, v36
.LBB82_149:                             ;   in Loop: Header=BB82_6 Depth=1
	s_or_b64 exec, exec, s[40:41]
	s_mov_b64 s[2:3], -1
                                        ; implicit-def: $sgpr42_sgpr43
                                        ; implicit-def: $sgpr44_sgpr45
	s_and_saveexec_b64 s[40:41], s[46:47]
	s_cbranch_execz .LBB82_232
; %bb.150:                              ;   in Loop: Header=BB82_6 Depth=1
	s_cmp_eq_u32 s80, 1
	s_cselect_b64 s[2:3], -1, 0
	v_cmp_eq_u32_e32 vcc, 1, v37
	s_and_b64 s[48:49], s[2:3], vcc
	s_mov_b64 s[2:3], -1
                                        ; implicit-def: $sgpr44_sgpr45
                                        ; implicit-def: $sgpr42_sgpr43
	s_and_saveexec_b64 s[46:47], s[48:49]
	s_cbranch_execz .LBB82_178
; %bb.151:                              ;   in Loop: Header=BB82_6 Depth=1
	ds_read_b32 v1, v9 offset:4096
	s_waitcnt lgkmcnt(0)
	s_barrier
	v_readfirstlane_b32 s78, v1
	s_and_saveexec_b64 s[2:3], s[10:11]
; %bb.152:                              ;   in Loop: Header=BB82_6 Depth=1
	ds_write_b32 v21, v9
; %bb.153:                              ;   in Loop: Header=BB82_6 Depth=1
	s_or_b64 exec, exec, s[2:3]
	v_and_b32_e32 v1, s14, v35
	v_lshl_or_b32 v35, 2, s75, v1
	v_or_b32_e32 v4, s13, v4
	s_mov_b64 s[42:43], -1
	s_mov_b64 s[44:45], 0
	s_cmp_eq_u32 s78, 0
	s_mov_b64 s[50:51], 0
	s_mov_b64 s[52:53], -1
	s_waitcnt lgkmcnt(0)
	s_barrier
                                        ; implicit-def: $vgpr2
	s_cbranch_scc1 .LBB82_165
; %bb.154:                              ;   in Loop: Header=BB82_6 Depth=1
	v_readlane_b32 s2, v47, 18
	s_add_i32 s2, s78, s2
	v_readlane_b32 s3, v47, 30
	s_mul_hi_u32 s3, s2, s3
	s_mul_i32 s3, s3, s8
	s_sub_i32 s3, s2, s3
	s_sub_i32 s50, s3, s8
	s_cmp_ge_u32 s3, s8
	s_cselect_b32 s3, s50, s3
	s_sub_i32 s50, s3, s8
	s_cmp_ge_u32 s3, s8
	s_cselect_b32 s3, s50, s3
	s_sub_i32 s79, s2, s3
	v_cmp_gt_u32_e32 vcc, s79, v0
	s_mov_b64 s[52:53], 0
	s_mov_b64 s[50:51], 0
                                        ; implicit-def: $vgpr2
	s_and_saveexec_b64 s[54:55], vcc
	s_cbranch_execz .LBB82_164
; %bb.155:                              ;   in Loop: Header=BB82_6 Depth=1
	v_mov_b32_e32 v8, v18
	v_mov_b32_e32 v36, v0
                                        ; implicit-def: $sgpr56_sgpr57
	s_branch .LBB82_159
.LBB82_156:                             ;   in Loop: Header=BB82_159 Depth=2
	s_or_b64 exec, exec, s[2:3]
	s_waitcnt lgkmcnt(0)
	s_barrier
	ds_read_b64 v[1:2], v9 offset:3072
	s_waitcnt lgkmcnt(0)
	s_barrier
	v_cmp_neq_f32_e32 vcc, 0, v1
	s_cbranch_vccnz .LBB82_162
; %bb.157:                              ;   in Loop: Header=BB82_159 Depth=2
	v_add_u32_e32 v36, s8, v36
	v_cmp_le_u32_e32 vcc, s79, v36
	v_add_u32_e32 v8, s73, v8
	s_mov_b64 s[2:3], 0
	s_orn2_b64 s[58:59], vcc, exec
.LBB82_158:                             ;   in Loop: Header=BB82_159 Depth=2
	s_and_b64 s[58:59], exec, s[58:59]
	s_or_b64 s[50:51], s[58:59], s[50:51]
	s_andn2_b64 s[56:57], s[56:57], exec
	s_and_b64 s[2:3], s[2:3], exec
	s_or_b64 s[56:57], s[56:57], s[2:3]
	s_andn2_b64 exec, exec, s[50:51]
	s_cbranch_execz .LBB82_163
.LBB82_159:                             ;   Parent Loop BB82_6 Depth=1
                                        ; =>  This Inner Loop Header: Depth=2
	v_cmp_gt_u32_e32 vcc, s78, v36
	s_and_saveexec_b64 s[2:3], vcc
	s_cbranch_execz .LBB82_156
; %bb.160:                              ;   in Loop: Header=BB82_159 Depth=2
	ds_read_b32 v13, v8
	s_waitcnt lgkmcnt(0)
	v_cmp_lt_i32_e32 vcc, -1, v13
	v_cndmask_b32_e32 v1, -1, v32, vcc
	v_xor_b32_e32 v1, v1, v13
	v_cmp_o_f32_e32 vcc, v13, v13
	v_cndmask_b32_e32 v1, -1, v1, vcc
	v_and_b32_e32 v1, v1, v4
	v_cmp_eq_u32_e32 vcc, v1, v35
	s_and_b64 exec, exec, vcc
	s_cbranch_execz .LBB82_156
; %bb.161:                              ;   in Loop: Header=BB82_159 Depth=2
	ds_write_b64 v9, v[12:13] offset:3072
	s_branch .LBB82_156
.LBB82_162:                             ;   in Loop: Header=BB82_159 Depth=2
	s_mov_b64 s[58:59], -1
                                        ; implicit-def: $vgpr36
                                        ; implicit-def: $vgpr8
	s_mov_b64 s[2:3], -1
	s_branch .LBB82_158
.LBB82_163:                             ;   in Loop: Header=BB82_6 Depth=1
	s_or_b64 exec, exec, s[50:51]
	s_and_b64 s[50:51], s[56:57], exec
.LBB82_164:                             ;   in Loop: Header=BB82_6 Depth=1
	s_or_b64 exec, exec, s[54:55]
.LBB82_165:                             ;   in Loop: Header=BB82_6 Depth=1
	s_and_b64 vcc, exec, s[52:53]
	s_cbranch_vccz .LBB82_177
; %bb.166:                              ;   in Loop: Header=BB82_6 Depth=1
                                        ; implicit-def: $vgpr2
	s_mov_b64 s[42:43], exec
	v_readlane_b32 s2, v47, 31
	v_readlane_b32 s3, v47, 32
	s_and_b64 s[2:3], s[42:43], s[2:3]
	s_mov_b64 exec, s[2:3]
	s_cbranch_execz .LBB82_176
; %bb.167:                              ;   in Loop: Header=BB82_6 Depth=1
	s_mov_b64 s[44:45], 0
	v_mov_b32_e32 v8, v7
	v_mov_b32_e32 v36, v0
                                        ; implicit-def: $sgpr52_sgpr53
	s_branch .LBB82_171
.LBB82_168:                             ;   in Loop: Header=BB82_171 Depth=2
	s_or_b64 exec, exec, s[2:3]
	s_waitcnt lgkmcnt(0)
	s_barrier
	ds_read_b64 v[1:2], v9 offset:3072
	s_waitcnt lgkmcnt(0)
	s_barrier
	v_cmp_eq_f32_e32 vcc, 0, v1
	s_cbranch_vccz .LBB82_174
; %bb.169:                              ;   in Loop: Header=BB82_171 Depth=2
	v_add_u32_e32 v36, s8, v36
	v_cmp_le_u32_e32 vcc, s4, v36
	v_add_u32_e32 v8, s9, v8
	s_mov_b64 s[2:3], 0
	s_orn2_b64 s[54:55], vcc, exec
.LBB82_170:                             ;   in Loop: Header=BB82_171 Depth=2
	s_and_b64 s[54:55], exec, s[54:55]
	s_or_b64 s[44:45], s[54:55], s[44:45]
	s_andn2_b64 s[52:53], s[52:53], exec
	s_and_b64 s[2:3], s[2:3], exec
	s_or_b64 s[52:53], s[52:53], s[2:3]
	s_andn2_b64 exec, exec, s[44:45]
	s_cbranch_execz .LBB82_175
.LBB82_171:                             ;   Parent Loop BB82_6 Depth=1
                                        ; =>  This Inner Loop Header: Depth=2
	v_cmp_gt_u32_e32 vcc, s60, v36
	s_and_saveexec_b64 s[2:3], vcc
	s_cbranch_execz .LBB82_168
; %bb.172:                              ;   in Loop: Header=BB82_171 Depth=2
	v_lshlrev_b64 v[1:2], 2, v[8:9]
	v_mov_b32_e32 v13, s68
	v_add_co_u32_e32 v1, vcc, s33, v1
	v_addc_co_u32_e32 v2, vcc, v13, v2, vcc
	global_load_dword v13, v[1:2], off
	s_waitcnt vmcnt(0)
	v_cmp_lt_i32_e32 vcc, -1, v13
	v_cndmask_b32_e32 v1, -1, v32, vcc
	v_xor_b32_e32 v1, v1, v13
	v_cmp_o_f32_e32 vcc, v13, v13
	v_cndmask_b32_e32 v1, -1, v1, vcc
	v_and_b32_e32 v1, v1, v4
	v_cmp_eq_u32_e32 vcc, v1, v35
	s_and_b64 exec, exec, vcc
	s_cbranch_execz .LBB82_168
; %bb.173:                              ;   in Loop: Header=BB82_171 Depth=2
	ds_write_b64 v9, v[12:13] offset:3072
	s_branch .LBB82_168
.LBB82_174:                             ;   in Loop: Header=BB82_171 Depth=2
	s_mov_b64 s[54:55], -1
                                        ; implicit-def: $vgpr36
	s_mov_b64 s[2:3], -1
	s_branch .LBB82_170
.LBB82_175:                             ;   in Loop: Header=BB82_6 Depth=1
	s_or_b64 exec, exec, s[44:45]
	s_andn2_b64 s[2:3], s[50:51], exec
	s_and_b64 s[44:45], s[52:53], exec
	s_or_b64 s[50:51], s[2:3], s[44:45]
.LBB82_176:                             ;   in Loop: Header=BB82_6 Depth=1
	s_or_b64 exec, exec, s[42:43]
	s_mov_b64 s[42:43], 0
	s_mov_b64 s[44:45], -1
.LBB82_177:                             ;   in Loop: Header=BB82_6 Depth=1
	s_orn2_b64 s[2:3], s[50:51], exec
.LBB82_178:                             ;   in Loop: Header=BB82_6 Depth=1
	s_or_b64 exec, exec, s[46:47]
	s_mov_b64 s[50:51], 0
	s_and_saveexec_b64 s[46:47], s[2:3]
	s_cbranch_execz .LBB82_231
; %bb.179:                              ;   in Loop: Header=BB82_6 Depth=1
	s_xor_b64 s[2:3], s[48:49], -1
	v_mov_b32_e32 v36, 1
	v_mov_b32_e32 v3, 1
	s_and_saveexec_b64 s[48:49], s[2:3]
	s_cbranch_execz .LBB82_188
; %bb.180:                              ;   in Loop: Header=BB82_6 Depth=1
	v_cmp_ge_u32_e32 vcc, s80, v37
	s_and_saveexec_b64 s[2:3], vcc
	s_xor_b64 s[2:3], exec, s[2:3]
	s_cbranch_execz .LBB82_185
; %bb.181:                              ;   in Loop: Header=BB82_6 Depth=1
	ds_read_b32 v1, v9 offset:4096
	v_and_b32_e32 v3, s14, v35
	v_lshl_or_b32 v35, 2, s75, v3
	v_or_b32_e32 v4, s13, v4
	s_waitcnt lgkmcnt(0)
	v_cmp_ne_u32_e32 vcc, 0, v1
	s_cbranch_vccnz .LBB82_185
; %bb.182:                              ;   in Loop: Header=BB82_6 Depth=1
	s_mov_b64 s[50:51], exec
	v_readlane_b32 s52, v47, 5
	v_readlane_b32 s53, v47, 6
	s_and_b64 s[52:53], s[50:51], s[52:53]
	s_mov_b64 exec, s[52:53]
; %bb.183:                              ;   in Loop: Header=BB82_6 Depth=1
	v_mov_b32_e32 v1, s80
	ds_write_b32 v9, v1 offset:4100
; %bb.184:                              ;   in Loop: Header=BB82_6 Depth=1
	s_or_b64 exec, exec, s[50:51]
	s_waitcnt lgkmcnt(0)
	s_barrier
.LBB82_185:                             ;   in Loop: Header=BB82_6 Depth=1
	s_or_saveexec_b64 s[2:3], s[2:3]
	s_mov_b64 s[50:51], 0
	v_mov_b32_e32 v3, 8
	s_xor_b64 exec, exec, s[2:3]
; %bb.186:                              ;   in Loop: Header=BB82_6 Depth=1
	s_mov_b64 s[50:51], exec
	v_subrev_u32_e32 v37, s80, v37
	v_mov_b32_e32 v3, 0
; %bb.187:                              ;   in Loop: Header=BB82_6 Depth=1
	s_or_b64 exec, exec, s[2:3]
	s_and_b64 s[50:51], s[50:51], exec
	v_mov_b32_e32 v36, v37
.LBB82_188:                             ;   in Loop: Header=BB82_6 Depth=1
	s_or_b64 exec, exec, s[48:49]
	s_mov_b64 s[2:3], -1
                                        ; implicit-def: $sgpr54_sgpr55
                                        ; implicit-def: $sgpr78_sgpr79
	s_and_saveexec_b64 s[48:49], s[50:51]
	s_cbranch_execz .LBB82_230
; %bb.189:                              ;   in Loop: Header=BB82_6 Depth=1
	s_cmp_eq_u32 s81, 1
	s_cselect_b64 s[2:3], -1, 0
	v_cmp_eq_u32_e32 vcc, 1, v36
	s_and_b64 s[50:51], s[2:3], vcc
	s_mov_b64 s[2:3], -1
                                        ; implicit-def: $sgpr54_sgpr55
                                        ; implicit-def: $sgpr78_sgpr79
	s_mov_b64 s[56:57], exec
	v_writelane_b32 v47, s50, 33
	v_writelane_b32 v47, s51, 34
	s_and_b64 s[50:51], s[56:57], s[50:51]
	s_mov_b64 exec, s[50:51]
	s_cbranch_execz .LBB82_218
; %bb.190:                              ;   in Loop: Header=BB82_6 Depth=1
	ds_read_b32 v1, v9 offset:4096
	s_waitcnt lgkmcnt(0)
	s_barrier
	v_readfirstlane_b32 s52, v1
	s_and_saveexec_b64 s[2:3], s[10:11]
; %bb.191:                              ;   in Loop: Header=BB82_6 Depth=1
	ds_write_b32 v21, v9
; %bb.192:                              ;   in Loop: Header=BB82_6 Depth=1
	s_or_b64 exec, exec, s[2:3]
	v_or_b32_e32 v35, s13, v35
	v_or_b32_e32 v4, s13, v4
	s_mov_b64 s[54:55], 0
	s_cmp_eq_u32 s52, 0
	s_mov_b64 s[58:59], 0
	s_mov_b64 s[78:79], -1
	s_waitcnt lgkmcnt(0)
	s_barrier
                                        ; implicit-def: $vgpr2
	s_cbranch_scc1 .LBB82_204
; %bb.193:                              ;   in Loop: Header=BB82_6 Depth=1
	v_readlane_b32 s2, v47, 18
	s_add_i32 s2, s52, s2
	v_readlane_b32 s3, v47, 30
	s_mul_hi_u32 s3, s2, s3
	s_mul_i32 s3, s3, s8
	s_sub_i32 s3, s2, s3
	s_sub_i32 s50, s3, s8
	s_cmp_ge_u32 s3, s8
	s_cselect_b32 s3, s50, s3
	s_sub_i32 s50, s3, s8
	s_cmp_ge_u32 s3, s8
	s_cselect_b32 s3, s50, s3
	s_sub_i32 s53, s2, s3
	v_cmp_gt_u32_e32 vcc, s53, v0
	s_mov_b64 s[78:79], 0
                                        ; implicit-def: $vgpr2
	s_and_saveexec_b64 s[50:51], vcc
	s_cbranch_execz .LBB82_203
; %bb.194:                              ;   in Loop: Header=BB82_6 Depth=1
	v_writelane_b32 v47, s50, 35
	v_mov_b32_e32 v8, v18
	v_mov_b32_e32 v37, v0
	v_writelane_b32 v47, s51, 36
                                        ; implicit-def: $sgpr2_sgpr3
	s_branch .LBB82_198
.LBB82_195:                             ;   in Loop: Header=BB82_198 Depth=2
	s_or_b64 exec, exec, s[50:51]
	s_waitcnt lgkmcnt(0)
	s_barrier
	ds_read_b64 v[1:2], v9 offset:3072
	s_waitcnt lgkmcnt(0)
	s_barrier
	v_cmp_neq_f32_e32 vcc, 0, v1
	s_cbranch_vccnz .LBB82_201
; %bb.196:                              ;   in Loop: Header=BB82_198 Depth=2
	v_add_u32_e32 v37, s8, v37
	v_cmp_le_u32_e32 vcc, s53, v37
	v_add_u32_e32 v8, s73, v8
	s_mov_b64 s[50:51], 0
	s_orn2_b64 vcc, vcc, exec
.LBB82_197:                             ;   in Loop: Header=BB82_198 Depth=2
	s_and_b64 vcc, exec, vcc
	s_or_b64 s[58:59], vcc, s[58:59]
	s_andn2_b64 s[2:3], s[2:3], exec
	s_and_b64 s[50:51], s[50:51], exec
	s_or_b64 s[2:3], s[2:3], s[50:51]
	s_andn2_b64 exec, exec, s[58:59]
	s_cbranch_execz .LBB82_202
.LBB82_198:                             ;   Parent Loop BB82_6 Depth=1
                                        ; =>  This Inner Loop Header: Depth=2
	v_cmp_gt_u32_e32 vcc, s52, v37
	s_and_saveexec_b64 s[50:51], vcc
	s_cbranch_execz .LBB82_195
; %bb.199:                              ;   in Loop: Header=BB82_198 Depth=2
	ds_read_b32 v13, v8
	s_waitcnt lgkmcnt(0)
	v_cmp_lt_i32_e32 vcc, -1, v13
	v_cndmask_b32_e32 v1, -1, v32, vcc
	v_xor_b32_e32 v1, v1, v13
	v_cmp_o_f32_e32 vcc, v13, v13
	v_cndmask_b32_e32 v1, -1, v1, vcc
	v_and_b32_e32 v1, v1, v4
	v_cmp_eq_u32_e32 vcc, v1, v35
	s_and_b64 exec, exec, vcc
	s_cbranch_execz .LBB82_195
; %bb.200:                              ;   in Loop: Header=BB82_198 Depth=2
	ds_write_b64 v9, v[12:13] offset:3072
	s_branch .LBB82_195
.LBB82_201:                             ;   in Loop: Header=BB82_198 Depth=2
	s_mov_b64 vcc, -1
                                        ; implicit-def: $vgpr37
                                        ; implicit-def: $vgpr8
	s_mov_b64 s[50:51], -1
	s_branch .LBB82_197
.LBB82_202:                             ;   in Loop: Header=BB82_6 Depth=1
	s_or_b64 exec, exec, s[58:59]
	v_readlane_b32 s50, v47, 35
	s_and_b64 s[58:59], s[2:3], exec
	v_readlane_b32 s51, v47, 36
.LBB82_203:                             ;   in Loop: Header=BB82_6 Depth=1
	s_or_b64 exec, exec, s[50:51]
.LBB82_204:                             ;   in Loop: Header=BB82_6 Depth=1
	s_and_b64 vcc, exec, s[78:79]
	s_cbranch_vccz .LBB82_214
; %bb.205:                              ;   in Loop: Header=BB82_6 Depth=1
                                        ; implicit-def: $vgpr2
	s_mov_b64 s[52:53], exec
	v_readlane_b32 s2, v47, 31
	v_readlane_b32 s3, v47, 32
	s_and_b64 s[2:3], s[52:53], s[2:3]
	s_mov_b64 exec, s[2:3]
	s_cbranch_execz .LBB82_216
; %bb.206:                              ;   in Loop: Header=BB82_6 Depth=1
	s_mov_b64 s[54:55], 0
	v_mov_b32_e32 v8, v7
	v_mov_b32_e32 v37, v0
                                        ; implicit-def: $sgpr78_sgpr79
	s_branch .LBB82_210
.LBB82_207:                             ;   in Loop: Header=BB82_210 Depth=2
	s_or_b64 exec, exec, s[2:3]
	s_waitcnt lgkmcnt(0)
	s_barrier
	ds_read_b64 v[1:2], v9 offset:3072
	s_waitcnt lgkmcnt(0)
	s_barrier
	v_cmp_eq_f32_e32 vcc, 0, v1
	s_cbranch_vccz .LBB82_213
; %bb.208:                              ;   in Loop: Header=BB82_210 Depth=2
	v_add_u32_e32 v37, s8, v37
	v_cmp_le_u32_e32 vcc, s4, v37
	v_add_u32_e32 v8, s9, v8
	s_mov_b64 s[2:3], 0
	s_orn2_b64 s[50:51], vcc, exec
.LBB82_209:                             ;   in Loop: Header=BB82_210 Depth=2
	s_and_b64 s[50:51], exec, s[50:51]
	s_or_b64 s[54:55], s[50:51], s[54:55]
	s_andn2_b64 s[50:51], s[78:79], exec
	s_and_b64 s[2:3], s[2:3], exec
	s_or_b64 s[78:79], s[50:51], s[2:3]
	s_andn2_b64 exec, exec, s[54:55]
	s_cbranch_execz .LBB82_215
.LBB82_210:                             ;   Parent Loop BB82_6 Depth=1
                                        ; =>  This Inner Loop Header: Depth=2
	v_cmp_gt_u32_e32 vcc, s60, v37
	s_and_saveexec_b64 s[2:3], vcc
	s_cbranch_execz .LBB82_207
; %bb.211:                              ;   in Loop: Header=BB82_210 Depth=2
	v_lshlrev_b64 v[1:2], 2, v[8:9]
	v_mov_b32_e32 v13, s68
	v_add_co_u32_e32 v1, vcc, s33, v1
	v_addc_co_u32_e32 v2, vcc, v13, v2, vcc
	global_load_dword v13, v[1:2], off
	s_waitcnt vmcnt(0)
	v_cmp_lt_i32_e32 vcc, -1, v13
	v_cndmask_b32_e32 v1, -1, v32, vcc
	v_xor_b32_e32 v1, v1, v13
	v_cmp_o_f32_e32 vcc, v13, v13
	v_cndmask_b32_e32 v1, -1, v1, vcc
	v_and_b32_e32 v1, v1, v4
	v_cmp_eq_u32_e32 vcc, v1, v35
	s_and_b64 exec, exec, vcc
	s_cbranch_execz .LBB82_207
; %bb.212:                              ;   in Loop: Header=BB82_210 Depth=2
	ds_write_b64 v9, v[12:13] offset:3072
	s_branch .LBB82_207
.LBB82_213:                             ;   in Loop: Header=BB82_210 Depth=2
	s_mov_b64 s[50:51], -1
                                        ; implicit-def: $vgpr37
	s_mov_b64 s[2:3], -1
	s_branch .LBB82_209
.LBB82_214:                             ;   in Loop: Header=BB82_6 Depth=1
	s_mov_b64 s[78:79], -1
	s_branch .LBB82_217
.LBB82_215:                             ;   in Loop: Header=BB82_6 Depth=1
	s_or_b64 exec, exec, s[54:55]
	s_andn2_b64 s[2:3], s[58:59], exec
	s_and_b64 s[50:51], s[78:79], exec
	s_or_b64 s[58:59], s[2:3], s[50:51]
.LBB82_216:                             ;   in Loop: Header=BB82_6 Depth=1
	s_or_b64 exec, exec, s[52:53]
	s_mov_b64 s[78:79], 0
	s_mov_b64 s[54:55], -1
.LBB82_217:                             ;   in Loop: Header=BB82_6 Depth=1
	s_orn2_b64 s[2:3], s[58:59], exec
.LBB82_218:                             ;   in Loop: Header=BB82_6 Depth=1
	s_or_b64 exec, exec, s[56:57]
	s_mov_b64 s[50:51], 0
	s_and_saveexec_b64 s[56:57], s[2:3]
	s_cbranch_execz .LBB82_229
; %bb.219:                              ;   in Loop: Header=BB82_6 Depth=1
	v_readlane_b32 s2, v47, 33
	v_readlane_b32 s3, v47, 34
	s_xor_b64 s[50:51], s[2:3], -1
	v_mov_b32_e32 v3, 1
	v_mov_b32_e32 v1, 1
	s_and_saveexec_b64 s[2:3], s[50:51]
	s_cbranch_execz .LBB82_228
; %bb.220:                              ;   in Loop: Header=BB82_6 Depth=1
	v_cmp_ge_u32_e32 vcc, s81, v36
	s_and_saveexec_b64 s[50:51], vcc
	s_xor_b64 s[50:51], exec, s[50:51]
	s_cbranch_execz .LBB82_225
; %bb.221:                              ;   in Loop: Header=BB82_6 Depth=1
	ds_read_b32 v1, v9 offset:4096
	v_or_b32_e32 v35, s13, v35
	v_or_b32_e32 v4, s13, v4
	s_waitcnt lgkmcnt(0)
	v_cmp_ne_u32_e32 vcc, 0, v1
	s_cbranch_vccnz .LBB82_225
; %bb.222:                              ;   in Loop: Header=BB82_6 Depth=1
	s_mov_b64 s[58:59], exec
	v_readlane_b32 s52, v47, 5
	v_readlane_b32 s53, v47, 6
	s_and_b64 s[52:53], s[58:59], s[52:53]
	s_mov_b64 exec, s[52:53]
; %bb.223:                              ;   in Loop: Header=BB82_6 Depth=1
	v_mov_b32_e32 v1, s81
	ds_write_b32 v9, v1 offset:4100
; %bb.224:                              ;   in Loop: Header=BB82_6 Depth=1
	s_or_b64 exec, exec, s[58:59]
	s_waitcnt lgkmcnt(0)
	s_barrier
.LBB82_225:                             ;   in Loop: Header=BB82_6 Depth=1
	s_andn2_saveexec_b64 s[50:51], s[50:51]
; %bb.226:                              ;   in Loop: Header=BB82_6 Depth=1
	v_subrev_u32_e32 v36, s81, v36
; %bb.227:                              ;   in Loop: Header=BB82_6 Depth=1
	s_or_b64 exec, exec, s[50:51]
	v_mov_b32_e32 v3, 8
	v_mov_b32_e32 v1, v36
.LBB82_228:                             ;   in Loop: Header=BB82_6 Depth=1
	s_or_b64 exec, exec, s[2:3]
	s_mov_b64 s[50:51], exec
	v_mov_b32_e32 v36, v1
.LBB82_229:                             ;   in Loop: Header=BB82_6 Depth=1
	s_or_b64 exec, exec, s[56:57]
	s_orn2_b64 s[2:3], s[50:51], exec
.LBB82_230:                             ;   in Loop: Header=BB82_6 Depth=1
	s_or_b64 exec, exec, s[48:49]
	s_andn2_b64 s[44:45], s[44:45], exec
	s_and_b64 s[48:49], s[54:55], exec
	s_or_b64 s[44:45], s[44:45], s[48:49]
	s_andn2_b64 s[42:43], s[42:43], exec
	s_and_b64 s[48:49], s[78:79], exec
	s_or_b64 s[42:43], s[42:43], s[48:49]
	s_and_b64 s[50:51], s[2:3], exec
	v_mov_b32_e32 v37, v36
.LBB82_231:                             ;   in Loop: Header=BB82_6 Depth=1
	s_or_b64 exec, exec, s[46:47]
	s_orn2_b64 s[2:3], s[50:51], exec
.LBB82_232:                             ;   in Loop: Header=BB82_6 Depth=1
	s_or_b64 exec, exec, s[40:41]
	s_andn2_b64 s[26:27], s[26:27], exec
	s_and_b64 s[40:41], s[44:45], exec
	s_or_b64 s[26:27], s[26:27], s[40:41]
	s_andn2_b64 s[24:25], s[24:25], exec
	s_and_b64 s[40:41], s[42:43], exec
	s_or_b64 s[24:25], s[24:25], s[40:41]
	s_and_b64 s[42:43], s[2:3], exec
	v_mov_b32_e32 v36, v37
.LBB82_233:                             ;   in Loop: Header=BB82_6 Depth=1
	s_or_b64 exec, exec, s[38:39]
	s_orn2_b64 s[2:3], s[42:43], exec
.LBB82_234:                             ;   in Loop: Header=BB82_6 Depth=1
	s_or_b64 exec, exec, s[6:7]
	s_mov_b64 s[6:7], 0
	s_mov_b64 s[38:39], 0
	s_and_saveexec_b64 s[40:41], s[2:3]
	s_xor_b64 s[2:3], exec, s[40:41]
; %bb.235:                              ;   in Loop: Header=BB82_6 Depth=1
	v_cmp_eq_u32_e32 vcc, 8, v3
	v_cmp_ne_u32_e64 s[6:7], 8, v3
	s_and_b64 s[38:39], s[6:7], exec
	s_and_b64 s[6:7], vcc, exec
; %bb.236:                              ;   in Loop: Header=BB82_6 Depth=1
	s_or_b64 exec, exec, s[2:3]
	s_andn2_b64 s[2:3], s[30:31], exec
	s_and_b64 s[26:27], s[26:27], exec
	s_or_b64 s[30:31], s[2:3], s[26:27]
	s_andn2_b64 s[2:3], s[28:29], exec
	s_and_b64 s[24:25], s[24:25], exec
	s_or_b64 s[28:29], s[2:3], s[24:25]
	s_and_b64 s[24:25], s[38:39], exec
	s_and_b64 s[26:27], s[6:7], exec
.LBB82_237:                             ;   in Loop: Header=BB82_6 Depth=1
	s_or_b64 exec, exec, s[36:37]
.LBB82_238:                             ;   in Loop: Header=BB82_6 Depth=1
	s_and_b64 vcc, exec, s[34:35]
	s_cbranch_vccz .LBB82_252
; %bb.239:                              ;   in Loop: Header=BB82_6 Depth=1
	s_cmp_eq_u32 s81, 1
	s_cselect_b64 s[2:3], -1, 0
	s_and_b64 s[6:7], s[2:3], s[18:19]
	s_mov_b64 s[2:3], -1
                                        ; implicit-def: $sgpr18_sgpr19
                                        ; implicit-def: $sgpr22_sgpr23
	s_and_saveexec_b64 s[28:29], s[6:7]
	s_cbranch_execz .LBB82_268
; %bb.240:                              ;   in Loop: Header=BB82_6 Depth=1
	ds_read_b32 v1, v9 offset:4096
	s_waitcnt lgkmcnt(0)
	s_barrier
	v_readfirstlane_b32 s42, v1
	s_and_saveexec_b64 s[2:3], s[10:11]
; %bb.241:                              ;   in Loop: Header=BB82_6 Depth=1
	ds_write_b32 v21, v9
; %bb.242:                              ;   in Loop: Header=BB82_6 Depth=1
	s_or_b64 exec, exec, s[2:3]
	v_or_b32_e32 v24, s13, v24
	v_or_b32_e32 v33, s13, v33
	s_mov_b64 s[22:23], -1
	s_mov_b64 s[18:19], 0
	s_cmp_eq_u32 s42, 0
	s_mov_b64 s[30:31], 0
	s_mov_b64 s[34:35], -1
	s_waitcnt lgkmcnt(0)
	s_barrier
                                        ; implicit-def: $vgpr14
	s_cbranch_scc1 .LBB82_255
; %bb.243:                              ;   in Loop: Header=BB82_6 Depth=1
	v_readlane_b32 s2, v47, 18
	s_add_i32 s2, s42, s2
	v_readlane_b32 s3, v47, 30
	s_mul_hi_u32 s3, s2, s3
	s_mul_i32 s3, s3, s8
	s_sub_i32 s3, s2, s3
	s_sub_i32 s30, s3, s8
	s_cmp_ge_u32 s3, s8
	s_cselect_b32 s3, s30, s3
	s_sub_i32 s30, s3, s8
	s_cmp_ge_u32 s3, s8
	s_cselect_b32 s3, s30, s3
	s_sub_i32 s43, s2, s3
	v_cmp_gt_u32_e32 vcc, s43, v0
	s_mov_b64 s[34:35], 0
	s_mov_b64 s[30:31], 0
                                        ; implicit-def: $vgpr14
	s_and_saveexec_b64 s[36:37], vcc
	s_cbranch_execz .LBB82_254
; %bb.244:                              ;   in Loop: Header=BB82_6 Depth=1
	v_mov_b32_e32 v1, v18
	v_mov_b32_e32 v2, v0
                                        ; implicit-def: $sgpr38_sgpr39
	s_branch .LBB82_248
.LBB82_245:                             ;   in Loop: Header=BB82_248 Depth=2
	s_or_b64 exec, exec, s[2:3]
	s_waitcnt lgkmcnt(0)
	s_barrier
	ds_read_b64 v[13:14], v9 offset:3072
	s_waitcnt lgkmcnt(0)
	s_barrier
	v_cmp_neq_f32_e32 vcc, 0, v13
	s_cbranch_vccnz .LBB82_251
; %bb.246:                              ;   in Loop: Header=BB82_248 Depth=2
	v_add_u32_e32 v2, s8, v2
	v_cmp_le_u32_e32 vcc, s43, v2
	v_add_u32_e32 v1, s73, v1
	s_mov_b64 s[2:3], 0
	s_orn2_b64 s[40:41], vcc, exec
.LBB82_247:                             ;   in Loop: Header=BB82_248 Depth=2
	s_and_b64 s[40:41], exec, s[40:41]
	s_or_b64 s[30:31], s[40:41], s[30:31]
	s_andn2_b64 s[38:39], s[38:39], exec
	s_and_b64 s[2:3], s[2:3], exec
	s_or_b64 s[38:39], s[38:39], s[2:3]
	s_andn2_b64 exec, exec, s[30:31]
	s_cbranch_execz .LBB82_253
.LBB82_248:                             ;   Parent Loop BB82_6 Depth=1
                                        ; =>  This Inner Loop Header: Depth=2
	v_cmp_gt_u32_e32 vcc, s42, v2
	s_and_saveexec_b64 s[2:3], vcc
	s_cbranch_execz .LBB82_245
; %bb.249:                              ;   in Loop: Header=BB82_248 Depth=2
	ds_read_b32 v13, v1
	s_waitcnt lgkmcnt(0)
	v_cmp_lt_i32_e32 vcc, -1, v13
	v_cndmask_b32_e32 v3, -1, v32, vcc
	v_xor_b32_e32 v3, v3, v13
	v_cmp_o_f32_e32 vcc, v13, v13
	v_cndmask_b32_e32 v3, -1, v3, vcc
	v_and_b32_e32 v3, v3, v33
	v_cmp_eq_u32_e32 vcc, v3, v24
	s_and_b64 exec, exec, vcc
	s_cbranch_execz .LBB82_245
; %bb.250:                              ;   in Loop: Header=BB82_248 Depth=2
	ds_write_b64 v9, v[12:13] offset:3072
	s_branch .LBB82_245
.LBB82_251:                             ;   in Loop: Header=BB82_248 Depth=2
	s_mov_b64 s[40:41], -1
                                        ; implicit-def: $vgpr2
                                        ; implicit-def: $vgpr1
	s_mov_b64 s[2:3], -1
	s_branch .LBB82_247
.LBB82_252:                             ;   in Loop: Header=BB82_6 Depth=1
	s_mov_b64 s[18:19], 0
	v_mov_b32_e32 v24, v35
	v_mov_b32_e32 v33, v4
	;; [unrolled: 1-line block ×3, first 2 shown]
	s_and_saveexec_b64 s[2:3], s[26:27]
	s_cbranch_execnz .LBB82_405
	s_branch .LBB82_406
.LBB82_253:                             ;   in Loop: Header=BB82_6 Depth=1
	s_or_b64 exec, exec, s[30:31]
	s_and_b64 s[30:31], s[38:39], exec
.LBB82_254:                             ;   in Loop: Header=BB82_6 Depth=1
	s_or_b64 exec, exec, s[36:37]
.LBB82_255:                             ;   in Loop: Header=BB82_6 Depth=1
	s_and_b64 vcc, exec, s[34:35]
	s_cbranch_vccz .LBB82_267
; %bb.256:                              ;   in Loop: Header=BB82_6 Depth=1
                                        ; implicit-def: $vgpr14
	s_mov_b64 s[18:19], exec
	v_readlane_b32 s2, v47, 31
	v_readlane_b32 s3, v47, 32
	s_and_b64 s[2:3], s[18:19], s[2:3]
	s_mov_b64 exec, s[2:3]
	s_cbranch_execz .LBB82_266
; %bb.257:                              ;   in Loop: Header=BB82_6 Depth=1
	s_mov_b64 s[22:23], 0
	v_mov_b32_e32 v8, v7
	v_mov_b32_e32 v1, v0
                                        ; implicit-def: $sgpr34_sgpr35
	s_branch .LBB82_261
.LBB82_258:                             ;   in Loop: Header=BB82_261 Depth=2
	s_or_b64 exec, exec, s[2:3]
	s_waitcnt lgkmcnt(0)
	s_barrier
	ds_read_b64 v[13:14], v9 offset:3072
	s_waitcnt lgkmcnt(0)
	s_barrier
	v_cmp_neq_f32_e32 vcc, 0, v13
	s_cbranch_vccnz .LBB82_264
; %bb.259:                              ;   in Loop: Header=BB82_261 Depth=2
	v_add_u32_e32 v1, s8, v1
	v_cmp_le_u32_e32 vcc, s4, v1
	v_add_u32_e32 v8, s9, v8
	s_mov_b64 s[2:3], 0
	s_orn2_b64 s[36:37], vcc, exec
.LBB82_260:                             ;   in Loop: Header=BB82_261 Depth=2
	s_and_b64 s[36:37], exec, s[36:37]
	s_or_b64 s[22:23], s[36:37], s[22:23]
	s_andn2_b64 s[34:35], s[34:35], exec
	s_and_b64 s[2:3], s[2:3], exec
	s_or_b64 s[34:35], s[34:35], s[2:3]
	s_andn2_b64 exec, exec, s[22:23]
	s_cbranch_execz .LBB82_265
.LBB82_261:                             ;   Parent Loop BB82_6 Depth=1
                                        ; =>  This Inner Loop Header: Depth=2
	v_cmp_gt_u32_e32 vcc, s60, v1
	s_and_saveexec_b64 s[2:3], vcc
	s_cbranch_execz .LBB82_258
; %bb.262:                              ;   in Loop: Header=BB82_261 Depth=2
	v_lshlrev_b64 v[2:3], 2, v[8:9]
	v_mov_b32_e32 v4, s68
	v_add_co_u32_e32 v2, vcc, s33, v2
	v_addc_co_u32_e32 v3, vcc, v4, v3, vcc
	global_load_dword v13, v[2:3], off
	s_waitcnt vmcnt(0)
	v_cmp_lt_i32_e32 vcc, -1, v13
	v_cndmask_b32_e32 v2, -1, v32, vcc
	v_xor_b32_e32 v2, v2, v13
	v_cmp_o_f32_e32 vcc, v13, v13
	v_cndmask_b32_e32 v2, -1, v2, vcc
	v_and_b32_e32 v2, v2, v33
	v_cmp_eq_u32_e32 vcc, v2, v24
	s_and_b64 exec, exec, vcc
	s_cbranch_execz .LBB82_258
; %bb.263:                              ;   in Loop: Header=BB82_261 Depth=2
	ds_write_b64 v9, v[12:13] offset:3072
	s_branch .LBB82_258
.LBB82_264:                             ;   in Loop: Header=BB82_261 Depth=2
	s_mov_b64 s[36:37], -1
                                        ; implicit-def: $vgpr1
	s_mov_b64 s[2:3], -1
	s_branch .LBB82_260
.LBB82_265:                             ;   in Loop: Header=BB82_6 Depth=1
	s_or_b64 exec, exec, s[22:23]
	s_andn2_b64 s[2:3], s[30:31], exec
	s_and_b64 s[22:23], s[34:35], exec
	s_or_b64 s[30:31], s[2:3], s[22:23]
.LBB82_266:                             ;   in Loop: Header=BB82_6 Depth=1
	s_or_b64 exec, exec, s[18:19]
	s_mov_b64 s[22:23], 0
	s_mov_b64 s[18:19], -1
.LBB82_267:                             ;   in Loop: Header=BB82_6 Depth=1
	s_orn2_b64 s[2:3], s[30:31], exec
.LBB82_268:                             ;   in Loop: Header=BB82_6 Depth=1
	s_or_b64 exec, exec, s[28:29]
                                        ; implicit-def: $vgpr36
                                        ; implicit-def: $vgpr3
	s_and_saveexec_b64 s[28:29], s[2:3]
	s_cbranch_execz .LBB82_404
; %bb.269:                              ;   in Loop: Header=BB82_6 Depth=1
	s_xor_b64 s[2:3], s[6:7], -1
	s_mov_b64 s[36:37], 0
	v_mov_b32_e32 v36, 1
	v_mov_b32_e32 v3, 1
	s_and_saveexec_b64 s[6:7], s[2:3]
	s_cbranch_execz .LBB82_278
; %bb.270:                              ;   in Loop: Header=BB82_6 Depth=1
	v_cmp_ge_u32_e32 vcc, s81, v34
	s_and_saveexec_b64 s[2:3], vcc
	s_xor_b64 s[2:3], exec, s[2:3]
	s_cbranch_execz .LBB82_275
; %bb.271:                              ;   in Loop: Header=BB82_6 Depth=1
	ds_read_b32 v1, v9 offset:4096
	v_or_b32_e32 v24, s13, v24
	v_or_b32_e32 v33, s13, v33
	s_waitcnt lgkmcnt(0)
	v_cmp_ne_u32_e32 vcc, 0, v1
	s_cbranch_vccnz .LBB82_275
; %bb.272:                              ;   in Loop: Header=BB82_6 Depth=1
	s_mov_b64 s[30:31], exec
	v_readlane_b32 s34, v47, 5
	v_readlane_b32 s35, v47, 6
	s_and_b64 s[34:35], s[30:31], s[34:35]
	s_mov_b64 exec, s[34:35]
; %bb.273:                              ;   in Loop: Header=BB82_6 Depth=1
	v_mov_b32_e32 v1, s81
	ds_write_b32 v9, v1 offset:4100
; %bb.274:                              ;   in Loop: Header=BB82_6 Depth=1
	s_or_b64 exec, exec, s[30:31]
	s_waitcnt lgkmcnt(0)
	s_barrier
.LBB82_275:                             ;   in Loop: Header=BB82_6 Depth=1
	s_or_saveexec_b64 s[2:3], s[2:3]
	s_mov_b64 s[30:31], 0
	v_mov_b32_e32 v3, 5
	s_xor_b64 exec, exec, s[2:3]
; %bb.276:                              ;   in Loop: Header=BB82_6 Depth=1
	s_mov_b64 s[30:31], exec
	v_subrev_u32_e32 v34, s81, v34
	v_mov_b32_e32 v3, 0
; %bb.277:                              ;   in Loop: Header=BB82_6 Depth=1
	s_or_b64 exec, exec, s[2:3]
	s_and_b64 s[36:37], s[30:31], exec
	v_mov_b32_e32 v36, v34
.LBB82_278:                             ;   in Loop: Header=BB82_6 Depth=1
	s_or_b64 exec, exec, s[6:7]
	s_mov_b64 s[2:3], -1
                                        ; implicit-def: $sgpr30_sgpr31
                                        ; implicit-def: $sgpr34_sgpr35
	s_and_saveexec_b64 s[6:7], s[36:37]
	s_xor_b64 s[6:7], exec, s[6:7]
	s_cbranch_execz .LBB82_401
; %bb.279:                              ;   in Loop: Header=BB82_6 Depth=1
	s_cmp_eq_u32 s80, 1
	s_cselect_b64 s[2:3], -1, 0
	v_cmp_eq_u32_e32 vcc, 1, v36
	s_and_b64 s[38:39], s[2:3], vcc
	s_mov_b64 s[2:3], -1
                                        ; implicit-def: $sgpr34_sgpr35
                                        ; implicit-def: $sgpr30_sgpr31
	s_and_saveexec_b64 s[36:37], s[38:39]
	s_cbranch_execz .LBB82_307
; %bb.280:                              ;   in Loop: Header=BB82_6 Depth=1
	ds_read_b32 v1, v9 offset:4096
	s_waitcnt lgkmcnt(0)
	s_barrier
	v_readfirstlane_b32 s50, v1
	s_and_saveexec_b64 s[2:3], s[10:11]
; %bb.281:                              ;   in Loop: Header=BB82_6 Depth=1
	ds_write_b32 v21, v9
; %bb.282:                              ;   in Loop: Header=BB82_6 Depth=1
	s_or_b64 exec, exec, s[2:3]
	v_and_b32_e32 v1, s14, v24
	v_lshl_or_b32 v24, 2, s75, v1
	v_or_b32_e32 v33, s13, v33
	s_mov_b64 s[30:31], -1
	s_mov_b64 s[34:35], 0
	s_cmp_eq_u32 s50, 0
	s_mov_b64 s[40:41], 0
	s_mov_b64 s[42:43], -1
	s_waitcnt lgkmcnt(0)
	s_barrier
                                        ; implicit-def: $vgpr14
	s_cbranch_scc1 .LBB82_294
; %bb.283:                              ;   in Loop: Header=BB82_6 Depth=1
	v_readlane_b32 s2, v47, 18
	s_add_i32 s2, s50, s2
	v_readlane_b32 s3, v47, 30
	s_mul_hi_u32 s3, s2, s3
	s_mul_i32 s3, s3, s8
	s_sub_i32 s3, s2, s3
	s_sub_i32 s40, s3, s8
	s_cmp_ge_u32 s3, s8
	s_cselect_b32 s3, s40, s3
	s_sub_i32 s40, s3, s8
	s_cmp_ge_u32 s3, s8
	s_cselect_b32 s3, s40, s3
	s_sub_i32 s51, s2, s3
	v_cmp_gt_u32_e32 vcc, s51, v0
	s_mov_b64 s[42:43], 0
	s_mov_b64 s[40:41], 0
                                        ; implicit-def: $vgpr14
	s_and_saveexec_b64 s[44:45], vcc
	s_cbranch_execz .LBB82_293
; %bb.284:                              ;   in Loop: Header=BB82_6 Depth=1
	v_mov_b32_e32 v1, v18
	v_mov_b32_e32 v2, v0
                                        ; implicit-def: $sgpr46_sgpr47
	s_branch .LBB82_288
.LBB82_285:                             ;   in Loop: Header=BB82_288 Depth=2
	s_or_b64 exec, exec, s[2:3]
	s_waitcnt lgkmcnt(0)
	s_barrier
	ds_read_b64 v[13:14], v9 offset:3072
	s_waitcnt lgkmcnt(0)
	s_barrier
	v_cmp_neq_f32_e32 vcc, 0, v13
	s_cbranch_vccnz .LBB82_291
; %bb.286:                              ;   in Loop: Header=BB82_288 Depth=2
	v_add_u32_e32 v2, s8, v2
	v_cmp_le_u32_e32 vcc, s51, v2
	v_add_u32_e32 v1, s73, v1
	s_mov_b64 s[2:3], 0
	s_orn2_b64 s[48:49], vcc, exec
.LBB82_287:                             ;   in Loop: Header=BB82_288 Depth=2
	s_and_b64 s[48:49], exec, s[48:49]
	s_or_b64 s[40:41], s[48:49], s[40:41]
	s_andn2_b64 s[46:47], s[46:47], exec
	s_and_b64 s[2:3], s[2:3], exec
	s_or_b64 s[46:47], s[46:47], s[2:3]
	s_andn2_b64 exec, exec, s[40:41]
	s_cbranch_execz .LBB82_292
.LBB82_288:                             ;   Parent Loop BB82_6 Depth=1
                                        ; =>  This Inner Loop Header: Depth=2
	v_cmp_gt_u32_e32 vcc, s50, v2
	s_and_saveexec_b64 s[2:3], vcc
	s_cbranch_execz .LBB82_285
; %bb.289:                              ;   in Loop: Header=BB82_288 Depth=2
	ds_read_b32 v13, v1
	s_waitcnt lgkmcnt(0)
	v_cmp_lt_i32_e32 vcc, -1, v13
	v_cndmask_b32_e32 v4, -1, v32, vcc
	v_xor_b32_e32 v4, v4, v13
	v_cmp_o_f32_e32 vcc, v13, v13
	v_cndmask_b32_e32 v4, -1, v4, vcc
	v_and_b32_e32 v4, v4, v33
	v_cmp_eq_u32_e32 vcc, v4, v24
	s_and_b64 exec, exec, vcc
	s_cbranch_execz .LBB82_285
; %bb.290:                              ;   in Loop: Header=BB82_288 Depth=2
	ds_write_b64 v9, v[12:13] offset:3072
	s_branch .LBB82_285
.LBB82_291:                             ;   in Loop: Header=BB82_288 Depth=2
	s_mov_b64 s[48:49], -1
                                        ; implicit-def: $vgpr2
                                        ; implicit-def: $vgpr1
	s_mov_b64 s[2:3], -1
	s_branch .LBB82_287
.LBB82_292:                             ;   in Loop: Header=BB82_6 Depth=1
	s_or_b64 exec, exec, s[40:41]
	s_and_b64 s[40:41], s[46:47], exec
.LBB82_293:                             ;   in Loop: Header=BB82_6 Depth=1
	s_or_b64 exec, exec, s[44:45]
.LBB82_294:                             ;   in Loop: Header=BB82_6 Depth=1
	s_and_b64 vcc, exec, s[42:43]
	s_cbranch_vccz .LBB82_306
; %bb.295:                              ;   in Loop: Header=BB82_6 Depth=1
                                        ; implicit-def: $vgpr14
	s_mov_b64 s[30:31], exec
	v_readlane_b32 s2, v47, 31
	v_readlane_b32 s3, v47, 32
	s_and_b64 s[2:3], s[30:31], s[2:3]
	s_mov_b64 exec, s[2:3]
	s_cbranch_execz .LBB82_305
; %bb.296:                              ;   in Loop: Header=BB82_6 Depth=1
	s_mov_b64 s[34:35], 0
	v_mov_b32_e32 v8, v7
	v_mov_b32_e32 v1, v0
                                        ; implicit-def: $sgpr42_sgpr43
	s_branch .LBB82_300
.LBB82_297:                             ;   in Loop: Header=BB82_300 Depth=2
	s_or_b64 exec, exec, s[2:3]
	s_waitcnt lgkmcnt(0)
	s_barrier
	ds_read_b64 v[13:14], v9 offset:3072
	s_waitcnt lgkmcnt(0)
	s_barrier
	v_cmp_eq_f32_e32 vcc, 0, v13
	s_cbranch_vccz .LBB82_303
; %bb.298:                              ;   in Loop: Header=BB82_300 Depth=2
	v_add_u32_e32 v1, s8, v1
	v_cmp_le_u32_e32 vcc, s4, v1
	v_add_u32_e32 v8, s9, v8
	s_mov_b64 s[2:3], 0
	s_orn2_b64 s[44:45], vcc, exec
.LBB82_299:                             ;   in Loop: Header=BB82_300 Depth=2
	s_and_b64 s[44:45], exec, s[44:45]
	s_or_b64 s[34:35], s[44:45], s[34:35]
	s_andn2_b64 s[42:43], s[42:43], exec
	s_and_b64 s[2:3], s[2:3], exec
	s_or_b64 s[42:43], s[42:43], s[2:3]
	s_andn2_b64 exec, exec, s[34:35]
	s_cbranch_execz .LBB82_304
.LBB82_300:                             ;   Parent Loop BB82_6 Depth=1
                                        ; =>  This Inner Loop Header: Depth=2
	v_cmp_gt_u32_e32 vcc, s60, v1
	s_and_saveexec_b64 s[2:3], vcc
	s_cbranch_execz .LBB82_297
; %bb.301:                              ;   in Loop: Header=BB82_300 Depth=2
	v_lshlrev_b64 v[13:14], 2, v[8:9]
	v_mov_b32_e32 v2, s68
	v_add_co_u32_e32 v13, vcc, s33, v13
	v_addc_co_u32_e32 v14, vcc, v2, v14, vcc
	global_load_dword v13, v[13:14], off
	s_waitcnt vmcnt(0)
	v_cmp_lt_i32_e32 vcc, -1, v13
	v_cndmask_b32_e32 v2, -1, v32, vcc
	v_xor_b32_e32 v2, v2, v13
	v_cmp_o_f32_e32 vcc, v13, v13
	v_cndmask_b32_e32 v2, -1, v2, vcc
	v_and_b32_e32 v2, v2, v33
	v_cmp_eq_u32_e32 vcc, v2, v24
	s_and_b64 exec, exec, vcc
	s_cbranch_execz .LBB82_297
; %bb.302:                              ;   in Loop: Header=BB82_300 Depth=2
	ds_write_b64 v9, v[12:13] offset:3072
	s_branch .LBB82_297
.LBB82_303:                             ;   in Loop: Header=BB82_300 Depth=2
	s_mov_b64 s[44:45], -1
                                        ; implicit-def: $vgpr1
	s_mov_b64 s[2:3], -1
	s_branch .LBB82_299
.LBB82_304:                             ;   in Loop: Header=BB82_6 Depth=1
	s_or_b64 exec, exec, s[34:35]
	s_andn2_b64 s[2:3], s[40:41], exec
	s_and_b64 s[34:35], s[42:43], exec
	s_or_b64 s[40:41], s[2:3], s[34:35]
.LBB82_305:                             ;   in Loop: Header=BB82_6 Depth=1
	s_or_b64 exec, exec, s[30:31]
	s_mov_b64 s[30:31], 0
	s_mov_b64 s[34:35], -1
.LBB82_306:                             ;   in Loop: Header=BB82_6 Depth=1
	s_orn2_b64 s[2:3], s[40:41], exec
.LBB82_307:                             ;   in Loop: Header=BB82_6 Depth=1
	s_or_b64 exec, exec, s[36:37]
	s_mov_b64 s[40:41], 0
	s_and_saveexec_b64 s[36:37], s[2:3]
	s_cbranch_execz .LBB82_400
; %bb.308:                              ;   in Loop: Header=BB82_6 Depth=1
	s_xor_b64 s[2:3], s[38:39], -1
	s_mov_b64 s[44:45], 0
	v_mov_b32_e32 v1, 1
	v_mov_b32_e32 v3, 1
	s_and_saveexec_b64 s[38:39], s[2:3]
	s_cbranch_execz .LBB82_317
; %bb.309:                              ;   in Loop: Header=BB82_6 Depth=1
	v_cmp_ge_u32_e32 vcc, s80, v36
	s_and_saveexec_b64 s[2:3], vcc
	s_xor_b64 s[2:3], exec, s[2:3]
	s_cbranch_execz .LBB82_314
; %bb.310:                              ;   in Loop: Header=BB82_6 Depth=1
	ds_read_b32 v1, v9 offset:4096
	v_and_b32_e32 v2, s14, v24
	v_lshl_or_b32 v24, 2, s75, v2
	v_or_b32_e32 v33, s13, v33
	s_waitcnt lgkmcnt(0)
	v_cmp_ne_u32_e32 vcc, 0, v1
	s_cbranch_vccnz .LBB82_314
; %bb.311:                              ;   in Loop: Header=BB82_6 Depth=1
	s_mov_b64 s[40:41], exec
	v_readlane_b32 s42, v47, 5
	v_readlane_b32 s43, v47, 6
	s_and_b64 s[42:43], s[40:41], s[42:43]
	s_mov_b64 exec, s[42:43]
; %bb.312:                              ;   in Loop: Header=BB82_6 Depth=1
	v_mov_b32_e32 v1, s80
	ds_write_b32 v9, v1 offset:4100
; %bb.313:                              ;   in Loop: Header=BB82_6 Depth=1
	s_or_b64 exec, exec, s[40:41]
	s_waitcnt lgkmcnt(0)
	s_barrier
.LBB82_314:                             ;   in Loop: Header=BB82_6 Depth=1
	s_or_saveexec_b64 s[2:3], s[2:3]
	s_mov_b64 s[40:41], 0
	v_mov_b32_e32 v3, 5
	s_xor_b64 exec, exec, s[2:3]
; %bb.315:                              ;   in Loop: Header=BB82_6 Depth=1
	s_mov_b64 s[40:41], exec
	v_subrev_u32_e32 v36, s80, v36
	v_mov_b32_e32 v3, 0
; %bb.316:                              ;   in Loop: Header=BB82_6 Depth=1
	s_or_b64 exec, exec, s[2:3]
	s_and_b64 s[44:45], s[40:41], exec
	v_mov_b32_e32 v1, v36
.LBB82_317:                             ;   in Loop: Header=BB82_6 Depth=1
	s_or_b64 exec, exec, s[38:39]
	s_mov_b64 s[2:3], -1
                                        ; implicit-def: $sgpr40_sgpr41
                                        ; implicit-def: $sgpr42_sgpr43
	s_and_saveexec_b64 s[38:39], s[44:45]
	s_cbranch_execz .LBB82_399
; %bb.318:                              ;   in Loop: Header=BB82_6 Depth=1
	s_cmp_eq_u32 s15, 1
	s_cselect_b64 s[2:3], -1, 0
	v_cmp_eq_u32_e32 vcc, 1, v1
	s_and_b64 s[46:47], s[2:3], vcc
	s_mov_b64 s[2:3], -1
                                        ; implicit-def: $sgpr42_sgpr43
                                        ; implicit-def: $sgpr40_sgpr41
	s_and_saveexec_b64 s[44:45], s[46:47]
	s_cbranch_execz .LBB82_346
; %bb.319:                              ;   in Loop: Header=BB82_6 Depth=1
	ds_read_b32 v2, v9 offset:4096
	s_waitcnt lgkmcnt(0)
	s_barrier
	v_readfirstlane_b32 s58, v2
	s_and_saveexec_b64 s[2:3], s[10:11]
; %bb.320:                              ;   in Loop: Header=BB82_6 Depth=1
	ds_write_b32 v21, v9
; %bb.321:                              ;   in Loop: Header=BB82_6 Depth=1
	s_or_b64 exec, exec, s[2:3]
	v_and_b32_e32 v2, s14, v24
	v_lshl_or_b32 v24, 1, s75, v2
	v_or_b32_e32 v33, s13, v33
	s_mov_b64 s[40:41], -1
	s_mov_b64 s[42:43], 0
	s_cmp_eq_u32 s58, 0
	s_mov_b64 s[48:49], 0
	s_mov_b64 s[50:51], -1
	s_waitcnt lgkmcnt(0)
	s_barrier
                                        ; implicit-def: $vgpr14
	s_cbranch_scc1 .LBB82_333
; %bb.322:                              ;   in Loop: Header=BB82_6 Depth=1
	v_readlane_b32 s2, v47, 18
	s_add_i32 s2, s58, s2
	v_readlane_b32 s3, v47, 30
	s_mul_hi_u32 s3, s2, s3
	s_mul_i32 s3, s3, s8
	s_sub_i32 s3, s2, s3
	s_sub_i32 s48, s3, s8
	s_cmp_ge_u32 s3, s8
	s_cselect_b32 s3, s48, s3
	s_sub_i32 s48, s3, s8
	s_cmp_ge_u32 s3, s8
	s_cselect_b32 s3, s48, s3
	s_sub_i32 s59, s2, s3
	v_cmp_gt_u32_e32 vcc, s59, v0
	s_mov_b64 s[50:51], 0
	s_mov_b64 s[48:49], 0
                                        ; implicit-def: $vgpr14
	s_and_saveexec_b64 s[52:53], vcc
	s_cbranch_execz .LBB82_332
; %bb.323:                              ;   in Loop: Header=BB82_6 Depth=1
	v_mov_b32_e32 v2, v18
	v_mov_b32_e32 v4, v0
                                        ; implicit-def: $sgpr54_sgpr55
	s_branch .LBB82_327
.LBB82_324:                             ;   in Loop: Header=BB82_327 Depth=2
	s_or_b64 exec, exec, s[2:3]
	s_waitcnt lgkmcnt(0)
	s_barrier
	ds_read_b64 v[13:14], v9 offset:3072
	s_waitcnt lgkmcnt(0)
	s_barrier
	v_cmp_neq_f32_e32 vcc, 0, v13
	s_cbranch_vccnz .LBB82_330
; %bb.325:                              ;   in Loop: Header=BB82_327 Depth=2
	v_add_u32_e32 v4, s8, v4
	v_cmp_le_u32_e32 vcc, s59, v4
	v_add_u32_e32 v2, s73, v2
	s_mov_b64 s[2:3], 0
	s_orn2_b64 s[56:57], vcc, exec
.LBB82_326:                             ;   in Loop: Header=BB82_327 Depth=2
	s_and_b64 s[56:57], exec, s[56:57]
	s_or_b64 s[48:49], s[56:57], s[48:49]
	s_andn2_b64 s[54:55], s[54:55], exec
	s_and_b64 s[2:3], s[2:3], exec
	s_or_b64 s[54:55], s[54:55], s[2:3]
	s_andn2_b64 exec, exec, s[48:49]
	s_cbranch_execz .LBB82_331
.LBB82_327:                             ;   Parent Loop BB82_6 Depth=1
                                        ; =>  This Inner Loop Header: Depth=2
	v_cmp_gt_u32_e32 vcc, s58, v4
	s_and_saveexec_b64 s[2:3], vcc
	s_cbranch_execz .LBB82_324
; %bb.328:                              ;   in Loop: Header=BB82_327 Depth=2
	ds_read_b32 v13, v2
	s_waitcnt lgkmcnt(0)
	v_cmp_lt_i32_e32 vcc, -1, v13
	v_cndmask_b32_e32 v8, -1, v32, vcc
	v_xor_b32_e32 v8, v8, v13
	v_cmp_o_f32_e32 vcc, v13, v13
	v_cndmask_b32_e32 v8, -1, v8, vcc
	v_and_b32_e32 v8, v8, v33
	v_cmp_eq_u32_e32 vcc, v8, v24
	s_and_b64 exec, exec, vcc
	s_cbranch_execz .LBB82_324
; %bb.329:                              ;   in Loop: Header=BB82_327 Depth=2
	ds_write_b64 v9, v[12:13] offset:3072
	s_branch .LBB82_324
.LBB82_330:                             ;   in Loop: Header=BB82_327 Depth=2
	s_mov_b64 s[56:57], -1
                                        ; implicit-def: $vgpr4
                                        ; implicit-def: $vgpr2
	s_mov_b64 s[2:3], -1
	s_branch .LBB82_326
.LBB82_331:                             ;   in Loop: Header=BB82_6 Depth=1
	s_or_b64 exec, exec, s[48:49]
	s_and_b64 s[48:49], s[54:55], exec
.LBB82_332:                             ;   in Loop: Header=BB82_6 Depth=1
	s_or_b64 exec, exec, s[52:53]
.LBB82_333:                             ;   in Loop: Header=BB82_6 Depth=1
	s_and_b64 vcc, exec, s[50:51]
	s_cbranch_vccz .LBB82_345
; %bb.334:                              ;   in Loop: Header=BB82_6 Depth=1
                                        ; implicit-def: $vgpr14
	s_mov_b64 s[40:41], exec
	v_readlane_b32 s2, v47, 31
	v_readlane_b32 s3, v47, 32
	s_and_b64 s[2:3], s[40:41], s[2:3]
	s_mov_b64 exec, s[2:3]
	s_cbranch_execz .LBB82_344
; %bb.335:                              ;   in Loop: Header=BB82_6 Depth=1
	s_mov_b64 s[42:43], 0
	v_mov_b32_e32 v8, v7
	v_mov_b32_e32 v2, v0
                                        ; implicit-def: $sgpr50_sgpr51
	s_branch .LBB82_339
.LBB82_336:                             ;   in Loop: Header=BB82_339 Depth=2
	s_or_b64 exec, exec, s[2:3]
	s_waitcnt lgkmcnt(0)
	s_barrier
	ds_read_b64 v[13:14], v9 offset:3072
	s_waitcnt lgkmcnt(0)
	s_barrier
	v_cmp_eq_f32_e32 vcc, 0, v13
	s_cbranch_vccz .LBB82_342
; %bb.337:                              ;   in Loop: Header=BB82_339 Depth=2
	v_add_u32_e32 v2, s8, v2
	v_cmp_le_u32_e32 vcc, s4, v2
	v_add_u32_e32 v8, s9, v8
	s_mov_b64 s[2:3], 0
	s_orn2_b64 s[52:53], vcc, exec
.LBB82_338:                             ;   in Loop: Header=BB82_339 Depth=2
	s_and_b64 s[52:53], exec, s[52:53]
	s_or_b64 s[42:43], s[52:53], s[42:43]
	s_andn2_b64 s[50:51], s[50:51], exec
	s_and_b64 s[2:3], s[2:3], exec
	s_or_b64 s[50:51], s[50:51], s[2:3]
	s_andn2_b64 exec, exec, s[42:43]
	s_cbranch_execz .LBB82_343
.LBB82_339:                             ;   Parent Loop BB82_6 Depth=1
                                        ; =>  This Inner Loop Header: Depth=2
	v_cmp_gt_u32_e32 vcc, s60, v2
	s_and_saveexec_b64 s[2:3], vcc
	s_cbranch_execz .LBB82_336
; %bb.340:                              ;   in Loop: Header=BB82_339 Depth=2
	v_lshlrev_b64 v[13:14], 2, v[8:9]
	v_mov_b32_e32 v4, s68
	v_add_co_u32_e32 v13, vcc, s33, v13
	v_addc_co_u32_e32 v14, vcc, v4, v14, vcc
	global_load_dword v13, v[13:14], off
	s_waitcnt vmcnt(0)
	v_cmp_lt_i32_e32 vcc, -1, v13
	v_cndmask_b32_e32 v4, -1, v32, vcc
	v_xor_b32_e32 v4, v4, v13
	v_cmp_o_f32_e32 vcc, v13, v13
	v_cndmask_b32_e32 v4, -1, v4, vcc
	v_and_b32_e32 v4, v4, v33
	v_cmp_eq_u32_e32 vcc, v4, v24
	s_and_b64 exec, exec, vcc
	s_cbranch_execz .LBB82_336
; %bb.341:                              ;   in Loop: Header=BB82_339 Depth=2
	ds_write_b64 v9, v[12:13] offset:3072
	s_branch .LBB82_336
.LBB82_342:                             ;   in Loop: Header=BB82_339 Depth=2
	s_mov_b64 s[52:53], -1
                                        ; implicit-def: $vgpr2
	s_mov_b64 s[2:3], -1
	s_branch .LBB82_338
.LBB82_343:                             ;   in Loop: Header=BB82_6 Depth=1
	s_or_b64 exec, exec, s[42:43]
	s_andn2_b64 s[2:3], s[48:49], exec
	s_and_b64 s[42:43], s[50:51], exec
	s_or_b64 s[48:49], s[2:3], s[42:43]
.LBB82_344:                             ;   in Loop: Header=BB82_6 Depth=1
	s_or_b64 exec, exec, s[40:41]
	s_mov_b64 s[40:41], 0
	s_mov_b64 s[42:43], -1
.LBB82_345:                             ;   in Loop: Header=BB82_6 Depth=1
	s_orn2_b64 s[2:3], s[48:49], exec
.LBB82_346:                             ;   in Loop: Header=BB82_6 Depth=1
	s_or_b64 exec, exec, s[44:45]
	s_mov_b64 s[48:49], 0
	s_and_saveexec_b64 s[44:45], s[2:3]
	s_cbranch_execz .LBB82_398
; %bb.347:                              ;   in Loop: Header=BB82_6 Depth=1
	s_xor_b64 s[2:3], s[46:47], -1
	v_mov_b32_e32 v2, 1
	v_mov_b32_e32 v3, 1
	s_and_saveexec_b64 s[46:47], s[2:3]
	s_cbranch_execz .LBB82_356
; %bb.348:                              ;   in Loop: Header=BB82_6 Depth=1
	v_cmp_ge_u32_e32 vcc, s15, v1
	s_and_saveexec_b64 s[2:3], vcc
	s_xor_b64 s[2:3], exec, s[2:3]
	s_cbranch_execz .LBB82_353
; %bb.349:                              ;   in Loop: Header=BB82_6 Depth=1
	ds_read_b32 v2, v9 offset:4096
	v_and_b32_e32 v3, s14, v24
	v_lshl_or_b32 v24, 1, s75, v3
	v_or_b32_e32 v33, s13, v33
	s_waitcnt lgkmcnt(0)
	v_cmp_ne_u32_e32 vcc, 0, v2
	s_cbranch_vccnz .LBB82_353
; %bb.350:                              ;   in Loop: Header=BB82_6 Depth=1
	s_mov_b64 s[48:49], exec
	v_readlane_b32 s50, v47, 5
	v_readlane_b32 s51, v47, 6
	s_and_b64 s[50:51], s[48:49], s[50:51]
	s_mov_b64 exec, s[50:51]
; %bb.351:                              ;   in Loop: Header=BB82_6 Depth=1
	v_mov_b32_e32 v2, s15
	ds_write_b32 v9, v2 offset:4100
; %bb.352:                              ;   in Loop: Header=BB82_6 Depth=1
	s_or_b64 exec, exec, s[48:49]
	s_waitcnt lgkmcnt(0)
	s_barrier
.LBB82_353:                             ;   in Loop: Header=BB82_6 Depth=1
	s_or_saveexec_b64 s[2:3], s[2:3]
	s_mov_b64 s[48:49], 0
	v_mov_b32_e32 v3, 5
	s_xor_b64 exec, exec, s[2:3]
; %bb.354:                              ;   in Loop: Header=BB82_6 Depth=1
	s_mov_b64 s[48:49], exec
	v_subrev_u32_e32 v1, s15, v1
	v_mov_b32_e32 v3, 0
; %bb.355:                              ;   in Loop: Header=BB82_6 Depth=1
	s_or_b64 exec, exec, s[2:3]
	s_and_b64 s[48:49], s[48:49], exec
	v_mov_b32_e32 v2, v1
.LBB82_356:                             ;   in Loop: Header=BB82_6 Depth=1
	s_or_b64 exec, exec, s[46:47]
	s_mov_b64 s[2:3], -1
                                        ; implicit-def: $sgpr52_sgpr53
                                        ; implicit-def: $sgpr50_sgpr51
	s_and_saveexec_b64 s[46:47], s[48:49]
	s_cbranch_execz .LBB82_397
; %bb.357:                              ;   in Loop: Header=BB82_6 Depth=1
	s_cmp_eq_u32 s12, 1
	s_cselect_b64 s[2:3], -1, 0
	v_cmp_eq_u32_e32 vcc, 1, v2
	s_and_b64 s[48:49], s[2:3], vcc
	s_mov_b64 s[2:3], -1
                                        ; implicit-def: $sgpr52_sgpr53
                                        ; implicit-def: $sgpr50_sgpr51
	s_mov_b64 s[54:55], exec
	v_writelane_b32 v47, s48, 33
	v_writelane_b32 v47, s49, 34
	s_and_b64 s[48:49], s[54:55], s[48:49]
	s_mov_b64 exec, s[48:49]
	s_cbranch_execz .LBB82_385
; %bb.358:                              ;   in Loop: Header=BB82_6 Depth=1
	ds_read_b32 v1, v9 offset:4096
	s_waitcnt lgkmcnt(0)
	s_barrier
	v_readfirstlane_b32 s15, v1
	s_and_saveexec_b64 s[2:3], s[10:11]
; %bb.359:                              ;   in Loop: Header=BB82_6 Depth=1
	ds_write_b32 v21, v9
; %bb.360:                              ;   in Loop: Header=BB82_6 Depth=1
	s_or_b64 exec, exec, s[2:3]
	v_and_b32_e32 v24, s14, v24
	v_or_b32_e32 v33, s13, v33
	s_mov_b64 s[50:51], -1
	s_mov_b64 s[52:53], 0
	s_cmp_eq_u32 s15, 0
	s_mov_b64 s[56:57], 0
	s_mov_b64 s[58:59], -1
	s_waitcnt lgkmcnt(0)
	s_barrier
                                        ; implicit-def: $vgpr14
	s_cbranch_scc1 .LBB82_372
; %bb.361:                              ;   in Loop: Header=BB82_6 Depth=1
	v_readlane_b32 s2, v47, 18
	s_add_i32 s2, s15, s2
	v_readlane_b32 s3, v47, 30
	s_mul_hi_u32 s3, s2, s3
	s_mul_i32 s3, s3, s8
	s_sub_i32 s3, s2, s3
	s_sub_i32 s48, s3, s8
	s_cmp_ge_u32 s3, s8
	s_cselect_b32 s3, s48, s3
	s_sub_i32 s48, s3, s8
	s_cmp_ge_u32 s3, s8
	s_cselect_b32 s3, s48, s3
	s_sub_i32 s48, s2, s3
	v_cmp_gt_u32_e32 vcc, s48, v0
	s_mov_b64 s[58:59], 0
                                        ; implicit-def: $vgpr14
	s_and_saveexec_b64 s[78:79], vcc
	s_cbranch_execz .LBB82_371
; %bb.362:                              ;   in Loop: Header=BB82_6 Depth=1
	v_mov_b32_e32 v1, v18
	v_mov_b32_e32 v4, v0
                                        ; implicit-def: $sgpr80_sgpr81
	s_branch .LBB82_366
.LBB82_363:                             ;   in Loop: Header=BB82_366 Depth=2
	s_or_b64 exec, exec, s[2:3]
	s_waitcnt lgkmcnt(0)
	s_barrier
	ds_read_b64 v[13:14], v9 offset:3072
	s_waitcnt lgkmcnt(0)
	s_barrier
	v_cmp_neq_f32_e32 vcc, 0, v13
	s_cbranch_vccnz .LBB82_369
; %bb.364:                              ;   in Loop: Header=BB82_366 Depth=2
	v_add_u32_e32 v4, s8, v4
	v_cmp_le_u32_e32 vcc, s48, v4
	v_add_u32_e32 v1, s73, v1
	s_mov_b64 s[2:3], 0
	s_orn2_b64 vcc, vcc, exec
.LBB82_365:                             ;   in Loop: Header=BB82_366 Depth=2
	s_and_b64 vcc, exec, vcc
	s_or_b64 s[56:57], vcc, s[56:57]
	s_andn2_b64 s[80:81], s[80:81], exec
	s_and_b64 s[2:3], s[2:3], exec
	s_or_b64 s[80:81], s[80:81], s[2:3]
	s_andn2_b64 exec, exec, s[56:57]
	s_cbranch_execz .LBB82_370
.LBB82_366:                             ;   Parent Loop BB82_6 Depth=1
                                        ; =>  This Inner Loop Header: Depth=2
	v_cmp_gt_u32_e32 vcc, s15, v4
	s_and_saveexec_b64 s[2:3], vcc
	s_cbranch_execz .LBB82_363
; %bb.367:                              ;   in Loop: Header=BB82_366 Depth=2
	ds_read_b32 v13, v1
	s_waitcnt lgkmcnt(0)
	v_cmp_lt_i32_e32 vcc, -1, v13
	v_cndmask_b32_e32 v8, -1, v32, vcc
	v_xor_b32_e32 v8, v8, v13
	v_cmp_o_f32_e32 vcc, v13, v13
	v_cndmask_b32_e32 v8, -1, v8, vcc
	v_and_b32_e32 v8, v8, v33
	v_cmp_eq_u32_e32 vcc, v8, v24
	s_and_b64 exec, exec, vcc
	s_cbranch_execz .LBB82_363
; %bb.368:                              ;   in Loop: Header=BB82_366 Depth=2
	ds_write_b64 v9, v[12:13] offset:3072
	s_branch .LBB82_363
.LBB82_369:                             ;   in Loop: Header=BB82_366 Depth=2
	s_mov_b64 vcc, -1
                                        ; implicit-def: $vgpr4
                                        ; implicit-def: $vgpr1
	s_mov_b64 s[2:3], -1
	s_branch .LBB82_365
.LBB82_370:                             ;   in Loop: Header=BB82_6 Depth=1
	s_or_b64 exec, exec, s[56:57]
	s_and_b64 s[56:57], s[80:81], exec
.LBB82_371:                             ;   in Loop: Header=BB82_6 Depth=1
	s_or_b64 exec, exec, s[78:79]
.LBB82_372:                             ;   in Loop: Header=BB82_6 Depth=1
	s_and_b64 vcc, exec, s[58:59]
	s_cbranch_vccz .LBB82_384
; %bb.373:                              ;   in Loop: Header=BB82_6 Depth=1
                                        ; implicit-def: $vgpr14
	s_mov_b64 s[50:51], exec
	v_readlane_b32 s2, v47, 31
	v_readlane_b32 s3, v47, 32
	s_and_b64 s[2:3], s[50:51], s[2:3]
	s_mov_b64 exec, s[2:3]
	s_cbranch_execz .LBB82_383
; %bb.374:                              ;   in Loop: Header=BB82_6 Depth=1
	s_mov_b64 s[52:53], 0
	v_mov_b32_e32 v8, v7
	v_mov_b32_e32 v1, v0
                                        ; implicit-def: $sgpr58_sgpr59
	s_branch .LBB82_378
.LBB82_375:                             ;   in Loop: Header=BB82_378 Depth=2
	s_or_b64 exec, exec, s[2:3]
	s_waitcnt lgkmcnt(0)
	s_barrier
	ds_read_b64 v[13:14], v9 offset:3072
	s_waitcnt lgkmcnt(0)
	s_barrier
	v_cmp_eq_f32_e32 vcc, 0, v13
	s_cbranch_vccz .LBB82_381
; %bb.376:                              ;   in Loop: Header=BB82_378 Depth=2
	v_add_u32_e32 v1, s8, v1
	v_cmp_le_u32_e32 vcc, s4, v1
	v_add_u32_e32 v8, s9, v8
	s_mov_b64 s[2:3], 0
	s_orn2_b64 s[78:79], vcc, exec
.LBB82_377:                             ;   in Loop: Header=BB82_378 Depth=2
	s_and_b64 s[48:49], exec, s[78:79]
	s_or_b64 s[52:53], s[48:49], s[52:53]
	s_andn2_b64 s[48:49], s[58:59], exec
	s_and_b64 s[2:3], s[2:3], exec
	s_or_b64 s[58:59], s[48:49], s[2:3]
	s_andn2_b64 exec, exec, s[52:53]
	s_cbranch_execz .LBB82_382
.LBB82_378:                             ;   Parent Loop BB82_6 Depth=1
                                        ; =>  This Inner Loop Header: Depth=2
	v_cmp_gt_u32_e32 vcc, s60, v1
	s_and_saveexec_b64 s[2:3], vcc
	s_cbranch_execz .LBB82_375
; %bb.379:                              ;   in Loop: Header=BB82_378 Depth=2
	v_lshlrev_b64 v[13:14], 2, v[8:9]
	v_mov_b32_e32 v4, s68
	v_add_co_u32_e32 v13, vcc, s33, v13
	v_addc_co_u32_e32 v14, vcc, v4, v14, vcc
	global_load_dword v13, v[13:14], off
	s_waitcnt vmcnt(0)
	v_cmp_lt_i32_e32 vcc, -1, v13
	v_cndmask_b32_e32 v4, -1, v32, vcc
	v_xor_b32_e32 v4, v4, v13
	v_cmp_o_f32_e32 vcc, v13, v13
	v_cndmask_b32_e32 v4, -1, v4, vcc
	v_and_b32_e32 v4, v4, v33
	v_cmp_eq_u32_e32 vcc, v4, v24
	s_and_b64 exec, exec, vcc
	s_cbranch_execz .LBB82_375
; %bb.380:                              ;   in Loop: Header=BB82_378 Depth=2
	ds_write_b64 v9, v[12:13] offset:3072
	s_branch .LBB82_375
.LBB82_381:                             ;   in Loop: Header=BB82_378 Depth=2
	s_mov_b64 s[78:79], -1
                                        ; implicit-def: $vgpr1
	s_mov_b64 s[2:3], -1
	s_branch .LBB82_377
.LBB82_382:                             ;   in Loop: Header=BB82_6 Depth=1
	s_or_b64 exec, exec, s[52:53]
	s_andn2_b64 s[2:3], s[56:57], exec
	s_and_b64 s[48:49], s[58:59], exec
	s_or_b64 s[56:57], s[2:3], s[48:49]
.LBB82_383:                             ;   in Loop: Header=BB82_6 Depth=1
	s_or_b64 exec, exec, s[50:51]
	s_mov_b64 s[50:51], 0
	s_mov_b64 s[52:53], -1
.LBB82_384:                             ;   in Loop: Header=BB82_6 Depth=1
	s_orn2_b64 s[2:3], s[56:57], exec
.LBB82_385:                             ;   in Loop: Header=BB82_6 Depth=1
	s_or_b64 exec, exec, s[54:55]
	s_mov_b64 s[56:57], 0
	s_and_saveexec_b64 s[54:55], s[2:3]
	s_cbranch_execz .LBB82_396
; %bb.386:                              ;   in Loop: Header=BB82_6 Depth=1
	v_readlane_b32 s2, v47, 33
	v_readlane_b32 s3, v47, 34
	s_xor_b64 s[48:49], s[2:3], -1
	v_mov_b32_e32 v3, 1
	v_mov_b32_e32 v1, 1
	s_and_saveexec_b64 s[2:3], s[48:49]
	s_cbranch_execz .LBB82_395
; %bb.387:                              ;   in Loop: Header=BB82_6 Depth=1
	v_cmp_ge_u32_e32 vcc, s12, v2
	s_and_saveexec_b64 s[48:49], vcc
	s_xor_b64 s[48:49], exec, s[48:49]
	s_cbranch_execz .LBB82_392
; %bb.388:                              ;   in Loop: Header=BB82_6 Depth=1
	ds_read_b32 v1, v9 offset:4096
	v_and_b32_e32 v24, s14, v24
	v_or_b32_e32 v33, s13, v33
	s_waitcnt lgkmcnt(0)
	v_cmp_ne_u32_e32 vcc, 0, v1
	s_cbranch_vccnz .LBB82_392
; %bb.389:                              ;   in Loop: Header=BB82_6 Depth=1
	s_mov_b64 s[56:57], exec
	v_readlane_b32 s14, v47, 5
	v_readlane_b32 s15, v47, 6
	s_and_b64 s[14:15], s[56:57], s[14:15]
	s_mov_b64 exec, s[14:15]
; %bb.390:                              ;   in Loop: Header=BB82_6 Depth=1
	v_mov_b32_e32 v1, s12
	ds_write_b32 v9, v1 offset:4100
; %bb.391:                              ;   in Loop: Header=BB82_6 Depth=1
	s_or_b64 exec, exec, s[56:57]
	s_waitcnt lgkmcnt(0)
	s_barrier
.LBB82_392:                             ;   in Loop: Header=BB82_6 Depth=1
	s_andn2_saveexec_b64 s[48:49], s[48:49]
; %bb.393:                              ;   in Loop: Header=BB82_6 Depth=1
	v_subrev_u32_e32 v2, s12, v2
; %bb.394:                              ;   in Loop: Header=BB82_6 Depth=1
	s_or_b64 exec, exec, s[48:49]
	v_mov_b32_e32 v3, 5
	v_mov_b32_e32 v1, v2
.LBB82_395:                             ;   in Loop: Header=BB82_6 Depth=1
	s_or_b64 exec, exec, s[2:3]
	s_mov_b64 s[56:57], exec
	v_mov_b32_e32 v2, v1
.LBB82_396:                             ;   in Loop: Header=BB82_6 Depth=1
	s_or_b64 exec, exec, s[54:55]
	s_orn2_b64 s[2:3], s[56:57], exec
.LBB82_397:                             ;   in Loop: Header=BB82_6 Depth=1
	s_or_b64 exec, exec, s[46:47]
	s_andn2_b64 s[12:13], s[42:43], exec
	s_and_b64 s[14:15], s[52:53], exec
	s_or_b64 s[42:43], s[12:13], s[14:15]
	s_andn2_b64 s[12:13], s[40:41], exec
	s_and_b64 s[14:15], s[50:51], exec
	s_or_b64 s[40:41], s[12:13], s[14:15]
	s_and_b64 s[48:49], s[2:3], exec
	v_mov_b32_e32 v1, v2
.LBB82_398:                             ;   in Loop: Header=BB82_6 Depth=1
	s_or_b64 exec, exec, s[44:45]
	s_orn2_b64 s[2:3], s[48:49], exec
.LBB82_399:                             ;   in Loop: Header=BB82_6 Depth=1
	s_or_b64 exec, exec, s[38:39]
	s_andn2_b64 s[12:13], s[34:35], exec
	s_and_b64 s[14:15], s[42:43], exec
	s_or_b64 s[34:35], s[12:13], s[14:15]
	s_andn2_b64 s[12:13], s[30:31], exec
	s_and_b64 s[14:15], s[40:41], exec
	s_or_b64 s[30:31], s[12:13], s[14:15]
	s_and_b64 s[40:41], s[2:3], exec
	v_mov_b32_e32 v36, v1
.LBB82_400:                             ;   in Loop: Header=BB82_6 Depth=1
	s_or_b64 exec, exec, s[36:37]
	s_orn2_b64 s[2:3], s[40:41], exec
.LBB82_401:                             ;   in Loop: Header=BB82_6 Depth=1
	s_or_b64 exec, exec, s[6:7]
	s_mov_b64 s[6:7], s[26:27]
	s_mov_b64 s[36:37], s[24:25]
	s_and_saveexec_b64 s[38:39], s[2:3]
; %bb.402:                              ;   in Loop: Header=BB82_6 Depth=1
	v_cmp_ne_u32_e64 s[6:7], 5, v3
	v_cmp_eq_u32_e32 vcc, 5, v3
	s_andn2_b64 s[2:3], s[24:25], exec
	s_and_b64 s[6:7], s[6:7], exec
	s_or_b64 s[36:37], s[2:3], s[6:7]
	s_andn2_b64 s[2:3], s[26:27], exec
	s_and_b64 s[6:7], vcc, exec
	s_or_b64 s[6:7], s[2:3], s[6:7]
; %bb.403:                              ;   in Loop: Header=BB82_6 Depth=1
	s_or_b64 exec, exec, s[38:39]
	s_andn2_b64 s[2:3], s[18:19], exec
	s_and_b64 s[12:13], s[34:35], exec
	s_or_b64 s[18:19], s[2:3], s[12:13]
	s_andn2_b64 s[2:3], s[22:23], exec
	s_and_b64 s[12:13], s[30:31], exec
	s_or_b64 s[22:23], s[2:3], s[12:13]
	;; [unrolled: 3-line block ×4, first 2 shown]
.LBB82_404:                             ;   in Loop: Header=BB82_6 Depth=1
	s_or_b64 exec, exec, s[28:29]
	s_mov_b64 s[28:29], 0
	s_mov_b64 s[30:31], 0
	s_and_saveexec_b64 s[2:3], s[26:27]
.LBB82_405:                             ;   in Loop: Header=BB82_6 Depth=1
	v_mov_b32_e32 v3, 0
	s_or_b64 s[24:25], s[24:25], exec
.LBB82_406:                             ;   in Loop: Header=BB82_6 Depth=1
	s_or_b64 exec, exec, s[2:3]
	s_andn2_b64 s[2:3], s[20:21], exec
	s_and_b64 s[12:13], s[18:19], exec
	s_or_b64 s[20:21], s[2:3], s[12:13]
	s_andn2_b64 s[2:3], s[66:67], exec
	s_and_b64 s[12:13], s[22:23], exec
	s_or_b64 s[66:67], s[2:3], s[12:13]
	s_andn2_b64 s[2:3], s[64:65], exec
	s_and_b64 s[12:13], s[30:31], exec
	s_or_b64 s[64:65], s[2:3], s[12:13]
	s_andn2_b64 s[2:3], s[94:95], exec
	s_and_b64 s[12:13], s[28:29], exec
	s_mov_b64 s[6:7], -1
	s_andn2_b64 s[76:77], s[76:77], exec
	s_or_b64 s[94:95], s[2:3], s[12:13]
	v_mov_b32_e32 v34, v36
	s_and_saveexec_b64 s[2:3], s[24:25]
	s_xor_b64 s[2:3], exec, s[2:3]
	s_cbranch_execz .LBB82_5
; %bb.407:                              ;   in Loop: Header=BB82_6 Depth=1
	v_cmp_eq_u32_e32 vcc, 0, v3
	s_mov_b64 s[18:19], -1
	s_and_saveexec_b64 s[22:23], vcc
	s_cbranch_execz .LBB82_4
; %bb.408:                              ;   in Loop: Header=BB82_6 Depth=1
	s_xor_b32 s69, s69, 1
	s_add_i32 s12, s75, -2
	s_cmp_eq_u32 s75, 0
	s_cselect_b64 s[6:7], -1, 0
	s_xor_b64 s[18:19], exec, -1
	s_orn2_b64 s[6:7], s[6:7], exec
	s_mov_b32 s75, s12
	s_branch .LBB82_4
.LBB82_409:
	s_or_b64 exec, exec, s[82:83]
	s_xor_b64 s[6:7], s[92:93], -1
	s_xor_b64 s[18:19], s[90:91], -1
	;; [unrolled: 1-line block ×5, first 2 shown]
	s_mov_b64 s[12:13], 0
	s_and_saveexec_b64 s[10:11], s[4:5]
	s_xor_b64 s[10:11], exec, s[10:11]
	s_cbranch_execnz .LBB82_414
; %bb.410:
	s_andn2_saveexec_b64 s[0:1], s[10:11]
	s_cbranch_execnz .LBB82_433
.LBB82_411:
	s_or_b64 exec, exec, s[0:1]
	s_and_saveexec_b64 s[0:1], s[12:13]
.LBB82_412:
	; divergent unreachable
.LBB82_413:
	s_endpgm
.LBB82_414:
	s_mov_b64 s[14:15], 0
	s_and_saveexec_b64 s[4:5], s[16:17]
	s_xor_b64 s[12:13], exec, s[4:5]
	s_cbranch_execz .LBB82_431
; %bb.415:
	s_mov_b64 s[16:17], 0
	s_and_saveexec_b64 s[4:5], s[18:19]
	s_xor_b64 s[14:15], exec, s[4:5]
	s_cbranch_execz .LBB82_429
; %bb.416:
	;; [unrolled: 5-line block ×3, first 2 shown]
	s_and_saveexec_b64 s[4:5], s[2:3]
	s_xor_b64 s[2:3], exec, s[4:5]
; %bb.418:
	v_bfrev_b32_e32 v1, 1
	v_cmp_lt_i32_e32 vcc, -1, v24
	v_cndmask_b32_e64 v1, v1, -1, vcc
	v_xor_b32_e32 v14, v1, v24
; %bb.419:
	s_or_b64 exec, exec, s[2:3]
	s_mov_b64 s[2:3], exec
	v_readlane_b32 s4, v47, 5
	v_readlane_b32 s5, v47, 6
	;; [unrolled: 1-line block ×3, first 2 shown]
	s_and_b64 s[4:5], s[2:3], s[4:5]
	v_readlane_b32 s43, v47, 9
	s_mov_b64 exec, s[4:5]
; %bb.420:
	v_mov_b32_e32 v1, 0
	ds_write_b32 v1, v1 offset:4108
; %bb.421:
	s_or_b64 exec, exec, s[2:3]
	v_mov_b32_e32 v4, 0
	s_waitcnt lgkmcnt(0)
	s_barrier
	s_mov_b64 s[2:3], exec
	v_readlane_b32 s4, v47, 14
	v_readlane_b32 s5, v47, 15
	s_and_b64 s[4:5], s[2:3], s[4:5]
	s_mov_b64 exec, s[4:5]
	s_cbranch_execz .LBB82_423
; %bb.422:
	global_load_dword v4, v[5:6], off
.LBB82_423:
	s_or_b64 exec, exec, s[2:3]
	v_readlane_b32 s4, v47, 12
	v_readlane_b32 s5, v47, 13
	s_load_dword s2, s[4:5], 0x15c
	s_load_dword s3, s[4:5], 0x23c
	;; [unrolled: 1-line block ×4, first 2 shown]
	v_readlane_b32 s4, v47, 7
	s_add_i32 s34, s60, 63
	s_waitcnt lgkmcnt(0)
	s_mul_i32 s2, s2, s4
	s_mul_i32 s4, s3, s4
	s_mov_b32 s3, 0
	s_andn2_b32 s34, s34, 63
	s_lshl_b64 s[6:7], s[2:3], 2
	v_readlane_b32 s18, v47, 3
	v_bfrev_b32_e32 v8, 1
	v_cmp_lt_i32_e32 vcc, -1, v14
	v_readlane_b32 s19, v47, 4
	s_add_u32 s37, s18, s6
	s_mov_b32 s5, s3
	v_cndmask_b32_e32 v1, -1, v8, vcc
	s_addc_u32 s38, s19, s7
	s_lshl_b64 s[2:3], s[4:5], 3
	v_readlane_b32 s4, v47, 0
	v_xor_b32_e32 v1, v1, v14
	v_cmp_o_f32_e32 vcc, v14, v14
	v_readlane_b32 s5, v47, 1
	s_add_u32 s39, s4, s2
	v_cndmask_b32_e32 v7, -1, v1, vcc
	s_addc_u32 s40, s5, s3
	v_cmp_gt_u32_e32 vcc, s34, v0
	s_mov_b64 s[2:3], -1
	s_mov_b64 s[30:31], 0
	s_mov_b64 s[4:5], 0
	s_and_saveexec_b64 s[18:19], vcc
	s_cbranch_execnz .LBB82_434
; %bb.424:
	s_or_b64 exec, exec, s[18:19]
	s_and_saveexec_b64 s[6:7], s[2:3]
	s_cbranch_execnz .LBB82_451
.LBB82_425:
	s_or_b64 exec, exec, s[6:7]
	s_and_saveexec_b64 s[0:1], s[4:5]
	s_xor_b64 s[0:1], exec, s[0:1]
	s_cbranch_execnz .LBB82_474
.LBB82_426:
	s_or_b64 exec, exec, s[0:1]
	s_and_b64 s[18:19], s[30:31], exec
.LBB82_427:
	s_andn2_saveexec_b64 s[0:1], s[16:17]
	s_cbranch_execnz .LBB82_476
.LBB82_428:
	s_or_b64 exec, exec, s[0:1]
	s_and_b64 s[16:17], s[18:19], exec
.LBB82_429:
	s_andn2_saveexec_b64 s[0:1], s[14:15]
	s_cbranch_execnz .LBB82_475
.LBB82_430:
	s_or_b64 exec, exec, s[0:1]
	s_and_b64 s[14:15], s[16:17], exec
.LBB82_431:
	s_andn2_saveexec_b64 s[0:1], s[12:13]
	s_cbranch_execnz .LBB82_470
.LBB82_432:
	s_or_b64 exec, exec, s[0:1]
	s_and_b64 s[12:13], s[14:15], exec
	s_andn2_saveexec_b64 s[0:1], s[10:11]
	s_cbranch_execz .LBB82_411
.LBB82_433:
	s_or_b64 s[12:13], s[12:13], exec
	s_trap 2
	s_or_b64 exec, exec, s[0:1]
	s_and_saveexec_b64 s[0:1], s[12:13]
	s_cbranch_execnz .LBB82_412
	s_branch .LBB82_413
.LBB82_434:
	v_add_u32_e32 v1, s8, v0
	v_readlane_b32 s2, v47, 2
	v_mul_lo_u32 v1, s2, v1
	s_mov_b64 s[20:21], 0
	v_mov_b32_e32 v2, 0
	v_mov_b32_e32 v3, v0
                                        ; implicit-def: $sgpr22_sgpr23
                                        ; implicit-def: $vgpr10
	s_branch .LBB82_436
.LBB82_435:                             ;   in Loop: Header=BB82_436 Depth=1
	s_or_b64 exec, exec, s[24:25]
	s_xor_b64 s[4:5], s[6:7], -1
	s_and_b64 s[2:3], exec, s[2:3]
	s_or_b64 s[20:21], s[2:3], s[20:21]
	s_andn2_b64 s[2:3], s[22:23], exec
	s_and_b64 s[4:5], s[4:5], exec
	s_or_b64 s[22:23], s[2:3], s[4:5]
	s_waitcnt vmcnt(0)
	v_mov_b32_e32 v4, v11
	v_mov_b32_e32 v3, v9
	s_andn2_b64 exec, exec, s[20:21]
	s_cbranch_execz .LBB82_450
.LBB82_436:                             ; =>This Inner Loop Header: Depth=1
	v_add_u32_e32 v9, s8, v3
	v_cmp_gt_u32_e64 s[4:5], s60, v9
	v_mov_b32_e32 v11, 0
	s_and_saveexec_b64 s[2:3], s[4:5]
	s_cbranch_execz .LBB82_438
; %bb.437:                              ;   in Loop: Header=BB82_436 Depth=1
	v_lshlrev_b64 v[11:12], 2, v[1:2]
	v_mov_b32_e32 v13, s68
	v_add_co_u32_e64 v11, s[4:5], s33, v11
	v_addc_co_u32_e64 v12, s[4:5], v13, v12, s[4:5]
	global_load_dword v11, v[11:12], off
.LBB82_438:                             ;   in Loop: Header=BB82_436 Depth=1
	s_or_b64 exec, exec, s[2:3]
	v_cmp_gt_u32_e64 s[4:5], s60, v3
	s_mov_b64 s[24:25], 0
	s_and_saveexec_b64 s[2:3], s[4:5]
	s_cbranch_execz .LBB82_440
; %bb.439:                              ;   in Loop: Header=BB82_436 Depth=1
	s_waitcnt vmcnt(0)
	v_cmp_lt_i32_e64 s[4:5], -1, v4
	v_cndmask_b32_e64 v12, -1, v8, s[4:5]
	v_xor_b32_e32 v12, v12, v4
	v_cmp_o_f32_e64 s[4:5], v4, v4
	v_cndmask_b32_e64 v12, -1, v12, s[4:5]
	v_cmp_gt_u32_e64 s[4:5], v12, v7
	v_cndmask_b32_e64 v13, 0, 1, s[4:5]
	v_cmp_lt_u32_e64 s[4:5], v12, v7
	v_cndmask_b32_e64 v12, 0, 1, s[4:5]
	v_cndmask_b32_e64 v12, v12, v13, s[42:43]
	v_and_b32_e32 v12, 1, v12
	v_cmp_eq_u32_e64 s[4:5], 1, v12
	s_and_b64 s[24:25], s[4:5], exec
.LBB82_440:                             ;   in Loop: Header=BB82_436 Depth=1
	s_or_b64 exec, exec, s[2:3]
	v_cndmask_b32_e64 v12, 0, 1, s[24:25]
	v_cmp_ne_u32_e64 s[4:5], 0, v12
	s_cmp_lg_u64 s[4:5], 0
	s_cselect_b64 s[2:3], -1, 0
	s_and_b64 s[6:7], s[0:1], s[2:3]
	s_and_saveexec_b64 s[2:3], s[6:7]
	s_cbranch_execz .LBB82_444
; %bb.441:                              ;   in Loop: Header=BB82_436 Depth=1
	s_mov_b64 s[28:29], exec
	s_waitcnt lgkmcnt(0)
	v_mbcnt_lo_u32_b32 v10, s28, 0
	v_mbcnt_hi_u32_b32 v10, s29, v10
	s_bcnt1_i32_b64 s41, s[4:5]
	v_cmp_eq_u32_e64 s[6:7], 0, v10
                                        ; implicit-def: $vgpr12
	s_and_saveexec_b64 s[26:27], s[6:7]
; %bb.442:                              ;   in Loop: Header=BB82_436 Depth=1
	s_bcnt1_i32_b64 s6, s[28:29]
	s_mul_i32 s6, s41, s6
	v_mov_b32_e32 v12, s6
	ds_add_rtn_u32 v12, v2, v12 offset:4108
; %bb.443:                              ;   in Loop: Header=BB82_436 Depth=1
	s_or_b64 exec, exec, s[26:27]
	s_waitcnt lgkmcnt(0)
	v_readfirstlane_b32 s6, v12
	v_mov_b32_e32 v12, s6
	v_mad_u32_u24 v10, s41, v10, v12
.LBB82_444:                             ;   in Loop: Header=BB82_436 Depth=1
	s_or_b64 exec, exec, s[2:3]
	s_waitcnt lgkmcnt(0)
	ds_bpermute_b32 v10, v15, v10
	s_mov_b64 s[2:3], -1
	s_mov_b64 s[26:27], -1
	s_and_saveexec_b64 s[6:7], s[24:25]
	s_cbranch_execz .LBB82_448
; %bb.445:                              ;   in Loop: Header=BB82_436 Depth=1
	v_and_b32_e32 v13, s4, v17
	v_and_b32_e32 v12, s5, v16
	v_bcnt_u32_b32 v13, v13, 0
	v_bcnt_u32_b32 v12, v12, v13
	s_waitcnt lgkmcnt(0)
	v_add_u32_e32 v12, v10, v12
	v_cmp_gt_u32_e64 s[4:5], s61, v12
	s_mov_b64 s[24:25], 0
	s_and_saveexec_b64 s[26:27], s[4:5]
	s_cbranch_execz .LBB82_447
; %bb.446:                              ;   in Loop: Header=BB82_436 Depth=1
	v_mul_lo_u32 v13, v12, s36
	v_mov_b32_e32 v14, v2
	v_mul_lo_u32 v12, v12, s35
	v_mov_b32_e32 v18, s38
	v_lshlrev_b64 v[13:14], 2, v[13:14]
	s_mov_b64 s[24:25], exec
	v_add_co_u32_e64 v13, s[4:5], s37, v13
	v_addc_co_u32_e64 v14, s[4:5], v18, v14, s[4:5]
	s_waitcnt vmcnt(0)
	global_store_dword v[13:14], v4, off
	v_mov_b32_e32 v13, v2
	v_lshlrev_b64 v[12:13], 3, v[12:13]
	v_mov_b32_e32 v14, s40
	v_add_co_u32_e64 v12, s[4:5], s39, v12
	v_mov_b32_e32 v4, v2
	v_addc_co_u32_e64 v13, s[4:5], v14, v13, s[4:5]
	global_store_dwordx2 v[12:13], v[3:4], off
.LBB82_447:                             ;   in Loop: Header=BB82_436 Depth=1
	s_or_b64 exec, exec, s[26:27]
	s_orn2_b64 s[26:27], s[24:25], exec
.LBB82_448:                             ;   in Loop: Header=BB82_436 Depth=1
	s_or_b64 exec, exec, s[6:7]
	s_mov_b64 s[6:7], -1
	s_and_saveexec_b64 s[24:25], s[26:27]
	s_cbranch_execz .LBB82_435
; %bb.449:                              ;   in Loop: Header=BB82_436 Depth=1
	v_cmp_le_u32_e64 s[4:5], s34, v9
	v_add_u32_e32 v1, s9, v1
	s_xor_b64 s[6:7], exec, -1
	s_orn2_b64 s[2:3], s[4:5], exec
	s_branch .LBB82_435
.LBB82_450:
	s_or_b64 exec, exec, s[20:21]
	s_mov_b64 s[4:5], exec
	s_orn2_b64 s[2:3], s[22:23], exec
	s_or_b64 exec, exec, s[18:19]
	s_and_saveexec_b64 s[6:7], s[2:3]
	s_cbranch_execz .LBB82_425
.LBB82_451:
	v_mov_b32_e32 v1, 0
	s_waitcnt vmcnt(0) lgkmcnt(0)
	s_barrier
	s_mov_b64 s[2:3], exec
	v_readlane_b32 s18, v47, 14
	v_readlane_b32 s19, v47, 15
	s_and_b64 s[18:19], s[2:3], s[18:19]
	s_mov_b64 exec, s[18:19]
	s_cbranch_execz .LBB82_453
; %bb.452:
	global_load_dword v1, v[5:6], off
.LBB82_453:
	s_or_b64 exec, exec, s[2:3]
	s_mov_b64 s[2:3], 0
	s_and_saveexec_b64 s[30:31], vcc
	s_cbranch_execz .LBB82_473
; %bb.454:
	v_add_u32_e32 v2, s8, v0
	v_readlane_b32 s2, v47, 2
	v_mul_lo_u32 v2, s2, v2
	s_mov_b64 s[18:19], 0
	v_mov_b32_e32 v3, 0
	v_bfrev_b32_e32 v4, 1
                                        ; implicit-def: $sgpr20_sgpr21
                                        ; implicit-def: $vgpr6
	s_branch .LBB82_457
.LBB82_455:                             ;   in Loop: Header=BB82_457 Depth=1
	s_or_b64 exec, exec, s[24:25]
	s_orn2_b64 s[26:27], s[28:29], exec
	s_orn2_b64 s[24:25], s[22:23], exec
.LBB82_456:                             ;   in Loop: Header=BB82_457 Depth=1
	s_or_b64 exec, exec, s[2:3]
	s_xor_b64 s[2:3], s[26:27], -1
	s_and_b64 s[22:23], exec, s[24:25]
	s_or_b64 s[18:19], s[22:23], s[18:19]
	s_andn2_b64 s[20:21], s[20:21], exec
	s_and_b64 s[2:3], s[2:3], exec
	s_or_b64 s[20:21], s[20:21], s[2:3]
	v_mov_b32_e32 v0, v5
	v_mov_b32_e32 v1, v8
	s_andn2_b64 exec, exec, s[18:19]
	s_cbranch_execz .LBB82_471
.LBB82_457:                             ; =>This Inner Loop Header: Depth=1
	v_add_u32_e32 v5, s8, v0
	v_cmp_gt_u32_e32 vcc, s60, v5
	v_mov_b32_e32 v8, 0
	s_and_saveexec_b64 s[2:3], vcc
	s_cbranch_execz .LBB82_459
; %bb.458:                              ;   in Loop: Header=BB82_457 Depth=1
	v_lshlrev_b64 v[8:9], 2, v[2:3]
	v_mov_b32_e32 v10, s68
	v_add_co_u32_e32 v8, vcc, s33, v8
	v_addc_co_u32_e32 v9, vcc, v10, v9, vcc
	global_load_dword v8, v[8:9], off
.LBB82_459:                             ;   in Loop: Header=BB82_457 Depth=1
	s_or_b64 exec, exec, s[2:3]
	s_waitcnt vmcnt(0)
	v_cmp_lt_i32_e64 s[2:3], -1, v1
	v_cndmask_b32_e64 v9, -1, v4, s[2:3]
	v_xor_b32_e32 v9, v9, v1
	v_cmp_o_f32_e64 s[2:3], v1, v1
	v_cndmask_b32_e64 v9, -1, v9, s[2:3]
	v_cmp_gt_u32_e32 vcc, s60, v0
	v_cmp_eq_u32_e64 s[2:3], v9, v7
	s_and_b64 s[22:23], vcc, s[2:3]
	v_cndmask_b32_e64 v9, 0, 1, s[22:23]
	v_cmp_ne_u32_e32 vcc, 0, v9
	s_cmp_lg_u64 vcc, 0
	s_cselect_b64 s[2:3], -1, 0
	s_and_b64 s[2:3], s[0:1], s[2:3]
	s_and_saveexec_b64 s[24:25], s[2:3]
	s_cbranch_execz .LBB82_463
; %bb.460:                              ;   in Loop: Header=BB82_457 Depth=1
	s_mov_b64 s[28:29], exec
	v_mbcnt_lo_u32_b32 v6, s28, 0
	v_mbcnt_hi_u32_b32 v6, s29, v6
	s_bcnt1_i32_b64 s41, vcc
	v_cmp_eq_u32_e64 s[2:3], 0, v6
                                        ; implicit-def: $vgpr9
	s_and_saveexec_b64 s[26:27], s[2:3]
; %bb.461:                              ;   in Loop: Header=BB82_457 Depth=1
	s_bcnt1_i32_b64 s2, s[28:29]
	s_mul_i32 s2, s41, s2
	v_mov_b32_e32 v9, s2
	ds_add_rtn_u32 v9, v3, v9 offset:4108
; %bb.462:                              ;   in Loop: Header=BB82_457 Depth=1
	s_or_b64 exec, exec, s[26:27]
	s_waitcnt lgkmcnt(0)
	v_readfirstlane_b32 s2, v9
	v_mov_b32_e32 v9, s2
	v_mad_u32_u24 v6, s41, v6, v9
.LBB82_463:                             ;   in Loop: Header=BB82_457 Depth=1
	s_or_b64 exec, exec, s[24:25]
	ds_bpermute_b32 v6, v15, v6
	s_cmp_eq_u64 vcc, 0
	s_cselect_b64 s[26:27], -1, 0
	s_mov_b64 s[24:25], -1
	s_waitcnt lgkmcnt(0)
	v_cmp_gt_u32_e64 s[2:3], s61, v6
	s_or_b64 s[28:29], s[26:27], s[2:3]
	s_mov_b64 s[26:27], -1
	s_and_saveexec_b64 s[2:3], s[28:29]
	s_cbranch_execz .LBB82_456
; %bb.464:                              ;   in Loop: Header=BB82_457 Depth=1
	v_and_b32_e32 v10, vcc_lo, v17
	v_and_b32_e32 v9, vcc_hi, v16
	v_bcnt_u32_b32 v10, v10, 0
	v_bcnt_u32_b32 v9, v9, v10
	v_sub_u32_e32 v10, s61, v6
	v_cmp_gt_u32_e32 vcc, v10, v9
	s_and_b64 s[42:43], s[22:23], vcc
	s_mov_b64 s[22:23], -1
	s_mov_b64 s[28:29], -1
	s_and_saveexec_b64 s[24:25], s[42:43]
	s_cbranch_execz .LBB82_468
; %bb.465:                              ;   in Loop: Header=BB82_457 Depth=1
	v_add_u32_e32 v9, v6, v9
	v_cmp_gt_u32_e32 vcc, s61, v9
	s_mov_b64 s[26:27], 0
	s_and_saveexec_b64 s[28:29], vcc
; %bb.466:                              ;   in Loop: Header=BB82_457 Depth=1
	v_mul_lo_u32 v10, v9, s36
	v_mov_b32_e32 v11, v3
	v_mul_lo_u32 v9, v9, s35
	v_mov_b32_e32 v12, s38
	v_lshlrev_b64 v[10:11], 2, v[10:11]
	s_mov_b64 s[26:27], exec
	v_add_co_u32_e32 v10, vcc, s37, v10
	v_addc_co_u32_e32 v11, vcc, v12, v11, vcc
	global_store_dword v[10:11], v1, off
	v_mov_b32_e32 v10, v3
	v_lshlrev_b64 v[9:10], 3, v[9:10]
	v_mov_b32_e32 v11, s40
	v_add_co_u32_e32 v9, vcc, s39, v9
	v_mov_b32_e32 v1, v3
	v_addc_co_u32_e32 v10, vcc, v11, v10, vcc
	global_store_dwordx2 v[9:10], v[0:1], off
; %bb.467:                              ;   in Loop: Header=BB82_457 Depth=1
	s_or_b64 exec, exec, s[28:29]
	s_xor_b64 s[28:29], exec, -1
	s_orn2_b64 s[26:27], s[26:27], exec
.LBB82_468:                             ;   in Loop: Header=BB82_457 Depth=1
	s_or_b64 exec, exec, s[24:25]
	s_and_saveexec_b64 s[24:25], s[26:27]
	s_cbranch_execz .LBB82_455
; %bb.469:                              ;   in Loop: Header=BB82_457 Depth=1
	v_cmp_le_u32_e32 vcc, s34, v5
	v_add_u32_e32 v2, s9, v2
	s_or_b64 s[28:29], s[28:29], exec
	s_orn2_b64 s[22:23], vcc, exec
	s_branch .LBB82_455
.LBB82_470:
	s_or_b64 s[14:15], s[14:15], exec
	s_trap 2
	s_branch .LBB82_432
.LBB82_471:
	s_or_b64 exec, exec, s[18:19]
	s_mov_b64 s[0:1], 0
	s_and_saveexec_b64 s[2:3], s[20:21]
	s_xor_b64 s[2:3], exec, s[2:3]
	s_cbranch_execnz .LBB82_477
.LBB82_472:
	s_or_b64 exec, exec, s[2:3]
	s_and_b64 s[2:3], s[0:1], exec
.LBB82_473:
	s_or_b64 exec, exec, s[30:31]
	s_and_b64 s[30:31], s[2:3], exec
	s_andn2_b64 s[4:5], s[4:5], exec
	s_or_b64 exec, exec, s[6:7]
	s_and_saveexec_b64 s[0:1], s[4:5]
	s_xor_b64 s[0:1], exec, s[0:1]
	s_cbranch_execz .LBB82_426
.LBB82_474:
	s_trap 2
	s_or_b64 s[30:31], s[30:31], exec
	s_branch .LBB82_426
.LBB82_475:
	s_or_b64 s[16:17], s[16:17], exec
	s_trap 2
	s_branch .LBB82_430
.LBB82_476:
	s_trap 2
	s_or_b64 s[18:19], s[18:19], exec
	s_branch .LBB82_428
.LBB82_477:
	s_mov_b64 s[0:1], exec
	s_trap 2
	s_branch .LBB82_472
	.section	.rodata,"a",@progbits
	.p2align	6, 0x0
	.amdhsa_kernel _ZN2at6native6sbtopk10gatherTopKIfjLi1ELb0EEEvNS_4cuda6detail10TensorInfoIKT_T0_EES8_S8_bS8_S8_NS5_IS6_S8_EES8_NS5_IlS8_EES8_PS6_
		.amdhsa_group_segment_fixed_size 4112
		.amdhsa_private_segment_fixed_size 0
		.amdhsa_kernarg_size 952
		.amdhsa_user_sgpr_count 6
		.amdhsa_user_sgpr_private_segment_buffer 1
		.amdhsa_user_sgpr_dispatch_ptr 0
		.amdhsa_user_sgpr_queue_ptr 0
		.amdhsa_user_sgpr_kernarg_segment_ptr 1
		.amdhsa_user_sgpr_dispatch_id 0
		.amdhsa_user_sgpr_flat_scratch_init 0
		.amdhsa_user_sgpr_private_segment_size 0
		.amdhsa_uses_dynamic_stack 0
		.amdhsa_system_sgpr_private_segment_wavefront_offset 0
		.amdhsa_system_sgpr_workgroup_id_x 1
		.amdhsa_system_sgpr_workgroup_id_y 1
		.amdhsa_system_sgpr_workgroup_id_z 1
		.amdhsa_system_sgpr_workgroup_info 0
		.amdhsa_system_vgpr_workitem_id 0
		.amdhsa_next_free_vgpr 48
		.amdhsa_next_free_sgpr 96
		.amdhsa_reserve_vcc 1
		.amdhsa_reserve_flat_scratch 0
		.amdhsa_float_round_mode_32 0
		.amdhsa_float_round_mode_16_64 0
		.amdhsa_float_denorm_mode_32 3
		.amdhsa_float_denorm_mode_16_64 3
		.amdhsa_dx10_clamp 1
		.amdhsa_ieee_mode 1
		.amdhsa_fp16_overflow 0
		.amdhsa_exception_fp_ieee_invalid_op 0
		.amdhsa_exception_fp_denorm_src 0
		.amdhsa_exception_fp_ieee_div_zero 0
		.amdhsa_exception_fp_ieee_overflow 0
		.amdhsa_exception_fp_ieee_underflow 0
		.amdhsa_exception_fp_ieee_inexact 0
		.amdhsa_exception_int_div_zero 0
	.end_amdhsa_kernel
	.section	.text._ZN2at6native6sbtopk10gatherTopKIfjLi1ELb0EEEvNS_4cuda6detail10TensorInfoIKT_T0_EES8_S8_bS8_S8_NS5_IS6_S8_EES8_NS5_IlS8_EES8_PS6_,"axG",@progbits,_ZN2at6native6sbtopk10gatherTopKIfjLi1ELb0EEEvNS_4cuda6detail10TensorInfoIKT_T0_EES8_S8_bS8_S8_NS5_IS6_S8_EES8_NS5_IlS8_EES8_PS6_,comdat
.Lfunc_end82:
	.size	_ZN2at6native6sbtopk10gatherTopKIfjLi1ELb0EEEvNS_4cuda6detail10TensorInfoIKT_T0_EES8_S8_bS8_S8_NS5_IS6_S8_EES8_NS5_IlS8_EES8_PS6_, .Lfunc_end82-_ZN2at6native6sbtopk10gatherTopKIfjLi1ELb0EEEvNS_4cuda6detail10TensorInfoIKT_T0_EES8_S8_bS8_S8_NS5_IS6_S8_EES8_NS5_IlS8_EES8_PS6_
                                        ; -- End function
	.set _ZN2at6native6sbtopk10gatherTopKIfjLi1ELb0EEEvNS_4cuda6detail10TensorInfoIKT_T0_EES8_S8_bS8_S8_NS5_IS6_S8_EES8_NS5_IlS8_EES8_PS6_.num_vgpr, 48
	.set _ZN2at6native6sbtopk10gatherTopKIfjLi1ELb0EEEvNS_4cuda6detail10TensorInfoIKT_T0_EES8_S8_bS8_S8_NS5_IS6_S8_EES8_NS5_IlS8_EES8_PS6_.num_agpr, 0
	.set _ZN2at6native6sbtopk10gatherTopKIfjLi1ELb0EEEvNS_4cuda6detail10TensorInfoIKT_T0_EES8_S8_bS8_S8_NS5_IS6_S8_EES8_NS5_IlS8_EES8_PS6_.numbered_sgpr, 96
	.set _ZN2at6native6sbtopk10gatherTopKIfjLi1ELb0EEEvNS_4cuda6detail10TensorInfoIKT_T0_EES8_S8_bS8_S8_NS5_IS6_S8_EES8_NS5_IlS8_EES8_PS6_.num_named_barrier, 0
	.set _ZN2at6native6sbtopk10gatherTopKIfjLi1ELb0EEEvNS_4cuda6detail10TensorInfoIKT_T0_EES8_S8_bS8_S8_NS5_IS6_S8_EES8_NS5_IlS8_EES8_PS6_.private_seg_size, 0
	.set _ZN2at6native6sbtopk10gatherTopKIfjLi1ELb0EEEvNS_4cuda6detail10TensorInfoIKT_T0_EES8_S8_bS8_S8_NS5_IS6_S8_EES8_NS5_IlS8_EES8_PS6_.uses_vcc, 1
	.set _ZN2at6native6sbtopk10gatherTopKIfjLi1ELb0EEEvNS_4cuda6detail10TensorInfoIKT_T0_EES8_S8_bS8_S8_NS5_IS6_S8_EES8_NS5_IlS8_EES8_PS6_.uses_flat_scratch, 0
	.set _ZN2at6native6sbtopk10gatherTopKIfjLi1ELb0EEEvNS_4cuda6detail10TensorInfoIKT_T0_EES8_S8_bS8_S8_NS5_IS6_S8_EES8_NS5_IlS8_EES8_PS6_.has_dyn_sized_stack, 0
	.set _ZN2at6native6sbtopk10gatherTopKIfjLi1ELb0EEEvNS_4cuda6detail10TensorInfoIKT_T0_EES8_S8_bS8_S8_NS5_IS6_S8_EES8_NS5_IlS8_EES8_PS6_.has_recursion, 0
	.set _ZN2at6native6sbtopk10gatherTopKIfjLi1ELb0EEEvNS_4cuda6detail10TensorInfoIKT_T0_EES8_S8_bS8_S8_NS5_IS6_S8_EES8_NS5_IlS8_EES8_PS6_.has_indirect_call, 0
	.section	.AMDGPU.csdata,"",@progbits
; Kernel info:
; codeLenInByte = 14672
; TotalNumSgprs: 100
; NumVgprs: 48
; ScratchSize: 0
; MemoryBound: 0
; FloatMode: 240
; IeeeMode: 1
; LDSByteSize: 4112 bytes/workgroup (compile time only)
; SGPRBlocks: 12
; VGPRBlocks: 11
; NumSGPRsForWavesPerEU: 100
; NumVGPRsForWavesPerEU: 48
; Occupancy: 5
; WaveLimiterHint : 1
; COMPUTE_PGM_RSRC2:SCRATCH_EN: 0
; COMPUTE_PGM_RSRC2:USER_SGPR: 6
; COMPUTE_PGM_RSRC2:TRAP_HANDLER: 0
; COMPUTE_PGM_RSRC2:TGID_X_EN: 1
; COMPUTE_PGM_RSRC2:TGID_Y_EN: 1
; COMPUTE_PGM_RSRC2:TGID_Z_EN: 1
; COMPUTE_PGM_RSRC2:TIDIG_COMP_CNT: 0
	.section	.text._ZN2at6native6mbtopk23computeBlockDigitCountsIfjjLi2EEEvNS_4cuda6detail10TensorInfoIKT_T0_EEjPjjS8_iijT1_PSB_Ps,"axG",@progbits,_ZN2at6native6mbtopk23computeBlockDigitCountsIfjjLi2EEEvNS_4cuda6detail10TensorInfoIKT_T0_EEjPjjS8_iijT1_PSB_Ps,comdat
	.protected	_ZN2at6native6mbtopk23computeBlockDigitCountsIfjjLi2EEEvNS_4cuda6detail10TensorInfoIKT_T0_EEjPjjS8_iijT1_PSB_Ps ; -- Begin function _ZN2at6native6mbtopk23computeBlockDigitCountsIfjjLi2EEEvNS_4cuda6detail10TensorInfoIKT_T0_EEjPjjS8_iijT1_PSB_Ps
	.globl	_ZN2at6native6mbtopk23computeBlockDigitCountsIfjjLi2EEEvNS_4cuda6detail10TensorInfoIKT_T0_EEjPjjS8_iijT1_PSB_Ps
	.p2align	8
	.type	_ZN2at6native6mbtopk23computeBlockDigitCountsIfjjLi2EEEvNS_4cuda6detail10TensorInfoIKT_T0_EEjPjjS8_iijT1_PSB_Ps,@function
_ZN2at6native6mbtopk23computeBlockDigitCountsIfjjLi2EEEvNS_4cuda6detail10TensorInfoIKT_T0_EEjPjjS8_iijT1_PSB_Ps: ; @_ZN2at6native6mbtopk23computeBlockDigitCountsIfjjLi2EEEvNS_4cuda6detail10TensorInfoIKT_T0_EEjPjjS8_iijT1_PSB_Ps
; %bb.0:
	s_load_dwordx2 s[10:11], s[4:5], 0xf8
	s_load_dwordx4 s[12:15], s[4:5], 0xe8
	s_load_dwordx2 s[0:1], s[4:5], 0x110
	s_waitcnt lgkmcnt(0)
	v_cvt_f32_u32_e32 v1, s10
	s_sub_i32 s2, 0, s10
	s_mul_i32 s1, s1, s8
	s_add_i32 s1, s1, s7
	v_rcp_iflag_f32_e32 v1, v1
	s_mul_i32 s16, s1, s0
	s_add_i32 s16, s16, s6
	s_mov_b32 s7, 0
	v_mul_f32_e32 v1, 0x4f7ffffe, v1
	v_cvt_u32_f32_e32 v1, v1
	v_readfirstlane_b32 s0, v1
	s_mul_i32 s2, s2, s0
	s_mul_hi_u32 s1, s0, s2
	s_add_i32 s0, s0, s1
	s_mul_hi_u32 s0, s16, s0
	s_mul_i32 s1, s0, s10
	s_sub_i32 s1, s16, s1
	s_add_i32 s2, s0, 1
	s_sub_i32 s3, s1, s10
	s_cmp_ge_u32 s1, s10
	s_cselect_b32 s0, s2, s0
	s_cselect_b32 s1, s3, s1
	s_add_i32 s2, s0, 1
	s_cmp_ge_u32 s1, s10
	s_cselect_b32 s6, s2, s0
	s_cmp_ge_u32 s6, s12
	s_cbranch_scc1 .LBB83_27
; %bb.1:
	s_load_dword s12, s[4:5], 0xc
	s_load_dwordx4 s[0:3], s[4:5], 0x100
	s_lshl_b64 s[8:9], s[6:7], 2
	s_movk_i32 s7, 0x100
	v_cmp_gt_u32_e32 vcc, s7, v0
	s_waitcnt lgkmcnt(0)
	v_cvt_f32_u32_e32 v1, s12
	s_add_u32 s0, s0, s8
	s_addc_u32 s1, s1, s9
	v_lshlrev_b32_e32 v3, 2, v0
	v_rcp_iflag_f32_e32 v1, v1
	v_mul_f32_e32 v1, 0x4f7ffffe, v1
	v_cvt_u32_f32_e32 v1, v1
	v_readfirstlane_b32 s18, v1
	s_and_saveexec_b64 s[8:9], vcc
; %bb.2:
	v_mov_b32_e32 v1, 0
	ds_write_b32 v3, v1
; %bb.3:
	s_or_b64 exec, exec, s[8:9]
	s_load_dword s8, s[4:5], 0xd8
	s_mul_i32 s7, s6, s10
	s_sub_i32 s7, s16, s7
	s_add_i32 s9, s7, 1
	s_mul_i32 s7, s15, s7
	s_lshl_b32 s17, s7, 8
	s_waitcnt lgkmcnt(0)
	s_sub_i32 s7, s8, s17
	s_add_u32 s20, s7, 0xff
	s_addc_u32 s21, 0, 0
	s_lshr_b64 s[20:21], s[20:21], 8
	s_cmp_lt_u32 s9, s10
	s_cselect_b32 s15, s15, s20
	s_cmp_lt_i32 s15, 1
	s_mov_b32 s7, 0
	s_barrier
	s_cbranch_scc1 .LBB83_25
; %bb.4:
	s_sub_i32 s9, 0, s12
	s_mul_i32 s9, s9, s18
	s_mul_hi_u32 s9, s18, s9
	s_add_i32 s9, s18, s9
	s_load_dwordx2 s[18:19], s[4:5], 0x6c
	s_load_dwordx2 s[20:21], s[4:5], 0x0
	s_mul_hi_u32 s4, s6, s9
	s_load_dword s9, s[0:1], 0x0
	s_mul_i32 s0, s4, s12
	s_sub_i32 s0, s6, s0
	s_add_i32 s1, s4, 1
	s_sub_i32 s5, s0, s12
	s_cmp_ge_u32 s0, s12
	s_cselect_b32 s1, s1, s4
	s_cselect_b32 s0, s5, s0
	s_add_i32 s4, s1, 1
	s_cmp_ge_u32 s0, s12
	s_cselect_b32 s0, s4, s1
	s_mul_i32 s1, s0, s12
	s_sub_i32 s1, s6, s1
	s_waitcnt lgkmcnt(0)
	s_mul_i32 s1, s1, s19
	s_mul_i32 s0, s0, s18
	s_add_i32 s6, s0, s1
	s_lshl_b64 s[0:1], s[6:7], 2
	s_add_u32 s6, s20, s0
	s_addc_u32 s10, s21, s1
	s_and_b32 s12, s14, 0xff
	s_cmp_lt_u32 s15, 4
	s_cbranch_scc1 .LBB83_19
; %bb.5:
	v_add_u32_e32 v1, s17, v0
	v_add_u32_e32 v2, 0x200, v1
	;; [unrolled: 1-line block ×3, first 2 shown]
	v_mul_lo_u32 v6, s13, v2
	v_add_u32_e32 v2, 0x100, v1
	v_mul_lo_u32 v5, s13, v4
	v_mul_lo_u32 v7, s13, v2
	;; [unrolled: 1-line block ×3, first 2 shown]
	s_and_b32 s7, s15, 0x7ffffffc
	s_lshl_b32 s14, s13, 10
	s_mov_b32 s18, 0
	v_mov_b32_e32 v2, 0
	v_mov_b32_e32 v9, 1
	v_bfrev_b32_e32 v10, 1
	s_mov_b32 s19, 0
	s_branch .LBB83_7
.LBB83_6:                               ;   in Loop: Header=BB83_7 Depth=1
	s_or_b64 exec, exec, s[4:5]
	s_add_i32 s19, s19, 4
	s_add_i32 s18, s18, s14
	s_cmp_eq_u32 s7, s19
	v_add_u32_e32 v4, 0x400, v4
	s_cbranch_scc1 .LBB83_19
.LBB83_7:                               ; =>This Inner Loop Header: Depth=1
	v_add_u32_e32 v1, 0xfffffd00, v4
	v_cmp_gt_u32_e64 s[0:1], s8, v1
	s_and_saveexec_b64 s[4:5], s[0:1]
	s_cbranch_execz .LBB83_10
; %bb.8:                                ;   in Loop: Header=BB83_7 Depth=1
	v_add_u32_e32 v1, s18, v8
	v_lshlrev_b64 v[11:12], 2, v[1:2]
	v_mov_b32_e32 v1, s10
	v_add_co_u32_e64 v11, s[0:1], s6, v11
	v_addc_co_u32_e64 v12, s[0:1], v1, v12, s[0:1]
	global_load_dword v1, v[11:12], off
	s_waitcnt vmcnt(0)
	v_cmp_lt_i32_e64 s[0:1], -1, v1
	v_cndmask_b32_e64 v11, -1, v10, s[0:1]
	v_xor_b32_e32 v11, v11, v1
	v_cmp_o_f32_e64 s[0:1], v1, v1
	v_cndmask_b32_e64 v1, -1, v11, s[0:1]
	v_xor_b32_e32 v11, s9, v1
	v_and_b32_e32 v11, s11, v11
	v_cmp_eq_u32_e64 s[0:1], 0, v11
	s_and_b64 exec, exec, s[0:1]
; %bb.9:                                ;   in Loop: Header=BB83_7 Depth=1
	v_bfe_u32 v1, v1, s12, 8
	v_lshlrev_b32_e32 v1, 2, v1
	ds_add_u32 v1, v9
.LBB83_10:                              ;   in Loop: Header=BB83_7 Depth=1
	s_or_b64 exec, exec, s[4:5]
	v_add_u32_e32 v1, 0xfffffe00, v4
	v_cmp_gt_u32_e64 s[0:1], s8, v1
	s_and_saveexec_b64 s[4:5], s[0:1]
	s_cbranch_execz .LBB83_13
; %bb.11:                               ;   in Loop: Header=BB83_7 Depth=1
	v_add_u32_e32 v1, s18, v7
	v_lshlrev_b64 v[11:12], 2, v[1:2]
	v_mov_b32_e32 v1, s10
	v_add_co_u32_e64 v11, s[0:1], s6, v11
	v_addc_co_u32_e64 v12, s[0:1], v1, v12, s[0:1]
	global_load_dword v1, v[11:12], off
	s_waitcnt vmcnt(0)
	v_cmp_lt_i32_e64 s[0:1], -1, v1
	v_cndmask_b32_e64 v11, -1, v10, s[0:1]
	v_xor_b32_e32 v11, v11, v1
	v_cmp_o_f32_e64 s[0:1], v1, v1
	v_cndmask_b32_e64 v1, -1, v11, s[0:1]
	v_xor_b32_e32 v11, s9, v1
	v_and_b32_e32 v11, s11, v11
	v_cmp_eq_u32_e64 s[0:1], 0, v11
	s_and_b64 exec, exec, s[0:1]
; %bb.12:                               ;   in Loop: Header=BB83_7 Depth=1
	v_bfe_u32 v1, v1, s12, 8
	v_lshlrev_b32_e32 v1, 2, v1
	ds_add_u32 v1, v9
.LBB83_13:                              ;   in Loop: Header=BB83_7 Depth=1
	s_or_b64 exec, exec, s[4:5]
	v_add_u32_e32 v1, 0xffffff00, v4
	v_cmp_gt_u32_e64 s[0:1], s8, v1
	s_and_saveexec_b64 s[4:5], s[0:1]
	s_cbranch_execz .LBB83_16
; %bb.14:                               ;   in Loop: Header=BB83_7 Depth=1
	v_add_u32_e32 v1, s18, v6
	v_lshlrev_b64 v[11:12], 2, v[1:2]
	v_mov_b32_e32 v1, s10
	v_add_co_u32_e64 v11, s[0:1], s6, v11
	v_addc_co_u32_e64 v12, s[0:1], v1, v12, s[0:1]
	global_load_dword v1, v[11:12], off
	s_waitcnt vmcnt(0)
	v_cmp_lt_i32_e64 s[0:1], -1, v1
	v_cndmask_b32_e64 v11, -1, v10, s[0:1]
	v_xor_b32_e32 v11, v11, v1
	v_cmp_o_f32_e64 s[0:1], v1, v1
	v_cndmask_b32_e64 v1, -1, v11, s[0:1]
	v_xor_b32_e32 v11, s9, v1
	v_and_b32_e32 v11, s11, v11
	v_cmp_eq_u32_e64 s[0:1], 0, v11
	s_and_b64 exec, exec, s[0:1]
; %bb.15:                               ;   in Loop: Header=BB83_7 Depth=1
	v_bfe_u32 v1, v1, s12, 8
	v_lshlrev_b32_e32 v1, 2, v1
	ds_add_u32 v1, v9
.LBB83_16:                              ;   in Loop: Header=BB83_7 Depth=1
	s_or_b64 exec, exec, s[4:5]
	v_cmp_gt_u32_e64 s[0:1], s8, v4
	s_and_saveexec_b64 s[4:5], s[0:1]
	s_cbranch_execz .LBB83_6
; %bb.17:                               ;   in Loop: Header=BB83_7 Depth=1
	v_add_u32_e32 v1, s18, v5
	v_lshlrev_b64 v[11:12], 2, v[1:2]
	v_mov_b32_e32 v1, s10
	v_add_co_u32_e64 v11, s[0:1], s6, v11
	v_addc_co_u32_e64 v12, s[0:1], v1, v12, s[0:1]
	global_load_dword v1, v[11:12], off
	s_waitcnt vmcnt(0)
	v_cmp_lt_i32_e64 s[0:1], -1, v1
	v_cndmask_b32_e64 v11, -1, v10, s[0:1]
	v_xor_b32_e32 v11, v11, v1
	v_cmp_o_f32_e64 s[0:1], v1, v1
	v_cndmask_b32_e64 v1, -1, v11, s[0:1]
	v_xor_b32_e32 v11, s9, v1
	v_and_b32_e32 v11, s11, v11
	v_cmp_eq_u32_e64 s[0:1], 0, v11
	s_and_b64 exec, exec, s[0:1]
	s_cbranch_execz .LBB83_6
; %bb.18:                               ;   in Loop: Header=BB83_7 Depth=1
	v_bfe_u32 v1, v1, s12, 8
	v_lshlrev_b32_e32 v1, 2, v1
	ds_add_u32 v1, v9
	s_branch .LBB83_6
.LBB83_19:
	s_and_b32 s14, s15, 3
	s_cmp_eq_u32 s14, 0
	s_cbranch_scc1 .LBB83_25
; %bb.20:
	s_lshl_b32 s0, s7, 8
	s_add_i32 s0, s0, s17
	v_add_u32_e32 v4, s0, v0
	v_mul_lo_u32 v1, s13, v4
	s_lshl_b32 s7, s13, 8
	v_mov_b32_e32 v2, 0
	v_mov_b32_e32 v5, 1
	v_bfrev_b32_e32 v6, 1
	s_branch .LBB83_22
.LBB83_21:                              ;   in Loop: Header=BB83_22 Depth=1
	s_or_b64 exec, exec, s[4:5]
	s_add_i32 s14, s14, -1
	v_add_u32_e32 v1, s7, v1
	s_cmp_lg_u32 s14, 0
	v_add_u32_e32 v4, 0x100, v4
	s_cbranch_scc0 .LBB83_25
.LBB83_22:                              ; =>This Inner Loop Header: Depth=1
	v_cmp_gt_u32_e64 s[0:1], s8, v4
	s_and_saveexec_b64 s[4:5], s[0:1]
	s_cbranch_execz .LBB83_21
; %bb.23:                               ;   in Loop: Header=BB83_22 Depth=1
	v_lshlrev_b64 v[7:8], 2, v[1:2]
	v_mov_b32_e32 v9, s10
	v_add_co_u32_e64 v7, s[0:1], s6, v7
	v_addc_co_u32_e64 v8, s[0:1], v9, v8, s[0:1]
	global_load_dword v7, v[7:8], off
	s_waitcnt vmcnt(0)
	v_cmp_lt_i32_e64 s[0:1], -1, v7
	v_cndmask_b32_e64 v8, -1, v6, s[0:1]
	v_xor_b32_e32 v8, v8, v7
	v_cmp_o_f32_e64 s[0:1], v7, v7
	v_cndmask_b32_e64 v7, -1, v8, s[0:1]
	v_xor_b32_e32 v8, s9, v7
	v_and_b32_e32 v8, s11, v8
	v_cmp_eq_u32_e64 s[0:1], 0, v8
	s_and_b64 exec, exec, s[0:1]
	s_cbranch_execz .LBB83_21
; %bb.24:                               ;   in Loop: Header=BB83_22 Depth=1
	v_bfe_u32 v7, v7, s12, 8
	v_lshlrev_b32_e32 v7, 2, v7
	ds_add_u32 v7, v5
	s_branch .LBB83_21
.LBB83_25:
	s_waitcnt lgkmcnt(0)
	s_barrier
	s_and_saveexec_b64 s[0:1], vcc
	s_cbranch_execz .LBB83_27
; %bb.26:
	v_lshl_or_b32 v0, s16, 8, v0
	v_mov_b32_e32 v1, 0
	ds_read_b32 v3, v3
	v_lshlrev_b64 v[0:1], 1, v[0:1]
	v_mov_b32_e32 v2, s3
	v_add_co_u32_e32 v0, vcc, s2, v0
	v_addc_co_u32_e32 v1, vcc, v2, v1, vcc
	s_waitcnt lgkmcnt(0)
	global_store_short v[0:1], v3, off
.LBB83_27:
	s_endpgm
	.section	.rodata,"a",@progbits
	.p2align	6, 0x0
	.amdhsa_kernel _ZN2at6native6mbtopk23computeBlockDigitCountsIfjjLi2EEEvNS_4cuda6detail10TensorInfoIKT_T0_EEjPjjS8_iijT1_PSB_Ps
		.amdhsa_group_segment_fixed_size 1024
		.amdhsa_private_segment_fixed_size 0
		.amdhsa_kernarg_size 528
		.amdhsa_user_sgpr_count 6
		.amdhsa_user_sgpr_private_segment_buffer 1
		.amdhsa_user_sgpr_dispatch_ptr 0
		.amdhsa_user_sgpr_queue_ptr 0
		.amdhsa_user_sgpr_kernarg_segment_ptr 1
		.amdhsa_user_sgpr_dispatch_id 0
		.amdhsa_user_sgpr_flat_scratch_init 0
		.amdhsa_user_sgpr_private_segment_size 0
		.amdhsa_uses_dynamic_stack 0
		.amdhsa_system_sgpr_private_segment_wavefront_offset 0
		.amdhsa_system_sgpr_workgroup_id_x 1
		.amdhsa_system_sgpr_workgroup_id_y 1
		.amdhsa_system_sgpr_workgroup_id_z 1
		.amdhsa_system_sgpr_workgroup_info 0
		.amdhsa_system_vgpr_workitem_id 0
		.amdhsa_next_free_vgpr 13
		.amdhsa_next_free_sgpr 22
		.amdhsa_reserve_vcc 1
		.amdhsa_reserve_flat_scratch 0
		.amdhsa_float_round_mode_32 0
		.amdhsa_float_round_mode_16_64 0
		.amdhsa_float_denorm_mode_32 3
		.amdhsa_float_denorm_mode_16_64 3
		.amdhsa_dx10_clamp 1
		.amdhsa_ieee_mode 1
		.amdhsa_fp16_overflow 0
		.amdhsa_exception_fp_ieee_invalid_op 0
		.amdhsa_exception_fp_denorm_src 0
		.amdhsa_exception_fp_ieee_div_zero 0
		.amdhsa_exception_fp_ieee_overflow 0
		.amdhsa_exception_fp_ieee_underflow 0
		.amdhsa_exception_fp_ieee_inexact 0
		.amdhsa_exception_int_div_zero 0
	.end_amdhsa_kernel
	.section	.text._ZN2at6native6mbtopk23computeBlockDigitCountsIfjjLi2EEEvNS_4cuda6detail10TensorInfoIKT_T0_EEjPjjS8_iijT1_PSB_Ps,"axG",@progbits,_ZN2at6native6mbtopk23computeBlockDigitCountsIfjjLi2EEEvNS_4cuda6detail10TensorInfoIKT_T0_EEjPjjS8_iijT1_PSB_Ps,comdat
.Lfunc_end83:
	.size	_ZN2at6native6mbtopk23computeBlockDigitCountsIfjjLi2EEEvNS_4cuda6detail10TensorInfoIKT_T0_EEjPjjS8_iijT1_PSB_Ps, .Lfunc_end83-_ZN2at6native6mbtopk23computeBlockDigitCountsIfjjLi2EEEvNS_4cuda6detail10TensorInfoIKT_T0_EEjPjjS8_iijT1_PSB_Ps
                                        ; -- End function
	.set _ZN2at6native6mbtopk23computeBlockDigitCountsIfjjLi2EEEvNS_4cuda6detail10TensorInfoIKT_T0_EEjPjjS8_iijT1_PSB_Ps.num_vgpr, 13
	.set _ZN2at6native6mbtopk23computeBlockDigitCountsIfjjLi2EEEvNS_4cuda6detail10TensorInfoIKT_T0_EEjPjjS8_iijT1_PSB_Ps.num_agpr, 0
	.set _ZN2at6native6mbtopk23computeBlockDigitCountsIfjjLi2EEEvNS_4cuda6detail10TensorInfoIKT_T0_EEjPjjS8_iijT1_PSB_Ps.numbered_sgpr, 22
	.set _ZN2at6native6mbtopk23computeBlockDigitCountsIfjjLi2EEEvNS_4cuda6detail10TensorInfoIKT_T0_EEjPjjS8_iijT1_PSB_Ps.num_named_barrier, 0
	.set _ZN2at6native6mbtopk23computeBlockDigitCountsIfjjLi2EEEvNS_4cuda6detail10TensorInfoIKT_T0_EEjPjjS8_iijT1_PSB_Ps.private_seg_size, 0
	.set _ZN2at6native6mbtopk23computeBlockDigitCountsIfjjLi2EEEvNS_4cuda6detail10TensorInfoIKT_T0_EEjPjjS8_iijT1_PSB_Ps.uses_vcc, 1
	.set _ZN2at6native6mbtopk23computeBlockDigitCountsIfjjLi2EEEvNS_4cuda6detail10TensorInfoIKT_T0_EEjPjjS8_iijT1_PSB_Ps.uses_flat_scratch, 0
	.set _ZN2at6native6mbtopk23computeBlockDigitCountsIfjjLi2EEEvNS_4cuda6detail10TensorInfoIKT_T0_EEjPjjS8_iijT1_PSB_Ps.has_dyn_sized_stack, 0
	.set _ZN2at6native6mbtopk23computeBlockDigitCountsIfjjLi2EEEvNS_4cuda6detail10TensorInfoIKT_T0_EEjPjjS8_iijT1_PSB_Ps.has_recursion, 0
	.set _ZN2at6native6mbtopk23computeBlockDigitCountsIfjjLi2EEEvNS_4cuda6detail10TensorInfoIKT_T0_EEjPjjS8_iijT1_PSB_Ps.has_indirect_call, 0
	.section	.AMDGPU.csdata,"",@progbits
; Kernel info:
; codeLenInByte = 1444
; TotalNumSgprs: 26
; NumVgprs: 13
; ScratchSize: 0
; MemoryBound: 0
; FloatMode: 240
; IeeeMode: 1
; LDSByteSize: 1024 bytes/workgroup (compile time only)
; SGPRBlocks: 3
; VGPRBlocks: 3
; NumSGPRsForWavesPerEU: 26
; NumVGPRsForWavesPerEU: 13
; Occupancy: 10
; WaveLimiterHint : 1
; COMPUTE_PGM_RSRC2:SCRATCH_EN: 0
; COMPUTE_PGM_RSRC2:USER_SGPR: 6
; COMPUTE_PGM_RSRC2:TRAP_HANDLER: 0
; COMPUTE_PGM_RSRC2:TGID_X_EN: 1
; COMPUTE_PGM_RSRC2:TGID_Y_EN: 1
; COMPUTE_PGM_RSRC2:TGID_Z_EN: 1
; COMPUTE_PGM_RSRC2:TIDIG_COMP_CNT: 0
	.section	.text._ZN2at6native6mbtopk10gatherTopKIfjLi2EEEvNS_4cuda6detail10TensorInfoIKT_T0_EES8_S8_bjS8_NS5_IS6_S8_EES8_NS5_IlS8_EES8_jjPS6_PjSD_j,"axG",@progbits,_ZN2at6native6mbtopk10gatherTopKIfjLi2EEEvNS_4cuda6detail10TensorInfoIKT_T0_EES8_S8_bjS8_NS5_IS6_S8_EES8_NS5_IlS8_EES8_jjPS6_PjSD_j,comdat
	.protected	_ZN2at6native6mbtopk10gatherTopKIfjLi2EEEvNS_4cuda6detail10TensorInfoIKT_T0_EES8_S8_bjS8_NS5_IS6_S8_EES8_NS5_IlS8_EES8_jjPS6_PjSD_j ; -- Begin function _ZN2at6native6mbtopk10gatherTopKIfjLi2EEEvNS_4cuda6detail10TensorInfoIKT_T0_EES8_S8_bjS8_NS5_IS6_S8_EES8_NS5_IlS8_EES8_jjPS6_PjSD_j
	.globl	_ZN2at6native6mbtopk10gatherTopKIfjLi2EEEvNS_4cuda6detail10TensorInfoIKT_T0_EES8_S8_bjS8_NS5_IS6_S8_EES8_NS5_IlS8_EES8_jjPS6_PjSD_j
	.p2align	8
	.type	_ZN2at6native6mbtopk10gatherTopKIfjLi2EEEvNS_4cuda6detail10TensorInfoIKT_T0_EES8_S8_bjS8_NS5_IS6_S8_EES8_NS5_IlS8_EES8_jjPS6_PjSD_j,@function
_ZN2at6native6mbtopk10gatherTopKIfjLi2EEEvNS_4cuda6detail10TensorInfoIKT_T0_EES8_S8_bjS8_NS5_IS6_S8_EES8_NS5_IlS8_EES8_jjPS6_PjSD_j: ; @_ZN2at6native6mbtopk10gatherTopKIfjLi2EEEvNS_4cuda6detail10TensorInfoIKT_T0_EES8_S8_bjS8_NS5_IS6_S8_EES8_NS5_IlS8_EES8_jjPS6_PjSD_j
; %bb.0:
	s_load_dwordx2 s[0:1], s[4:5], 0x2d8
	s_load_dword s2, s[4:5], 0x2d0
	s_waitcnt lgkmcnt(0)
	s_mul_i32 s1, s1, s8
	s_add_i32 s1, s1, s7
	s_mul_i32 s0, s1, s0
	s_add_i32 s0, s0, s6
	s_cmp_ge_u32 s0, s2
	s_cbranch_scc1 .LBB84_40
; %bb.1:
	s_load_dwordx8 s[8:15], s[4:5], 0x2a8
	s_load_dwordx2 s[20:21], s[4:5], 0x23c
	s_load_dword s33, s[4:5], 0x1dc
	s_load_dwordx2 s[6:7], s[4:5], 0x1d0
	s_load_dwordx2 s[28:29], s[4:5], 0x15c
	s_load_dword s40, s[4:5], 0xfc
	s_load_dwordx2 s[22:23], s[4:5], 0xf0
	s_load_dwordx2 s[30:31], s[4:5], 0x6c
	;; [unrolled: 1-line block ×3, first 2 shown]
	s_load_dword s41, s[4:5], 0xc
	s_mov_b32 s27, 0
	s_waitcnt lgkmcnt(0)
	v_cvt_f32_u32_e32 v1, s10
	s_sub_i32 s1, 0, s10
	v_cvt_f32_u32_e32 v2, s41
	v_rcp_iflag_f32_e32 v1, v1
	v_mul_f32_e32 v1, 0x4f7ffffe, v1
	v_cvt_u32_f32_e32 v1, v1
	v_readfirstlane_b32 s2, v1
	s_mul_i32 s1, s1, s2
	s_mul_hi_u32 s1, s2, s1
	s_add_i32 s2, s2, s1
	v_rcp_iflag_f32_e32 v1, v2
	s_mul_hi_u32 s1, s0, s2
	s_mul_i32 s2, s1, s10
	s_sub_i32 s2, s0, s2
	s_add_i32 s3, s1, 1
	s_sub_i32 s11, s2, s10
	v_mul_f32_e32 v1, 0x4f7ffffe, v1
	s_cmp_ge_u32 s2, s10
	v_cvt_u32_f32_e32 v1, v1
	v_cvt_f32_u32_e32 v2, s40
	s_cselect_b32 s1, s3, s1
	s_cselect_b32 s2, s11, s2
	s_add_i32 s3, s1, 1
	s_cmp_ge_u32 s2, s10
	s_cselect_b32 s26, s3, s1
	v_readfirstlane_b32 s1, v1
	v_rcp_iflag_f32_e32 v1, v2
	v_cvt_f32_u32_e32 v2, s33
	s_mul_i32 s16, s26, s10
	s_sub_i32 s11, s0, s16
	v_mul_f32_e32 v1, 0x4f7ffffe, v1
	s_sub_i32 s0, 0, s41
	v_cvt_u32_f32_e32 v1, v1
	v_rcp_iflag_f32_e32 v2, v2
	s_mul_i32 s0, s0, s1
	s_mul_hi_u32 s0, s1, s0
	s_add_i32 s1, s1, s0
	s_mul_hi_u32 s44, s26, s1
	v_readfirstlane_b32 s1, v1
	v_mul_f32_e32 v1, 0x4f7ffffe, v2
	v_cvt_u32_f32_e32 v1, v1
	s_sub_i32 s0, 0, s40
	s_mul_i32 s0, s0, s1
	s_mul_hi_u32 s0, s1, s0
	s_add_i32 s2, s1, s0
	s_sub_i32 s0, 0, s33
	v_readfirstlane_b32 s1, v1
	s_mul_i32 s0, s0, s1
	s_mul_hi_u32 s0, s1, s0
	s_add_i32 s3, s1, s0
	s_lshl_b64 s[0:1], s[26:27], 2
	s_add_u32 s0, s12, s0
	s_addc_u32 s1, s13, s1
	s_load_dword s42, s[0:1], 0x0
	s_mul_hi_u32 s45, s26, s2
	s_mul_hi_u32 s43, s26, s3
	v_cmp_ne_u32_e64 s[0:1], 0, v0
	v_cmp_eq_u32_e64 s[2:3], 0, v0
	s_and_saveexec_b64 s[12:13], s[2:3]
	s_cbranch_execz .LBB84_17
; %bb.2:
	s_load_dwordx2 s[34:35], s[4:5], 0x2c8
	s_mov_b32 s17, s27
	s_lshl_b64 s[36:37], s[16:17], 2
	s_add_u32 s16, s14, s36
	s_addc_u32 s17, s15, s37
	s_waitcnt lgkmcnt(0)
	s_add_u32 s18, s34, s36
	s_addc_u32 s19, s35, s37
	s_cmp_lt_u32 s10, 4
	s_cbranch_scc1 .LBB84_14
; %bb.3:
	s_mov_b32 s46, s27
	s_mov_b32 s47, s27
	;; [unrolled: 1-line block ×3, first 2 shown]
.LBB84_4:                               ; =>This Inner Loop Header: Depth=1
	s_add_u32 s38, s14, s36
	s_addc_u32 s39, s15, s37
	s_load_dwordx4 s[16:19], s[38:39], 0x0
	s_add_u32 s38, s34, s36
	s_addc_u32 s39, s35, s37
	s_cmp_ge_u32 s48, s11
	s_cbranch_scc0 .LBB84_11
; %bb.5:                                ;   in Loop: Header=BB84_4 Depth=1
	s_add_i32 s49, s48, 1
	s_cmp_ge_u32 s49, s11
	s_cbranch_scc0 .LBB84_12
.LBB84_6:                               ;   in Loop: Header=BB84_4 Depth=1
	s_add_i32 s49, s49, 1
	s_cmp_ge_u32 s49, s11
	s_cbranch_scc0 .LBB84_13
.LBB84_7:                               ;   in Loop: Header=BB84_4 Depth=1
	s_add_i32 s49, s49, 1
	s_cmp_ge_u32 s49, s11
	s_cbranch_scc1 .LBB84_9
.LBB84_8:                               ;   in Loop: Header=BB84_4 Depth=1
	s_load_dword s38, s[38:39], 0xc
	s_waitcnt lgkmcnt(0)
	s_add_i32 s27, s27, s19
	s_add_i32 s46, s38, s46
.LBB84_9:                               ;   in Loop: Header=BB84_4 Depth=1
	s_waitcnt lgkmcnt(0)
	s_add_i32 s16, s16, s47
	s_add_i32 s16, s16, s17
	;; [unrolled: 1-line block ×4, first 2 shown]
	s_add_u32 s14, s14, 16
	s_addc_u32 s15, s15, 0
	s_add_u32 s34, s34, 16
	s_addc_u32 s35, s35, 0
	s_add_i32 s39, s49, 4
	s_add_u32 s18, s34, s36
	s_addc_u32 s19, s35, s37
	s_add_u32 s16, s14, s36
	s_addc_u32 s17, s15, s37
	s_add_i32 s38, s49, 1
	s_cmp_ge_u32 s39, s10
	s_cbranch_scc1 .LBB84_15
; %bb.10:                               ;   in Loop: Header=BB84_4 Depth=1
	s_mov_b32 s48, s38
	s_branch .LBB84_4
.LBB84_11:                              ;   in Loop: Header=BB84_4 Depth=1
	s_load_dword s49, s[38:39], 0x0
	s_waitcnt lgkmcnt(0)
	s_add_i32 s27, s16, s27
	s_add_i32 s46, s49, s46
	;; [unrolled: 1-line block ×3, first 2 shown]
	s_cmp_ge_u32 s49, s11
	s_cbranch_scc1 .LBB84_6
.LBB84_12:                              ;   in Loop: Header=BB84_4 Depth=1
	s_load_dword s50, s[38:39], 0x4
	s_waitcnt lgkmcnt(0)
	s_add_i32 s27, s27, s17
	s_add_i32 s46, s50, s46
	;; [unrolled: 1-line block ×3, first 2 shown]
	s_cmp_ge_u32 s49, s11
	s_cbranch_scc1 .LBB84_7
.LBB84_13:                              ;   in Loop: Header=BB84_4 Depth=1
	s_load_dword s50, s[38:39], 0x8
	s_waitcnt lgkmcnt(0)
	s_add_i32 s27, s27, s18
	s_add_i32 s46, s50, s46
	s_add_i32 s49, s49, 1
	s_cmp_ge_u32 s49, s11
	s_cbranch_scc0 .LBB84_8
	s_branch .LBB84_9
.LBB84_14:
	s_mov_b32 s46, 0
	s_mov_b32 s47, 0
	s_mov_b32 s14, 0
	s_cmp_ge_u32 s14, s10
	s_cbranch_scc0 .LBB84_38
	s_branch .LBB84_16
.LBB84_15:
	s_add_i32 s14, s48, 4
	s_cmp_ge_u32 s14, s10
	s_cbranch_scc0 .LBB84_38
.LBB84_16:
	v_mov_b32_e32 v1, s46
	v_mov_b32_e32 v2, s47
	;; [unrolled: 1-line block ×4, first 2 shown]
	ds_write_b96 v4, v[1:3] offset:1056
.LBB84_17:
	s_or_b64 exec, exec, s[12:13]
	s_load_dwordx4 s[12:15], s[4:5], 0xd8
	s_mul_i32 s16, s9, s11
	s_lshl_b32 s27, s16, 8
	s_waitcnt lgkmcnt(0)
	s_add_i32 s15, s11, 1
	s_mov_b32 s11, 0
	s_sub_i32 s16, s12, s27
	s_add_u32 s16, s16, 0xff
	s_addc_u32 s17, 0, 0
	s_lshr_b64 s[16:17], s[16:17], 8
	s_cmp_lt_u32 s15, s10
	s_cselect_b32 s9, s9, s16
	s_cmp_eq_u32 s9, 0
	s_barrier
	s_cbranch_scc1 .LBB84_40
; %bb.18:
	s_mul_i32 s10, s44, s41
	s_sub_i32 s10, s26, s10
	s_add_i32 s15, s44, 1
	s_sub_i32 s16, s10, s41
	s_cmp_ge_u32 s10, s41
	s_cselect_b32 s15, s15, s44
	s_cselect_b32 s10, s16, s10
	s_add_i32 s16, s15, 1
	s_cmp_ge_u32 s10, s41
	s_cselect_b32 s10, s16, s15
	s_mul_i32 s15, s10, s41
	s_sub_i32 s15, s26, s15
	s_mul_i32 s15, s15, s31
	s_mul_i32 s10, s10, s30
	s_add_i32 s10, s10, s15
	s_mul_i32 s15, s45, s40
	s_sub_i32 s15, s26, s15
	s_add_i32 s16, s45, 1
	s_sub_i32 s17, s15, s40
	s_cmp_ge_u32 s15, s40
	s_cselect_b32 s16, s16, s45
	s_cselect_b32 s15, s17, s15
	s_add_i32 s17, s16, 1
	s_cmp_ge_u32 s15, s40
	s_cselect_b32 s15, s17, s16
	s_mul_i32 s16, s15, s40
	s_sub_i32 s16, s26, s16
	s_mul_i32 s16, s16, s29
	s_mul_i32 s15, s15, s28
	s_add_i32 s18, s15, s16
	;; [unrolled: 15-line block ×3, first 2 shown]
	s_lshl_b64 s[16:17], s[10:11], 2
	s_add_u32 s15, s24, s16
	s_mov_b32 s19, s11
	s_addc_u32 s16, s25, s17
	s_lshl_b64 s[18:19], s[18:19], 2
	s_add_u32 s17, s22, s18
	s_mov_b32 s21, s11
	v_mov_b32_e32 v5, 0
	s_addc_u32 s18, s23, s19
	s_lshl_b64 s[10:11], s[20:21], 3
	ds_read_b96 v[1:3], v5 offset:1056
	s_add_u32 s19, s6, s10
	s_addc_u32 s20, s7, s11
	s_cmp_gt_i32 s42, -1
	s_cselect_b32 s10, 0x80000000, -1
	v_cmp_o_f32_e64 s[6:7], s42, s42
	s_xor_b32 s10, s10, s42
	s_waitcnt lgkmcnt(0)
	v_add_u32_e32 v2, v1, v2
	v_lshrrev_b32_e32 v1, 3, v0
	s_and_b64 s[6:7], s[6:7], exec
	v_and_b32_e32 v1, 28, v1
	s_cselect_b32 s21, s10, -1
	s_bitcmp1_b32 s14, 0
	s_load_dword s10, s[4:5], 0xe8
	s_load_dword s14, s[4:5], 0x1c8
	v_lshl_add_u32 v6, v0, 2, v1
	v_lshrrev_b32_e32 v1, 1, v0
	v_and_b32_e32 v7, 0x7c, v1
	v_add_u32_e32 v1, -1, v0
	v_lshrrev_b32_e32 v4, 3, v1
	v_cmp_gt_u32_e64 s[4:5], 64, v0
	v_lshlrev_b32_e32 v8, 4, v0
	v_and_b32_e32 v4, 0x1ffffffc, v4
	v_add_u32_e32 v0, s27, v0
	v_lshl_add_u32 v9, v1, 2, v4
	s_waitcnt lgkmcnt(0)
	v_mul_lo_u32 v4, s10, v0
	v_mbcnt_lo_u32_b32 v1, -1, 0
	s_cselect_b64 s[6:7], -1, 0
	s_lshl_b32 s22, s10, 8
	v_bfrev_b32_e32 v10, 1
	v_mbcnt_hi_u32_b32 v11, -1, v1
                                        ; implicit-def: $vgpr12
	s_branch .LBB84_21
.LBB84_19:                              ;   in Loop: Header=BB84_21 Depth=1
	s_or_b64 exec, exec, s[10:11]
	v_add_u32_e32 v2, v15, v2
.LBB84_20:                              ;   in Loop: Header=BB84_21 Depth=1
	s_add_i32 s9, s9, -1
	v_add_u32_e32 v3, v14, v3
	v_add_u32_e32 v4, s22, v4
	s_cmp_lg_u32 s9, 0
	v_add_u32_e32 v0, 0x100, v0
	s_cbranch_scc0 .LBB84_40
.LBB84_21:                              ; =>This Inner Loop Header: Depth=1
	v_cmp_gt_u32_e32 vcc, s12, v0
	v_mov_b32_e32 v1, 0
	v_mov_b32_e32 v13, 0
	s_and_saveexec_b64 s[10:11], vcc
	s_cbranch_execz .LBB84_23
; %bb.22:                               ;   in Loop: Header=BB84_21 Depth=1
	v_lshlrev_b64 v[12:13], 2, v[4:5]
	v_mov_b32_e32 v1, s16
	v_add_co_u32_e32 v12, vcc, s15, v12
	v_addc_co_u32_e32 v13, vcc, v1, v13, vcc
	global_load_dword v12, v[12:13], off
	s_waitcnt vmcnt(0)
	v_cmp_lt_i32_e32 vcc, -1, v12
	v_cndmask_b32_e32 v1, -1, v10, vcc
	v_xor_b32_e32 v1, v1, v12
	v_cmp_o_f32_e32 vcc, v12, v12
	v_cndmask_b32_e32 v13, -1, v1, vcc
	v_cmp_lt_u32_e32 vcc, s21, v13
	v_cndmask_b32_e64 v1, 0, 1, vcc
	v_cmp_gt_u32_e32 vcc, s21, v13
	v_cndmask_b32_e64 v14, 0, 1, vcc
	v_cndmask_b32_e64 v1, v14, v1, s[6:7]
	v_cmp_eq_u32_e32 vcc, s21, v13
	v_and_b32_e32 v1, 1, v1
	v_cndmask_b32_e64 v13, 0, 1, vcc
.LBB84_23:                              ;   in Loop: Header=BB84_21 Depth=1
	s_or_b64 exec, exec, s[10:11]
	ds_write_b32 v6, v1
	s_waitcnt vmcnt(0) lgkmcnt(0)
	s_barrier
	s_and_saveexec_b64 s[10:11], s[4:5]
	s_cbranch_execz .LBB84_25
; %bb.24:                               ;   in Loop: Header=BB84_21 Depth=1
	v_add_u32_e32 v18, v7, v8
	ds_read2_b32 v[14:15], v18 offset1:1
	ds_read2_b32 v[16:17], v18 offset0:2 offset1:3
	v_and_b32_e32 v19, 15, v11
	v_cmp_ne_u32_e32 vcc, 0, v19
	s_waitcnt lgkmcnt(1)
	v_add_u32_e32 v15, v15, v14
	s_waitcnt lgkmcnt(0)
	v_add3_u32 v15, v15, v16, v17
	v_bfe_i32 v17, v11, 4, 1
	; wave barrier
	s_nop 0
	v_mov_b32_dpp v16, v15 row_shr:1 row_mask:0xf bank_mask:0xf
	v_cndmask_b32_e32 v16, 0, v16, vcc
	v_add_u32_e32 v15, v16, v15
	v_cmp_lt_u32_e32 vcc, 1, v19
	s_nop 0
	v_mov_b32_dpp v16, v15 row_shr:2 row_mask:0xf bank_mask:0xf
	v_cndmask_b32_e32 v16, 0, v16, vcc
	v_add_u32_e32 v15, v15, v16
	v_cmp_lt_u32_e32 vcc, 3, v19
	;; [unrolled: 5-line block ×4, first 2 shown]
	s_nop 0
	v_mov_b32_dpp v16, v15 row_bcast:15 row_mask:0xf bank_mask:0xf
	v_and_b32_e32 v16, v17, v16
	v_add_u32_e32 v15, v15, v16
	v_and_b32_e32 v17, 64, v11
	s_nop 0
	v_mov_b32_dpp v16, v15 row_bcast:31 row_mask:0xf bank_mask:0xf
	v_cndmask_b32_e32 v16, 0, v16, vcc
	v_add_u32_e32 v15, v15, v16
	v_add_u32_e32 v16, -1, v11
	v_cmp_lt_i32_e32 vcc, v16, v17
	v_cndmask_b32_e32 v16, v16, v11, vcc
	v_lshlrev_b32_e32 v16, 2, v16
	ds_bpermute_b32 v15, v16, v15
	s_waitcnt lgkmcnt(0)
	v_add_u32_e32 v14, v15, v14
	v_cndmask_b32_e64 v16, v14, v1, s[2:3]
	ds_write_b32 v18, v16
	; wave barrier
	ds_read2_b32 v[14:15], v18 offset0:1 offset1:2
	ds_read_b32 v17, v18 offset:12
	s_waitcnt lgkmcnt(1)
	v_add_u32_e32 v14, v14, v16
	v_add_u32_e32 v15, v15, v14
	ds_write2_b32 v18, v14, v15 offset0:1 offset1:2
	s_waitcnt lgkmcnt(1)
	v_add_u32_e32 v14, v17, v15
	ds_write_b32 v18, v14 offset:12
.LBB84_25:                              ;   in Loop: Header=BB84_21 Depth=1
	s_or_b64 exec, exec, s[10:11]
	v_mov_b32_e32 v15, 0
	s_waitcnt lgkmcnt(0)
	s_barrier
	s_and_saveexec_b64 s[10:11], s[0:1]
; %bb.26:                               ;   in Loop: Header=BB84_21 Depth=1
	ds_read_b32 v15, v9
; %bb.27:                               ;   in Loop: Header=BB84_21 Depth=1
	s_or_b64 exec, exec, s[10:11]
	ds_read_b32 v14, v5 offset:1048
	v_cmp_ne_u32_e32 vcc, 0, v1
	s_waitcnt lgkmcnt(0)
	s_barrier
	s_and_saveexec_b64 s[10:11], vcc
	s_cbranch_execz .LBB84_29
; %bb.28:                               ;   in Loop: Header=BB84_21 Depth=1
	v_add_u32_e32 v1, v15, v3
	v_mul_lo_u32 v15, v1, s14
	v_mov_b32_e32 v16, v5
	v_mov_b32_e32 v17, s18
	;; [unrolled: 1-line block ×3, first 2 shown]
	v_lshlrev_b64 v[15:16], 2, v[15:16]
	v_add_co_u32_e32 v15, vcc, s17, v15
	v_addc_co_u32_e32 v16, vcc, v17, v16, vcc
	v_mul_lo_u32 v17, v1, s8
	global_store_dword v[15:16], v12, off
	v_mov_b32_e32 v1, v5
	v_lshlrev_b64 v[15:16], 3, v[17:18]
	v_mov_b32_e32 v17, s20
	v_add_co_u32_e32 v15, vcc, s19, v15
	v_addc_co_u32_e32 v16, vcc, v17, v16, vcc
	global_store_dwordx2 v[15:16], v[0:1], off
.LBB84_29:                              ;   in Loop: Header=BB84_21 Depth=1
	s_or_b64 exec, exec, s[10:11]
	v_cmp_le_u32_e32 vcc, s13, v2
	s_cbranch_vccnz .LBB84_20
; %bb.30:                               ;   in Loop: Header=BB84_21 Depth=1
	ds_write_b32 v6, v13
	s_waitcnt vmcnt(0) lgkmcnt(0)
	s_barrier
	s_and_saveexec_b64 s[10:11], s[4:5]
	s_cbranch_execz .LBB84_32
; %bb.31:                               ;   in Loop: Header=BB84_21 Depth=1
	v_add_u32_e32 v1, v7, v8
	ds_read2_b32 v[15:16], v1 offset1:1
	ds_read2_b32 v[17:18], v1 offset0:2 offset1:3
	v_and_b32_e32 v19, 15, v11
	v_cmp_ne_u32_e32 vcc, 0, v19
	s_waitcnt lgkmcnt(1)
	v_add_u32_e32 v16, v16, v15
	s_waitcnt lgkmcnt(0)
	v_add3_u32 v16, v16, v17, v18
	v_bfe_i32 v18, v11, 4, 1
	; wave barrier
	s_nop 0
	v_mov_b32_dpp v17, v16 row_shr:1 row_mask:0xf bank_mask:0xf
	v_cndmask_b32_e32 v17, 0, v17, vcc
	v_add_u32_e32 v16, v17, v16
	v_cmp_lt_u32_e32 vcc, 1, v19
	s_nop 0
	v_mov_b32_dpp v17, v16 row_shr:2 row_mask:0xf bank_mask:0xf
	v_cndmask_b32_e32 v17, 0, v17, vcc
	v_add_u32_e32 v16, v16, v17
	v_cmp_lt_u32_e32 vcc, 3, v19
	;; [unrolled: 5-line block ×4, first 2 shown]
	s_nop 0
	v_mov_b32_dpp v17, v16 row_bcast:15 row_mask:0xf bank_mask:0xf
	v_and_b32_e32 v17, v18, v17
	v_add_u32_e32 v16, v16, v17
	v_and_b32_e32 v18, 64, v11
	s_nop 0
	v_mov_b32_dpp v17, v16 row_bcast:31 row_mask:0xf bank_mask:0xf
	v_cndmask_b32_e32 v17, 0, v17, vcc
	v_add_u32_e32 v16, v16, v17
	v_add_u32_e32 v17, -1, v11
	v_cmp_lt_i32_e32 vcc, v17, v18
	v_cndmask_b32_e32 v17, v17, v11, vcc
	v_lshlrev_b32_e32 v17, 2, v17
	ds_bpermute_b32 v16, v17, v16
	s_waitcnt lgkmcnt(0)
	v_add_u32_e32 v15, v16, v15
	v_cndmask_b32_e64 v17, v15, v13, s[2:3]
	ds_write_b32 v1, v17
	; wave barrier
	ds_read2_b32 v[15:16], v1 offset0:1 offset1:2
	ds_read_b32 v18, v1 offset:12
	s_waitcnt lgkmcnt(1)
	v_add_u32_e32 v15, v15, v17
	v_add_u32_e32 v16, v16, v15
	ds_write2_b32 v1, v15, v16 offset0:1 offset1:2
	s_waitcnt lgkmcnt(1)
	v_add_u32_e32 v15, v18, v16
	ds_write_b32 v1, v15 offset:12
.LBB84_32:                              ;   in Loop: Header=BB84_21 Depth=1
	s_or_b64 exec, exec, s[10:11]
	v_mov_b32_e32 v1, 0
	s_waitcnt lgkmcnt(0)
	s_barrier
	s_and_saveexec_b64 s[10:11], s[0:1]
; %bb.33:                               ;   in Loop: Header=BB84_21 Depth=1
	ds_read_b32 v1, v9
; %bb.34:                               ;   in Loop: Header=BB84_21 Depth=1
	s_or_b64 exec, exec, s[10:11]
	ds_read_b32 v15, v5 offset:1048
	v_cmp_ne_u32_e32 vcc, 0, v13
	s_waitcnt lgkmcnt(0)
	s_barrier
	s_and_saveexec_b64 s[10:11], vcc
	s_cbranch_execz .LBB84_19
; %bb.35:                               ;   in Loop: Header=BB84_21 Depth=1
	v_add_u32_e32 v1, v1, v2
	v_cmp_gt_u32_e32 vcc, s13, v1
	s_and_b64 exec, exec, vcc
	s_cbranch_execz .LBB84_19
; %bb.36:                               ;   in Loop: Header=BB84_21 Depth=1
	v_mul_lo_u32 v16, v1, s14
	v_mov_b32_e32 v17, v5
	v_mul_lo_u32 v18, v1, s8
	v_mov_b32_e32 v13, s18
	v_lshlrev_b64 v[16:17], 2, v[16:17]
	v_mov_b32_e32 v19, v5
	v_add_co_u32_e32 v16, vcc, s17, v16
	v_addc_co_u32_e32 v17, vcc, v13, v17, vcc
	global_store_dword v[16:17], v12, off
	v_lshlrev_b64 v[16:17], 3, v[18:19]
	v_mov_b32_e32 v13, s20
	v_add_co_u32_e32 v16, vcc, s19, v16
	v_mov_b32_e32 v1, v5
	v_addc_co_u32_e32 v17, vcc, v13, v17, vcc
	global_store_dwordx2 v[16:17], v[0:1], off
	s_branch .LBB84_19
.LBB84_37:                              ;   in Loop: Header=BB84_38 Depth=1
	s_add_u32 s16, s16, 4
	s_addc_u32 s17, s17, 0
	s_waitcnt lgkmcnt(0)
	s_add_i32 s47, s15, s47
	s_add_u32 s18, s18, 4
	s_addc_u32 s19, s19, 0
	s_add_i32 s14, s14, 1
	s_cmp_lt_u32 s14, s10
	s_cbranch_scc0 .LBB84_16
.LBB84_38:                              ; =>This Inner Loop Header: Depth=1
	s_load_dword s15, s[16:17], 0x0
	s_cmp_ge_u32 s14, s11
	s_cbranch_scc1 .LBB84_37
; %bb.39:                               ;   in Loop: Header=BB84_38 Depth=1
	s_load_dword s34, s[18:19], 0x0
	s_waitcnt lgkmcnt(0)
	s_add_i32 s27, s15, s27
	s_add_i32 s46, s34, s46
	s_branch .LBB84_37
.LBB84_40:
	s_endpgm
	.section	.rodata,"a",@progbits
	.p2align	6, 0x0
	.amdhsa_kernel _ZN2at6native6mbtopk10gatherTopKIfjLi2EEEvNS_4cuda6detail10TensorInfoIKT_T0_EES8_S8_bjS8_NS5_IS6_S8_EES8_NS5_IlS8_EES8_jjPS6_PjSD_j
		.amdhsa_group_segment_fixed_size 1068
		.amdhsa_private_segment_fixed_size 0
		.amdhsa_kernarg_size 984
		.amdhsa_user_sgpr_count 6
		.amdhsa_user_sgpr_private_segment_buffer 1
		.amdhsa_user_sgpr_dispatch_ptr 0
		.amdhsa_user_sgpr_queue_ptr 0
		.amdhsa_user_sgpr_kernarg_segment_ptr 1
		.amdhsa_user_sgpr_dispatch_id 0
		.amdhsa_user_sgpr_flat_scratch_init 0
		.amdhsa_user_sgpr_private_segment_size 0
		.amdhsa_uses_dynamic_stack 0
		.amdhsa_system_sgpr_private_segment_wavefront_offset 0
		.amdhsa_system_sgpr_workgroup_id_x 1
		.amdhsa_system_sgpr_workgroup_id_y 1
		.amdhsa_system_sgpr_workgroup_id_z 1
		.amdhsa_system_sgpr_workgroup_info 0
		.amdhsa_system_vgpr_workitem_id 0
		.amdhsa_next_free_vgpr 20
		.amdhsa_next_free_sgpr 51
		.amdhsa_reserve_vcc 1
		.amdhsa_reserve_flat_scratch 0
		.amdhsa_float_round_mode_32 0
		.amdhsa_float_round_mode_16_64 0
		.amdhsa_float_denorm_mode_32 3
		.amdhsa_float_denorm_mode_16_64 3
		.amdhsa_dx10_clamp 1
		.amdhsa_ieee_mode 1
		.amdhsa_fp16_overflow 0
		.amdhsa_exception_fp_ieee_invalid_op 0
		.amdhsa_exception_fp_denorm_src 0
		.amdhsa_exception_fp_ieee_div_zero 0
		.amdhsa_exception_fp_ieee_overflow 0
		.amdhsa_exception_fp_ieee_underflow 0
		.amdhsa_exception_fp_ieee_inexact 0
		.amdhsa_exception_int_div_zero 0
	.end_amdhsa_kernel
	.section	.text._ZN2at6native6mbtopk10gatherTopKIfjLi2EEEvNS_4cuda6detail10TensorInfoIKT_T0_EES8_S8_bjS8_NS5_IS6_S8_EES8_NS5_IlS8_EES8_jjPS6_PjSD_j,"axG",@progbits,_ZN2at6native6mbtopk10gatherTopKIfjLi2EEEvNS_4cuda6detail10TensorInfoIKT_T0_EES8_S8_bjS8_NS5_IS6_S8_EES8_NS5_IlS8_EES8_jjPS6_PjSD_j,comdat
.Lfunc_end84:
	.size	_ZN2at6native6mbtopk10gatherTopKIfjLi2EEEvNS_4cuda6detail10TensorInfoIKT_T0_EES8_S8_bjS8_NS5_IS6_S8_EES8_NS5_IlS8_EES8_jjPS6_PjSD_j, .Lfunc_end84-_ZN2at6native6mbtopk10gatherTopKIfjLi2EEEvNS_4cuda6detail10TensorInfoIKT_T0_EES8_S8_bjS8_NS5_IS6_S8_EES8_NS5_IlS8_EES8_jjPS6_PjSD_j
                                        ; -- End function
	.set _ZN2at6native6mbtopk10gatherTopKIfjLi2EEEvNS_4cuda6detail10TensorInfoIKT_T0_EES8_S8_bjS8_NS5_IS6_S8_EES8_NS5_IlS8_EES8_jjPS6_PjSD_j.num_vgpr, 20
	.set _ZN2at6native6mbtopk10gatherTopKIfjLi2EEEvNS_4cuda6detail10TensorInfoIKT_T0_EES8_S8_bjS8_NS5_IS6_S8_EES8_NS5_IlS8_EES8_jjPS6_PjSD_j.num_agpr, 0
	.set _ZN2at6native6mbtopk10gatherTopKIfjLi2EEEvNS_4cuda6detail10TensorInfoIKT_T0_EES8_S8_bjS8_NS5_IS6_S8_EES8_NS5_IlS8_EES8_jjPS6_PjSD_j.numbered_sgpr, 51
	.set _ZN2at6native6mbtopk10gatherTopKIfjLi2EEEvNS_4cuda6detail10TensorInfoIKT_T0_EES8_S8_bjS8_NS5_IS6_S8_EES8_NS5_IlS8_EES8_jjPS6_PjSD_j.num_named_barrier, 0
	.set _ZN2at6native6mbtopk10gatherTopKIfjLi2EEEvNS_4cuda6detail10TensorInfoIKT_T0_EES8_S8_bjS8_NS5_IS6_S8_EES8_NS5_IlS8_EES8_jjPS6_PjSD_j.private_seg_size, 0
	.set _ZN2at6native6mbtopk10gatherTopKIfjLi2EEEvNS_4cuda6detail10TensorInfoIKT_T0_EES8_S8_bjS8_NS5_IS6_S8_EES8_NS5_IlS8_EES8_jjPS6_PjSD_j.uses_vcc, 1
	.set _ZN2at6native6mbtopk10gatherTopKIfjLi2EEEvNS_4cuda6detail10TensorInfoIKT_T0_EES8_S8_bjS8_NS5_IS6_S8_EES8_NS5_IlS8_EES8_jjPS6_PjSD_j.uses_flat_scratch, 0
	.set _ZN2at6native6mbtopk10gatherTopKIfjLi2EEEvNS_4cuda6detail10TensorInfoIKT_T0_EES8_S8_bjS8_NS5_IS6_S8_EES8_NS5_IlS8_EES8_jjPS6_PjSD_j.has_dyn_sized_stack, 0
	.set _ZN2at6native6mbtopk10gatherTopKIfjLi2EEEvNS_4cuda6detail10TensorInfoIKT_T0_EES8_S8_bjS8_NS5_IS6_S8_EES8_NS5_IlS8_EES8_jjPS6_PjSD_j.has_recursion, 0
	.set _ZN2at6native6mbtopk10gatherTopKIfjLi2EEEvNS_4cuda6detail10TensorInfoIKT_T0_EES8_S8_bjS8_NS5_IS6_S8_EES8_NS5_IlS8_EES8_jjPS6_PjSD_j.has_indirect_call, 0
	.section	.AMDGPU.csdata,"",@progbits
; Kernel info:
; codeLenInByte = 2464
; TotalNumSgprs: 55
; NumVgprs: 20
; ScratchSize: 0
; MemoryBound: 0
; FloatMode: 240
; IeeeMode: 1
; LDSByteSize: 1068 bytes/workgroup (compile time only)
; SGPRBlocks: 6
; VGPRBlocks: 4
; NumSGPRsForWavesPerEU: 55
; NumVGPRsForWavesPerEU: 20
; Occupancy: 10
; WaveLimiterHint : 1
; COMPUTE_PGM_RSRC2:SCRATCH_EN: 0
; COMPUTE_PGM_RSRC2:USER_SGPR: 6
; COMPUTE_PGM_RSRC2:TRAP_HANDLER: 0
; COMPUTE_PGM_RSRC2:TGID_X_EN: 1
; COMPUTE_PGM_RSRC2:TGID_Y_EN: 1
; COMPUTE_PGM_RSRC2:TGID_Z_EN: 1
; COMPUTE_PGM_RSRC2:TIDIG_COMP_CNT: 0
	.section	.text._ZN2at6native6sbtopk10gatherTopKIfjLi2ELb0EEEvNS_4cuda6detail10TensorInfoIKT_T0_EES8_S8_bS8_S8_NS5_IS6_S8_EES8_NS5_IlS8_EES8_PS6_,"axG",@progbits,_ZN2at6native6sbtopk10gatherTopKIfjLi2ELb0EEEvNS_4cuda6detail10TensorInfoIKT_T0_EES8_S8_bS8_S8_NS5_IS6_S8_EES8_NS5_IlS8_EES8_PS6_,comdat
	.protected	_ZN2at6native6sbtopk10gatherTopKIfjLi2ELb0EEEvNS_4cuda6detail10TensorInfoIKT_T0_EES8_S8_bS8_S8_NS5_IS6_S8_EES8_NS5_IlS8_EES8_PS6_ ; -- Begin function _ZN2at6native6sbtopk10gatherTopKIfjLi2ELb0EEEvNS_4cuda6detail10TensorInfoIKT_T0_EES8_S8_bS8_S8_NS5_IS6_S8_EES8_NS5_IlS8_EES8_PS6_
	.globl	_ZN2at6native6sbtopk10gatherTopKIfjLi2ELb0EEEvNS_4cuda6detail10TensorInfoIKT_T0_EES8_S8_bS8_S8_NS5_IS6_S8_EES8_NS5_IlS8_EES8_PS6_
	.p2align	8
	.type	_ZN2at6native6sbtopk10gatherTopKIfjLi2ELb0EEEvNS_4cuda6detail10TensorInfoIKT_T0_EES8_S8_bS8_S8_NS5_IS6_S8_EES8_NS5_IlS8_EES8_PS6_,@function
_ZN2at6native6sbtopk10gatherTopKIfjLi2ELb0EEEvNS_4cuda6detail10TensorInfoIKT_T0_EES8_S8_bS8_S8_NS5_IS6_S8_EES8_NS5_IlS8_EES8_PS6_: ; @_ZN2at6native6sbtopk10gatherTopKIfjLi2ELb0EEEvNS_4cuda6detail10TensorInfoIKT_T0_EES8_S8_bS8_S8_NS5_IS6_S8_EES8_NS5_IlS8_EES8_PS6_
; %bb.0:
	s_load_dwordx2 s[14:15], s[4:5], 0x2b8
	s_load_dwordx4 s[60:63], s[4:5], 0xd8
	s_mov_b64 s[16:17], s[4:5]
	s_add_u32 s12, s16, 0x2b8
	s_addc_u32 s13, s17, 0
	s_waitcnt lgkmcnt(0)
	s_mul_i32 s0, s15, s8
	s_add_i32 s0, s0, s7
	s_mul_i32 s0, s0, s14
	s_add_i32 s15, s0, s6
	s_cmp_ge_u32 s15, s63
	s_cbranch_scc1 .LBB85_413
; %bb.1:
	s_load_dword s4, s[16:17], 0xc
	s_load_dword s0, s[16:17], 0xe8
	s_load_dwordx2 s[8:9], s[16:17], 0x23c
                                        ; implicit-def: $vgpr47 : SGPR spill to VGPR lane
	s_mov_b32 s73, 0
	s_waitcnt lgkmcnt(0)
	v_cvt_f32_u32_e32 v1, s4
	v_writelane_b32 v47, s0, 0
	s_load_dwordx2 s[2:3], s[16:17], 0x6c
	s_load_dwordx2 s[0:1], s[16:17], 0x0
	s_load_dword s10, s[16:17], 0x1dc
	s_load_dword s11, s[16:17], 0xfc
	v_writelane_b32 v47, s8, 1
	v_writelane_b32 v47, s9, 2
	s_load_dwordx2 s[8:9], s[16:17], 0x1d0
	v_rcp_iflag_f32_e32 v1, v1
	s_waitcnt lgkmcnt(0)
	v_cvt_f32_u32_e32 v2, s11
	s_sub_i32 s5, 0, s4
	v_writelane_b32 v47, s8, 3
	v_mul_f32_e32 v1, 0x4f7ffffe, v1
	v_writelane_b32 v47, s9, 4
	s_load_dwordx2 s[8:9], s[16:17], 0x15c
	v_cvt_u32_f32_e32 v1, v1
	v_rcp_iflag_f32_e32 v2, v2
	v_readfirstlane_b32 s7, v1
	v_mul_f32_e32 v1, 0x4f7ffffe, v2
	v_cvt_f32_u32_e32 v2, s10
	s_waitcnt lgkmcnt(0)
	v_writelane_b32 v47, s8, 5
	v_writelane_b32 v47, s9, 6
	s_load_dwordx2 s[8:9], s[16:17], 0xf0
	v_cvt_u32_f32_e32 v1, v1
	v_rcp_iflag_f32_e32 v2, v2
	s_mul_i32 s5, s5, s7
	s_mul_hi_u32 s5, s7, s5
	s_waitcnt lgkmcnt(0)
	v_writelane_b32 v47, s8, 7
	s_add_i32 s7, s7, s5
	v_writelane_b32 v47, s9, 8
	s_mul_hi_u32 s5, s15, s7
	s_sub_i32 s7, 0, s11
	v_readfirstlane_b32 s8, v1
	v_mul_f32_e32 v1, 0x4f7ffffe, v2
	s_mul_i32 s7, s7, s8
	v_cvt_u32_f32_e32 v1, v1
	s_mul_hi_u32 s7, s8, s7
	s_add_i32 s8, s8, s7
	v_writelane_b32 v47, s11, 9
	s_mul_hi_u32 s7, s15, s8
	v_writelane_b32 v47, s7, 10
	s_sub_i32 s7, 0, s10
	v_readfirstlane_b32 s8, v1
	s_mul_i32 s7, s7, s8
	s_mul_hi_u32 s7, s8, s7
	s_add_i32 s8, s8, s7
	v_writelane_b32 v47, s10, 11
	s_mul_hi_u32 s7, s15, s8
	v_writelane_b32 v47, s7, 12
	v_cmp_eq_u32_e64 s[8:9], 0, v0
	s_mov_b64 s[10:11], exec
	v_writelane_b32 v47, s8, 13
	v_writelane_b32 v47, s9, 14
	s_and_b64 s[8:9], s[10:11], s[8:9]
	s_mov_b64 exec, s[8:9]
; %bb.2:
	v_mov_b32_e32 v1, 0
	v_mov_b32_e32 v2, s60
	;; [unrolled: 1-line block ×3, first 2 shown]
	ds_write_b96 v1, v[1:3] offset:4096
; %bb.3:
	s_or_b64 exec, exec, s[10:11]
	s_mul_i32 s7, s5, s4
	s_sub_i32 s7, s15, s7
	s_add_i32 s8, s5, 1
	s_sub_i32 s9, s7, s4
	s_cmp_ge_u32 s7, s4
	s_cselect_b32 s5, s8, s5
	s_cselect_b32 s7, s9, s7
	s_add_i32 s8, s5, 1
	s_cmp_ge_u32 s7, s4
	s_cselect_b32 s5, s8, s5
	s_mul_i32 s4, s5, s4
	s_sub_i32 s4, s15, s4
	s_mul_i32 s4, s4, s3
	s_mul_i32 s2, s5, s2
	s_add_i32 s72, s2, s4
	s_lshl_b64 s[2:3], s[72:73], 2
	s_add_u32 s33, s0, s2
	s_waitcnt lgkmcnt(0)
	s_barrier
	s_load_dword s0, s[12:13], 0xc
	s_addc_u32 s72, s1, s3
	s_bitcmp1_b32 s62, 0
	v_writelane_b32 v47, s15, 15
	s_cselect_b64 s[2:3], -1, 0
	v_mbcnt_lo_u32_b32 v1, -1, 0
	v_writelane_b32 v47, s2, 16
	v_mbcnt_hi_u32_b32 v19, -1, v1
	v_writelane_b32 v47, s3, 17
	s_xor_b64 s[62:63], s[2:3], -1
	s_waitcnt lgkmcnt(0)
	s_and_b32 s8, s0, 0xffff
	v_cmp_gt_u32_e32 vcc, 64, v0
	v_cmp_gt_i32_e64 s[2:3], 4, v19
	s_lshl_b32 s77, s8, 2
	s_bfe_u32 s7, s0, 0xa0006
	s_and_b64 s[74:75], vcc, s[2:3]
	s_cmpk_gt_u32 s60, 0x300
	s_cselect_b64 s[2:3], -1, 0
	v_writelane_b32 v47, s2, 18
	v_writelane_b32 v47, s3, 19
	;; [unrolled: 1-line block ×3, first 2 shown]
	s_load_dword s10, s[16:17], 0xe8
	v_mov_b32_e32 v9, 0
	v_mov_b32_e32 v8, v9
	;; [unrolled: 1-line block ×3, first 2 shown]
	v_writelane_b32 v47, s17, 21
	s_waitcnt lgkmcnt(0)
	v_mul_lo_u32 v7, s10, v0
	v_cmp_gt_u32_e64 s[2:3], s60, v0
	v_writelane_b32 v47, s2, 22
	s_cmp_gt_u32 s8, 63
	v_lshlrev_b64 v[1:2], 2, v[7:8]
	v_writelane_b32 v47, s3, 23
	v_add_co_u32_e32 v5, vcc, s33, v1
	v_addc_co_u32_e32 v6, vcc, v20, v2, vcc
	v_lshlrev_b64 v[2:3], v19, -1
	s_cselect_b64 s[2:3], -1, 0
	v_not_b32_e32 v17, v2
	v_lshrrev_b32_e32 v2, 2, v0
	v_writelane_b32 v47, s2, 24
	v_and_b32_e32 v2, 0xf0, v2
	v_writelane_b32 v47, s3, 25
	s_add_i32 s2, s8, -1
	v_or_b32_e32 v22, 0xc00, v2
	v_cvt_f32_u32_e32 v2, s77
	v_writelane_b32 v47, s2, 26
	s_add_i32 s2, s2, s60
	s_cmp_lt_u32 s6, s14
	s_cselect_b32 s3, 12, 18
	s_add_u32 s12, s12, s3
	v_rcp_iflag_f32_e32 v2, v2
	s_addc_u32 s13, s13, 0
	s_add_i32 s3, s7, -1
	s_bfe_u32 s6, s8, 0x30006
	s_and_b32 s3, s3, 0xffff
	v_writelane_b32 v47, s12, 27
	s_cmp_gt_u32 s3, 6
	v_writelane_b32 v47, s13, 28
	s_cselect_b64 s[12:13], -1, 0
	v_mul_f32_e32 v2, 0x4f7ffffe, v2
	v_writelane_b32 v47, s12, 29
	s_and_b32 s17, s7, 0x3f8
	v_cvt_u32_f32_e32 v2, v2
	v_writelane_b32 v47, s13, 30
	s_cmp_lg_u32 s6, 0
	v_writelane_b32 v47, s6, 31
	s_cselect_b64 s[6:7], -1, 0
	v_writelane_b32 v47, s6, 32
	v_writelane_b32 v47, s7, 33
	s_sub_i32 s3, 0, s77
	v_readfirstlane_b32 s6, v2
	s_mul_i32 s3, s3, s6
	s_mul_hi_u32 s3, s6, s3
	s_add_i32 s3, s6, s3
	v_writelane_b32 v47, s3, 34
	s_mul_hi_u32 s3, s60, s3
	s_mul_i32 s3, s3, s77
	v_cvt_f32_u32_e32 v2, s8
	s_sub_i32 s3, s60, s3
	s_sub_i32 s6, s3, s77
	s_cmp_ge_u32 s3, s77
	s_cselect_b32 s3, s6, s3
	v_rcp_iflag_f32_e32 v4, v2
	s_sub_i32 s6, s3, s77
	s_cmp_ge_u32 s3, s77
	s_cselect_b32 s3, s6, s3
	v_lshlrev_b32_e32 v18, 2, v0
	s_sub_i32 s16, s60, s3
	v_mul_f32_e32 v4, 0x4f7ffffe, v4
	v_cmp_gt_u32_e64 s[6:7], s16, v18
	v_cvt_u32_f32_e32 v4, v4
	v_add_u32_e32 v23, s16, v0
	v_writelane_b32 v47, s6, 35
	v_writelane_b32 v47, s7, 36
	v_cmp_gt_u32_e64 s[6:7], s60, v23
	v_writelane_b32 v47, s6, 37
	v_writelane_b32 v47, s7, 38
	s_sub_i32 s6, 0, s8
	v_readfirstlane_b32 s7, v4
	s_mul_i32 s6, s6, s7
	v_mul_lo_u32 v8, v23, s10
	s_mul_hi_u32 s6, s7, s6
	s_add_i32 s6, s7, s6
	v_writelane_b32 v47, s6, 39
	s_mul_hi_u32 s6, s2, s6
	s_mul_i32 s6, s6, s8
	v_not_b32_e32 v16, v3
	v_lshlrev_b64 v[2:3], 2, v[8:9]
	s_sub_i32 s6, s2, s6
	s_sub_i32 s7, s6, s8
	v_add_co_u32_e32 v10, vcc, s33, v2
	s_cmp_ge_u32 s6, s8
	v_mul_lo_u32 v2, s10, v18
	s_cselect_b32 s6, s7, s6
	s_sub_i32 s7, s6, s8
	s_cmp_ge_u32 s6, s8
	s_cselect_b32 s6, s7, s6
	v_add_u32_e32 v25, s10, v2
	v_or_b32_e32 v2, 2, v18
	s_sub_i32 s78, s2, s6
	v_mul_lo_u32 v26, s10, v2
	v_or_b32_e32 v2, 3, v18
	s_add_i32 s2, s8, s60
	v_mul_lo_u32 v27, s10, v2
	v_add_u32_e32 v2, s2, v0
	v_subrev_u32_e32 v2, s3, v2
	v_mul_lo_u32 v29, s10, v2
	v_lshlrev_b32_e32 v1, 2, v19
	v_mov_b32_e32 v8, s72
	v_cmp_gt_u32_e64 s[6:7], s78, v0
	s_mul_i32 s9, s10, s8
	v_cmp_eq_u32_e64 s[0:1], 0, v19
	v_cmp_gt_u32_e64 s[4:5], 2, v0
	v_add_u32_e32 v21, 0xc00, v18
	v_and_b32_e32 v15, 0x100, v1
	v_addc_co_u32_e32 v11, vcc, v8, v3, vcc
	v_writelane_b32 v47, s6, 40
	s_lshl_b32 s79, s9, 2
	v_lshlrev_b32_e32 v28, 2, v7
	v_lshlrev_b32_e32 v30, 4, v0
	s_lshl_b32 s12, s8, 4
	v_or_b32_e32 v31, 0xc00, v1
	s_mov_b32 s13, 30
	s_mov_b64 s[86:87], 0
	v_mov_b32_e32 v34, s61
	v_bfrev_b32_e32 v32, 1
	v_mov_b32_e32 v24, 0
	v_mov_b32_e32 v33, 0
	v_mov_b32_e32 v12, 1.0
	v_mov_b32_e32 v14, 0
	v_writelane_b32 v47, s7, 41
                                        ; implicit-def: $sgpr88_sgpr89
                                        ; implicit-def: $sgpr90_sgpr91
                                        ; implicit-def: $sgpr94_sgpr95
                                        ; implicit-def: $sgpr64_sgpr65
                                        ; implicit-def: $sgpr92_sgpr93
                                        ; implicit-def: $sgpr66_sgpr67
                                        ; implicit-def: $sgpr68_sgpr69
                                        ; implicit-def: $sgpr70_sgpr71
                                        ; implicit-def: $sgpr20_sgpr21
                                        ; implicit-def: $sgpr80_sgpr81
	s_branch .LBB85_6
.LBB85_4:                               ;   in Loop: Header=BB85_6 Depth=1
	s_or_b64 exec, exec, s[22:23]
	s_andn2_b64 s[10:11], s[80:81], exec
	s_and_b64 s[14:15], s[18:19], exec
	s_or_b64 s[80:81], s[10:11], s[14:15]
	s_andn2_b64 s[20:21], s[20:21], exec
	s_andn2_b64 s[70:71], s[70:71], exec
	;; [unrolled: 1-line block ×4, first 2 shown]
	s_orn2_b64 s[6:7], s[6:7], exec
	v_mov_b32_e32 v34, v36
.LBB85_5:                               ;   in Loop: Header=BB85_6 Depth=1
	s_or_b64 exec, exec, s[2:3]
	s_and_b64 s[2:3], exec, s[6:7]
	s_or_b64 s[86:87], s[2:3], s[86:87]
	s_andn2_b64 s[2:3], s[92:93], exec
	s_and_b64 s[6:7], s[80:81], exec
	s_or_b64 s[92:93], s[2:3], s[6:7]
	s_andn2_b64 s[2:3], s[64:65], exec
	s_and_b64 s[6:7], s[20:21], exec
	s_or_b64 s[64:65], s[2:3], s[6:7]
	s_andn2_b64 s[2:3], s[94:95], exec
	s_and_b64 s[6:7], s[70:71], exec
	s_or_b64 s[94:95], s[2:3], s[6:7]
	s_andn2_b64 s[2:3], s[90:91], exec
	s_and_b64 s[6:7], s[68:69], exec
	s_or_b64 s[90:91], s[2:3], s[6:7]
	s_andn2_b64 s[2:3], s[88:89], exec
	s_and_b64 s[6:7], s[66:67], exec
	s_or_b64 s[88:89], s[2:3], s[6:7]
	s_andn2_b64 exec, exec, s[86:87]
	s_cbranch_execz .LBB85_409
.LBB85_6:                               ; =>This Loop Header: Depth=1
                                        ;     Child Loop BB85_12 Depth 2
                                        ;     Child Loop BB85_25 Depth 2
	;; [unrolled: 1-line block ×24, first 2 shown]
	ds_read_b64 v[1:2], v9 offset:4096
	s_waitcnt lgkmcnt(0)
	v_readfirstlane_b32 s10, v1
	s_cmp_lg_u32 s10, 0
	s_cbranch_scc1 .LBB85_33
; %bb.7:                                ;   in Loop: Header=BB85_6 Depth=1
	v_readlane_b32 s2, v47, 18
	v_readlane_b32 s3, v47, 19
	s_and_b64 vcc, exec, s[2:3]
	s_cbranch_vccz .LBB85_20
; %bb.8:                                ;   in Loop: Header=BB85_6 Depth=1
	s_movk_i32 s2, 0x301
	v_cmp_gt_u32_e32 vcc, s2, v2
	s_mov_b64 s[22:23], 0
	s_mov_b64 s[2:3], 0
	s_cbranch_vccz .LBB85_21
; %bb.9:                                ;   in Loop: Header=BB85_6 Depth=1
	s_mov_b64 s[24:25], exec
	v_readlane_b32 s2, v47, 22
	v_readlane_b32 s3, v47, 23
	s_and_b64 s[2:3], s[24:25], s[2:3]
	s_mov_b64 exec, s[2:3]
	s_cbranch_execz .LBB85_82
; %bb.10:                               ;   in Loop: Header=BB85_6 Depth=1
	v_readlane_b32 s2, v47, 27
	v_readlane_b32 s3, v47, 28
	s_nop 4
	global_load_ushort v1, v9, s[2:3]
	global_load_dword v2, v[5:6], off
	v_readlane_b32 s2, v47, 20
	v_readlane_b32 s3, v47, 21
	s_load_dword s2, s[2:3], 0xe8
	s_mov_b64 s[26:27], 0
	v_mov_b32_e32 v4, v0
	s_waitcnt vmcnt(1)
	v_add_u32_e32 v3, v0, v1
	s_waitcnt lgkmcnt(0)
	v_mul_lo_u32 v8, s2, v3
	v_mul_lo_u32 v3, s2, v1
	s_branch .LBB85_12
.LBB85_11:                              ;   in Loop: Header=BB85_12 Depth=2
	s_or_b64 exec, exec, s[2:3]
	v_add_u32_e32 v8, v8, v3
	v_mov_b32_e32 v2, v13
	s_andn2_b64 exec, exec, s[26:27]
	s_cbranch_execz .LBB85_82
.LBB85_12:                              ;   Parent Loop BB85_6 Depth=1
                                        ; =>  This Inner Loop Header: Depth=2
	v_add_u32_e32 v4, v4, v1
	v_cmp_gt_u32_e64 s[6:7], s60, v4
	v_cmp_le_u32_e32 vcc, s60, v4
	s_waitcnt lgkmcnt(0)
	v_mov_b32_e32 v35, 0
	v_mov_b32_e32 v13, 0
	s_and_saveexec_b64 s[2:3], s[6:7]
	s_cbranch_execz .LBB85_14
; %bb.13:                               ;   in Loop: Header=BB85_12 Depth=2
	v_lshlrev_b64 v[36:37], 2, v[8:9]
	v_add_co_u32_e64 v36, s[6:7], s33, v36
	v_addc_co_u32_e64 v37, s[6:7], v20, v37, s[6:7]
	global_load_dword v13, v[36:37], off
.LBB85_14:                              ;   in Loop: Header=BB85_12 Depth=2
	s_or_b64 exec, exec, s[2:3]
	s_waitcnt vmcnt(0)
	v_cmp_lt_i32_e64 s[6:7], -1, v2
	v_cndmask_b32_e64 v36, -1, v32, s[6:7]
	v_xor_b32_e32 v36, v36, v2
	v_cmp_o_f32_e64 s[6:7], v2, v2
	v_cndmask_b32_e64 v36, -1, v36, s[6:7]
	v_and_b32_e32 v36, v36, v33
	v_cmp_eq_u32_e64 s[18:19], v36, v24
	s_cmp_lg_u64 s[18:19], 0
	s_cselect_b64 s[2:3], -1, 0
	s_and_b64 s[6:7], s[0:1], s[2:3]
	s_and_saveexec_b64 s[2:3], s[6:7]
	s_cbranch_execz .LBB85_18
; %bb.15:                               ;   in Loop: Header=BB85_12 Depth=2
	s_mov_b64 s[30:31], exec
	v_mbcnt_lo_u32_b32 v35, s30, 0
	v_mbcnt_hi_u32_b32 v35, s31, v35
	s_bcnt1_i32_b64 s10, s[18:19]
	v_cmp_eq_u32_e64 s[6:7], 0, v35
                                        ; implicit-def: $vgpr36
	s_and_saveexec_b64 s[28:29], s[6:7]
; %bb.16:                               ;   in Loop: Header=BB85_12 Depth=2
	s_bcnt1_i32_b64 s6, s[30:31]
	s_mul_i32 s6, s10, s6
	v_mov_b32_e32 v36, s6
	ds_add_rtn_u32 v36, v9, v36 offset:4104
; %bb.17:                               ;   in Loop: Header=BB85_12 Depth=2
	s_or_b64 exec, exec, s[28:29]
	s_waitcnt lgkmcnt(0)
	v_readfirstlane_b32 s6, v36
	v_mov_b32_e32 v36, s6
	v_mad_u32_u24 v35, s10, v35, v36
.LBB85_18:                              ;   in Loop: Header=BB85_12 Depth=2
	s_or_b64 exec, exec, s[2:3]
	ds_bpermute_b32 v35, v15, v35
	s_and_b64 s[2:3], exec, vcc
	s_or_b64 s[26:27], s[2:3], s[26:27]
	s_and_saveexec_b64 s[2:3], s[18:19]
	s_cbranch_execz .LBB85_11
; %bb.19:                               ;   in Loop: Header=BB85_12 Depth=2
	v_and_b32_e32 v37, s18, v17
	v_and_b32_e32 v36, s19, v16
	v_bcnt_u32_b32 v37, v37, 0
	v_bcnt_u32_b32 v36, v36, v37
	v_lshlrev_b32_e32 v36, 2, v36
	s_waitcnt lgkmcnt(0)
	v_lshl_add_u32 v35, v35, 2, v36
	ds_write_b32 v35, v2
	s_branch .LBB85_11
.LBB85_20:                              ;   in Loop: Header=BB85_6 Depth=1
	s_mov_b64 s[22:23], -1
	s_mov_b64 s[2:3], 0
.LBB85_21:                              ;   in Loop: Header=BB85_6 Depth=1
	s_and_b64 vcc, exec, s[22:23]
	s_cbranch_vccz .LBB85_31
.LBB85_22:                              ;   in Loop: Header=BB85_6 Depth=1
	s_mov_b64 s[2:3], exec
	v_readlane_b32 s6, v47, 22
	v_readlane_b32 s7, v47, 23
	s_and_b64 s[6:7], s[2:3], s[6:7]
	s_mov_b64 exec, s[6:7]
	s_cbranch_execz .LBB85_28
; %bb.23:                               ;   in Loop: Header=BB85_6 Depth=1
	v_readlane_b32 s6, v47, 27
	v_readlane_b32 s7, v47, 28
	s_nop 4
	global_load_ushort v1, v9, s[6:7]
	global_load_dword v2, v[5:6], off
	v_mov_b32_e32 v3, v0
	s_waitcnt vmcnt(1)
	v_add_u32_e32 v8, v0, v1
	v_cmp_gt_u32_e32 vcc, s60, v8
	s_and_saveexec_b64 s[6:7], vcc
	s_cbranch_execz .LBB85_27
; %bb.24:                               ;   in Loop: Header=BB85_6 Depth=1
	v_readlane_b32 s10, v47, 20
	v_readlane_b32 s11, v47, 21
	s_load_dword s10, s[10:11], 0xe8
	v_lshlrev_b32_e32 v4, 2, v1
	s_mov_b64 s[18:19], 0
	v_mov_b32_e32 v35, v18
	v_mov_b32_e32 v3, v0
	s_waitcnt lgkmcnt(0)
	v_mul_lo_u32 v8, s10, v8
	v_mul_lo_u32 v13, s10, v1
.LBB85_25:                              ;   Parent Loop BB85_6 Depth=1
                                        ; =>  This Inner Loop Header: Depth=2
	v_lshlrev_b64 v[36:37], 2, v[8:9]
	v_mov_b32_e32 v38, s72
	v_add_co_u32_e32 v36, vcc, s33, v36
	v_addc_co_u32_e32 v37, vcc, v38, v37, vcc
	global_load_dword v36, v[36:37], off
	v_add_u32_e32 v3, v3, v1
	s_waitcnt vmcnt(1)
	ds_write_b32 v35, v2
	v_add_u32_e32 v2, v1, v3
	v_cmp_le_u32_e32 vcc, s60, v2
	v_add_u32_e32 v35, v35, v4
	v_add_u32_e32 v8, v8, v13
	s_or_b64 s[18:19], vcc, s[18:19]
	s_waitcnt vmcnt(0)
	v_mov_b32_e32 v2, v36
	s_andn2_b64 exec, exec, s[18:19]
	s_cbranch_execnz .LBB85_25
; %bb.26:                               ;   in Loop: Header=BB85_6 Depth=1
	s_or_b64 exec, exec, s[18:19]
	v_mov_b32_e32 v2, v36
.LBB85_27:                              ;   in Loop: Header=BB85_6 Depth=1
	s_or_b64 exec, exec, s[6:7]
	v_lshlrev_b32_e32 v1, 2, v3
	s_waitcnt vmcnt(0)
	ds_write_b32 v1, v2
.LBB85_28:                              ;   in Loop: Header=BB85_6 Depth=1
	s_or_b64 exec, exec, s[2:3]
	s_waitcnt lgkmcnt(0)
	s_barrier
	s_mov_b64 s[2:3], exec
	v_readlane_b32 s6, v47, 13
	v_readlane_b32 s7, v47, 14
	s_and_b64 s[6:7], s[2:3], s[6:7]
	s_mov_b64 exec, s[6:7]
; %bb.29:                               ;   in Loop: Header=BB85_6 Depth=1
	v_mov_b32_e32 v1, s60
	ds_write_b32 v9, v1 offset:4096
; %bb.30:                               ;   in Loop: Header=BB85_6 Depth=1
	s_or_b64 exec, exec, s[2:3]
	s_mov_b64 s[2:3], -1
	s_waitcnt lgkmcnt(0)
	s_barrier
.LBB85_31:                              ;   in Loop: Header=BB85_6 Depth=1
	s_mov_b32 s10, 0
	s_and_b64 vcc, exec, s[2:3]
	s_cbranch_vccz .LBB85_33
; %bb.32:                               ;   in Loop: Header=BB85_6 Depth=1
	ds_read_b32 v1, v9 offset:4096
	s_waitcnt lgkmcnt(0)
	v_readfirstlane_b32 s10, v1
.LBB85_33:                              ;   in Loop: Header=BB85_6 Depth=1
	s_cmp_lt_i32 s10, 1
	s_mov_b64 s[2:3], -1
                                        ; implicit-def: $vgpr1
	s_cbranch_scc1 .LBB85_43
; %bb.34:                               ;   in Loop: Header=BB85_6 Depth=1
	s_and_b64 vcc, exec, s[2:3]
	s_cbranch_vccnz .LBB85_54
.LBB85_35:                              ;   in Loop: Header=BB85_6 Depth=1
	s_lshl_b32 s10, s73, 6
	s_and_saveexec_b64 s[2:3], s[0:1]
.LBB85_36:                              ;   in Loop: Header=BB85_6 Depth=1
	v_lshl_add_u32 v8, s10, 2, v22
	ds_write_b128 v8, v[1:4]
.LBB85_37:                              ;   in Loop: Header=BB85_6 Depth=1
	s_or_b64 exec, exec, s[2:3]
	s_waitcnt lgkmcnt(0)
	s_barrier
	s_and_saveexec_b64 s[6:7], s[74:75]
	s_cbranch_execz .LBB85_68
; %bb.38:                               ;   in Loop: Header=BB85_6 Depth=1
	v_readlane_b32 s2, v47, 24
	v_readlane_b32 s3, v47, 25
	s_andn2_b64 vcc, exec, s[2:3]
	v_mov_b32_e32 v1, 0
	s_cbranch_vccnz .LBB85_67
; %bb.39:                               ;   in Loop: Header=BB85_6 Depth=1
	v_readlane_b32 s2, v47, 29
	v_readlane_b32 s3, v47, 30
	s_andn2_b64 vcc, exec, s[2:3]
	s_cbranch_vccnz .LBB85_63
; %bb.40:                               ;   in Loop: Header=BB85_6 Depth=1
	v_lshl_add_u32 v2, s73, 8, v31
	s_mov_b32 s2, 0
	v_mov_b32_e32 v1, 0
.LBB85_41:                              ;   Parent Loop BB85_6 Depth=1
                                        ; =>  This Inner Loop Header: Depth=2
	ds_read2_b32 v[3:4], v2 offset1:4
	ds_read2_b32 v[35:36], v2 offset0:8 offset1:12
	ds_read2_b32 v[37:38], v2 offset0:16 offset1:20
	;; [unrolled: 1-line block ×3, first 2 shown]
	s_add_i32 s2, s2, 8
	s_waitcnt lgkmcnt(3)
	v_add3_u32 v1, v3, v1, v4
	s_waitcnt lgkmcnt(2)
	v_add3_u32 v1, v35, v1, v36
	;; [unrolled: 2-line block ×3, first 2 shown]
	v_add_u32_e32 v2, 0x80, v2
	s_cmp_eq_u32 s17, s2
	s_waitcnt lgkmcnt(0)
	v_add3_u32 v1, v39, v1, v40
	s_cbranch_scc0 .LBB85_41
; %bb.42:                               ;   in Loop: Header=BB85_6 Depth=1
	s_mov_b32 s2, s17
	s_branch .LBB85_64
.LBB85_43:                              ;   in Loop: Header=BB85_6 Depth=1
	v_mov_b32_e32 v1, 0
	v_mov_b32_e32 v2, 0
	;; [unrolled: 1-line block ×4, first 2 shown]
	s_mov_b64 s[48:49], exec
	v_readlane_b32 s2, v47, 35
	v_readlane_b32 s3, v47, 36
	s_and_b64 s[2:3], s[48:49], s[2:3]
	s_mov_b64 exec, s[2:3]
	s_cbranch_execz .LBB85_47
; %bb.44:                               ;   in Loop: Header=BB85_6 Depth=1
	s_mov_b32 s2, 0
	s_mov_b64 s[50:51], 0
	s_mov_b32 s3, 0
	s_mov_b32 s11, 0
	;; [unrolled: 1-line block ×4, first 2 shown]
	v_mov_b32_e32 v13, v18
.LBB85_45:                              ;   Parent Loop BB85_6 Depth=1
                                        ; =>  This Inner Loop Header: Depth=2
	v_add_u32_e32 v8, s2, v28
	v_lshlrev_b64 v[2:3], 2, v[8:9]
	v_add_u32_e32 v8, s2, v25
	v_mov_b32_e32 v1, s72
	v_lshlrev_b64 v[35:36], 2, v[8:9]
	v_add_co_u32_e64 v2, s[6:7], s33, v2
	v_add_u32_e32 v8, s2, v26
	v_addc_co_u32_e64 v3, s[6:7], v1, v3, s[6:7]
	v_lshlrev_b64 v[37:38], 2, v[8:9]
	global_load_dword v4, v[2:3], off
	v_add_co_u32_e64 v2, s[6:7], s33, v35
	v_add_u32_e32 v8, s2, v27
	v_addc_co_u32_e64 v3, s[6:7], v1, v36, s[6:7]
	v_lshlrev_b64 v[39:40], 2, v[8:9]
	global_load_dword v8, v[2:3], off
	v_add_co_u32_e64 v2, s[6:7], s33, v37
	v_addc_co_u32_e64 v3, s[6:7], v1, v38, s[6:7]
	global_load_dword v35, v[2:3], off
	v_add_co_u32_e64 v2, s[6:7], s33, v39
	v_addc_co_u32_e64 v3, s[6:7], v1, v40, s[6:7]
	global_load_dword v1, v[2:3], off
	v_add_u32_e32 v13, s77, v13
	v_cmp_le_u32_e32 vcc, s16, v13
	s_add_i32 s2, s2, s79
	s_waitcnt vmcnt(3)
	v_cmp_lt_i32_e64 s[6:7], -1, v4
	v_cndmask_b32_e64 v2, -1, v32, s[6:7]
	v_xor_b32_e32 v2, v2, v4
	s_waitcnt vmcnt(2)
	v_cmp_lt_i32_e64 s[6:7], -1, v8
	v_cndmask_b32_e64 v3, -1, v32, s[6:7]
	v_cmp_o_f32_e64 s[6:7], v4, v4
	v_cndmask_b32_e64 v2, -1, v2, s[6:7]
	v_xor_b32_e32 v3, v3, v8
	s_waitcnt vmcnt(1)
	v_cmp_lt_i32_e64 s[6:7], -1, v35
	v_cndmask_b32_e64 v4, -1, v32, s[6:7]
	v_cmp_o_f32_e64 s[6:7], v8, v8
	v_cndmask_b32_e64 v3, -1, v3, s[6:7]
	v_xor_b32_e32 v4, v4, v35
	s_waitcnt vmcnt(0)
	v_cmp_lt_i32_e64 s[6:7], -1, v1
	v_cndmask_b32_e64 v8, -1, v32, s[6:7]
	v_and_b32_e32 v36, v2, v33
	v_bfe_u32 v2, v2, s13, 2
	v_cmp_o_f32_e64 s[6:7], v35, v35
	v_cndmask_b32_e64 v4, -1, v4, s[6:7]
	v_cmp_eq_u32_e64 s[6:7], v36, v24
	v_cmp_eq_u32_e64 s[18:19], 0, v2
	v_and_b32_e32 v35, v3, v33
	v_bfe_u32 v3, v3, s13, 2
	v_cmp_eq_u32_e64 s[22:23], 1, v2
	s_and_b64 s[18:19], s[6:7], s[18:19]
	v_xor_b32_e32 v8, v8, v1
	v_cmp_eq_u32_e64 s[24:25], 2, v2
	v_cmp_eq_u32_e64 s[26:27], 3, v2
	v_cmp_o_f32_e64 s[28:29], v1, v1
	v_cmp_eq_u32_e64 s[30:31], 0, v3
	v_cmp_eq_u32_e64 s[34:35], 1, v3
	;; [unrolled: 1-line block ×4, first 2 shown]
	v_cndmask_b32_e64 v3, 0, 1, s[18:19]
	s_and_b64 s[18:19], s[6:7], s[22:23]
	v_cndmask_b32_e64 v1, -1, v8, s[28:29]
	v_cmp_eq_u32_e64 s[28:29], v35, v24
	v_and_b32_e32 v2, v4, v33
	v_bfe_u32 v4, v4, s13, 2
	v_cndmask_b32_e64 v8, 0, 1, s[18:19]
	s_and_b64 s[18:19], s[6:7], s[24:25]
	s_and_b64 s[6:7], s[6:7], s[26:27]
	v_cndmask_b32_e64 v35, 0, 1, s[18:19]
	v_cndmask_b32_e64 v36, 0, 1, s[6:7]
	v_cmp_eq_u32_e64 s[6:7], v2, v24
	v_and_b32_e32 v2, v1, v33
	v_bfe_u32 v1, v1, s13, 2
	v_cmp_eq_u32_e64 s[18:19], 0, v4
	s_and_b64 s[30:31], s[28:29], s[30:31]
	s_and_b64 s[34:35], s[28:29], s[34:35]
	;; [unrolled: 1-line block ×4, first 2 shown]
	v_cmp_eq_u32_e64 s[22:23], 1, v4
	v_cmp_eq_u32_e64 s[24:25], 2, v4
	;; [unrolled: 1-line block ×3, first 2 shown]
	v_cndmask_b32_e64 v4, 0, 1, s[34:35]
	v_cmp_ne_u32_e64 s[34:35], 0, v35
	v_cndmask_b32_e64 v35, 0, 1, s[28:29]
	v_cmp_eq_u32_e64 s[28:29], v2, v24
	v_cmp_eq_u32_e64 s[38:39], 0, v1
	s_and_b64 s[18:19], s[6:7], s[18:19]
	v_cmp_ne_u32_e64 s[40:41], 0, v3
	v_cndmask_b32_e64 v3, 0, 1, s[30:31]
	v_cmp_ne_u32_e64 s[30:31], 0, v8
	v_cmp_eq_u32_e64 s[42:43], 1, v1
	v_cmp_eq_u32_e64 s[44:45], 2, v1
	;; [unrolled: 1-line block ×3, first 2 shown]
	v_cndmask_b32_e64 v1, 0, 1, s[18:19]
	s_and_b64 s[22:23], s[6:7], s[22:23]
	s_and_b64 s[24:25], s[6:7], s[24:25]
	;; [unrolled: 1-line block ×4, first 2 shown]
	v_cndmask_b32_e64 v8, 0, 1, s[36:37]
	v_cmp_ne_u32_e64 s[36:37], 0, v36
	s_bcnt1_i32_b64 s52, s[40:41]
	s_bcnt1_i32_b64 s30, s[30:31]
	v_cmp_ne_u32_e64 s[18:19], 0, v4
	v_cndmask_b32_e64 v2, 0, 1, s[22:23]
	v_cndmask_b32_e64 v4, 0, 1, s[6:7]
	v_cmp_ne_u32_e64 s[6:7], 0, v1
	v_cndmask_b32_e64 v1, 0, 1, s[26:27]
	s_and_b64 s[26:27], s[28:29], s[42:43]
	v_cmp_ne_u32_e64 s[40:41], 0, v3
	s_bcnt1_i32_b64 s31, s[34:35]
	v_cmp_ne_u32_e64 s[22:23], 0, v8
	v_cndmask_b32_e64 v3, 0, 1, s[24:25]
	s_bcnt1_i32_b64 s34, s[36:37]
	s_add_i32 s36, s15, s52
	s_bcnt1_i32_b64 s37, s[18:19]
	v_cmp_ne_u32_e64 s[18:19], 0, v2
	v_cndmask_b32_e64 v2, 0, 1, s[26:27]
	s_add_i32 s26, s14, s30
	s_and_b64 s[14:15], s[28:29], s[44:45]
	v_cmp_ne_u32_e64 s[24:25], 0, v35
	s_bcnt1_i32_b64 s27, s[22:23]
	v_cmp_ne_u32_e64 s[22:23], 0, v3
	v_cndmask_b32_e64 v3, 0, 1, s[14:15]
	s_and_b64 s[14:15], s[28:29], s[46:47]
	s_bcnt1_i32_b64 s35, s[40:41]
	s_add_i32 s11, s11, s31
	s_bcnt1_i32_b64 s30, s[24:25]
	v_cmp_ne_u32_e64 s[24:25], 0, v4
	v_cndmask_b32_e64 v4, 0, 1, s[14:15]
	s_add_i32 s3, s3, s34
	s_bcnt1_i32_b64 s14, s[6:7]
	v_cmp_ne_u32_e64 s[6:7], 0, v1
	s_add_i32 s15, s36, s35
	s_bcnt1_i32_b64 s28, s[18:19]
	v_cmp_ne_u32_e64 s[18:19], 0, v2
	;; [unrolled: 3-line block ×4, first 2 shown]
	s_add_i32 s3, s3, s30
	s_bcnt1_i32_b64 s6, s[6:7]
	s_add_i32 s7, s15, s14
	s_bcnt1_i32_b64 s14, s[18:19]
	;; [unrolled: 2-line block ×4, first 2 shown]
	s_add_i32 s3, s3, s27
	s_add_i32 s15, s7, s6
	s_add_i32 s14, s18, s14
	s_add_i32 s11, s11, s19
	s_add_i32 s3, s3, s22
	s_or_b64 s[50:51], vcc, s[50:51]
	v_mov_b32_e32 v1, s15
	v_mov_b32_e32 v2, s14
	;; [unrolled: 1-line block ×4, first 2 shown]
	s_andn2_b64 exec, exec, s[50:51]
	s_cbranch_execnz .LBB85_45
; %bb.46:                               ;   in Loop: Header=BB85_6 Depth=1
	s_or_b64 exec, exec, s[50:51]
.LBB85_47:                              ;   in Loop: Header=BB85_6 Depth=1
	s_or_b64 exec, exec, s[48:49]
	s_mov_b64 s[18:19], exec
	v_readlane_b32 s2, v47, 37
	v_readlane_b32 s3, v47, 38
	s_and_b64 s[2:3], s[18:19], s[2:3]
	s_mov_b64 exec, s[2:3]
	s_cbranch_execz .LBB85_53
; %bb.48:                               ;   in Loop: Header=BB85_6 Depth=1
	global_load_dword v35, v[10:11], off
	s_mov_b64 s[22:23], 0
	v_mov_b32_e32 v8, v29
	v_mov_b32_e32 v13, v23
	s_branch .LBB85_50
.LBB85_49:                              ;   in Loop: Header=BB85_50 Depth=2
	s_or_b64 exec, exec, s[2:3]
	s_and_b64 s[2:3], exec, vcc
	s_waitcnt vmcnt(0)
	v_cmp_lt_i32_e32 vcc, -1, v35
	v_cndmask_b32_e32 v37, -1, v32, vcc
	v_xor_b32_e32 v37, v37, v35
	v_cmp_o_f32_e32 vcc, v35, v35
	v_cndmask_b32_e32 v35, -1, v37, vcc
	v_and_b32_e32 v37, v35, v33
	v_bfe_u32 v35, v35, s13, 2
	s_or_b64 s[22:23], s[2:3], s[22:23]
	v_cmp_eq_u32_e32 vcc, v37, v24
	v_cmp_eq_u32_e64 s[6:7], 0, v35
	s_and_b64 s[2:3], vcc, s[6:7]
	v_cndmask_b32_e64 v37, 0, 1, s[2:3]
	v_cmp_ne_u32_e64 s[6:7], 0, v37
	s_bcnt1_i32_b64 s2, s[6:7]
	v_cmp_eq_u32_e64 s[6:7], 1, v35
	v_add_u32_e32 v1, s2, v1
	s_and_b64 s[2:3], vcc, s[6:7]
	v_cndmask_b32_e64 v37, 0, 1, s[2:3]
	v_cmp_ne_u32_e64 s[6:7], 0, v37
	s_bcnt1_i32_b64 s2, s[6:7]
	v_cmp_eq_u32_e64 s[6:7], 2, v35
	v_add_u32_e32 v2, s2, v2
	;; [unrolled: 6-line block ×3, first 2 shown]
	s_and_b64 s[2:3], vcc, s[6:7]
	v_cndmask_b32_e64 v35, 0, 1, s[2:3]
	v_cmp_ne_u32_e32 vcc, 0, v35
	s_bcnt1_i32_b64 s2, vcc
	v_add_u32_e32 v4, s2, v4
	v_add_u32_e32 v8, s9, v8
	v_mov_b32_e32 v35, v36
	s_andn2_b64 exec, exec, s[22:23]
	s_cbranch_execz .LBB85_52
.LBB85_50:                              ;   Parent Loop BB85_6 Depth=1
                                        ; =>  This Inner Loop Header: Depth=2
	v_add_u32_e32 v13, s8, v13
	v_cmp_gt_u32_e64 s[6:7], s60, v13
	v_cmp_le_u32_e32 vcc, s60, v13
	v_mov_b32_e32 v36, 0
	s_and_saveexec_b64 s[2:3], s[6:7]
	s_cbranch_execz .LBB85_49
; %bb.51:                               ;   in Loop: Header=BB85_50 Depth=2
	v_lshlrev_b64 v[36:37], 2, v[8:9]
	v_mov_b32_e32 v38, s72
	v_add_co_u32_e64 v36, s[6:7], s33, v36
	v_addc_co_u32_e64 v37, s[6:7], v38, v37, s[6:7]
	global_load_dword v36, v[36:37], off
	s_branch .LBB85_49
.LBB85_52:                              ;   in Loop: Header=BB85_6 Depth=1
	s_or_b64 exec, exec, s[22:23]
.LBB85_53:                              ;   in Loop: Header=BB85_6 Depth=1
	s_or_b64 exec, exec, s[18:19]
	s_branch .LBB85_35
.LBB85_54:                              ;   in Loop: Header=BB85_6 Depth=1
	v_readlane_b32 s2, v47, 34
	s_mul_hi_u32 s2, s10, s2
	s_mul_i32 s2, s2, s77
	s_sub_i32 s2, s10, s2
	s_sub_i32 s3, s2, s77
	s_cmp_ge_u32 s2, s77
	s_cselect_b32 s2, s3, s2
	s_sub_i32 s3, s2, s77
	s_cmp_ge_u32 s2, s77
	s_cselect_b32 s2, s3, s2
	s_sub_i32 s2, s10, s2
	v_cmp_gt_u32_e32 vcc, s2, v18
	v_mov_b32_e32 v1, 0
	v_mov_b32_e32 v2, 0
	;; [unrolled: 1-line block ×4, first 2 shown]
	s_and_saveexec_b64 s[82:83], vcc
	s_cbranch_execz .LBB85_58
; %bb.55:                               ;   in Loop: Header=BB85_6 Depth=1
	s_mov_b32 s3, 0
	s_mov_b64 s[84:85], 0
	v_mov_b32_e32 v8, v30
	s_mov_b32 s11, 0
	s_mov_b32 s14, 0
	;; [unrolled: 1-line block ×3, first 2 shown]
	v_mov_b32_e32 v13, v18
.LBB85_56:                              ;   Parent Loop BB85_6 Depth=1
                                        ; =>  This Inner Loop Header: Depth=2
	ds_read_b128 v[1:4], v8
	v_add_u32_e32 v13, s77, v13
	v_cmp_le_u32_e32 vcc, s2, v13
	v_add_u32_e32 v8, s12, v8
	s_waitcnt lgkmcnt(0)
	v_cmp_lt_i32_e64 s[6:7], -1, v1
	v_cndmask_b32_e64 v35, -1, v32, s[6:7]
	v_cmp_lt_i32_e64 s[6:7], -1, v2
	v_cndmask_b32_e64 v36, -1, v32, s[6:7]
	;; [unrolled: 2-line block ×4, first 2 shown]
	v_xor_b32_e32 v36, v36, v2
	v_cmp_o_f32_e64 s[6:7], v2, v2
	v_xor_b32_e32 v2, v37, v3
	v_cmp_o_f32_e64 s[18:19], v3, v3
	;; [unrolled: 2-line block ×4, first 2 shown]
	v_cndmask_b32_e64 v1, -1, v4, s[24:25]
	v_cndmask_b32_e64 v4, -1, v36, s[6:7]
	v_and_b32_e32 v35, v1, v33
	v_bfe_u32 v1, v1, s13, 2
	v_cndmask_b32_e64 v2, -1, v2, s[18:19]
	v_and_b32_e32 v36, v4, v33
	v_bfe_u32 v4, v4, s13, 2
	v_cmp_eq_u32_e64 s[6:7], v35, v24
	v_cmp_eq_u32_e64 s[26:27], 0, v1
	v_cndmask_b32_e64 v3, -1, v3, s[22:23]
	v_and_b32_e32 v37, v2, v33
	v_bfe_u32 v2, v2, s13, 2
	v_cmp_eq_u32_e64 s[18:19], v36, v24
	v_cmp_eq_u32_e64 s[28:29], 0, v4
	s_and_b64 s[26:27], s[6:7], s[26:27]
	v_and_b32_e32 v38, v3, v33
	v_bfe_u32 v3, v3, s13, 2
	v_cmp_eq_u32_e64 s[22:23], v37, v24
	v_cmp_eq_u32_e64 s[30:31], 0, v2
	;; [unrolled: 1-line block ×5, first 2 shown]
	v_cndmask_b32_e64 v1, 0, 1, s[26:27]
	s_and_b64 s[26:27], s[18:19], s[28:29]
	v_cmp_eq_u32_e64 s[24:25], v38, v24
	v_cmp_eq_u32_e64 s[34:35], 0, v3
	;; [unrolled: 1-line block ×5, first 2 shown]
	v_cndmask_b32_e64 v2, 0, 1, s[26:27]
	s_and_b64 s[26:27], s[22:23], s[30:31]
	v_cmp_eq_u32_e64 s[42:43], 1, v3
	v_cmp_eq_u32_e64 s[50:51], 2, v3
	;; [unrolled: 1-line block ×3, first 2 shown]
	v_cndmask_b32_e64 v3, 0, 1, s[26:27]
	s_and_b64 s[26:27], s[24:25], s[34:35]
	v_cmp_eq_u32_e64 s[38:39], 1, v4
	v_cmp_eq_u32_e64 s[46:47], 2, v4
	;; [unrolled: 1-line block ×3, first 2 shown]
	v_cndmask_b32_e64 v4, 0, 1, s[26:27]
	s_and_b64 s[26:27], s[6:7], s[36:37]
	v_cndmask_b32_e64 v35, 0, 1, s[26:27]
	s_and_b64 s[26:27], s[18:19], s[38:39]
	;; [unrolled: 2-line block ×5, first 2 shown]
	s_and_b64 s[6:7], s[6:7], s[52:53]
	v_cndmask_b32_e64 v39, 0, 1, s[26:27]
	s_and_b64 s[26:27], s[18:19], s[46:47]
	v_cndmask_b32_e64 v43, 0, 1, s[6:7]
	;; [unrolled: 2-line block ×7, first 2 shown]
	v_cndmask_b32_e64 v46, 0, 1, s[6:7]
	v_cmp_ne_u32_e64 s[6:7], 0, v1
	v_cmp_ne_u32_e64 s[18:19], 0, v2
	v_cmp_ne_u32_e64 s[22:23], 0, v3
	v_cmp_ne_u32_e64 s[24:25], 0, v4
	v_cmp_ne_u32_e64 s[26:27], 0, v35
	v_cmp_ne_u32_e64 s[30:31], 0, v37
	v_cmp_ne_u32_e64 s[36:37], 0, v39
	v_cmp_ne_u32_e64 s[44:45], 0, v43
	v_cmp_ne_u32_e64 s[28:29], 0, v36
	v_cmp_ne_u32_e64 s[38:39], 0, v40
	v_cmp_ne_u32_e64 s[46:47], 0, v44
	s_bcnt1_i32_b64 s6, s[6:7]
	s_bcnt1_i32_b64 s7, s[18:19]
	s_bcnt1_i32_b64 s18, s[22:23]
	s_bcnt1_i32_b64 s19, s[24:25]
	s_bcnt1_i32_b64 s22, s[26:27]
	s_bcnt1_i32_b64 s24, s[30:31]
	s_bcnt1_i32_b64 s26, s[36:37]
	s_bcnt1_i32_b64 s30, s[44:45]
	v_cmp_ne_u32_e64 s[34:35], 0, v38
	v_cmp_ne_u32_e64 s[40:41], 0, v41
	;; [unrolled: 1-line block ×3, first 2 shown]
	s_bcnt1_i32_b64 s23, s[28:29]
	s_bcnt1_i32_b64 s27, s[38:39]
	;; [unrolled: 1-line block ×3, first 2 shown]
	s_add_i32 s6, s15, s6
	s_add_i32 s14, s14, s22
	;; [unrolled: 1-line block ×4, first 2 shown]
	v_cmp_ne_u32_e64 s[42:43], 0, v42
	v_cmp_ne_u32_e64 s[50:51], 0, v46
	s_bcnt1_i32_b64 s25, s[34:35]
	s_bcnt1_i32_b64 s28, s[40:41]
	;; [unrolled: 1-line block ×3, first 2 shown]
	s_add_i32 s6, s6, s7
	s_add_i32 s7, s14, s23
	;; [unrolled: 1-line block ×4, first 2 shown]
	s_bcnt1_i32_b64 s29, s[42:43]
	s_bcnt1_i32_b64 s35, s[50:51]
	s_add_i32 s6, s6, s18
	s_add_i32 s7, s7, s24
	;; [unrolled: 1-line block ×8, first 2 shown]
	s_or_b64 s[84:85], vcc, s[84:85]
	v_mov_b32_e32 v1, s15
	v_mov_b32_e32 v2, s14
	;; [unrolled: 1-line block ×4, first 2 shown]
	s_andn2_b64 exec, exec, s[84:85]
	s_cbranch_execnz .LBB85_56
; %bb.57:                               ;   in Loop: Header=BB85_6 Depth=1
	s_or_b64 exec, exec, s[84:85]
.LBB85_58:                              ;   in Loop: Header=BB85_6 Depth=1
	s_or_b64 exec, exec, s[82:83]
	v_add_u32_e32 v8, s2, v0
	v_cmp_gt_u32_e32 vcc, s10, v8
	s_and_saveexec_b64 s[28:29], vcc
	s_cbranch_execz .LBB85_62
; %bb.59:                               ;   in Loop: Header=BB85_6 Depth=1
	v_lshlrev_b32_e32 v13, 2, v8
	s_mov_b64 s[30:31], 0
.LBB85_60:                              ;   Parent Loop BB85_6 Depth=1
                                        ; =>  This Inner Loop Header: Depth=2
	ds_read_b32 v35, v13
	v_add_u32_e32 v8, s8, v8
	v_cmp_le_u32_e32 vcc, s10, v8
	v_add_u32_e32 v13, s77, v13
	s_waitcnt lgkmcnt(0)
	v_cmp_lt_i32_e64 s[6:7], -1, v35
	v_cndmask_b32_e64 v36, -1, v32, s[6:7]
	v_xor_b32_e32 v36, v36, v35
	v_cmp_o_f32_e64 s[6:7], v35, v35
	v_cndmask_b32_e64 v35, -1, v36, s[6:7]
	v_and_b32_e32 v36, v35, v33
	v_bfe_u32 v35, v35, s13, 2
	v_cmp_eq_u32_e64 s[6:7], v36, v24
	v_cmp_eq_u32_e64 s[18:19], 0, v35
	;; [unrolled: 1-line block ×3, first 2 shown]
	s_and_b64 s[2:3], s[6:7], s[18:19]
	v_cmp_eq_u32_e64 s[24:25], 2, v35
	v_cmp_eq_u32_e64 s[26:27], 3, v35
	v_cndmask_b32_e64 v35, 0, 1, s[2:3]
	s_and_b64 s[2:3], s[6:7], s[22:23]
	v_cndmask_b32_e64 v36, 0, 1, s[2:3]
	s_and_b64 s[2:3], s[6:7], s[24:25]
	;; [unrolled: 2-line block ×3, first 2 shown]
	v_cndmask_b32_e64 v38, 0, 1, s[2:3]
	v_cmp_ne_u32_e64 s[6:7], 0, v35
	v_cmp_ne_u32_e64 s[18:19], 0, v36
	;; [unrolled: 1-line block ×4, first 2 shown]
	s_bcnt1_i32_b64 s2, s[6:7]
	s_bcnt1_i32_b64 s3, s[18:19]
	;; [unrolled: 1-line block ×4, first 2 shown]
	v_add_u32_e32 v1, s2, v1
	v_add_u32_e32 v2, s3, v2
	;; [unrolled: 1-line block ×3, first 2 shown]
	s_or_b64 s[30:31], vcc, s[30:31]
	v_add_u32_e32 v4, s7, v4
	s_andn2_b64 exec, exec, s[30:31]
	s_cbranch_execnz .LBB85_60
; %bb.61:                               ;   in Loop: Header=BB85_6 Depth=1
	s_or_b64 exec, exec, s[30:31]
.LBB85_62:                              ;   in Loop: Header=BB85_6 Depth=1
	s_or_b64 exec, exec, s[28:29]
	s_lshl_b32 s10, s73, 6
	s_and_saveexec_b64 s[2:3], s[0:1]
	s_cbranch_execnz .LBB85_36
	s_branch .LBB85_37
.LBB85_63:                              ;   in Loop: Header=BB85_6 Depth=1
	v_mov_b32_e32 v1, 0
	s_mov_b32 s2, 0
.LBB85_64:                              ;   in Loop: Header=BB85_6 Depth=1
	v_readlane_b32 s14, v47, 32
	v_readlane_b32 s15, v47, 33
	s_andn2_b64 vcc, exec, s[14:15]
	s_cbranch_vccnz .LBB85_67
; %bb.65:                               ;   in Loop: Header=BB85_6 Depth=1
	s_lshl_b32 s3, s73, 8
	s_lshl_b32 s2, s2, 4
	s_add_i32 s3, s3, s2
	v_add_u32_e32 v2, s3, v31
	v_readlane_b32 s2, v47, 31
.LBB85_66:                              ;   Parent Loop BB85_6 Depth=1
                                        ; =>  This Inner Loop Header: Depth=2
	ds_read_b32 v3, v2
	s_add_i32 s2, s2, -1
	v_add_u32_e32 v2, 16, v2
	s_cmp_lg_u32 s2, 0
	s_waitcnt lgkmcnt(0)
	v_add_u32_e32 v1, v3, v1
	s_cbranch_scc1 .LBB85_66
.LBB85_67:                              ;   in Loop: Header=BB85_6 Depth=1
	v_add_lshl_u32 v2, s10, v19, 2
	ds_write_b32 v2, v1 offset:3072
.LBB85_68:                              ;   in Loop: Header=BB85_6 Depth=1
	s_or_b64 exec, exec, s[6:7]
	s_lshl_b32 s2, s10, 2
	v_mov_b32_e32 v1, s2
	s_waitcnt lgkmcnt(0)
	s_barrier
	ds_read_b128 v[1:4], v1 offset:3072
	s_lshl_b32 s15, 3, s13
	s_not_b32 s76, s15
	v_cmp_eq_u32_e64 s[18:19], 1, v34
	s_mov_b64 s[34:35], -1
	s_waitcnt lgkmcnt(0)
	v_readfirstlane_b32 s14, v1
	v_readfirstlane_b32 s84, v2
	;; [unrolled: 1-line block ×4, first 2 shown]
	s_mov_b64 s[22:23], 0
	s_andn2_b64 vcc, exec, s[62:63]
	s_mov_b64 s[26:27], 0
	s_mov_b64 s[24:25], 0
                                        ; implicit-def: $sgpr28_sgpr29
                                        ; implicit-def: $sgpr30_sgpr31
                                        ; implicit-def: $vgpr36
                                        ; implicit-def: $vgpr3
                                        ; implicit-def: $vgpr35
                                        ; implicit-def: $vgpr4
                                        ; implicit-def: $vgpr2
	s_cbranch_vccnz .LBB85_238
; %bb.69:                               ;   in Loop: Header=BB85_6 Depth=1
	s_cmp_eq_u32 s14, 1
	s_cselect_b64 s[2:3], -1, 0
	s_and_b64 s[6:7], s[2:3], s[18:19]
	s_mov_b64 s[2:3], -1
	v_mov_b32_e32 v35, v24
	v_mov_b32_e32 v4, v33
	;; [unrolled: 1-line block ×3, first 2 shown]
                                        ; implicit-def: $sgpr30_sgpr31
                                        ; implicit-def: $sgpr28_sgpr29
	s_and_saveexec_b64 s[24:25], s[6:7]
	s_cbranch_execz .LBB85_100
; %bb.70:                               ;   in Loop: Header=BB85_6 Depth=1
	ds_read_b32 v1, v9 offset:4096
	s_waitcnt lgkmcnt(0)
	s_barrier
	v_readfirstlane_b32 s11, v1
	s_and_saveexec_b64 s[2:3], s[4:5]
; %bb.71:                               ;   in Loop: Header=BB85_6 Depth=1
	ds_write_b32 v21, v9
; %bb.72:                               ;   in Loop: Header=BB85_6 Depth=1
	s_or_b64 exec, exec, s[2:3]
	v_and_b32_e32 v35, s76, v24
	v_or_b32_e32 v4, s15, v33
	s_mov_b64 s[28:29], -1
	s_mov_b64 s[30:31], 0
	s_cmp_eq_u32 s11, 0
	s_waitcnt lgkmcnt(0)
	s_barrier
                                        ; implicit-def: $vgpr2
	s_cbranch_scc1 .LBB85_87
; %bb.73:                               ;   in Loop: Header=BB85_6 Depth=1
	v_readlane_b32 s2, v47, 26
	s_add_i32 s2, s11, s2
	v_readlane_b32 s3, v47, 39
	s_mul_hi_u32 s3, s2, s3
	s_mul_i32 s3, s3, s8
	s_sub_i32 s3, s2, s3
	s_sub_i32 s26, s3, s8
	s_cmp_ge_u32 s3, s8
	s_cselect_b32 s3, s26, s3
	s_sub_i32 s26, s3, s8
	s_cmp_ge_u32 s3, s8
	s_cselect_b32 s3, s26, s3
	s_sub_i32 s42, s2, s3
	v_cmp_gt_u32_e32 vcc, s42, v0
	s_mov_b64 s[34:35], 0
	s_mov_b64 s[26:27], 0
                                        ; implicit-def: $vgpr2
	s_and_saveexec_b64 s[36:37], vcc
	s_cbranch_execz .LBB85_86
; %bb.74:                               ;   in Loop: Header=BB85_6 Depth=1
	v_mov_b32_e32 v3, v18
	v_mov_b32_e32 v8, v0
                                        ; implicit-def: $sgpr2_sgpr3
	s_branch .LBB85_78
.LBB85_75:                              ;   in Loop: Header=BB85_78 Depth=2
	s_or_b64 exec, exec, s[38:39]
	s_waitcnt lgkmcnt(0)
	s_barrier
	ds_read_b64 v[1:2], v9 offset:3072
	s_waitcnt lgkmcnt(0)
	s_barrier
	v_cmp_neq_f32_e32 vcc, 0, v1
	s_cbranch_vccnz .LBB85_81
; %bb.76:                               ;   in Loop: Header=BB85_78 Depth=2
	v_add_u32_e32 v8, s8, v8
	v_cmp_le_u32_e32 vcc, s42, v8
	v_add_u32_e32 v3, s77, v3
	s_mov_b64 s[38:39], 0
	s_orn2_b64 s[40:41], vcc, exec
.LBB85_77:                              ;   in Loop: Header=BB85_78 Depth=2
	s_and_b64 s[40:41], exec, s[40:41]
	s_or_b64 s[26:27], s[40:41], s[26:27]
	s_andn2_b64 s[2:3], s[2:3], exec
	s_and_b64 s[38:39], s[38:39], exec
	s_or_b64 s[2:3], s[2:3], s[38:39]
	s_andn2_b64 exec, exec, s[26:27]
	s_cbranch_execz .LBB85_85
.LBB85_78:                              ;   Parent Loop BB85_6 Depth=1
                                        ; =>  This Inner Loop Header: Depth=2
	v_cmp_gt_u32_e32 vcc, s11, v8
	s_and_saveexec_b64 s[38:39], vcc
	s_cbranch_execz .LBB85_75
; %bb.79:                               ;   in Loop: Header=BB85_78 Depth=2
	ds_read_b32 v13, v3
	s_waitcnt lgkmcnt(0)
	v_cmp_lt_i32_e32 vcc, -1, v13
	v_cndmask_b32_e32 v1, -1, v32, vcc
	v_xor_b32_e32 v1, v1, v13
	v_cmp_o_f32_e32 vcc, v13, v13
	v_cndmask_b32_e32 v1, -1, v1, vcc
	v_and_b32_e32 v1, v1, v4
	v_cmp_eq_u32_e32 vcc, v1, v35
	s_and_b64 exec, exec, vcc
	s_cbranch_execz .LBB85_75
; %bb.80:                               ;   in Loop: Header=BB85_78 Depth=2
	ds_write_b64 v9, v[12:13] offset:3072
	s_branch .LBB85_75
.LBB85_81:                              ;   in Loop: Header=BB85_78 Depth=2
	s_mov_b64 s[40:41], -1
                                        ; implicit-def: $vgpr8
                                        ; implicit-def: $vgpr3
	s_mov_b64 s[38:39], -1
	s_branch .LBB85_77
.LBB85_82:                              ;   in Loop: Header=BB85_6 Depth=1
	s_or_b64 exec, exec, s[24:25]
	s_waitcnt lgkmcnt(0)
	s_barrier
	s_mov_b64 s[2:3], exec
	v_readlane_b32 s6, v47, 13
	v_readlane_b32 s7, v47, 14
	s_and_b64 s[6:7], s[2:3], s[6:7]
	s_mov_b64 exec, s[6:7]
	s_cbranch_execz .LBB85_84
; %bb.83:                               ;   in Loop: Header=BB85_6 Depth=1
	ds_read_b32 v1, v9 offset:4104
	s_waitcnt lgkmcnt(0)
	ds_write_b32 v9, v1 offset:4096
.LBB85_84:                              ;   in Loop: Header=BB85_6 Depth=1
	s_or_b64 exec, exec, s[2:3]
	s_waitcnt lgkmcnt(0)
	s_barrier
	s_mov_b64 s[2:3], -1
	s_and_b64 vcc, exec, s[22:23]
	s_cbranch_vccnz .LBB85_22
	s_branch .LBB85_31
.LBB85_85:                              ;   in Loop: Header=BB85_6 Depth=1
	s_or_b64 exec, exec, s[26:27]
	s_and_b64 s[26:27], s[2:3], exec
.LBB85_86:                              ;   in Loop: Header=BB85_6 Depth=1
	s_or_b64 exec, exec, s[36:37]
.LBB85_87:                              ;   in Loop: Header=BB85_6 Depth=1
	s_and_b64 vcc, exec, s[34:35]
	s_cbranch_vccz .LBB85_99
; %bb.88:                               ;   in Loop: Header=BB85_6 Depth=1
                                        ; implicit-def: $vgpr2
	s_mov_b64 s[28:29], exec
	v_readlane_b32 s2, v47, 40
	v_readlane_b32 s3, v47, 41
	s_and_b64 s[2:3], s[28:29], s[2:3]
	s_mov_b64 exec, s[2:3]
	s_cbranch_execz .LBB85_98
; %bb.89:                               ;   in Loop: Header=BB85_6 Depth=1
	s_mov_b64 s[30:31], 0
	v_mov_b32_e32 v8, v7
	v_mov_b32_e32 v3, v0
                                        ; implicit-def: $sgpr34_sgpr35
	s_branch .LBB85_93
.LBB85_90:                              ;   in Loop: Header=BB85_93 Depth=2
	s_or_b64 exec, exec, s[2:3]
	s_waitcnt lgkmcnt(0)
	s_barrier
	ds_read_b64 v[1:2], v9 offset:3072
	s_waitcnt lgkmcnt(0)
	s_barrier
	v_cmp_neq_f32_e32 vcc, 0, v1
	s_cbranch_vccnz .LBB85_96
; %bb.91:                               ;   in Loop: Header=BB85_93 Depth=2
	v_add_u32_e32 v3, s8, v3
	v_cmp_le_u32_e32 vcc, s78, v3
	v_add_u32_e32 v8, s9, v8
	s_mov_b64 s[2:3], 0
	s_orn2_b64 s[36:37], vcc, exec
.LBB85_92:                              ;   in Loop: Header=BB85_93 Depth=2
	s_and_b64 s[36:37], exec, s[36:37]
	s_or_b64 s[30:31], s[36:37], s[30:31]
	s_andn2_b64 s[34:35], s[34:35], exec
	s_and_b64 s[2:3], s[2:3], exec
	s_or_b64 s[34:35], s[34:35], s[2:3]
	s_andn2_b64 exec, exec, s[30:31]
	s_cbranch_execz .LBB85_97
.LBB85_93:                              ;   Parent Loop BB85_6 Depth=1
                                        ; =>  This Inner Loop Header: Depth=2
	v_cmp_gt_u32_e32 vcc, s60, v3
	s_and_saveexec_b64 s[2:3], vcc
	s_cbranch_execz .LBB85_90
; %bb.94:                               ;   in Loop: Header=BB85_93 Depth=2
	v_lshlrev_b64 v[1:2], 2, v[8:9]
	v_mov_b32_e32 v13, s72
	v_add_co_u32_e32 v1, vcc, s33, v1
	v_addc_co_u32_e32 v2, vcc, v13, v2, vcc
	global_load_dword v13, v[1:2], off
	s_waitcnt vmcnt(0)
	v_cmp_lt_i32_e32 vcc, -1, v13
	v_cndmask_b32_e32 v1, -1, v32, vcc
	v_xor_b32_e32 v1, v1, v13
	v_cmp_o_f32_e32 vcc, v13, v13
	v_cndmask_b32_e32 v1, -1, v1, vcc
	v_and_b32_e32 v1, v1, v4
	v_cmp_eq_u32_e32 vcc, v1, v35
	s_and_b64 exec, exec, vcc
	s_cbranch_execz .LBB85_90
; %bb.95:                               ;   in Loop: Header=BB85_93 Depth=2
	ds_write_b64 v9, v[12:13] offset:3072
	s_branch .LBB85_90
.LBB85_96:                              ;   in Loop: Header=BB85_93 Depth=2
	s_mov_b64 s[36:37], -1
                                        ; implicit-def: $vgpr3
	s_mov_b64 s[2:3], -1
	s_branch .LBB85_92
.LBB85_97:                              ;   in Loop: Header=BB85_6 Depth=1
	s_or_b64 exec, exec, s[30:31]
	s_andn2_b64 s[2:3], s[26:27], exec
	s_and_b64 s[26:27], s[34:35], exec
	s_or_b64 s[26:27], s[2:3], s[26:27]
.LBB85_98:                              ;   in Loop: Header=BB85_6 Depth=1
	s_or_b64 exec, exec, s[28:29]
	s_mov_b64 s[28:29], 0
	s_mov_b64 s[30:31], -1
.LBB85_99:                              ;   in Loop: Header=BB85_6 Depth=1
	s_orn2_b64 s[2:3], s[26:27], exec
.LBB85_100:                             ;   in Loop: Header=BB85_6 Depth=1
	s_or_b64 exec, exec, s[24:25]
	s_mov_b64 s[34:35], 0
	s_mov_b64 s[26:27], 0
	;; [unrolled: 1-line block ×3, first 2 shown]
                                        ; implicit-def: $vgpr36
                                        ; implicit-def: $vgpr3
	s_and_saveexec_b64 s[36:37], s[2:3]
	s_cbranch_execz .LBB85_237
; %bb.101:                              ;   in Loop: Header=BB85_6 Depth=1
	s_xor_b64 s[2:3], s[6:7], -1
	s_mov_b64 s[38:39], 0
	v_mov_b32_e32 v36, 1
	v_mov_b32_e32 v3, 1
	s_and_saveexec_b64 s[6:7], s[2:3]
	s_cbranch_execz .LBB85_110
; %bb.102:                              ;   in Loop: Header=BB85_6 Depth=1
	v_cmp_ge_u32_e32 vcc, s14, v34
	s_and_saveexec_b64 s[2:3], vcc
	s_xor_b64 s[2:3], exec, s[2:3]
	s_cbranch_execz .LBB85_107
; %bb.103:                              ;   in Loop: Header=BB85_6 Depth=1
	ds_read_b32 v1, v9 offset:4096
	v_and_b32_e32 v35, s76, v35
	v_or_b32_e32 v4, s15, v4
	s_waitcnt lgkmcnt(0)
	v_cmp_ne_u32_e32 vcc, 0, v1
	s_cbranch_vccnz .LBB85_107
; %bb.104:                              ;   in Loop: Header=BB85_6 Depth=1
	s_mov_b64 s[24:25], exec
	v_readlane_b32 s26, v47, 13
	v_readlane_b32 s27, v47, 14
	s_and_b64 s[26:27], s[24:25], s[26:27]
	s_mov_b64 exec, s[26:27]
; %bb.105:                              ;   in Loop: Header=BB85_6 Depth=1
	v_mov_b32_e32 v1, s14
	ds_write_b32 v9, v1 offset:4100
; %bb.106:                              ;   in Loop: Header=BB85_6 Depth=1
	s_or_b64 exec, exec, s[24:25]
	s_waitcnt lgkmcnt(0)
	s_barrier
.LBB85_107:                             ;   in Loop: Header=BB85_6 Depth=1
	s_or_saveexec_b64 s[2:3], s[2:3]
	s_mov_b64 s[24:25], 0
	v_mov_b32_e32 v3, 8
	v_mov_b32_e32 v36, v34
	s_xor_b64 exec, exec, s[2:3]
; %bb.108:                              ;   in Loop: Header=BB85_6 Depth=1
	s_mov_b64 s[24:25], exec
	v_subrev_u32_e32 v36, s14, v34
	v_mov_b32_e32 v3, 0
; %bb.109:                              ;   in Loop: Header=BB85_6 Depth=1
	s_or_b64 exec, exec, s[2:3]
	s_and_b64 s[38:39], s[24:25], exec
.LBB85_110:                             ;   in Loop: Header=BB85_6 Depth=1
	s_or_b64 exec, exec, s[6:7]
	s_mov_b64 s[2:3], -1
                                        ; implicit-def: $sgpr24_sgpr25
                                        ; implicit-def: $sgpr26_sgpr27
	s_and_saveexec_b64 s[6:7], s[38:39]
	s_xor_b64 s[6:7], exec, s[6:7]
	s_cbranch_execz .LBB85_234
; %bb.111:                              ;   in Loop: Header=BB85_6 Depth=1
	s_cmp_eq_u32 s84, 1
	s_cselect_b64 s[2:3], -1, 0
	v_cmp_eq_u32_e32 vcc, 1, v36
	s_and_b64 s[40:41], s[2:3], vcc
	s_mov_b64 s[2:3], -1
                                        ; implicit-def: $sgpr26_sgpr27
                                        ; implicit-def: $sgpr24_sgpr25
	s_and_saveexec_b64 s[38:39], s[40:41]
	s_cbranch_execz .LBB85_139
; %bb.112:                              ;   in Loop: Header=BB85_6 Depth=1
	ds_read_b32 v1, v9 offset:4096
	s_waitcnt lgkmcnt(0)
	s_barrier
	v_readfirstlane_b32 s11, v1
	s_and_saveexec_b64 s[2:3], s[4:5]
; %bb.113:                              ;   in Loop: Header=BB85_6 Depth=1
	ds_write_b32 v21, v9
; %bb.114:                              ;   in Loop: Header=BB85_6 Depth=1
	s_or_b64 exec, exec, s[2:3]
	v_and_b32_e32 v1, s76, v35
	v_lshl_or_b32 v35, 1, s13, v1
	v_or_b32_e32 v4, s15, v4
	s_mov_b64 s[24:25], -1
	s_mov_b64 s[26:27], 0
	s_cmp_eq_u32 s11, 0
	s_mov_b64 s[42:43], 0
	s_mov_b64 s[44:45], -1
	s_waitcnt lgkmcnt(0)
	s_barrier
                                        ; implicit-def: $vgpr2
	s_cbranch_scc1 .LBB85_126
; %bb.115:                              ;   in Loop: Header=BB85_6 Depth=1
	v_readlane_b32 s2, v47, 26
	s_add_i32 s2, s11, s2
	v_readlane_b32 s3, v47, 39
	s_mul_hi_u32 s3, s2, s3
	s_mul_i32 s3, s3, s8
	s_sub_i32 s3, s2, s3
	s_sub_i32 s42, s3, s8
	s_cmp_ge_u32 s3, s8
	s_cselect_b32 s3, s42, s3
	s_sub_i32 s42, s3, s8
	s_cmp_ge_u32 s3, s8
	s_cselect_b32 s3, s42, s3
	s_sub_i32 s52, s2, s3
	v_cmp_gt_u32_e32 vcc, s52, v0
	s_mov_b64 s[44:45], 0
	s_mov_b64 s[42:43], 0
                                        ; implicit-def: $vgpr2
	s_and_saveexec_b64 s[46:47], vcc
	s_cbranch_execz .LBB85_125
; %bb.116:                              ;   in Loop: Header=BB85_6 Depth=1
	v_mov_b32_e32 v8, v18
	v_mov_b32_e32 v37, v0
                                        ; implicit-def: $sgpr48_sgpr49
	s_branch .LBB85_120
.LBB85_117:                             ;   in Loop: Header=BB85_120 Depth=2
	s_or_b64 exec, exec, s[2:3]
	s_waitcnt lgkmcnt(0)
	s_barrier
	ds_read_b64 v[1:2], v9 offset:3072
	s_waitcnt lgkmcnt(0)
	s_barrier
	v_cmp_neq_f32_e32 vcc, 0, v1
	s_cbranch_vccnz .LBB85_123
; %bb.118:                              ;   in Loop: Header=BB85_120 Depth=2
	v_add_u32_e32 v37, s8, v37
	v_cmp_le_u32_e32 vcc, s52, v37
	v_add_u32_e32 v8, s77, v8
	s_mov_b64 s[2:3], 0
	s_orn2_b64 s[50:51], vcc, exec
.LBB85_119:                             ;   in Loop: Header=BB85_120 Depth=2
	s_and_b64 s[50:51], exec, s[50:51]
	s_or_b64 s[42:43], s[50:51], s[42:43]
	s_andn2_b64 s[48:49], s[48:49], exec
	s_and_b64 s[2:3], s[2:3], exec
	s_or_b64 s[48:49], s[48:49], s[2:3]
	s_andn2_b64 exec, exec, s[42:43]
	s_cbranch_execz .LBB85_124
.LBB85_120:                             ;   Parent Loop BB85_6 Depth=1
                                        ; =>  This Inner Loop Header: Depth=2
	v_cmp_gt_u32_e32 vcc, s11, v37
	s_and_saveexec_b64 s[2:3], vcc
	s_cbranch_execz .LBB85_117
; %bb.121:                              ;   in Loop: Header=BB85_120 Depth=2
	ds_read_b32 v13, v8
	s_waitcnt lgkmcnt(0)
	v_cmp_lt_i32_e32 vcc, -1, v13
	v_cndmask_b32_e32 v1, -1, v32, vcc
	v_xor_b32_e32 v1, v1, v13
	v_cmp_o_f32_e32 vcc, v13, v13
	v_cndmask_b32_e32 v1, -1, v1, vcc
	v_and_b32_e32 v1, v1, v4
	v_cmp_eq_u32_e32 vcc, v1, v35
	s_and_b64 exec, exec, vcc
	s_cbranch_execz .LBB85_117
; %bb.122:                              ;   in Loop: Header=BB85_120 Depth=2
	ds_write_b64 v9, v[12:13] offset:3072
	s_branch .LBB85_117
.LBB85_123:                             ;   in Loop: Header=BB85_120 Depth=2
	s_mov_b64 s[50:51], -1
                                        ; implicit-def: $vgpr37
                                        ; implicit-def: $vgpr8
	s_mov_b64 s[2:3], -1
	s_branch .LBB85_119
.LBB85_124:                             ;   in Loop: Header=BB85_6 Depth=1
	s_or_b64 exec, exec, s[42:43]
	s_and_b64 s[42:43], s[48:49], exec
.LBB85_125:                             ;   in Loop: Header=BB85_6 Depth=1
	s_or_b64 exec, exec, s[46:47]
.LBB85_126:                             ;   in Loop: Header=BB85_6 Depth=1
	s_and_b64 vcc, exec, s[44:45]
	s_cbranch_vccz .LBB85_138
; %bb.127:                              ;   in Loop: Header=BB85_6 Depth=1
                                        ; implicit-def: $vgpr2
	s_mov_b64 s[24:25], exec
	v_readlane_b32 s2, v47, 40
	v_readlane_b32 s3, v47, 41
	s_and_b64 s[2:3], s[24:25], s[2:3]
	s_mov_b64 exec, s[2:3]
	s_cbranch_execz .LBB85_137
; %bb.128:                              ;   in Loop: Header=BB85_6 Depth=1
	s_mov_b64 s[26:27], 0
	v_mov_b32_e32 v8, v7
	v_mov_b32_e32 v37, v0
                                        ; implicit-def: $sgpr44_sgpr45
	s_branch .LBB85_132
.LBB85_129:                             ;   in Loop: Header=BB85_132 Depth=2
	s_or_b64 exec, exec, s[2:3]
	s_waitcnt lgkmcnt(0)
	s_barrier
	ds_read_b64 v[1:2], v9 offset:3072
	s_waitcnt lgkmcnt(0)
	s_barrier
	v_cmp_eq_f32_e32 vcc, 0, v1
	s_cbranch_vccz .LBB85_135
; %bb.130:                              ;   in Loop: Header=BB85_132 Depth=2
	v_add_u32_e32 v37, s8, v37
	v_cmp_le_u32_e32 vcc, s78, v37
	v_add_u32_e32 v8, s9, v8
	s_mov_b64 s[2:3], 0
	s_orn2_b64 s[46:47], vcc, exec
.LBB85_131:                             ;   in Loop: Header=BB85_132 Depth=2
	s_and_b64 s[46:47], exec, s[46:47]
	s_or_b64 s[26:27], s[46:47], s[26:27]
	s_andn2_b64 s[44:45], s[44:45], exec
	s_and_b64 s[2:3], s[2:3], exec
	s_or_b64 s[44:45], s[44:45], s[2:3]
	s_andn2_b64 exec, exec, s[26:27]
	s_cbranch_execz .LBB85_136
.LBB85_132:                             ;   Parent Loop BB85_6 Depth=1
                                        ; =>  This Inner Loop Header: Depth=2
	v_cmp_gt_u32_e32 vcc, s60, v37
	s_and_saveexec_b64 s[2:3], vcc
	s_cbranch_execz .LBB85_129
; %bb.133:                              ;   in Loop: Header=BB85_132 Depth=2
	v_lshlrev_b64 v[1:2], 2, v[8:9]
	v_mov_b32_e32 v13, s72
	v_add_co_u32_e32 v1, vcc, s33, v1
	v_addc_co_u32_e32 v2, vcc, v13, v2, vcc
	global_load_dword v13, v[1:2], off
	s_waitcnt vmcnt(0)
	v_cmp_lt_i32_e32 vcc, -1, v13
	v_cndmask_b32_e32 v1, -1, v32, vcc
	v_xor_b32_e32 v1, v1, v13
	v_cmp_o_f32_e32 vcc, v13, v13
	v_cndmask_b32_e32 v1, -1, v1, vcc
	v_and_b32_e32 v1, v1, v4
	v_cmp_eq_u32_e32 vcc, v1, v35
	s_and_b64 exec, exec, vcc
	s_cbranch_execz .LBB85_129
; %bb.134:                              ;   in Loop: Header=BB85_132 Depth=2
	ds_write_b64 v9, v[12:13] offset:3072
	s_branch .LBB85_129
.LBB85_135:                             ;   in Loop: Header=BB85_132 Depth=2
	s_mov_b64 s[46:47], -1
                                        ; implicit-def: $vgpr37
	s_mov_b64 s[2:3], -1
	s_branch .LBB85_131
.LBB85_136:                             ;   in Loop: Header=BB85_6 Depth=1
	s_or_b64 exec, exec, s[26:27]
	s_andn2_b64 s[2:3], s[42:43], exec
	s_and_b64 s[26:27], s[44:45], exec
	s_or_b64 s[42:43], s[2:3], s[26:27]
.LBB85_137:                             ;   in Loop: Header=BB85_6 Depth=1
	s_or_b64 exec, exec, s[24:25]
	s_mov_b64 s[24:25], 0
	s_mov_b64 s[26:27], -1
.LBB85_138:                             ;   in Loop: Header=BB85_6 Depth=1
	s_orn2_b64 s[2:3], s[42:43], exec
.LBB85_139:                             ;   in Loop: Header=BB85_6 Depth=1
	s_or_b64 exec, exec, s[38:39]
	s_mov_b64 s[42:43], 0
	s_and_saveexec_b64 s[38:39], s[2:3]
	s_cbranch_execz .LBB85_233
; %bb.140:                              ;   in Loop: Header=BB85_6 Depth=1
	s_xor_b64 s[2:3], s[40:41], -1
	s_mov_b64 s[46:47], 0
	v_mov_b32_e32 v37, 1
	v_mov_b32_e32 v3, 1
	s_and_saveexec_b64 s[40:41], s[2:3]
	s_cbranch_execz .LBB85_149
; %bb.141:                              ;   in Loop: Header=BB85_6 Depth=1
	v_cmp_ge_u32_e32 vcc, s84, v36
	s_and_saveexec_b64 s[2:3], vcc
	s_xor_b64 s[2:3], exec, s[2:3]
	s_cbranch_execz .LBB85_146
; %bb.142:                              ;   in Loop: Header=BB85_6 Depth=1
	ds_read_b32 v1, v9 offset:4096
	v_and_b32_e32 v3, s76, v35
	v_lshl_or_b32 v35, 1, s13, v3
	v_or_b32_e32 v4, s15, v4
	s_waitcnt lgkmcnt(0)
	v_cmp_ne_u32_e32 vcc, 0, v1
	s_cbranch_vccnz .LBB85_146
; %bb.143:                              ;   in Loop: Header=BB85_6 Depth=1
	s_mov_b64 s[42:43], exec
	v_readlane_b32 s44, v47, 13
	v_readlane_b32 s45, v47, 14
	s_and_b64 s[44:45], s[42:43], s[44:45]
	s_mov_b64 exec, s[44:45]
; %bb.144:                              ;   in Loop: Header=BB85_6 Depth=1
	v_mov_b32_e32 v1, s84
	ds_write_b32 v9, v1 offset:4100
; %bb.145:                              ;   in Loop: Header=BB85_6 Depth=1
	s_or_b64 exec, exec, s[42:43]
	s_waitcnt lgkmcnt(0)
	s_barrier
.LBB85_146:                             ;   in Loop: Header=BB85_6 Depth=1
	s_or_saveexec_b64 s[2:3], s[2:3]
	s_mov_b64 s[42:43], 0
	v_mov_b32_e32 v3, 8
	s_xor_b64 exec, exec, s[2:3]
; %bb.147:                              ;   in Loop: Header=BB85_6 Depth=1
	s_mov_b64 s[42:43], exec
	v_subrev_u32_e32 v36, s84, v36
	v_mov_b32_e32 v3, 0
; %bb.148:                              ;   in Loop: Header=BB85_6 Depth=1
	s_or_b64 exec, exec, s[2:3]
	s_and_b64 s[46:47], s[42:43], exec
	v_mov_b32_e32 v37, v36
.LBB85_149:                             ;   in Loop: Header=BB85_6 Depth=1
	s_or_b64 exec, exec, s[40:41]
	s_mov_b64 s[2:3], -1
                                        ; implicit-def: $sgpr42_sgpr43
                                        ; implicit-def: $sgpr44_sgpr45
	s_and_saveexec_b64 s[40:41], s[46:47]
	s_cbranch_execz .LBB85_232
; %bb.150:                              ;   in Loop: Header=BB85_6 Depth=1
	s_cmp_eq_u32 s85, 1
	s_cselect_b64 s[2:3], -1, 0
	v_cmp_eq_u32_e32 vcc, 1, v37
	s_and_b64 s[48:49], s[2:3], vcc
	s_mov_b64 s[2:3], -1
                                        ; implicit-def: $sgpr44_sgpr45
                                        ; implicit-def: $sgpr42_sgpr43
	s_and_saveexec_b64 s[46:47], s[48:49]
	s_cbranch_execz .LBB85_178
; %bb.151:                              ;   in Loop: Header=BB85_6 Depth=1
	ds_read_b32 v1, v9 offset:4096
	s_waitcnt lgkmcnt(0)
	s_barrier
	v_readfirstlane_b32 s11, v1
	s_and_saveexec_b64 s[2:3], s[4:5]
; %bb.152:                              ;   in Loop: Header=BB85_6 Depth=1
	ds_write_b32 v21, v9
; %bb.153:                              ;   in Loop: Header=BB85_6 Depth=1
	s_or_b64 exec, exec, s[2:3]
	v_and_b32_e32 v1, s76, v35
	v_lshl_or_b32 v35, 2, s13, v1
	v_or_b32_e32 v4, s15, v4
	s_mov_b64 s[42:43], -1
	s_mov_b64 s[44:45], 0
	s_cmp_eq_u32 s11, 0
	s_mov_b64 s[50:51], 0
	s_mov_b64 s[52:53], -1
	s_waitcnt lgkmcnt(0)
	s_barrier
                                        ; implicit-def: $vgpr2
	s_cbranch_scc1 .LBB85_165
; %bb.154:                              ;   in Loop: Header=BB85_6 Depth=1
	v_readlane_b32 s2, v47, 26
	s_add_i32 s2, s11, s2
	v_readlane_b32 s3, v47, 39
	s_mul_hi_u32 s3, s2, s3
	s_mul_i32 s3, s3, s8
	s_sub_i32 s3, s2, s3
	s_sub_i32 s50, s3, s8
	s_cmp_ge_u32 s3, s8
	s_cselect_b32 s3, s50, s3
	s_sub_i32 s50, s3, s8
	s_cmp_ge_u32 s3, s8
	s_cselect_b32 s3, s50, s3
	s_sub_i32 s82, s2, s3
	v_cmp_gt_u32_e32 vcc, s82, v0
	s_mov_b64 s[52:53], 0
	s_mov_b64 s[50:51], 0
                                        ; implicit-def: $vgpr2
	s_and_saveexec_b64 s[54:55], vcc
	s_cbranch_execz .LBB85_164
; %bb.155:                              ;   in Loop: Header=BB85_6 Depth=1
	v_mov_b32_e32 v8, v18
	v_mov_b32_e32 v36, v0
                                        ; implicit-def: $sgpr56_sgpr57
	s_branch .LBB85_159
.LBB85_156:                             ;   in Loop: Header=BB85_159 Depth=2
	s_or_b64 exec, exec, s[2:3]
	s_waitcnt lgkmcnt(0)
	s_barrier
	ds_read_b64 v[1:2], v9 offset:3072
	s_waitcnt lgkmcnt(0)
	s_barrier
	v_cmp_neq_f32_e32 vcc, 0, v1
	s_cbranch_vccnz .LBB85_162
; %bb.157:                              ;   in Loop: Header=BB85_159 Depth=2
	v_add_u32_e32 v36, s8, v36
	v_cmp_le_u32_e32 vcc, s82, v36
	v_add_u32_e32 v8, s77, v8
	s_mov_b64 s[2:3], 0
	s_orn2_b64 s[58:59], vcc, exec
.LBB85_158:                             ;   in Loop: Header=BB85_159 Depth=2
	s_and_b64 s[58:59], exec, s[58:59]
	s_or_b64 s[50:51], s[58:59], s[50:51]
	s_andn2_b64 s[56:57], s[56:57], exec
	s_and_b64 s[2:3], s[2:3], exec
	s_or_b64 s[56:57], s[56:57], s[2:3]
	s_andn2_b64 exec, exec, s[50:51]
	s_cbranch_execz .LBB85_163
.LBB85_159:                             ;   Parent Loop BB85_6 Depth=1
                                        ; =>  This Inner Loop Header: Depth=2
	v_cmp_gt_u32_e32 vcc, s11, v36
	s_and_saveexec_b64 s[2:3], vcc
	s_cbranch_execz .LBB85_156
; %bb.160:                              ;   in Loop: Header=BB85_159 Depth=2
	ds_read_b32 v13, v8
	s_waitcnt lgkmcnt(0)
	v_cmp_lt_i32_e32 vcc, -1, v13
	v_cndmask_b32_e32 v1, -1, v32, vcc
	v_xor_b32_e32 v1, v1, v13
	v_cmp_o_f32_e32 vcc, v13, v13
	v_cndmask_b32_e32 v1, -1, v1, vcc
	v_and_b32_e32 v1, v1, v4
	v_cmp_eq_u32_e32 vcc, v1, v35
	s_and_b64 exec, exec, vcc
	s_cbranch_execz .LBB85_156
; %bb.161:                              ;   in Loop: Header=BB85_159 Depth=2
	ds_write_b64 v9, v[12:13] offset:3072
	s_branch .LBB85_156
.LBB85_162:                             ;   in Loop: Header=BB85_159 Depth=2
	s_mov_b64 s[58:59], -1
                                        ; implicit-def: $vgpr36
                                        ; implicit-def: $vgpr8
	s_mov_b64 s[2:3], -1
	s_branch .LBB85_158
.LBB85_163:                             ;   in Loop: Header=BB85_6 Depth=1
	s_or_b64 exec, exec, s[50:51]
	s_and_b64 s[50:51], s[56:57], exec
.LBB85_164:                             ;   in Loop: Header=BB85_6 Depth=1
	s_or_b64 exec, exec, s[54:55]
.LBB85_165:                             ;   in Loop: Header=BB85_6 Depth=1
	s_and_b64 vcc, exec, s[52:53]
	s_cbranch_vccz .LBB85_177
; %bb.166:                              ;   in Loop: Header=BB85_6 Depth=1
                                        ; implicit-def: $vgpr2
	s_mov_b64 s[42:43], exec
	v_readlane_b32 s2, v47, 40
	v_readlane_b32 s3, v47, 41
	s_and_b64 s[2:3], s[42:43], s[2:3]
	s_mov_b64 exec, s[2:3]
	s_cbranch_execz .LBB85_176
; %bb.167:                              ;   in Loop: Header=BB85_6 Depth=1
	s_mov_b64 s[44:45], 0
	v_mov_b32_e32 v8, v7
	v_mov_b32_e32 v36, v0
                                        ; implicit-def: $sgpr52_sgpr53
	s_branch .LBB85_171
.LBB85_168:                             ;   in Loop: Header=BB85_171 Depth=2
	s_or_b64 exec, exec, s[2:3]
	s_waitcnt lgkmcnt(0)
	s_barrier
	ds_read_b64 v[1:2], v9 offset:3072
	s_waitcnt lgkmcnt(0)
	s_barrier
	v_cmp_eq_f32_e32 vcc, 0, v1
	s_cbranch_vccz .LBB85_174
; %bb.169:                              ;   in Loop: Header=BB85_171 Depth=2
	v_add_u32_e32 v36, s8, v36
	v_cmp_le_u32_e32 vcc, s78, v36
	v_add_u32_e32 v8, s9, v8
	s_mov_b64 s[2:3], 0
	s_orn2_b64 s[54:55], vcc, exec
.LBB85_170:                             ;   in Loop: Header=BB85_171 Depth=2
	s_and_b64 s[54:55], exec, s[54:55]
	s_or_b64 s[44:45], s[54:55], s[44:45]
	s_andn2_b64 s[52:53], s[52:53], exec
	s_and_b64 s[2:3], s[2:3], exec
	s_or_b64 s[52:53], s[52:53], s[2:3]
	s_andn2_b64 exec, exec, s[44:45]
	s_cbranch_execz .LBB85_175
.LBB85_171:                             ;   Parent Loop BB85_6 Depth=1
                                        ; =>  This Inner Loop Header: Depth=2
	v_cmp_gt_u32_e32 vcc, s60, v36
	s_and_saveexec_b64 s[2:3], vcc
	s_cbranch_execz .LBB85_168
; %bb.172:                              ;   in Loop: Header=BB85_171 Depth=2
	v_lshlrev_b64 v[1:2], 2, v[8:9]
	v_mov_b32_e32 v13, s72
	v_add_co_u32_e32 v1, vcc, s33, v1
	v_addc_co_u32_e32 v2, vcc, v13, v2, vcc
	global_load_dword v13, v[1:2], off
	s_waitcnt vmcnt(0)
	v_cmp_lt_i32_e32 vcc, -1, v13
	v_cndmask_b32_e32 v1, -1, v32, vcc
	v_xor_b32_e32 v1, v1, v13
	v_cmp_o_f32_e32 vcc, v13, v13
	v_cndmask_b32_e32 v1, -1, v1, vcc
	v_and_b32_e32 v1, v1, v4
	v_cmp_eq_u32_e32 vcc, v1, v35
	s_and_b64 exec, exec, vcc
	s_cbranch_execz .LBB85_168
; %bb.173:                              ;   in Loop: Header=BB85_171 Depth=2
	ds_write_b64 v9, v[12:13] offset:3072
	s_branch .LBB85_168
.LBB85_174:                             ;   in Loop: Header=BB85_171 Depth=2
	s_mov_b64 s[54:55], -1
                                        ; implicit-def: $vgpr36
	s_mov_b64 s[2:3], -1
	s_branch .LBB85_170
.LBB85_175:                             ;   in Loop: Header=BB85_6 Depth=1
	s_or_b64 exec, exec, s[44:45]
	s_andn2_b64 s[2:3], s[50:51], exec
	s_and_b64 s[44:45], s[52:53], exec
	s_or_b64 s[50:51], s[2:3], s[44:45]
.LBB85_176:                             ;   in Loop: Header=BB85_6 Depth=1
	s_or_b64 exec, exec, s[42:43]
	s_mov_b64 s[42:43], 0
	s_mov_b64 s[44:45], -1
.LBB85_177:                             ;   in Loop: Header=BB85_6 Depth=1
	s_orn2_b64 s[2:3], s[50:51], exec
.LBB85_178:                             ;   in Loop: Header=BB85_6 Depth=1
	s_or_b64 exec, exec, s[46:47]
	s_mov_b64 s[50:51], 0
	s_and_saveexec_b64 s[46:47], s[2:3]
	s_cbranch_execz .LBB85_231
; %bb.179:                              ;   in Loop: Header=BB85_6 Depth=1
	s_xor_b64 s[2:3], s[48:49], -1
	v_mov_b32_e32 v36, 1
	v_mov_b32_e32 v3, 1
	s_and_saveexec_b64 s[48:49], s[2:3]
	s_cbranch_execz .LBB85_188
; %bb.180:                              ;   in Loop: Header=BB85_6 Depth=1
	v_cmp_ge_u32_e32 vcc, s85, v37
	s_and_saveexec_b64 s[2:3], vcc
	s_xor_b64 s[2:3], exec, s[2:3]
	s_cbranch_execz .LBB85_185
; %bb.181:                              ;   in Loop: Header=BB85_6 Depth=1
	ds_read_b32 v1, v9 offset:4096
	v_and_b32_e32 v3, s76, v35
	v_lshl_or_b32 v35, 2, s13, v3
	v_or_b32_e32 v4, s15, v4
	s_waitcnt lgkmcnt(0)
	v_cmp_ne_u32_e32 vcc, 0, v1
	s_cbranch_vccnz .LBB85_185
; %bb.182:                              ;   in Loop: Header=BB85_6 Depth=1
	s_mov_b64 s[50:51], exec
	v_readlane_b32 s52, v47, 13
	v_readlane_b32 s53, v47, 14
	s_and_b64 s[52:53], s[50:51], s[52:53]
	s_mov_b64 exec, s[52:53]
; %bb.183:                              ;   in Loop: Header=BB85_6 Depth=1
	v_mov_b32_e32 v1, s85
	ds_write_b32 v9, v1 offset:4100
; %bb.184:                              ;   in Loop: Header=BB85_6 Depth=1
	s_or_b64 exec, exec, s[50:51]
	s_waitcnt lgkmcnt(0)
	s_barrier
.LBB85_185:                             ;   in Loop: Header=BB85_6 Depth=1
	s_or_saveexec_b64 s[2:3], s[2:3]
	s_mov_b64 s[50:51], 0
	v_mov_b32_e32 v3, 8
	s_xor_b64 exec, exec, s[2:3]
; %bb.186:                              ;   in Loop: Header=BB85_6 Depth=1
	s_mov_b64 s[50:51], exec
	v_subrev_u32_e32 v37, s85, v37
	v_mov_b32_e32 v3, 0
; %bb.187:                              ;   in Loop: Header=BB85_6 Depth=1
	s_or_b64 exec, exec, s[2:3]
	s_and_b64 s[50:51], s[50:51], exec
	v_mov_b32_e32 v36, v37
.LBB85_188:                             ;   in Loop: Header=BB85_6 Depth=1
	s_or_b64 exec, exec, s[48:49]
	s_mov_b64 s[2:3], -1
                                        ; implicit-def: $sgpr54_sgpr55
                                        ; implicit-def: $sgpr82_sgpr83
	s_and_saveexec_b64 s[48:49], s[50:51]
	s_cbranch_execz .LBB85_230
; %bb.189:                              ;   in Loop: Header=BB85_6 Depth=1
	s_cmp_eq_u32 s10, 1
	s_cselect_b64 s[2:3], -1, 0
	v_cmp_eq_u32_e32 vcc, 1, v36
	s_and_b64 s[50:51], s[2:3], vcc
	s_mov_b64 s[2:3], -1
                                        ; implicit-def: $sgpr54_sgpr55
                                        ; implicit-def: $sgpr82_sgpr83
	s_mov_b64 s[56:57], exec
	v_writelane_b32 v47, s50, 42
	v_writelane_b32 v47, s51, 43
	s_and_b64 s[50:51], s[56:57], s[50:51]
	s_mov_b64 exec, s[50:51]
	s_cbranch_execz .LBB85_218
; %bb.190:                              ;   in Loop: Header=BB85_6 Depth=1
	ds_read_b32 v1, v9 offset:4096
	s_waitcnt lgkmcnt(0)
	s_barrier
	v_readfirstlane_b32 s11, v1
	s_and_saveexec_b64 s[2:3], s[4:5]
; %bb.191:                              ;   in Loop: Header=BB85_6 Depth=1
	ds_write_b32 v21, v9
; %bb.192:                              ;   in Loop: Header=BB85_6 Depth=1
	s_or_b64 exec, exec, s[2:3]
	v_or_b32_e32 v35, s15, v35
	v_or_b32_e32 v4, s15, v4
	s_mov_b64 s[54:55], 0
	s_cmp_eq_u32 s11, 0
	s_mov_b64 s[58:59], 0
	s_mov_b64 s[82:83], -1
	s_waitcnt lgkmcnt(0)
	s_barrier
                                        ; implicit-def: $vgpr2
	s_cbranch_scc1 .LBB85_204
; %bb.193:                              ;   in Loop: Header=BB85_6 Depth=1
	v_readlane_b32 s2, v47, 26
	s_add_i32 s2, s11, s2
	v_readlane_b32 s3, v47, 39
	s_mul_hi_u32 s3, s2, s3
	s_mul_i32 s3, s3, s8
	s_sub_i32 s3, s2, s3
	s_sub_i32 s50, s3, s8
	s_cmp_ge_u32 s3, s8
	s_cselect_b32 s3, s50, s3
	s_sub_i32 s50, s3, s8
	s_cmp_ge_u32 s3, s8
	s_cselect_b32 s3, s50, s3
	s_sub_i32 s52, s2, s3
	v_cmp_gt_u32_e32 vcc, s52, v0
	s_mov_b64 s[82:83], 0
                                        ; implicit-def: $vgpr2
	s_and_saveexec_b64 s[50:51], vcc
	s_cbranch_execz .LBB85_203
; %bb.194:                              ;   in Loop: Header=BB85_6 Depth=1
	v_writelane_b32 v47, s50, 44
	v_mov_b32_e32 v8, v18
	v_mov_b32_e32 v37, v0
	v_writelane_b32 v47, s51, 45
                                        ; implicit-def: $sgpr2_sgpr3
	s_branch .LBB85_198
.LBB85_195:                             ;   in Loop: Header=BB85_198 Depth=2
	s_or_b64 exec, exec, s[50:51]
	s_waitcnt lgkmcnt(0)
	s_barrier
	ds_read_b64 v[1:2], v9 offset:3072
	s_waitcnt lgkmcnt(0)
	s_barrier
	v_cmp_neq_f32_e32 vcc, 0, v1
	s_cbranch_vccnz .LBB85_201
; %bb.196:                              ;   in Loop: Header=BB85_198 Depth=2
	v_add_u32_e32 v37, s8, v37
	v_cmp_le_u32_e32 vcc, s52, v37
	v_add_u32_e32 v8, s77, v8
	s_mov_b64 s[50:51], 0
	s_orn2_b64 vcc, vcc, exec
.LBB85_197:                             ;   in Loop: Header=BB85_198 Depth=2
	s_and_b64 vcc, exec, vcc
	s_or_b64 s[58:59], vcc, s[58:59]
	s_andn2_b64 s[2:3], s[2:3], exec
	s_and_b64 s[50:51], s[50:51], exec
	s_or_b64 s[2:3], s[2:3], s[50:51]
	s_andn2_b64 exec, exec, s[58:59]
	s_cbranch_execz .LBB85_202
.LBB85_198:                             ;   Parent Loop BB85_6 Depth=1
                                        ; =>  This Inner Loop Header: Depth=2
	v_cmp_gt_u32_e32 vcc, s11, v37
	s_and_saveexec_b64 s[50:51], vcc
	s_cbranch_execz .LBB85_195
; %bb.199:                              ;   in Loop: Header=BB85_198 Depth=2
	ds_read_b32 v13, v8
	s_waitcnt lgkmcnt(0)
	v_cmp_lt_i32_e32 vcc, -1, v13
	v_cndmask_b32_e32 v1, -1, v32, vcc
	v_xor_b32_e32 v1, v1, v13
	v_cmp_o_f32_e32 vcc, v13, v13
	v_cndmask_b32_e32 v1, -1, v1, vcc
	v_and_b32_e32 v1, v1, v4
	v_cmp_eq_u32_e32 vcc, v1, v35
	s_and_b64 exec, exec, vcc
	s_cbranch_execz .LBB85_195
; %bb.200:                              ;   in Loop: Header=BB85_198 Depth=2
	ds_write_b64 v9, v[12:13] offset:3072
	s_branch .LBB85_195
.LBB85_201:                             ;   in Loop: Header=BB85_198 Depth=2
	s_mov_b64 vcc, -1
                                        ; implicit-def: $vgpr37
                                        ; implicit-def: $vgpr8
	s_mov_b64 s[50:51], -1
	s_branch .LBB85_197
.LBB85_202:                             ;   in Loop: Header=BB85_6 Depth=1
	s_or_b64 exec, exec, s[58:59]
	v_readlane_b32 s50, v47, 44
	s_and_b64 s[58:59], s[2:3], exec
	v_readlane_b32 s51, v47, 45
.LBB85_203:                             ;   in Loop: Header=BB85_6 Depth=1
	s_or_b64 exec, exec, s[50:51]
.LBB85_204:                             ;   in Loop: Header=BB85_6 Depth=1
	s_and_b64 vcc, exec, s[82:83]
	s_cbranch_vccz .LBB85_214
; %bb.205:                              ;   in Loop: Header=BB85_6 Depth=1
                                        ; implicit-def: $vgpr2
	s_mov_b64 s[52:53], exec
	v_readlane_b32 s2, v47, 40
	v_readlane_b32 s3, v47, 41
	s_and_b64 s[2:3], s[52:53], s[2:3]
	s_mov_b64 exec, s[2:3]
	s_cbranch_execz .LBB85_216
; %bb.206:                              ;   in Loop: Header=BB85_6 Depth=1
	s_mov_b64 s[54:55], 0
	v_mov_b32_e32 v8, v7
	v_mov_b32_e32 v37, v0
                                        ; implicit-def: $sgpr82_sgpr83
	s_branch .LBB85_210
.LBB85_207:                             ;   in Loop: Header=BB85_210 Depth=2
	s_or_b64 exec, exec, s[2:3]
	s_waitcnt lgkmcnt(0)
	s_barrier
	ds_read_b64 v[1:2], v9 offset:3072
	s_waitcnt lgkmcnt(0)
	s_barrier
	v_cmp_eq_f32_e32 vcc, 0, v1
	s_cbranch_vccz .LBB85_213
; %bb.208:                              ;   in Loop: Header=BB85_210 Depth=2
	v_add_u32_e32 v37, s8, v37
	v_cmp_le_u32_e32 vcc, s78, v37
	v_add_u32_e32 v8, s9, v8
	s_mov_b64 s[2:3], 0
	s_orn2_b64 s[50:51], vcc, exec
.LBB85_209:                             ;   in Loop: Header=BB85_210 Depth=2
	s_and_b64 s[50:51], exec, s[50:51]
	s_or_b64 s[54:55], s[50:51], s[54:55]
	s_andn2_b64 s[50:51], s[82:83], exec
	s_and_b64 s[2:3], s[2:3], exec
	s_or_b64 s[82:83], s[50:51], s[2:3]
	s_andn2_b64 exec, exec, s[54:55]
	s_cbranch_execz .LBB85_215
.LBB85_210:                             ;   Parent Loop BB85_6 Depth=1
                                        ; =>  This Inner Loop Header: Depth=2
	v_cmp_gt_u32_e32 vcc, s60, v37
	s_and_saveexec_b64 s[2:3], vcc
	s_cbranch_execz .LBB85_207
; %bb.211:                              ;   in Loop: Header=BB85_210 Depth=2
	v_lshlrev_b64 v[1:2], 2, v[8:9]
	v_mov_b32_e32 v13, s72
	v_add_co_u32_e32 v1, vcc, s33, v1
	v_addc_co_u32_e32 v2, vcc, v13, v2, vcc
	global_load_dword v13, v[1:2], off
	s_waitcnt vmcnt(0)
	v_cmp_lt_i32_e32 vcc, -1, v13
	v_cndmask_b32_e32 v1, -1, v32, vcc
	v_xor_b32_e32 v1, v1, v13
	v_cmp_o_f32_e32 vcc, v13, v13
	v_cndmask_b32_e32 v1, -1, v1, vcc
	v_and_b32_e32 v1, v1, v4
	v_cmp_eq_u32_e32 vcc, v1, v35
	s_and_b64 exec, exec, vcc
	s_cbranch_execz .LBB85_207
; %bb.212:                              ;   in Loop: Header=BB85_210 Depth=2
	ds_write_b64 v9, v[12:13] offset:3072
	s_branch .LBB85_207
.LBB85_213:                             ;   in Loop: Header=BB85_210 Depth=2
	s_mov_b64 s[50:51], -1
                                        ; implicit-def: $vgpr37
	s_mov_b64 s[2:3], -1
	s_branch .LBB85_209
.LBB85_214:                             ;   in Loop: Header=BB85_6 Depth=1
	s_mov_b64 s[82:83], -1
	s_branch .LBB85_217
.LBB85_215:                             ;   in Loop: Header=BB85_6 Depth=1
	s_or_b64 exec, exec, s[54:55]
	s_andn2_b64 s[2:3], s[58:59], exec
	s_and_b64 s[50:51], s[82:83], exec
	s_or_b64 s[58:59], s[2:3], s[50:51]
.LBB85_216:                             ;   in Loop: Header=BB85_6 Depth=1
	s_or_b64 exec, exec, s[52:53]
	s_mov_b64 s[82:83], 0
	s_mov_b64 s[54:55], -1
.LBB85_217:                             ;   in Loop: Header=BB85_6 Depth=1
	s_orn2_b64 s[2:3], s[58:59], exec
.LBB85_218:                             ;   in Loop: Header=BB85_6 Depth=1
	s_or_b64 exec, exec, s[56:57]
	s_mov_b64 s[50:51], 0
	s_and_saveexec_b64 s[56:57], s[2:3]
	s_cbranch_execz .LBB85_229
; %bb.219:                              ;   in Loop: Header=BB85_6 Depth=1
	v_readlane_b32 s2, v47, 42
	v_readlane_b32 s3, v47, 43
	s_xor_b64 s[50:51], s[2:3], -1
	v_mov_b32_e32 v3, 1
	v_mov_b32_e32 v1, 1
	s_and_saveexec_b64 s[2:3], s[50:51]
	s_cbranch_execz .LBB85_228
; %bb.220:                              ;   in Loop: Header=BB85_6 Depth=1
	v_cmp_ge_u32_e32 vcc, s10, v36
	s_and_saveexec_b64 s[50:51], vcc
	s_xor_b64 s[50:51], exec, s[50:51]
	s_cbranch_execz .LBB85_225
; %bb.221:                              ;   in Loop: Header=BB85_6 Depth=1
	ds_read_b32 v1, v9 offset:4096
	v_or_b32_e32 v35, s15, v35
	v_or_b32_e32 v4, s15, v4
	s_waitcnt lgkmcnt(0)
	v_cmp_ne_u32_e32 vcc, 0, v1
	s_cbranch_vccnz .LBB85_225
; %bb.222:                              ;   in Loop: Header=BB85_6 Depth=1
	s_mov_b64 s[58:59], exec
	v_readlane_b32 s52, v47, 13
	v_readlane_b32 s53, v47, 14
	s_and_b64 s[52:53], s[58:59], s[52:53]
	s_mov_b64 exec, s[52:53]
; %bb.223:                              ;   in Loop: Header=BB85_6 Depth=1
	v_mov_b32_e32 v1, s10
	ds_write_b32 v9, v1 offset:4100
; %bb.224:                              ;   in Loop: Header=BB85_6 Depth=1
	s_or_b64 exec, exec, s[58:59]
	s_waitcnt lgkmcnt(0)
	s_barrier
.LBB85_225:                             ;   in Loop: Header=BB85_6 Depth=1
	s_andn2_saveexec_b64 s[50:51], s[50:51]
; %bb.226:                              ;   in Loop: Header=BB85_6 Depth=1
	v_subrev_u32_e32 v36, s10, v36
; %bb.227:                              ;   in Loop: Header=BB85_6 Depth=1
	s_or_b64 exec, exec, s[50:51]
	v_mov_b32_e32 v3, 8
	v_mov_b32_e32 v1, v36
.LBB85_228:                             ;   in Loop: Header=BB85_6 Depth=1
	s_or_b64 exec, exec, s[2:3]
	s_mov_b64 s[50:51], exec
	v_mov_b32_e32 v36, v1
.LBB85_229:                             ;   in Loop: Header=BB85_6 Depth=1
	s_or_b64 exec, exec, s[56:57]
	s_orn2_b64 s[2:3], s[50:51], exec
.LBB85_230:                             ;   in Loop: Header=BB85_6 Depth=1
	s_or_b64 exec, exec, s[48:49]
	s_andn2_b64 s[44:45], s[44:45], exec
	s_and_b64 s[48:49], s[54:55], exec
	s_or_b64 s[44:45], s[44:45], s[48:49]
	s_andn2_b64 s[42:43], s[42:43], exec
	s_and_b64 s[48:49], s[82:83], exec
	s_or_b64 s[42:43], s[42:43], s[48:49]
	s_and_b64 s[50:51], s[2:3], exec
	v_mov_b32_e32 v37, v36
.LBB85_231:                             ;   in Loop: Header=BB85_6 Depth=1
	s_or_b64 exec, exec, s[46:47]
	s_orn2_b64 s[2:3], s[50:51], exec
.LBB85_232:                             ;   in Loop: Header=BB85_6 Depth=1
	s_or_b64 exec, exec, s[40:41]
	s_andn2_b64 s[26:27], s[26:27], exec
	s_and_b64 s[40:41], s[44:45], exec
	s_or_b64 s[26:27], s[26:27], s[40:41]
	s_andn2_b64 s[24:25], s[24:25], exec
	s_and_b64 s[40:41], s[42:43], exec
	s_or_b64 s[24:25], s[24:25], s[40:41]
	s_and_b64 s[42:43], s[2:3], exec
	v_mov_b32_e32 v36, v37
.LBB85_233:                             ;   in Loop: Header=BB85_6 Depth=1
	s_or_b64 exec, exec, s[38:39]
	s_orn2_b64 s[2:3], s[42:43], exec
.LBB85_234:                             ;   in Loop: Header=BB85_6 Depth=1
	s_or_b64 exec, exec, s[6:7]
	s_mov_b64 s[6:7], 0
	s_mov_b64 s[38:39], 0
	s_and_saveexec_b64 s[40:41], s[2:3]
	s_xor_b64 s[2:3], exec, s[40:41]
; %bb.235:                              ;   in Loop: Header=BB85_6 Depth=1
	v_cmp_eq_u32_e32 vcc, 8, v3
	v_cmp_ne_u32_e64 s[6:7], 8, v3
	s_and_b64 s[38:39], s[6:7], exec
	s_and_b64 s[6:7], vcc, exec
; %bb.236:                              ;   in Loop: Header=BB85_6 Depth=1
	s_or_b64 exec, exec, s[2:3]
	s_andn2_b64 s[2:3], s[30:31], exec
	s_and_b64 s[26:27], s[26:27], exec
	s_or_b64 s[30:31], s[2:3], s[26:27]
	s_andn2_b64 s[2:3], s[28:29], exec
	s_and_b64 s[24:25], s[24:25], exec
	s_or_b64 s[28:29], s[2:3], s[24:25]
	s_and_b64 s[24:25], s[38:39], exec
	s_and_b64 s[26:27], s[6:7], exec
.LBB85_237:                             ;   in Loop: Header=BB85_6 Depth=1
	s_or_b64 exec, exec, s[36:37]
.LBB85_238:                             ;   in Loop: Header=BB85_6 Depth=1
	s_and_b64 vcc, exec, s[34:35]
	s_cbranch_vccz .LBB85_252
; %bb.239:                              ;   in Loop: Header=BB85_6 Depth=1
	s_cmp_eq_u32 s10, 1
	s_cselect_b64 s[2:3], -1, 0
	s_and_b64 s[6:7], s[2:3], s[18:19]
	s_mov_b64 s[2:3], -1
                                        ; implicit-def: $sgpr18_sgpr19
                                        ; implicit-def: $sgpr22_sgpr23
	s_and_saveexec_b64 s[28:29], s[6:7]
	s_cbranch_execz .LBB85_268
; %bb.240:                              ;   in Loop: Header=BB85_6 Depth=1
	ds_read_b32 v1, v9 offset:4096
	s_waitcnt lgkmcnt(0)
	s_barrier
	v_readfirstlane_b32 s11, v1
	s_and_saveexec_b64 s[2:3], s[4:5]
; %bb.241:                              ;   in Loop: Header=BB85_6 Depth=1
	ds_write_b32 v21, v9
; %bb.242:                              ;   in Loop: Header=BB85_6 Depth=1
	s_or_b64 exec, exec, s[2:3]
	v_or_b32_e32 v24, s15, v24
	v_or_b32_e32 v33, s15, v33
	s_mov_b64 s[22:23], -1
	s_mov_b64 s[18:19], 0
	s_cmp_eq_u32 s11, 0
	s_mov_b64 s[30:31], 0
	s_mov_b64 s[34:35], -1
	s_waitcnt lgkmcnt(0)
	s_barrier
                                        ; implicit-def: $vgpr14
	s_cbranch_scc1 .LBB85_255
; %bb.243:                              ;   in Loop: Header=BB85_6 Depth=1
	v_readlane_b32 s2, v47, 26
	s_add_i32 s2, s11, s2
	v_readlane_b32 s3, v47, 39
	s_mul_hi_u32 s3, s2, s3
	s_mul_i32 s3, s3, s8
	s_sub_i32 s3, s2, s3
	s_sub_i32 s30, s3, s8
	s_cmp_ge_u32 s3, s8
	s_cselect_b32 s3, s30, s3
	s_sub_i32 s30, s3, s8
	s_cmp_ge_u32 s3, s8
	s_cselect_b32 s3, s30, s3
	s_sub_i32 s42, s2, s3
	v_cmp_gt_u32_e32 vcc, s42, v0
	s_mov_b64 s[34:35], 0
	s_mov_b64 s[30:31], 0
                                        ; implicit-def: $vgpr14
	s_and_saveexec_b64 s[36:37], vcc
	s_cbranch_execz .LBB85_254
; %bb.244:                              ;   in Loop: Header=BB85_6 Depth=1
	v_mov_b32_e32 v1, v18
	v_mov_b32_e32 v2, v0
                                        ; implicit-def: $sgpr38_sgpr39
	s_branch .LBB85_248
.LBB85_245:                             ;   in Loop: Header=BB85_248 Depth=2
	s_or_b64 exec, exec, s[2:3]
	s_waitcnt lgkmcnt(0)
	s_barrier
	ds_read_b64 v[13:14], v9 offset:3072
	s_waitcnt lgkmcnt(0)
	s_barrier
	v_cmp_neq_f32_e32 vcc, 0, v13
	s_cbranch_vccnz .LBB85_251
; %bb.246:                              ;   in Loop: Header=BB85_248 Depth=2
	v_add_u32_e32 v2, s8, v2
	v_cmp_le_u32_e32 vcc, s42, v2
	v_add_u32_e32 v1, s77, v1
	s_mov_b64 s[2:3], 0
	s_orn2_b64 s[40:41], vcc, exec
.LBB85_247:                             ;   in Loop: Header=BB85_248 Depth=2
	s_and_b64 s[40:41], exec, s[40:41]
	s_or_b64 s[30:31], s[40:41], s[30:31]
	s_andn2_b64 s[38:39], s[38:39], exec
	s_and_b64 s[2:3], s[2:3], exec
	s_or_b64 s[38:39], s[38:39], s[2:3]
	s_andn2_b64 exec, exec, s[30:31]
	s_cbranch_execz .LBB85_253
.LBB85_248:                             ;   Parent Loop BB85_6 Depth=1
                                        ; =>  This Inner Loop Header: Depth=2
	v_cmp_gt_u32_e32 vcc, s11, v2
	s_and_saveexec_b64 s[2:3], vcc
	s_cbranch_execz .LBB85_245
; %bb.249:                              ;   in Loop: Header=BB85_248 Depth=2
	ds_read_b32 v13, v1
	s_waitcnt lgkmcnt(0)
	v_cmp_lt_i32_e32 vcc, -1, v13
	v_cndmask_b32_e32 v3, -1, v32, vcc
	v_xor_b32_e32 v3, v3, v13
	v_cmp_o_f32_e32 vcc, v13, v13
	v_cndmask_b32_e32 v3, -1, v3, vcc
	v_and_b32_e32 v3, v3, v33
	v_cmp_eq_u32_e32 vcc, v3, v24
	s_and_b64 exec, exec, vcc
	s_cbranch_execz .LBB85_245
; %bb.250:                              ;   in Loop: Header=BB85_248 Depth=2
	ds_write_b64 v9, v[12:13] offset:3072
	s_branch .LBB85_245
.LBB85_251:                             ;   in Loop: Header=BB85_248 Depth=2
	s_mov_b64 s[40:41], -1
                                        ; implicit-def: $vgpr2
                                        ; implicit-def: $vgpr1
	s_mov_b64 s[2:3], -1
	s_branch .LBB85_247
.LBB85_252:                             ;   in Loop: Header=BB85_6 Depth=1
	s_mov_b64 s[18:19], 0
	v_mov_b32_e32 v24, v35
	v_mov_b32_e32 v33, v4
	;; [unrolled: 1-line block ×3, first 2 shown]
	s_and_saveexec_b64 s[2:3], s[26:27]
	s_cbranch_execnz .LBB85_405
	s_branch .LBB85_406
.LBB85_253:                             ;   in Loop: Header=BB85_6 Depth=1
	s_or_b64 exec, exec, s[30:31]
	s_and_b64 s[30:31], s[38:39], exec
.LBB85_254:                             ;   in Loop: Header=BB85_6 Depth=1
	s_or_b64 exec, exec, s[36:37]
.LBB85_255:                             ;   in Loop: Header=BB85_6 Depth=1
	s_and_b64 vcc, exec, s[34:35]
	s_cbranch_vccz .LBB85_267
; %bb.256:                              ;   in Loop: Header=BB85_6 Depth=1
                                        ; implicit-def: $vgpr14
	s_mov_b64 s[18:19], exec
	v_readlane_b32 s2, v47, 40
	v_readlane_b32 s3, v47, 41
	s_and_b64 s[2:3], s[18:19], s[2:3]
	s_mov_b64 exec, s[2:3]
	s_cbranch_execz .LBB85_266
; %bb.257:                              ;   in Loop: Header=BB85_6 Depth=1
	s_mov_b64 s[22:23], 0
	v_mov_b32_e32 v8, v7
	v_mov_b32_e32 v1, v0
                                        ; implicit-def: $sgpr34_sgpr35
	s_branch .LBB85_261
.LBB85_258:                             ;   in Loop: Header=BB85_261 Depth=2
	s_or_b64 exec, exec, s[2:3]
	s_waitcnt lgkmcnt(0)
	s_barrier
	ds_read_b64 v[13:14], v9 offset:3072
	s_waitcnt lgkmcnt(0)
	s_barrier
	v_cmp_neq_f32_e32 vcc, 0, v13
	s_cbranch_vccnz .LBB85_264
; %bb.259:                              ;   in Loop: Header=BB85_261 Depth=2
	v_add_u32_e32 v1, s8, v1
	v_cmp_le_u32_e32 vcc, s78, v1
	v_add_u32_e32 v8, s9, v8
	s_mov_b64 s[2:3], 0
	s_orn2_b64 s[36:37], vcc, exec
.LBB85_260:                             ;   in Loop: Header=BB85_261 Depth=2
	s_and_b64 s[36:37], exec, s[36:37]
	s_or_b64 s[22:23], s[36:37], s[22:23]
	s_andn2_b64 s[34:35], s[34:35], exec
	s_and_b64 s[2:3], s[2:3], exec
	s_or_b64 s[34:35], s[34:35], s[2:3]
	s_andn2_b64 exec, exec, s[22:23]
	s_cbranch_execz .LBB85_265
.LBB85_261:                             ;   Parent Loop BB85_6 Depth=1
                                        ; =>  This Inner Loop Header: Depth=2
	v_cmp_gt_u32_e32 vcc, s60, v1
	s_and_saveexec_b64 s[2:3], vcc
	s_cbranch_execz .LBB85_258
; %bb.262:                              ;   in Loop: Header=BB85_261 Depth=2
	v_lshlrev_b64 v[2:3], 2, v[8:9]
	v_mov_b32_e32 v4, s72
	v_add_co_u32_e32 v2, vcc, s33, v2
	v_addc_co_u32_e32 v3, vcc, v4, v3, vcc
	global_load_dword v13, v[2:3], off
	s_waitcnt vmcnt(0)
	v_cmp_lt_i32_e32 vcc, -1, v13
	v_cndmask_b32_e32 v2, -1, v32, vcc
	v_xor_b32_e32 v2, v2, v13
	v_cmp_o_f32_e32 vcc, v13, v13
	v_cndmask_b32_e32 v2, -1, v2, vcc
	v_and_b32_e32 v2, v2, v33
	v_cmp_eq_u32_e32 vcc, v2, v24
	s_and_b64 exec, exec, vcc
	s_cbranch_execz .LBB85_258
; %bb.263:                              ;   in Loop: Header=BB85_261 Depth=2
	ds_write_b64 v9, v[12:13] offset:3072
	s_branch .LBB85_258
.LBB85_264:                             ;   in Loop: Header=BB85_261 Depth=2
	s_mov_b64 s[36:37], -1
                                        ; implicit-def: $vgpr1
	s_mov_b64 s[2:3], -1
	s_branch .LBB85_260
.LBB85_265:                             ;   in Loop: Header=BB85_6 Depth=1
	s_or_b64 exec, exec, s[22:23]
	s_andn2_b64 s[2:3], s[30:31], exec
	s_and_b64 s[22:23], s[34:35], exec
	s_or_b64 s[30:31], s[2:3], s[22:23]
.LBB85_266:                             ;   in Loop: Header=BB85_6 Depth=1
	s_or_b64 exec, exec, s[18:19]
	s_mov_b64 s[22:23], 0
	s_mov_b64 s[18:19], -1
.LBB85_267:                             ;   in Loop: Header=BB85_6 Depth=1
	s_orn2_b64 s[2:3], s[30:31], exec
.LBB85_268:                             ;   in Loop: Header=BB85_6 Depth=1
	s_or_b64 exec, exec, s[28:29]
                                        ; implicit-def: $vgpr36
                                        ; implicit-def: $vgpr3
	s_and_saveexec_b64 s[28:29], s[2:3]
	s_cbranch_execz .LBB85_404
; %bb.269:                              ;   in Loop: Header=BB85_6 Depth=1
	s_xor_b64 s[2:3], s[6:7], -1
	s_mov_b64 s[36:37], 0
	v_mov_b32_e32 v36, 1
	v_mov_b32_e32 v3, 1
	s_and_saveexec_b64 s[6:7], s[2:3]
	s_cbranch_execz .LBB85_278
; %bb.270:                              ;   in Loop: Header=BB85_6 Depth=1
	v_cmp_ge_u32_e32 vcc, s10, v34
	s_and_saveexec_b64 s[2:3], vcc
	s_xor_b64 s[2:3], exec, s[2:3]
	s_cbranch_execz .LBB85_275
; %bb.271:                              ;   in Loop: Header=BB85_6 Depth=1
	ds_read_b32 v1, v9 offset:4096
	v_or_b32_e32 v24, s15, v24
	v_or_b32_e32 v33, s15, v33
	s_waitcnt lgkmcnt(0)
	v_cmp_ne_u32_e32 vcc, 0, v1
	s_cbranch_vccnz .LBB85_275
; %bb.272:                              ;   in Loop: Header=BB85_6 Depth=1
	s_mov_b64 s[30:31], exec
	v_readlane_b32 s34, v47, 13
	v_readlane_b32 s35, v47, 14
	s_and_b64 s[34:35], s[30:31], s[34:35]
	s_mov_b64 exec, s[34:35]
; %bb.273:                              ;   in Loop: Header=BB85_6 Depth=1
	v_mov_b32_e32 v1, s10
	ds_write_b32 v9, v1 offset:4100
; %bb.274:                              ;   in Loop: Header=BB85_6 Depth=1
	s_or_b64 exec, exec, s[30:31]
	s_waitcnt lgkmcnt(0)
	s_barrier
.LBB85_275:                             ;   in Loop: Header=BB85_6 Depth=1
	s_or_saveexec_b64 s[2:3], s[2:3]
	s_mov_b64 s[30:31], 0
	v_mov_b32_e32 v3, 5
	s_xor_b64 exec, exec, s[2:3]
; %bb.276:                              ;   in Loop: Header=BB85_6 Depth=1
	s_mov_b64 s[30:31], exec
	v_subrev_u32_e32 v34, s10, v34
	v_mov_b32_e32 v3, 0
; %bb.277:                              ;   in Loop: Header=BB85_6 Depth=1
	s_or_b64 exec, exec, s[2:3]
	s_and_b64 s[36:37], s[30:31], exec
	v_mov_b32_e32 v36, v34
.LBB85_278:                             ;   in Loop: Header=BB85_6 Depth=1
	s_or_b64 exec, exec, s[6:7]
	s_mov_b64 s[2:3], -1
                                        ; implicit-def: $sgpr30_sgpr31
                                        ; implicit-def: $sgpr34_sgpr35
	s_and_saveexec_b64 s[6:7], s[36:37]
	s_xor_b64 s[6:7], exec, s[6:7]
	s_cbranch_execz .LBB85_401
; %bb.279:                              ;   in Loop: Header=BB85_6 Depth=1
	s_cmp_eq_u32 s85, 1
	s_cselect_b64 s[2:3], -1, 0
	v_cmp_eq_u32_e32 vcc, 1, v36
	s_and_b64 s[38:39], s[2:3], vcc
	s_mov_b64 s[2:3], -1
                                        ; implicit-def: $sgpr34_sgpr35
                                        ; implicit-def: $sgpr30_sgpr31
	s_and_saveexec_b64 s[36:37], s[38:39]
	s_cbranch_execz .LBB85_307
; %bb.280:                              ;   in Loop: Header=BB85_6 Depth=1
	ds_read_b32 v1, v9 offset:4096
	s_waitcnt lgkmcnt(0)
	s_barrier
	v_readfirstlane_b32 s10, v1
	s_and_saveexec_b64 s[2:3], s[4:5]
; %bb.281:                              ;   in Loop: Header=BB85_6 Depth=1
	ds_write_b32 v21, v9
; %bb.282:                              ;   in Loop: Header=BB85_6 Depth=1
	s_or_b64 exec, exec, s[2:3]
	v_and_b32_e32 v1, s76, v24
	v_lshl_or_b32 v24, 2, s13, v1
	v_or_b32_e32 v33, s15, v33
	s_mov_b64 s[30:31], -1
	s_mov_b64 s[34:35], 0
	s_cmp_eq_u32 s10, 0
	s_mov_b64 s[40:41], 0
	s_mov_b64 s[42:43], -1
	s_waitcnt lgkmcnt(0)
	s_barrier
                                        ; implicit-def: $vgpr14
	s_cbranch_scc1 .LBB85_294
; %bb.283:                              ;   in Loop: Header=BB85_6 Depth=1
	v_readlane_b32 s2, v47, 26
	s_add_i32 s2, s10, s2
	v_readlane_b32 s3, v47, 39
	s_mul_hi_u32 s3, s2, s3
	s_mul_i32 s3, s3, s8
	s_sub_i32 s3, s2, s3
	s_sub_i32 s11, s3, s8
	s_cmp_ge_u32 s3, s8
	s_cselect_b32 s3, s11, s3
	s_sub_i32 s11, s3, s8
	s_cmp_ge_u32 s3, s8
	s_cselect_b32 s3, s11, s3
	s_sub_i32 s11, s2, s3
	v_cmp_gt_u32_e32 vcc, s11, v0
	s_mov_b64 s[42:43], 0
                                        ; implicit-def: $vgpr14
	s_and_saveexec_b64 s[44:45], vcc
	s_cbranch_execz .LBB85_293
; %bb.284:                              ;   in Loop: Header=BB85_6 Depth=1
	v_mov_b32_e32 v1, v18
	v_mov_b32_e32 v2, v0
                                        ; implicit-def: $sgpr46_sgpr47
	s_branch .LBB85_288
.LBB85_285:                             ;   in Loop: Header=BB85_288 Depth=2
	s_or_b64 exec, exec, s[2:3]
	s_waitcnt lgkmcnt(0)
	s_barrier
	ds_read_b64 v[13:14], v9 offset:3072
	s_waitcnt lgkmcnt(0)
	s_barrier
	v_cmp_neq_f32_e32 vcc, 0, v13
	s_cbranch_vccnz .LBB85_291
; %bb.286:                              ;   in Loop: Header=BB85_288 Depth=2
	v_add_u32_e32 v2, s8, v2
	v_cmp_le_u32_e32 vcc, s11, v2
	v_add_u32_e32 v1, s77, v1
	s_mov_b64 s[2:3], 0
	s_orn2_b64 s[48:49], vcc, exec
.LBB85_287:                             ;   in Loop: Header=BB85_288 Depth=2
	s_and_b64 s[48:49], exec, s[48:49]
	s_or_b64 s[40:41], s[48:49], s[40:41]
	s_andn2_b64 s[46:47], s[46:47], exec
	s_and_b64 s[2:3], s[2:3], exec
	s_or_b64 s[46:47], s[46:47], s[2:3]
	s_andn2_b64 exec, exec, s[40:41]
	s_cbranch_execz .LBB85_292
.LBB85_288:                             ;   Parent Loop BB85_6 Depth=1
                                        ; =>  This Inner Loop Header: Depth=2
	v_cmp_gt_u32_e32 vcc, s10, v2
	s_and_saveexec_b64 s[2:3], vcc
	s_cbranch_execz .LBB85_285
; %bb.289:                              ;   in Loop: Header=BB85_288 Depth=2
	ds_read_b32 v13, v1
	s_waitcnt lgkmcnt(0)
	v_cmp_lt_i32_e32 vcc, -1, v13
	v_cndmask_b32_e32 v4, -1, v32, vcc
	v_xor_b32_e32 v4, v4, v13
	v_cmp_o_f32_e32 vcc, v13, v13
	v_cndmask_b32_e32 v4, -1, v4, vcc
	v_and_b32_e32 v4, v4, v33
	v_cmp_eq_u32_e32 vcc, v4, v24
	s_and_b64 exec, exec, vcc
	s_cbranch_execz .LBB85_285
; %bb.290:                              ;   in Loop: Header=BB85_288 Depth=2
	ds_write_b64 v9, v[12:13] offset:3072
	s_branch .LBB85_285
.LBB85_291:                             ;   in Loop: Header=BB85_288 Depth=2
	s_mov_b64 s[48:49], -1
                                        ; implicit-def: $vgpr2
                                        ; implicit-def: $vgpr1
	s_mov_b64 s[2:3], -1
	s_branch .LBB85_287
.LBB85_292:                             ;   in Loop: Header=BB85_6 Depth=1
	s_or_b64 exec, exec, s[40:41]
	s_and_b64 s[40:41], s[46:47], exec
.LBB85_293:                             ;   in Loop: Header=BB85_6 Depth=1
	s_or_b64 exec, exec, s[44:45]
.LBB85_294:                             ;   in Loop: Header=BB85_6 Depth=1
	s_and_b64 vcc, exec, s[42:43]
	s_cbranch_vccz .LBB85_306
; %bb.295:                              ;   in Loop: Header=BB85_6 Depth=1
                                        ; implicit-def: $vgpr14
	s_mov_b64 s[30:31], exec
	v_readlane_b32 s2, v47, 40
	v_readlane_b32 s3, v47, 41
	s_and_b64 s[2:3], s[30:31], s[2:3]
	s_mov_b64 exec, s[2:3]
	s_cbranch_execz .LBB85_305
; %bb.296:                              ;   in Loop: Header=BB85_6 Depth=1
	s_mov_b64 s[34:35], 0
	v_mov_b32_e32 v8, v7
	v_mov_b32_e32 v1, v0
                                        ; implicit-def: $sgpr42_sgpr43
	s_branch .LBB85_300
.LBB85_297:                             ;   in Loop: Header=BB85_300 Depth=2
	s_or_b64 exec, exec, s[2:3]
	s_waitcnt lgkmcnt(0)
	s_barrier
	ds_read_b64 v[13:14], v9 offset:3072
	s_waitcnt lgkmcnt(0)
	s_barrier
	v_cmp_eq_f32_e32 vcc, 0, v13
	s_cbranch_vccz .LBB85_303
; %bb.298:                              ;   in Loop: Header=BB85_300 Depth=2
	v_add_u32_e32 v1, s8, v1
	v_cmp_le_u32_e32 vcc, s78, v1
	v_add_u32_e32 v8, s9, v8
	s_mov_b64 s[2:3], 0
	s_orn2_b64 s[44:45], vcc, exec
.LBB85_299:                             ;   in Loop: Header=BB85_300 Depth=2
	s_and_b64 s[10:11], exec, s[44:45]
	s_or_b64 s[34:35], s[10:11], s[34:35]
	s_andn2_b64 s[10:11], s[42:43], exec
	s_and_b64 s[2:3], s[2:3], exec
	s_or_b64 s[42:43], s[10:11], s[2:3]
	s_andn2_b64 exec, exec, s[34:35]
	s_cbranch_execz .LBB85_304
.LBB85_300:                             ;   Parent Loop BB85_6 Depth=1
                                        ; =>  This Inner Loop Header: Depth=2
	v_cmp_gt_u32_e32 vcc, s60, v1
	s_and_saveexec_b64 s[2:3], vcc
	s_cbranch_execz .LBB85_297
; %bb.301:                              ;   in Loop: Header=BB85_300 Depth=2
	v_lshlrev_b64 v[13:14], 2, v[8:9]
	v_mov_b32_e32 v2, s72
	v_add_co_u32_e32 v13, vcc, s33, v13
	v_addc_co_u32_e32 v14, vcc, v2, v14, vcc
	global_load_dword v13, v[13:14], off
	s_waitcnt vmcnt(0)
	v_cmp_lt_i32_e32 vcc, -1, v13
	v_cndmask_b32_e32 v2, -1, v32, vcc
	v_xor_b32_e32 v2, v2, v13
	v_cmp_o_f32_e32 vcc, v13, v13
	v_cndmask_b32_e32 v2, -1, v2, vcc
	v_and_b32_e32 v2, v2, v33
	v_cmp_eq_u32_e32 vcc, v2, v24
	s_and_b64 exec, exec, vcc
	s_cbranch_execz .LBB85_297
; %bb.302:                              ;   in Loop: Header=BB85_300 Depth=2
	ds_write_b64 v9, v[12:13] offset:3072
	s_branch .LBB85_297
.LBB85_303:                             ;   in Loop: Header=BB85_300 Depth=2
	s_mov_b64 s[44:45], -1
                                        ; implicit-def: $vgpr1
	s_mov_b64 s[2:3], -1
	s_branch .LBB85_299
.LBB85_304:                             ;   in Loop: Header=BB85_6 Depth=1
	s_or_b64 exec, exec, s[34:35]
	s_andn2_b64 s[2:3], s[40:41], exec
	s_and_b64 s[10:11], s[42:43], exec
	s_or_b64 s[40:41], s[2:3], s[10:11]
.LBB85_305:                             ;   in Loop: Header=BB85_6 Depth=1
	s_or_b64 exec, exec, s[30:31]
	s_mov_b64 s[30:31], 0
	s_mov_b64 s[34:35], -1
.LBB85_306:                             ;   in Loop: Header=BB85_6 Depth=1
	s_orn2_b64 s[2:3], s[40:41], exec
.LBB85_307:                             ;   in Loop: Header=BB85_6 Depth=1
	s_or_b64 exec, exec, s[36:37]
	s_mov_b64 s[40:41], 0
	s_and_saveexec_b64 s[36:37], s[2:3]
	s_cbranch_execz .LBB85_400
; %bb.308:                              ;   in Loop: Header=BB85_6 Depth=1
	s_xor_b64 s[2:3], s[38:39], -1
	s_mov_b64 s[44:45], 0
	v_mov_b32_e32 v1, 1
	v_mov_b32_e32 v3, 1
	s_and_saveexec_b64 s[38:39], s[2:3]
	s_cbranch_execz .LBB85_317
; %bb.309:                              ;   in Loop: Header=BB85_6 Depth=1
	v_cmp_ge_u32_e32 vcc, s85, v36
	s_and_saveexec_b64 s[2:3], vcc
	s_xor_b64 s[2:3], exec, s[2:3]
	s_cbranch_execz .LBB85_314
; %bb.310:                              ;   in Loop: Header=BB85_6 Depth=1
	ds_read_b32 v1, v9 offset:4096
	v_and_b32_e32 v2, s76, v24
	v_lshl_or_b32 v24, 2, s13, v2
	v_or_b32_e32 v33, s15, v33
	s_waitcnt lgkmcnt(0)
	v_cmp_ne_u32_e32 vcc, 0, v1
	s_cbranch_vccnz .LBB85_314
; %bb.311:                              ;   in Loop: Header=BB85_6 Depth=1
	s_mov_b64 s[40:41], exec
	v_readlane_b32 s10, v47, 13
	v_readlane_b32 s11, v47, 14
	s_and_b64 s[10:11], s[40:41], s[10:11]
	s_mov_b64 exec, s[10:11]
; %bb.312:                              ;   in Loop: Header=BB85_6 Depth=1
	v_mov_b32_e32 v1, s85
	ds_write_b32 v9, v1 offset:4100
; %bb.313:                              ;   in Loop: Header=BB85_6 Depth=1
	s_or_b64 exec, exec, s[40:41]
	s_waitcnt lgkmcnt(0)
	s_barrier
.LBB85_314:                             ;   in Loop: Header=BB85_6 Depth=1
	s_or_saveexec_b64 s[2:3], s[2:3]
	s_mov_b64 s[40:41], 0
	v_mov_b32_e32 v3, 5
	s_xor_b64 exec, exec, s[2:3]
; %bb.315:                              ;   in Loop: Header=BB85_6 Depth=1
	s_mov_b64 s[40:41], exec
	v_subrev_u32_e32 v36, s85, v36
	v_mov_b32_e32 v3, 0
; %bb.316:                              ;   in Loop: Header=BB85_6 Depth=1
	s_or_b64 exec, exec, s[2:3]
	s_and_b64 s[44:45], s[40:41], exec
	v_mov_b32_e32 v1, v36
.LBB85_317:                             ;   in Loop: Header=BB85_6 Depth=1
	s_or_b64 exec, exec, s[38:39]
	s_mov_b64 s[2:3], -1
                                        ; implicit-def: $sgpr40_sgpr41
                                        ; implicit-def: $sgpr42_sgpr43
	s_and_saveexec_b64 s[38:39], s[44:45]
	s_cbranch_execz .LBB85_399
; %bb.318:                              ;   in Loop: Header=BB85_6 Depth=1
	s_cmp_eq_u32 s84, 1
	s_cselect_b64 s[2:3], -1, 0
	v_cmp_eq_u32_e32 vcc, 1, v1
	s_and_b64 s[46:47], s[2:3], vcc
	s_mov_b64 s[2:3], -1
                                        ; implicit-def: $sgpr42_sgpr43
                                        ; implicit-def: $sgpr40_sgpr41
	s_and_saveexec_b64 s[44:45], s[46:47]
	s_cbranch_execz .LBB85_346
; %bb.319:                              ;   in Loop: Header=BB85_6 Depth=1
	ds_read_b32 v2, v9 offset:4096
	s_waitcnt lgkmcnt(0)
	s_barrier
	v_readfirstlane_b32 s10, v2
	s_and_saveexec_b64 s[2:3], s[4:5]
; %bb.320:                              ;   in Loop: Header=BB85_6 Depth=1
	ds_write_b32 v21, v9
; %bb.321:                              ;   in Loop: Header=BB85_6 Depth=1
	s_or_b64 exec, exec, s[2:3]
	v_and_b32_e32 v2, s76, v24
	v_lshl_or_b32 v24, 1, s13, v2
	v_or_b32_e32 v33, s15, v33
	s_mov_b64 s[40:41], -1
	s_mov_b64 s[42:43], 0
	s_cmp_eq_u32 s10, 0
	s_mov_b64 s[48:49], 0
	s_mov_b64 s[50:51], -1
	s_waitcnt lgkmcnt(0)
	s_barrier
                                        ; implicit-def: $vgpr14
	s_cbranch_scc1 .LBB85_333
; %bb.322:                              ;   in Loop: Header=BB85_6 Depth=1
	v_readlane_b32 s2, v47, 26
	s_add_i32 s2, s10, s2
	v_readlane_b32 s3, v47, 39
	s_mul_hi_u32 s3, s2, s3
	s_mul_i32 s3, s3, s8
	s_sub_i32 s3, s2, s3
	s_sub_i32 s11, s3, s8
	s_cmp_ge_u32 s3, s8
	s_cselect_b32 s3, s11, s3
	s_sub_i32 s11, s3, s8
	s_cmp_ge_u32 s3, s8
	s_cselect_b32 s3, s11, s3
	s_sub_i32 s11, s2, s3
	v_cmp_gt_u32_e32 vcc, s11, v0
	s_mov_b64 s[50:51], 0
                                        ; implicit-def: $vgpr14
	s_and_saveexec_b64 s[52:53], vcc
	s_cbranch_execz .LBB85_332
; %bb.323:                              ;   in Loop: Header=BB85_6 Depth=1
	v_mov_b32_e32 v2, v18
	v_mov_b32_e32 v4, v0
                                        ; implicit-def: $sgpr54_sgpr55
	s_branch .LBB85_327
.LBB85_324:                             ;   in Loop: Header=BB85_327 Depth=2
	s_or_b64 exec, exec, s[2:3]
	s_waitcnt lgkmcnt(0)
	s_barrier
	ds_read_b64 v[13:14], v9 offset:3072
	s_waitcnt lgkmcnt(0)
	s_barrier
	v_cmp_neq_f32_e32 vcc, 0, v13
	s_cbranch_vccnz .LBB85_330
; %bb.325:                              ;   in Loop: Header=BB85_327 Depth=2
	v_add_u32_e32 v4, s8, v4
	v_cmp_le_u32_e32 vcc, s11, v4
	v_add_u32_e32 v2, s77, v2
	s_mov_b64 s[2:3], 0
	s_orn2_b64 s[56:57], vcc, exec
.LBB85_326:                             ;   in Loop: Header=BB85_327 Depth=2
	s_and_b64 s[56:57], exec, s[56:57]
	s_or_b64 s[48:49], s[56:57], s[48:49]
	s_andn2_b64 s[54:55], s[54:55], exec
	s_and_b64 s[2:3], s[2:3], exec
	s_or_b64 s[54:55], s[54:55], s[2:3]
	s_andn2_b64 exec, exec, s[48:49]
	s_cbranch_execz .LBB85_331
.LBB85_327:                             ;   Parent Loop BB85_6 Depth=1
                                        ; =>  This Inner Loop Header: Depth=2
	v_cmp_gt_u32_e32 vcc, s10, v4
	s_and_saveexec_b64 s[2:3], vcc
	s_cbranch_execz .LBB85_324
; %bb.328:                              ;   in Loop: Header=BB85_327 Depth=2
	ds_read_b32 v13, v2
	s_waitcnt lgkmcnt(0)
	v_cmp_lt_i32_e32 vcc, -1, v13
	v_cndmask_b32_e32 v8, -1, v32, vcc
	v_xor_b32_e32 v8, v8, v13
	v_cmp_o_f32_e32 vcc, v13, v13
	v_cndmask_b32_e32 v8, -1, v8, vcc
	v_and_b32_e32 v8, v8, v33
	v_cmp_eq_u32_e32 vcc, v8, v24
	s_and_b64 exec, exec, vcc
	s_cbranch_execz .LBB85_324
; %bb.329:                              ;   in Loop: Header=BB85_327 Depth=2
	ds_write_b64 v9, v[12:13] offset:3072
	s_branch .LBB85_324
.LBB85_330:                             ;   in Loop: Header=BB85_327 Depth=2
	s_mov_b64 s[56:57], -1
                                        ; implicit-def: $vgpr4
                                        ; implicit-def: $vgpr2
	s_mov_b64 s[2:3], -1
	s_branch .LBB85_326
.LBB85_331:                             ;   in Loop: Header=BB85_6 Depth=1
	s_or_b64 exec, exec, s[48:49]
	s_and_b64 s[48:49], s[54:55], exec
.LBB85_332:                             ;   in Loop: Header=BB85_6 Depth=1
	s_or_b64 exec, exec, s[52:53]
.LBB85_333:                             ;   in Loop: Header=BB85_6 Depth=1
	s_and_b64 vcc, exec, s[50:51]
	s_cbranch_vccz .LBB85_345
; %bb.334:                              ;   in Loop: Header=BB85_6 Depth=1
                                        ; implicit-def: $vgpr14
	s_mov_b64 s[40:41], exec
	v_readlane_b32 s2, v47, 40
	v_readlane_b32 s3, v47, 41
	s_and_b64 s[2:3], s[40:41], s[2:3]
	s_mov_b64 exec, s[2:3]
	s_cbranch_execz .LBB85_344
; %bb.335:                              ;   in Loop: Header=BB85_6 Depth=1
	s_mov_b64 s[42:43], 0
	v_mov_b32_e32 v8, v7
	v_mov_b32_e32 v2, v0
                                        ; implicit-def: $sgpr50_sgpr51
	s_branch .LBB85_339
.LBB85_336:                             ;   in Loop: Header=BB85_339 Depth=2
	s_or_b64 exec, exec, s[2:3]
	s_waitcnt lgkmcnt(0)
	s_barrier
	ds_read_b64 v[13:14], v9 offset:3072
	s_waitcnt lgkmcnt(0)
	s_barrier
	v_cmp_eq_f32_e32 vcc, 0, v13
	s_cbranch_vccz .LBB85_342
; %bb.337:                              ;   in Loop: Header=BB85_339 Depth=2
	v_add_u32_e32 v2, s8, v2
	v_cmp_le_u32_e32 vcc, s78, v2
	v_add_u32_e32 v8, s9, v8
	s_mov_b64 s[2:3], 0
	s_orn2_b64 s[52:53], vcc, exec
.LBB85_338:                             ;   in Loop: Header=BB85_339 Depth=2
	s_and_b64 s[10:11], exec, s[52:53]
	s_or_b64 s[42:43], s[10:11], s[42:43]
	s_andn2_b64 s[10:11], s[50:51], exec
	s_and_b64 s[2:3], s[2:3], exec
	s_or_b64 s[50:51], s[10:11], s[2:3]
	s_andn2_b64 exec, exec, s[42:43]
	s_cbranch_execz .LBB85_343
.LBB85_339:                             ;   Parent Loop BB85_6 Depth=1
                                        ; =>  This Inner Loop Header: Depth=2
	v_cmp_gt_u32_e32 vcc, s60, v2
	s_and_saveexec_b64 s[2:3], vcc
	s_cbranch_execz .LBB85_336
; %bb.340:                              ;   in Loop: Header=BB85_339 Depth=2
	v_lshlrev_b64 v[13:14], 2, v[8:9]
	v_mov_b32_e32 v4, s72
	v_add_co_u32_e32 v13, vcc, s33, v13
	v_addc_co_u32_e32 v14, vcc, v4, v14, vcc
	global_load_dword v13, v[13:14], off
	s_waitcnt vmcnt(0)
	v_cmp_lt_i32_e32 vcc, -1, v13
	v_cndmask_b32_e32 v4, -1, v32, vcc
	v_xor_b32_e32 v4, v4, v13
	v_cmp_o_f32_e32 vcc, v13, v13
	v_cndmask_b32_e32 v4, -1, v4, vcc
	v_and_b32_e32 v4, v4, v33
	v_cmp_eq_u32_e32 vcc, v4, v24
	s_and_b64 exec, exec, vcc
	s_cbranch_execz .LBB85_336
; %bb.341:                              ;   in Loop: Header=BB85_339 Depth=2
	ds_write_b64 v9, v[12:13] offset:3072
	s_branch .LBB85_336
.LBB85_342:                             ;   in Loop: Header=BB85_339 Depth=2
	s_mov_b64 s[52:53], -1
                                        ; implicit-def: $vgpr2
	s_mov_b64 s[2:3], -1
	s_branch .LBB85_338
.LBB85_343:                             ;   in Loop: Header=BB85_6 Depth=1
	s_or_b64 exec, exec, s[42:43]
	s_andn2_b64 s[2:3], s[48:49], exec
	s_and_b64 s[10:11], s[50:51], exec
	s_or_b64 s[48:49], s[2:3], s[10:11]
.LBB85_344:                             ;   in Loop: Header=BB85_6 Depth=1
	s_or_b64 exec, exec, s[40:41]
	s_mov_b64 s[40:41], 0
	s_mov_b64 s[42:43], -1
.LBB85_345:                             ;   in Loop: Header=BB85_6 Depth=1
	s_orn2_b64 s[2:3], s[48:49], exec
.LBB85_346:                             ;   in Loop: Header=BB85_6 Depth=1
	s_or_b64 exec, exec, s[44:45]
	s_mov_b64 s[48:49], 0
	s_and_saveexec_b64 s[44:45], s[2:3]
	s_cbranch_execz .LBB85_398
; %bb.347:                              ;   in Loop: Header=BB85_6 Depth=1
	s_xor_b64 s[2:3], s[46:47], -1
	v_mov_b32_e32 v2, 1
	v_mov_b32_e32 v3, 1
	s_and_saveexec_b64 s[46:47], s[2:3]
	s_cbranch_execz .LBB85_356
; %bb.348:                              ;   in Loop: Header=BB85_6 Depth=1
	v_cmp_ge_u32_e32 vcc, s84, v1
	s_and_saveexec_b64 s[2:3], vcc
	s_xor_b64 s[2:3], exec, s[2:3]
	s_cbranch_execz .LBB85_353
; %bb.349:                              ;   in Loop: Header=BB85_6 Depth=1
	ds_read_b32 v2, v9 offset:4096
	v_and_b32_e32 v3, s76, v24
	v_lshl_or_b32 v24, 1, s13, v3
	v_or_b32_e32 v33, s15, v33
	s_waitcnt lgkmcnt(0)
	v_cmp_ne_u32_e32 vcc, 0, v2
	s_cbranch_vccnz .LBB85_353
; %bb.350:                              ;   in Loop: Header=BB85_6 Depth=1
	s_mov_b64 s[48:49], exec
	v_readlane_b32 s10, v47, 13
	v_readlane_b32 s11, v47, 14
	s_and_b64 s[10:11], s[48:49], s[10:11]
	s_mov_b64 exec, s[10:11]
; %bb.351:                              ;   in Loop: Header=BB85_6 Depth=1
	v_mov_b32_e32 v2, s84
	ds_write_b32 v9, v2 offset:4100
; %bb.352:                              ;   in Loop: Header=BB85_6 Depth=1
	s_or_b64 exec, exec, s[48:49]
	s_waitcnt lgkmcnt(0)
	s_barrier
.LBB85_353:                             ;   in Loop: Header=BB85_6 Depth=1
	s_or_saveexec_b64 s[2:3], s[2:3]
	s_mov_b64 s[48:49], 0
	v_mov_b32_e32 v3, 5
	s_xor_b64 exec, exec, s[2:3]
; %bb.354:                              ;   in Loop: Header=BB85_6 Depth=1
	s_mov_b64 s[48:49], exec
	v_subrev_u32_e32 v1, s84, v1
	v_mov_b32_e32 v3, 0
; %bb.355:                              ;   in Loop: Header=BB85_6 Depth=1
	s_or_b64 exec, exec, s[2:3]
	s_and_b64 s[48:49], s[48:49], exec
	v_mov_b32_e32 v2, v1
.LBB85_356:                             ;   in Loop: Header=BB85_6 Depth=1
	s_or_b64 exec, exec, s[46:47]
	s_mov_b64 s[2:3], -1
                                        ; implicit-def: $sgpr52_sgpr53
                                        ; implicit-def: $sgpr50_sgpr51
	s_and_saveexec_b64 s[46:47], s[48:49]
	s_cbranch_execz .LBB85_397
; %bb.357:                              ;   in Loop: Header=BB85_6 Depth=1
	s_cmp_eq_u32 s14, 1
	s_cselect_b64 s[2:3], -1, 0
	v_cmp_eq_u32_e32 vcc, 1, v2
	s_and_b64 s[48:49], s[2:3], vcc
	s_mov_b64 s[2:3], -1
                                        ; implicit-def: $sgpr52_sgpr53
                                        ; implicit-def: $sgpr50_sgpr51
	s_and_saveexec_b64 s[54:55], s[48:49]
	s_cbranch_execz .LBB85_385
; %bb.358:                              ;   in Loop: Header=BB85_6 Depth=1
	ds_read_b32 v1, v9 offset:4096
	s_waitcnt lgkmcnt(0)
	s_barrier
	v_readfirstlane_b32 s10, v1
	s_and_saveexec_b64 s[2:3], s[4:5]
; %bb.359:                              ;   in Loop: Header=BB85_6 Depth=1
	ds_write_b32 v21, v9
; %bb.360:                              ;   in Loop: Header=BB85_6 Depth=1
	s_or_b64 exec, exec, s[2:3]
	v_and_b32_e32 v24, s76, v24
	v_or_b32_e32 v33, s15, v33
	s_mov_b64 s[50:51], -1
	s_mov_b64 s[52:53], 0
	s_cmp_eq_u32 s10, 0
	s_mov_b64 s[56:57], 0
	s_mov_b64 s[58:59], -1
	s_waitcnt lgkmcnt(0)
	s_barrier
                                        ; implicit-def: $vgpr14
	s_cbranch_scc1 .LBB85_372
; %bb.361:                              ;   in Loop: Header=BB85_6 Depth=1
	v_readlane_b32 s2, v47, 26
	s_add_i32 s2, s10, s2
	v_readlane_b32 s3, v47, 39
	s_mul_hi_u32 s3, s2, s3
	s_mul_i32 s3, s3, s8
	s_sub_i32 s3, s2, s3
	s_sub_i32 s11, s3, s8
	s_cmp_ge_u32 s3, s8
	s_cselect_b32 s3, s11, s3
	s_sub_i32 s11, s3, s8
	s_cmp_ge_u32 s3, s8
	s_cselect_b32 s3, s11, s3
	s_sub_i32 s11, s2, s3
	v_cmp_gt_u32_e32 vcc, s11, v0
	s_mov_b64 s[58:59], 0
                                        ; implicit-def: $vgpr14
	s_and_saveexec_b64 s[82:83], vcc
	s_cbranch_execz .LBB85_371
; %bb.362:                              ;   in Loop: Header=BB85_6 Depth=1
	v_mov_b32_e32 v1, v18
	v_mov_b32_e32 v4, v0
                                        ; implicit-def: $sgpr84_sgpr85
	s_branch .LBB85_366
.LBB85_363:                             ;   in Loop: Header=BB85_366 Depth=2
	s_or_b64 exec, exec, s[2:3]
	s_waitcnt lgkmcnt(0)
	s_barrier
	ds_read_b64 v[13:14], v9 offset:3072
	s_waitcnt lgkmcnt(0)
	s_barrier
	v_cmp_neq_f32_e32 vcc, 0, v13
	s_cbranch_vccnz .LBB85_369
; %bb.364:                              ;   in Loop: Header=BB85_366 Depth=2
	v_add_u32_e32 v4, s8, v4
	v_cmp_le_u32_e32 vcc, s11, v4
	v_add_u32_e32 v1, s77, v1
	s_mov_b64 s[2:3], 0
	s_orn2_b64 vcc, vcc, exec
.LBB85_365:                             ;   in Loop: Header=BB85_366 Depth=2
	s_and_b64 vcc, exec, vcc
	s_or_b64 s[56:57], vcc, s[56:57]
	s_andn2_b64 s[84:85], s[84:85], exec
	s_and_b64 s[2:3], s[2:3], exec
	s_or_b64 s[84:85], s[84:85], s[2:3]
	s_andn2_b64 exec, exec, s[56:57]
	s_cbranch_execz .LBB85_370
.LBB85_366:                             ;   Parent Loop BB85_6 Depth=1
                                        ; =>  This Inner Loop Header: Depth=2
	v_cmp_gt_u32_e32 vcc, s10, v4
	s_and_saveexec_b64 s[2:3], vcc
	s_cbranch_execz .LBB85_363
; %bb.367:                              ;   in Loop: Header=BB85_366 Depth=2
	ds_read_b32 v13, v1
	s_waitcnt lgkmcnt(0)
	v_cmp_lt_i32_e32 vcc, -1, v13
	v_cndmask_b32_e32 v8, -1, v32, vcc
	v_xor_b32_e32 v8, v8, v13
	v_cmp_o_f32_e32 vcc, v13, v13
	v_cndmask_b32_e32 v8, -1, v8, vcc
	v_and_b32_e32 v8, v8, v33
	v_cmp_eq_u32_e32 vcc, v8, v24
	s_and_b64 exec, exec, vcc
	s_cbranch_execz .LBB85_363
; %bb.368:                              ;   in Loop: Header=BB85_366 Depth=2
	ds_write_b64 v9, v[12:13] offset:3072
	s_branch .LBB85_363
.LBB85_369:                             ;   in Loop: Header=BB85_366 Depth=2
	s_mov_b64 vcc, -1
                                        ; implicit-def: $vgpr4
                                        ; implicit-def: $vgpr1
	s_mov_b64 s[2:3], -1
	s_branch .LBB85_365
.LBB85_370:                             ;   in Loop: Header=BB85_6 Depth=1
	s_or_b64 exec, exec, s[56:57]
	s_and_b64 s[56:57], s[84:85], exec
.LBB85_371:                             ;   in Loop: Header=BB85_6 Depth=1
	s_or_b64 exec, exec, s[82:83]
.LBB85_372:                             ;   in Loop: Header=BB85_6 Depth=1
	s_and_b64 vcc, exec, s[58:59]
	s_cbranch_vccz .LBB85_384
; %bb.373:                              ;   in Loop: Header=BB85_6 Depth=1
                                        ; implicit-def: $vgpr14
	s_mov_b64 s[50:51], exec
	v_readlane_b32 s2, v47, 40
	v_readlane_b32 s3, v47, 41
	s_and_b64 s[2:3], s[50:51], s[2:3]
	s_mov_b64 exec, s[2:3]
	s_cbranch_execz .LBB85_383
; %bb.374:                              ;   in Loop: Header=BB85_6 Depth=1
	s_mov_b64 s[52:53], 0
	v_mov_b32_e32 v8, v7
	v_mov_b32_e32 v1, v0
                                        ; implicit-def: $sgpr58_sgpr59
	s_branch .LBB85_378
.LBB85_375:                             ;   in Loop: Header=BB85_378 Depth=2
	s_or_b64 exec, exec, s[2:3]
	s_waitcnt lgkmcnt(0)
	s_barrier
	ds_read_b64 v[13:14], v9 offset:3072
	s_waitcnt lgkmcnt(0)
	s_barrier
	v_cmp_eq_f32_e32 vcc, 0, v13
	s_cbranch_vccz .LBB85_381
; %bb.376:                              ;   in Loop: Header=BB85_378 Depth=2
	v_add_u32_e32 v1, s8, v1
	v_cmp_le_u32_e32 vcc, s78, v1
	v_add_u32_e32 v8, s9, v8
	s_mov_b64 s[2:3], 0
	s_orn2_b64 s[82:83], vcc, exec
.LBB85_377:                             ;   in Loop: Header=BB85_378 Depth=2
	s_and_b64 s[10:11], exec, s[82:83]
	s_or_b64 s[52:53], s[10:11], s[52:53]
	s_andn2_b64 s[10:11], s[58:59], exec
	s_and_b64 s[2:3], s[2:3], exec
	s_or_b64 s[58:59], s[10:11], s[2:3]
	s_andn2_b64 exec, exec, s[52:53]
	s_cbranch_execz .LBB85_382
.LBB85_378:                             ;   Parent Loop BB85_6 Depth=1
                                        ; =>  This Inner Loop Header: Depth=2
	v_cmp_gt_u32_e32 vcc, s60, v1
	s_and_saveexec_b64 s[2:3], vcc
	s_cbranch_execz .LBB85_375
; %bb.379:                              ;   in Loop: Header=BB85_378 Depth=2
	v_lshlrev_b64 v[13:14], 2, v[8:9]
	v_mov_b32_e32 v4, s72
	v_add_co_u32_e32 v13, vcc, s33, v13
	v_addc_co_u32_e32 v14, vcc, v4, v14, vcc
	global_load_dword v13, v[13:14], off
	s_waitcnt vmcnt(0)
	v_cmp_lt_i32_e32 vcc, -1, v13
	v_cndmask_b32_e32 v4, -1, v32, vcc
	v_xor_b32_e32 v4, v4, v13
	v_cmp_o_f32_e32 vcc, v13, v13
	v_cndmask_b32_e32 v4, -1, v4, vcc
	v_and_b32_e32 v4, v4, v33
	v_cmp_eq_u32_e32 vcc, v4, v24
	s_and_b64 exec, exec, vcc
	s_cbranch_execz .LBB85_375
; %bb.380:                              ;   in Loop: Header=BB85_378 Depth=2
	ds_write_b64 v9, v[12:13] offset:3072
	s_branch .LBB85_375
.LBB85_381:                             ;   in Loop: Header=BB85_378 Depth=2
	s_mov_b64 s[82:83], -1
                                        ; implicit-def: $vgpr1
	s_mov_b64 s[2:3], -1
	s_branch .LBB85_377
.LBB85_382:                             ;   in Loop: Header=BB85_6 Depth=1
	s_or_b64 exec, exec, s[52:53]
	s_andn2_b64 s[2:3], s[56:57], exec
	s_and_b64 s[10:11], s[58:59], exec
	s_or_b64 s[56:57], s[2:3], s[10:11]
.LBB85_383:                             ;   in Loop: Header=BB85_6 Depth=1
	s_or_b64 exec, exec, s[50:51]
	s_mov_b64 s[50:51], 0
	s_mov_b64 s[52:53], -1
.LBB85_384:                             ;   in Loop: Header=BB85_6 Depth=1
	s_orn2_b64 s[2:3], s[56:57], exec
.LBB85_385:                             ;   in Loop: Header=BB85_6 Depth=1
	s_or_b64 exec, exec, s[54:55]
	s_mov_b64 s[56:57], 0
	s_and_saveexec_b64 s[54:55], s[2:3]
	s_cbranch_execz .LBB85_396
; %bb.386:                              ;   in Loop: Header=BB85_6 Depth=1
	s_xor_b64 s[10:11], s[48:49], -1
	v_mov_b32_e32 v3, 1
	v_mov_b32_e32 v1, 1
	s_and_saveexec_b64 s[2:3], s[10:11]
	s_cbranch_execz .LBB85_395
; %bb.387:                              ;   in Loop: Header=BB85_6 Depth=1
	v_cmp_ge_u32_e32 vcc, s14, v2
	s_and_saveexec_b64 s[10:11], vcc
	s_xor_b64 s[48:49], exec, s[10:11]
	s_cbranch_execz .LBB85_392
; %bb.388:                              ;   in Loop: Header=BB85_6 Depth=1
	ds_read_b32 v1, v9 offset:4096
	v_and_b32_e32 v24, s76, v24
	v_or_b32_e32 v33, s15, v33
	s_waitcnt lgkmcnt(0)
	v_cmp_ne_u32_e32 vcc, 0, v1
	s_cbranch_vccnz .LBB85_392
; %bb.389:                              ;   in Loop: Header=BB85_6 Depth=1
	s_mov_b64 s[56:57], exec
	v_readlane_b32 s10, v47, 13
	v_readlane_b32 s11, v47, 14
	s_and_b64 s[10:11], s[56:57], s[10:11]
	s_mov_b64 exec, s[10:11]
; %bb.390:                              ;   in Loop: Header=BB85_6 Depth=1
	v_mov_b32_e32 v1, s14
	ds_write_b32 v9, v1 offset:4100
; %bb.391:                              ;   in Loop: Header=BB85_6 Depth=1
	s_or_b64 exec, exec, s[56:57]
	s_waitcnt lgkmcnt(0)
	s_barrier
.LBB85_392:                             ;   in Loop: Header=BB85_6 Depth=1
	s_andn2_saveexec_b64 s[48:49], s[48:49]
; %bb.393:                              ;   in Loop: Header=BB85_6 Depth=1
	v_subrev_u32_e32 v2, s14, v2
; %bb.394:                              ;   in Loop: Header=BB85_6 Depth=1
	s_or_b64 exec, exec, s[48:49]
	v_mov_b32_e32 v3, 5
	v_mov_b32_e32 v1, v2
.LBB85_395:                             ;   in Loop: Header=BB85_6 Depth=1
	s_or_b64 exec, exec, s[2:3]
	s_mov_b64 s[56:57], exec
	v_mov_b32_e32 v2, v1
.LBB85_396:                             ;   in Loop: Header=BB85_6 Depth=1
	s_or_b64 exec, exec, s[54:55]
	s_orn2_b64 s[2:3], s[56:57], exec
.LBB85_397:                             ;   in Loop: Header=BB85_6 Depth=1
	s_or_b64 exec, exec, s[46:47]
	s_andn2_b64 s[10:11], s[42:43], exec
	s_and_b64 s[14:15], s[52:53], exec
	s_or_b64 s[42:43], s[10:11], s[14:15]
	s_andn2_b64 s[10:11], s[40:41], exec
	s_and_b64 s[14:15], s[50:51], exec
	s_or_b64 s[40:41], s[10:11], s[14:15]
	s_and_b64 s[48:49], s[2:3], exec
	v_mov_b32_e32 v1, v2
.LBB85_398:                             ;   in Loop: Header=BB85_6 Depth=1
	s_or_b64 exec, exec, s[44:45]
	s_orn2_b64 s[2:3], s[48:49], exec
.LBB85_399:                             ;   in Loop: Header=BB85_6 Depth=1
	s_or_b64 exec, exec, s[38:39]
	s_andn2_b64 s[10:11], s[34:35], exec
	s_and_b64 s[14:15], s[42:43], exec
	s_or_b64 s[34:35], s[10:11], s[14:15]
	s_andn2_b64 s[10:11], s[30:31], exec
	s_and_b64 s[14:15], s[40:41], exec
	s_or_b64 s[30:31], s[10:11], s[14:15]
	s_and_b64 s[40:41], s[2:3], exec
	v_mov_b32_e32 v36, v1
.LBB85_400:                             ;   in Loop: Header=BB85_6 Depth=1
	s_or_b64 exec, exec, s[36:37]
	s_orn2_b64 s[2:3], s[40:41], exec
.LBB85_401:                             ;   in Loop: Header=BB85_6 Depth=1
	s_or_b64 exec, exec, s[6:7]
	s_mov_b64 s[6:7], s[26:27]
	s_mov_b64 s[36:37], s[24:25]
	s_and_saveexec_b64 s[38:39], s[2:3]
; %bb.402:                              ;   in Loop: Header=BB85_6 Depth=1
	v_cmp_ne_u32_e64 s[6:7], 5, v3
	v_cmp_eq_u32_e32 vcc, 5, v3
	s_andn2_b64 s[2:3], s[24:25], exec
	s_and_b64 s[6:7], s[6:7], exec
	s_or_b64 s[36:37], s[2:3], s[6:7]
	s_andn2_b64 s[2:3], s[26:27], exec
	s_and_b64 s[6:7], vcc, exec
	s_or_b64 s[6:7], s[2:3], s[6:7]
; %bb.403:                              ;   in Loop: Header=BB85_6 Depth=1
	s_or_b64 exec, exec, s[38:39]
	s_andn2_b64 s[2:3], s[18:19], exec
	s_and_b64 s[10:11], s[34:35], exec
	s_or_b64 s[18:19], s[2:3], s[10:11]
	s_andn2_b64 s[2:3], s[22:23], exec
	s_and_b64 s[10:11], s[30:31], exec
	s_or_b64 s[22:23], s[2:3], s[10:11]
	;; [unrolled: 3-line block ×4, first 2 shown]
.LBB85_404:                             ;   in Loop: Header=BB85_6 Depth=1
	s_or_b64 exec, exec, s[28:29]
	s_mov_b64 s[28:29], 0
	s_mov_b64 s[30:31], 0
	s_and_saveexec_b64 s[2:3], s[26:27]
.LBB85_405:                             ;   in Loop: Header=BB85_6 Depth=1
	v_mov_b32_e32 v3, 0
	s_or_b64 s[24:25], s[24:25], exec
.LBB85_406:                             ;   in Loop: Header=BB85_6 Depth=1
	s_or_b64 exec, exec, s[2:3]
	s_andn2_b64 s[2:3], s[20:21], exec
	s_and_b64 s[10:11], s[18:19], exec
	s_or_b64 s[20:21], s[2:3], s[10:11]
	s_andn2_b64 s[2:3], s[70:71], exec
	s_and_b64 s[10:11], s[22:23], exec
	s_or_b64 s[70:71], s[2:3], s[10:11]
	;; [unrolled: 3-line block ×3, first 2 shown]
	s_andn2_b64 s[2:3], s[66:67], exec
	s_and_b64 s[10:11], s[28:29], exec
	s_mov_b64 s[6:7], -1
	s_andn2_b64 s[80:81], s[80:81], exec
	s_or_b64 s[66:67], s[2:3], s[10:11]
	v_mov_b32_e32 v34, v36
	s_and_saveexec_b64 s[2:3], s[24:25]
	s_xor_b64 s[2:3], exec, s[2:3]
	s_cbranch_execz .LBB85_5
; %bb.407:                              ;   in Loop: Header=BB85_6 Depth=1
	v_cmp_eq_u32_e32 vcc, 0, v3
	s_mov_b64 s[18:19], -1
	s_and_saveexec_b64 s[22:23], vcc
	s_cbranch_execz .LBB85_4
; %bb.408:                              ;   in Loop: Header=BB85_6 Depth=1
	s_xor_b32 s73, s73, 1
	s_add_i32 s10, s13, -2
	s_cmp_eq_u32 s13, 0
	s_cselect_b64 s[6:7], -1, 0
	s_xor_b64 s[18:19], exec, -1
	s_orn2_b64 s[6:7], s[6:7], exec
	s_mov_b32 s13, s10
	s_branch .LBB85_4
.LBB85_409:
	s_or_b64 exec, exec, s[86:87]
	s_xor_b64 s[6:7], s[64:65], -1
	s_xor_b64 s[18:19], s[94:95], -1
	;; [unrolled: 1-line block ×5, first 2 shown]
	s_mov_b64 s[12:13], 0
	s_and_saveexec_b64 s[10:11], s[4:5]
	s_xor_b64 s[10:11], exec, s[10:11]
	s_cbranch_execnz .LBB85_414
; %bb.410:
	s_andn2_saveexec_b64 s[0:1], s[10:11]
	s_cbranch_execnz .LBB85_433
.LBB85_411:
	s_or_b64 exec, exec, s[0:1]
	s_and_saveexec_b64 s[0:1], s[12:13]
.LBB85_412:
	; divergent unreachable
.LBB85_413:
	s_endpgm
.LBB85_414:
	s_mov_b64 s[14:15], 0
	s_and_saveexec_b64 s[4:5], s[16:17]
	s_xor_b64 s[12:13], exec, s[4:5]
	s_cbranch_execz .LBB85_431
; %bb.415:
	s_mov_b64 s[16:17], 0
	s_and_saveexec_b64 s[4:5], s[18:19]
	s_xor_b64 s[14:15], exec, s[4:5]
	s_cbranch_execz .LBB85_429
; %bb.416:
	;; [unrolled: 5-line block ×3, first 2 shown]
	s_and_saveexec_b64 s[4:5], s[2:3]
	s_xor_b64 s[2:3], exec, s[4:5]
; %bb.418:
	v_bfrev_b32_e32 v1, 1
	v_cmp_lt_i32_e32 vcc, -1, v24
	v_cndmask_b32_e64 v1, v1, -1, vcc
	v_xor_b32_e32 v14, v1, v24
; %bb.419:
	s_or_b64 exec, exec, s[2:3]
	s_mov_b64 s[2:3], exec
	v_readlane_b32 s4, v47, 13
	v_readlane_b32 s5, v47, 14
	;; [unrolled: 1-line block ×3, first 2 shown]
	s_and_b64 s[4:5], s[2:3], s[4:5]
	v_readlane_b32 s43, v47, 17
	v_readlane_b32 s6, v47, 15
	s_mov_b64 exec, s[4:5]
; %bb.420:
	v_mov_b32_e32 v1, 0
	ds_write_b32 v1, v1 offset:4108
; %bb.421:
	s_or_b64 exec, exec, s[2:3]
	v_mov_b32_e32 v4, 0
	s_waitcnt lgkmcnt(0)
	s_barrier
	s_mov_b64 s[2:3], exec
	v_readlane_b32 s4, v47, 22
	v_readlane_b32 s5, v47, 23
	s_and_b64 s[4:5], s[2:3], s[4:5]
	s_mov_b64 exec, s[4:5]
	s_cbranch_execz .LBB85_423
; %bb.422:
	global_load_dword v4, v[5:6], off
.LBB85_423:
	s_or_b64 exec, exec, s[2:3]
	v_readlane_b32 s5, v47, 9
	v_readlane_b32 s7, v47, 10
	s_mul_i32 s2, s7, s5
	s_add_i32 s34, s60, 63
	s_sub_i32 s2, s6, s2
	s_andn2_b32 s34, s34, 63
	s_add_i32 s3, s7, 1
	s_sub_i32 s4, s2, s5
	s_cmp_ge_u32 s2, s5
	s_cselect_b32 s3, s3, s7
	s_cselect_b32 s2, s4, s2
	s_add_i32 s4, s3, 1
	s_cmp_ge_u32 s2, s5
	s_cselect_b32 s2, s4, s3
	s_mul_i32 s3, s2, s5
	v_readlane_b32 s4, v47, 5
	s_sub_i32 s3, s6, s3
	v_readlane_b32 s5, v47, 6
	s_mul_i32 s3, s3, s5
	s_mul_i32 s2, s2, s4
	v_readlane_b32 s7, v47, 11
	v_readlane_b32 s18, v47, 12
	s_add_i32 s2, s2, s3
	s_mul_i32 s3, s18, s7
	s_sub_i32 s3, s6, s3
	s_add_i32 s4, s18, 1
	s_sub_i32 s5, s3, s7
	s_cmp_ge_u32 s3, s7
	s_cselect_b32 s4, s4, s18
	s_cselect_b32 s3, s5, s3
	s_add_i32 s5, s4, 1
	s_cmp_ge_u32 s3, s7
	s_cselect_b32 s3, s5, s4
	s_mul_i32 s4, s3, s7
	s_sub_i32 s4, s6, s4
	v_readlane_b32 s6, v47, 1
	v_readlane_b32 s7, v47, 2
	s_mul_i32 s4, s4, s7
	s_mul_i32 s3, s3, s6
	s_add_i32 s4, s3, s4
	s_mov_b32 s3, 0
	s_lshl_b64 s[6:7], s[2:3], 2
	v_readlane_b32 s18, v47, 7
	v_readlane_b32 s19, v47, 8
	s_add_u32 s35, s18, s6
	s_mov_b32 s5, s3
	s_addc_u32 s36, s19, s7
	s_lshl_b64 s[2:3], s[4:5], 3
	v_readlane_b32 s4, v47, 3
	v_readlane_b32 s5, v47, 4
	s_add_u32 s37, s4, s2
	s_addc_u32 s38, s5, s3
	v_readlane_b32 s2, v47, 20
	v_readlane_b32 s3, v47, 21
	s_load_dword s39, s[2:3], 0x1c8
	s_load_dword s40, s[2:3], 0x2a8
	v_bfrev_b32_e32 v8, 1
	v_cmp_lt_i32_e32 vcc, -1, v14
	v_cndmask_b32_e32 v1, -1, v8, vcc
	v_xor_b32_e32 v1, v1, v14
	v_cmp_o_f32_e32 vcc, v14, v14
	v_cndmask_b32_e32 v7, -1, v1, vcc
	v_cmp_gt_u32_e32 vcc, s34, v0
	s_mov_b64 s[2:3], -1
	s_mov_b64 s[30:31], 0
	s_mov_b64 s[4:5], 0
	s_and_saveexec_b64 s[18:19], vcc
	s_cbranch_execnz .LBB85_434
; %bb.424:
	s_or_b64 exec, exec, s[18:19]
	s_and_saveexec_b64 s[6:7], s[2:3]
	s_cbranch_execnz .LBB85_451
.LBB85_425:
	s_or_b64 exec, exec, s[6:7]
	s_and_saveexec_b64 s[0:1], s[4:5]
	s_xor_b64 s[0:1], exec, s[0:1]
	s_cbranch_execnz .LBB85_474
.LBB85_426:
	s_or_b64 exec, exec, s[0:1]
	s_and_b64 s[18:19], s[30:31], exec
.LBB85_427:
	s_andn2_saveexec_b64 s[0:1], s[16:17]
	s_cbranch_execnz .LBB85_476
.LBB85_428:
	s_or_b64 exec, exec, s[0:1]
	s_and_b64 s[16:17], s[18:19], exec
.LBB85_429:
	s_andn2_saveexec_b64 s[0:1], s[14:15]
	s_cbranch_execnz .LBB85_475
.LBB85_430:
	s_or_b64 exec, exec, s[0:1]
	s_and_b64 s[14:15], s[16:17], exec
.LBB85_431:
	s_andn2_saveexec_b64 s[0:1], s[12:13]
	s_cbranch_execnz .LBB85_470
.LBB85_432:
	s_or_b64 exec, exec, s[0:1]
	s_and_b64 s[12:13], s[14:15], exec
	s_andn2_saveexec_b64 s[0:1], s[10:11]
	s_cbranch_execz .LBB85_411
.LBB85_433:
	s_or_b64 s[12:13], s[12:13], exec
	s_trap 2
	s_or_b64 exec, exec, s[0:1]
	s_and_saveexec_b64 s[0:1], s[12:13]
	s_cbranch_execnz .LBB85_412
	s_branch .LBB85_413
.LBB85_434:
	v_add_u32_e32 v1, s8, v0
	v_readlane_b32 s2, v47, 0
	v_mul_lo_u32 v1, s2, v1
	s_mov_b64 s[20:21], 0
	v_mov_b32_e32 v2, 0
	v_mov_b32_e32 v3, v0
                                        ; implicit-def: $sgpr22_sgpr23
                                        ; implicit-def: $vgpr10
	s_branch .LBB85_436
.LBB85_435:                             ;   in Loop: Header=BB85_436 Depth=1
	s_or_b64 exec, exec, s[24:25]
	s_xor_b64 s[4:5], s[6:7], -1
	s_and_b64 s[2:3], exec, s[2:3]
	s_or_b64 s[20:21], s[2:3], s[20:21]
	s_andn2_b64 s[2:3], s[22:23], exec
	s_and_b64 s[4:5], s[4:5], exec
	s_or_b64 s[22:23], s[2:3], s[4:5]
	s_waitcnt vmcnt(0)
	v_mov_b32_e32 v4, v11
	v_mov_b32_e32 v3, v9
	s_andn2_b64 exec, exec, s[20:21]
	s_cbranch_execz .LBB85_450
.LBB85_436:                             ; =>This Inner Loop Header: Depth=1
	v_add_u32_e32 v9, s8, v3
	v_cmp_gt_u32_e64 s[4:5], s60, v9
	v_mov_b32_e32 v11, 0
	s_and_saveexec_b64 s[2:3], s[4:5]
	s_cbranch_execz .LBB85_438
; %bb.437:                              ;   in Loop: Header=BB85_436 Depth=1
	v_lshlrev_b64 v[11:12], 2, v[1:2]
	v_mov_b32_e32 v13, s72
	v_add_co_u32_e64 v11, s[4:5], s33, v11
	v_addc_co_u32_e64 v12, s[4:5], v13, v12, s[4:5]
	global_load_dword v11, v[11:12], off
.LBB85_438:                             ;   in Loop: Header=BB85_436 Depth=1
	s_or_b64 exec, exec, s[2:3]
	v_cmp_gt_u32_e64 s[4:5], s60, v3
	s_mov_b64 s[24:25], 0
	s_and_saveexec_b64 s[2:3], s[4:5]
	s_cbranch_execz .LBB85_440
; %bb.439:                              ;   in Loop: Header=BB85_436 Depth=1
	s_waitcnt vmcnt(0)
	v_cmp_lt_i32_e64 s[4:5], -1, v4
	v_cndmask_b32_e64 v12, -1, v8, s[4:5]
	v_xor_b32_e32 v12, v12, v4
	v_cmp_o_f32_e64 s[4:5], v4, v4
	v_cndmask_b32_e64 v12, -1, v12, s[4:5]
	v_cmp_gt_u32_e64 s[4:5], v12, v7
	v_cndmask_b32_e64 v13, 0, 1, s[4:5]
	v_cmp_lt_u32_e64 s[4:5], v12, v7
	v_cndmask_b32_e64 v12, 0, 1, s[4:5]
	v_cndmask_b32_e64 v12, v12, v13, s[42:43]
	v_and_b32_e32 v12, 1, v12
	v_cmp_eq_u32_e64 s[4:5], 1, v12
	s_and_b64 s[24:25], s[4:5], exec
.LBB85_440:                             ;   in Loop: Header=BB85_436 Depth=1
	s_or_b64 exec, exec, s[2:3]
	v_cndmask_b32_e64 v12, 0, 1, s[24:25]
	v_cmp_ne_u32_e64 s[4:5], 0, v12
	s_cmp_lg_u64 s[4:5], 0
	s_cselect_b64 s[2:3], -1, 0
	s_and_b64 s[6:7], s[0:1], s[2:3]
	s_and_saveexec_b64 s[2:3], s[6:7]
	s_cbranch_execz .LBB85_444
; %bb.441:                              ;   in Loop: Header=BB85_436 Depth=1
	s_mov_b64 s[28:29], exec
	s_waitcnt lgkmcnt(0)
	v_mbcnt_lo_u32_b32 v10, s28, 0
	v_mbcnt_hi_u32_b32 v10, s29, v10
	s_bcnt1_i32_b64 s41, s[4:5]
	v_cmp_eq_u32_e64 s[6:7], 0, v10
                                        ; implicit-def: $vgpr12
	s_and_saveexec_b64 s[26:27], s[6:7]
; %bb.442:                              ;   in Loop: Header=BB85_436 Depth=1
	s_bcnt1_i32_b64 s6, s[28:29]
	s_mul_i32 s6, s41, s6
	v_mov_b32_e32 v12, s6
	ds_add_rtn_u32 v12, v2, v12 offset:4108
; %bb.443:                              ;   in Loop: Header=BB85_436 Depth=1
	s_or_b64 exec, exec, s[26:27]
	s_waitcnt lgkmcnt(0)
	v_readfirstlane_b32 s6, v12
	v_mov_b32_e32 v12, s6
	v_mad_u32_u24 v10, s41, v10, v12
.LBB85_444:                             ;   in Loop: Header=BB85_436 Depth=1
	s_or_b64 exec, exec, s[2:3]
	s_waitcnt lgkmcnt(0)
	ds_bpermute_b32 v10, v15, v10
	s_mov_b64 s[2:3], -1
	s_mov_b64 s[26:27], -1
	s_and_saveexec_b64 s[6:7], s[24:25]
	s_cbranch_execz .LBB85_448
; %bb.445:                              ;   in Loop: Header=BB85_436 Depth=1
	v_and_b32_e32 v13, s4, v17
	v_and_b32_e32 v12, s5, v16
	v_bcnt_u32_b32 v13, v13, 0
	v_bcnt_u32_b32 v12, v12, v13
	s_waitcnt lgkmcnt(0)
	v_add_u32_e32 v12, v10, v12
	v_cmp_gt_u32_e64 s[4:5], s61, v12
	s_mov_b64 s[24:25], 0
	s_and_saveexec_b64 s[26:27], s[4:5]
	s_cbranch_execz .LBB85_447
; %bb.446:                              ;   in Loop: Header=BB85_436 Depth=1
	v_mul_lo_u32 v13, v12, s39
	v_mov_b32_e32 v14, v2
	v_mul_lo_u32 v12, v12, s40
	v_mov_b32_e32 v18, s36
	v_lshlrev_b64 v[13:14], 2, v[13:14]
	s_mov_b64 s[24:25], exec
	v_add_co_u32_e64 v13, s[4:5], s35, v13
	v_addc_co_u32_e64 v14, s[4:5], v18, v14, s[4:5]
	s_waitcnt vmcnt(0)
	global_store_dword v[13:14], v4, off
	v_mov_b32_e32 v13, v2
	v_lshlrev_b64 v[12:13], 3, v[12:13]
	v_mov_b32_e32 v14, s38
	v_add_co_u32_e64 v12, s[4:5], s37, v12
	v_mov_b32_e32 v4, v2
	v_addc_co_u32_e64 v13, s[4:5], v14, v13, s[4:5]
	global_store_dwordx2 v[12:13], v[3:4], off
.LBB85_447:                             ;   in Loop: Header=BB85_436 Depth=1
	s_or_b64 exec, exec, s[26:27]
	s_orn2_b64 s[26:27], s[24:25], exec
.LBB85_448:                             ;   in Loop: Header=BB85_436 Depth=1
	s_or_b64 exec, exec, s[6:7]
	s_mov_b64 s[6:7], -1
	s_and_saveexec_b64 s[24:25], s[26:27]
	s_cbranch_execz .LBB85_435
; %bb.449:                              ;   in Loop: Header=BB85_436 Depth=1
	v_cmp_le_u32_e64 s[4:5], s34, v9
	v_add_u32_e32 v1, s9, v1
	s_xor_b64 s[6:7], exec, -1
	s_orn2_b64 s[2:3], s[4:5], exec
	s_branch .LBB85_435
.LBB85_450:
	s_or_b64 exec, exec, s[20:21]
	s_mov_b64 s[4:5], exec
	s_orn2_b64 s[2:3], s[22:23], exec
	s_or_b64 exec, exec, s[18:19]
	s_and_saveexec_b64 s[6:7], s[2:3]
	s_cbranch_execz .LBB85_425
.LBB85_451:
	v_mov_b32_e32 v1, 0
	s_waitcnt vmcnt(0) lgkmcnt(0)
	s_barrier
	s_mov_b64 s[2:3], exec
	v_readlane_b32 s18, v47, 22
	v_readlane_b32 s19, v47, 23
	s_and_b64 s[18:19], s[2:3], s[18:19]
	s_mov_b64 exec, s[18:19]
	s_cbranch_execz .LBB85_453
; %bb.452:
	global_load_dword v1, v[5:6], off
.LBB85_453:
	s_or_b64 exec, exec, s[2:3]
	s_mov_b64 s[2:3], 0
	s_and_saveexec_b64 s[30:31], vcc
	s_cbranch_execz .LBB85_473
; %bb.454:
	v_add_u32_e32 v2, s8, v0
	v_readlane_b32 s2, v47, 0
	v_mul_lo_u32 v2, s2, v2
	s_mov_b64 s[18:19], 0
	v_mov_b32_e32 v3, 0
	v_bfrev_b32_e32 v4, 1
                                        ; implicit-def: $sgpr20_sgpr21
                                        ; implicit-def: $vgpr6
	s_branch .LBB85_457
.LBB85_455:                             ;   in Loop: Header=BB85_457 Depth=1
	s_or_b64 exec, exec, s[24:25]
	s_orn2_b64 s[26:27], s[28:29], exec
	s_orn2_b64 s[24:25], s[22:23], exec
.LBB85_456:                             ;   in Loop: Header=BB85_457 Depth=1
	s_or_b64 exec, exec, s[2:3]
	s_xor_b64 s[2:3], s[26:27], -1
	s_and_b64 s[22:23], exec, s[24:25]
	s_or_b64 s[18:19], s[22:23], s[18:19]
	s_andn2_b64 s[20:21], s[20:21], exec
	s_and_b64 s[2:3], s[2:3], exec
	s_or_b64 s[20:21], s[20:21], s[2:3]
	v_mov_b32_e32 v0, v5
	v_mov_b32_e32 v1, v8
	s_andn2_b64 exec, exec, s[18:19]
	s_cbranch_execz .LBB85_471
.LBB85_457:                             ; =>This Inner Loop Header: Depth=1
	v_add_u32_e32 v5, s8, v0
	v_cmp_gt_u32_e32 vcc, s60, v5
	v_mov_b32_e32 v8, 0
	s_and_saveexec_b64 s[2:3], vcc
	s_cbranch_execz .LBB85_459
; %bb.458:                              ;   in Loop: Header=BB85_457 Depth=1
	v_lshlrev_b64 v[8:9], 2, v[2:3]
	v_mov_b32_e32 v10, s72
	v_add_co_u32_e32 v8, vcc, s33, v8
	v_addc_co_u32_e32 v9, vcc, v10, v9, vcc
	global_load_dword v8, v[8:9], off
.LBB85_459:                             ;   in Loop: Header=BB85_457 Depth=1
	s_or_b64 exec, exec, s[2:3]
	s_waitcnt vmcnt(0)
	v_cmp_lt_i32_e64 s[2:3], -1, v1
	v_cndmask_b32_e64 v9, -1, v4, s[2:3]
	v_xor_b32_e32 v9, v9, v1
	v_cmp_o_f32_e64 s[2:3], v1, v1
	v_cndmask_b32_e64 v9, -1, v9, s[2:3]
	v_cmp_gt_u32_e32 vcc, s60, v0
	v_cmp_eq_u32_e64 s[2:3], v9, v7
	s_and_b64 s[22:23], vcc, s[2:3]
	v_cndmask_b32_e64 v9, 0, 1, s[22:23]
	v_cmp_ne_u32_e32 vcc, 0, v9
	s_cmp_lg_u64 vcc, 0
	s_cselect_b64 s[2:3], -1, 0
	s_and_b64 s[2:3], s[0:1], s[2:3]
	s_and_saveexec_b64 s[24:25], s[2:3]
	s_cbranch_execz .LBB85_463
; %bb.460:                              ;   in Loop: Header=BB85_457 Depth=1
	s_mov_b64 s[28:29], exec
	v_mbcnt_lo_u32_b32 v6, s28, 0
	v_mbcnt_hi_u32_b32 v6, s29, v6
	s_bcnt1_i32_b64 s41, vcc
	v_cmp_eq_u32_e64 s[2:3], 0, v6
                                        ; implicit-def: $vgpr9
	s_and_saveexec_b64 s[26:27], s[2:3]
; %bb.461:                              ;   in Loop: Header=BB85_457 Depth=1
	s_bcnt1_i32_b64 s2, s[28:29]
	s_mul_i32 s2, s41, s2
	v_mov_b32_e32 v9, s2
	ds_add_rtn_u32 v9, v3, v9 offset:4108
; %bb.462:                              ;   in Loop: Header=BB85_457 Depth=1
	s_or_b64 exec, exec, s[26:27]
	s_waitcnt lgkmcnt(0)
	v_readfirstlane_b32 s2, v9
	v_mov_b32_e32 v9, s2
	v_mad_u32_u24 v6, s41, v6, v9
.LBB85_463:                             ;   in Loop: Header=BB85_457 Depth=1
	s_or_b64 exec, exec, s[24:25]
	ds_bpermute_b32 v6, v15, v6
	s_cmp_eq_u64 vcc, 0
	s_cselect_b64 s[26:27], -1, 0
	s_mov_b64 s[24:25], -1
	s_waitcnt lgkmcnt(0)
	v_cmp_gt_u32_e64 s[2:3], s61, v6
	s_or_b64 s[28:29], s[26:27], s[2:3]
	s_mov_b64 s[26:27], -1
	s_and_saveexec_b64 s[2:3], s[28:29]
	s_cbranch_execz .LBB85_456
; %bb.464:                              ;   in Loop: Header=BB85_457 Depth=1
	v_and_b32_e32 v10, vcc_lo, v17
	v_and_b32_e32 v9, vcc_hi, v16
	v_bcnt_u32_b32 v10, v10, 0
	v_bcnt_u32_b32 v9, v9, v10
	v_sub_u32_e32 v10, s61, v6
	v_cmp_gt_u32_e32 vcc, v10, v9
	s_and_b64 s[42:43], s[22:23], vcc
	s_mov_b64 s[22:23], -1
	s_mov_b64 s[28:29], -1
	s_and_saveexec_b64 s[24:25], s[42:43]
	s_cbranch_execz .LBB85_468
; %bb.465:                              ;   in Loop: Header=BB85_457 Depth=1
	v_add_u32_e32 v9, v6, v9
	v_cmp_gt_u32_e32 vcc, s61, v9
	s_mov_b64 s[26:27], 0
	s_and_saveexec_b64 s[28:29], vcc
; %bb.466:                              ;   in Loop: Header=BB85_457 Depth=1
	v_mul_lo_u32 v10, v9, s39
	v_mov_b32_e32 v11, v3
	v_mul_lo_u32 v9, v9, s40
	v_mov_b32_e32 v12, s36
	v_lshlrev_b64 v[10:11], 2, v[10:11]
	s_mov_b64 s[26:27], exec
	v_add_co_u32_e32 v10, vcc, s35, v10
	v_addc_co_u32_e32 v11, vcc, v12, v11, vcc
	global_store_dword v[10:11], v1, off
	v_mov_b32_e32 v10, v3
	v_lshlrev_b64 v[9:10], 3, v[9:10]
	v_mov_b32_e32 v11, s38
	v_add_co_u32_e32 v9, vcc, s37, v9
	v_mov_b32_e32 v1, v3
	v_addc_co_u32_e32 v10, vcc, v11, v10, vcc
	global_store_dwordx2 v[9:10], v[0:1], off
; %bb.467:                              ;   in Loop: Header=BB85_457 Depth=1
	s_or_b64 exec, exec, s[28:29]
	s_xor_b64 s[28:29], exec, -1
	s_orn2_b64 s[26:27], s[26:27], exec
.LBB85_468:                             ;   in Loop: Header=BB85_457 Depth=1
	s_or_b64 exec, exec, s[24:25]
	s_and_saveexec_b64 s[24:25], s[26:27]
	s_cbranch_execz .LBB85_455
; %bb.469:                              ;   in Loop: Header=BB85_457 Depth=1
	v_cmp_le_u32_e32 vcc, s34, v5
	v_add_u32_e32 v2, s9, v2
	s_or_b64 s[28:29], s[28:29], exec
	s_orn2_b64 s[22:23], vcc, exec
	s_branch .LBB85_455
.LBB85_470:
	s_or_b64 s[14:15], s[14:15], exec
	s_trap 2
	s_branch .LBB85_432
.LBB85_471:
	s_or_b64 exec, exec, s[18:19]
	s_mov_b64 s[0:1], 0
	s_and_saveexec_b64 s[2:3], s[20:21]
	s_xor_b64 s[2:3], exec, s[2:3]
	s_cbranch_execnz .LBB85_477
.LBB85_472:
	s_or_b64 exec, exec, s[2:3]
	s_and_b64 s[2:3], s[0:1], exec
.LBB85_473:
	s_or_b64 exec, exec, s[30:31]
	s_and_b64 s[30:31], s[2:3], exec
	s_andn2_b64 s[4:5], s[4:5], exec
	s_or_b64 exec, exec, s[6:7]
	s_and_saveexec_b64 s[0:1], s[4:5]
	s_xor_b64 s[0:1], exec, s[0:1]
	s_cbranch_execz .LBB85_426
.LBB85_474:
	s_trap 2
	s_or_b64 s[30:31], s[30:31], exec
	s_branch .LBB85_426
.LBB85_475:
	s_or_b64 s[16:17], s[16:17], exec
	s_trap 2
	s_branch .LBB85_430
.LBB85_476:
	s_trap 2
	s_or_b64 s[18:19], s[18:19], exec
	s_branch .LBB85_428
.LBB85_477:
	s_mov_b64 s[0:1], exec
	s_trap 2
	s_branch .LBB85_472
	.section	.rodata,"a",@progbits
	.p2align	6, 0x0
	.amdhsa_kernel _ZN2at6native6sbtopk10gatherTopKIfjLi2ELb0EEEvNS_4cuda6detail10TensorInfoIKT_T0_EES8_S8_bS8_S8_NS5_IS6_S8_EES8_NS5_IlS8_EES8_PS6_
		.amdhsa_group_segment_fixed_size 4112
		.amdhsa_private_segment_fixed_size 0
		.amdhsa_kernarg_size 952
		.amdhsa_user_sgpr_count 6
		.amdhsa_user_sgpr_private_segment_buffer 1
		.amdhsa_user_sgpr_dispatch_ptr 0
		.amdhsa_user_sgpr_queue_ptr 0
		.amdhsa_user_sgpr_kernarg_segment_ptr 1
		.amdhsa_user_sgpr_dispatch_id 0
		.amdhsa_user_sgpr_flat_scratch_init 0
		.amdhsa_user_sgpr_private_segment_size 0
		.amdhsa_uses_dynamic_stack 0
		.amdhsa_system_sgpr_private_segment_wavefront_offset 0
		.amdhsa_system_sgpr_workgroup_id_x 1
		.amdhsa_system_sgpr_workgroup_id_y 1
		.amdhsa_system_sgpr_workgroup_id_z 1
		.amdhsa_system_sgpr_workgroup_info 0
		.amdhsa_system_vgpr_workitem_id 0
		.amdhsa_next_free_vgpr 48
		.amdhsa_next_free_sgpr 96
		.amdhsa_reserve_vcc 1
		.amdhsa_reserve_flat_scratch 0
		.amdhsa_float_round_mode_32 0
		.amdhsa_float_round_mode_16_64 0
		.amdhsa_float_denorm_mode_32 3
		.amdhsa_float_denorm_mode_16_64 3
		.amdhsa_dx10_clamp 1
		.amdhsa_ieee_mode 1
		.amdhsa_fp16_overflow 0
		.amdhsa_exception_fp_ieee_invalid_op 0
		.amdhsa_exception_fp_denorm_src 0
		.amdhsa_exception_fp_ieee_div_zero 0
		.amdhsa_exception_fp_ieee_overflow 0
		.amdhsa_exception_fp_ieee_underflow 0
		.amdhsa_exception_fp_ieee_inexact 0
		.amdhsa_exception_int_div_zero 0
	.end_amdhsa_kernel
	.section	.text._ZN2at6native6sbtopk10gatherTopKIfjLi2ELb0EEEvNS_4cuda6detail10TensorInfoIKT_T0_EES8_S8_bS8_S8_NS5_IS6_S8_EES8_NS5_IlS8_EES8_PS6_,"axG",@progbits,_ZN2at6native6sbtopk10gatherTopKIfjLi2ELb0EEEvNS_4cuda6detail10TensorInfoIKT_T0_EES8_S8_bS8_S8_NS5_IS6_S8_EES8_NS5_IlS8_EES8_PS6_,comdat
.Lfunc_end85:
	.size	_ZN2at6native6sbtopk10gatherTopKIfjLi2ELb0EEEvNS_4cuda6detail10TensorInfoIKT_T0_EES8_S8_bS8_S8_NS5_IS6_S8_EES8_NS5_IlS8_EES8_PS6_, .Lfunc_end85-_ZN2at6native6sbtopk10gatherTopKIfjLi2ELb0EEEvNS_4cuda6detail10TensorInfoIKT_T0_EES8_S8_bS8_S8_NS5_IS6_S8_EES8_NS5_IlS8_EES8_PS6_
                                        ; -- End function
	.set _ZN2at6native6sbtopk10gatherTopKIfjLi2ELb0EEEvNS_4cuda6detail10TensorInfoIKT_T0_EES8_S8_bS8_S8_NS5_IS6_S8_EES8_NS5_IlS8_EES8_PS6_.num_vgpr, 48
	.set _ZN2at6native6sbtopk10gatherTopKIfjLi2ELb0EEEvNS_4cuda6detail10TensorInfoIKT_T0_EES8_S8_bS8_S8_NS5_IS6_S8_EES8_NS5_IlS8_EES8_PS6_.num_agpr, 0
	.set _ZN2at6native6sbtopk10gatherTopKIfjLi2ELb0EEEvNS_4cuda6detail10TensorInfoIKT_T0_EES8_S8_bS8_S8_NS5_IS6_S8_EES8_NS5_IlS8_EES8_PS6_.numbered_sgpr, 96
	.set _ZN2at6native6sbtopk10gatherTopKIfjLi2ELb0EEEvNS_4cuda6detail10TensorInfoIKT_T0_EES8_S8_bS8_S8_NS5_IS6_S8_EES8_NS5_IlS8_EES8_PS6_.num_named_barrier, 0
	.set _ZN2at6native6sbtopk10gatherTopKIfjLi2ELb0EEEvNS_4cuda6detail10TensorInfoIKT_T0_EES8_S8_bS8_S8_NS5_IS6_S8_EES8_NS5_IlS8_EES8_PS6_.private_seg_size, 0
	.set _ZN2at6native6sbtopk10gatherTopKIfjLi2ELb0EEEvNS_4cuda6detail10TensorInfoIKT_T0_EES8_S8_bS8_S8_NS5_IS6_S8_EES8_NS5_IlS8_EES8_PS6_.uses_vcc, 1
	.set _ZN2at6native6sbtopk10gatherTopKIfjLi2ELb0EEEvNS_4cuda6detail10TensorInfoIKT_T0_EES8_S8_bS8_S8_NS5_IS6_S8_EES8_NS5_IlS8_EES8_PS6_.uses_flat_scratch, 0
	.set _ZN2at6native6sbtopk10gatherTopKIfjLi2ELb0EEEvNS_4cuda6detail10TensorInfoIKT_T0_EES8_S8_bS8_S8_NS5_IS6_S8_EES8_NS5_IlS8_EES8_PS6_.has_dyn_sized_stack, 0
	.set _ZN2at6native6sbtopk10gatherTopKIfjLi2ELb0EEEvNS_4cuda6detail10TensorInfoIKT_T0_EES8_S8_bS8_S8_NS5_IS6_S8_EES8_NS5_IlS8_EES8_PS6_.has_recursion, 0
	.set _ZN2at6native6sbtopk10gatherTopKIfjLi2ELb0EEEvNS_4cuda6detail10TensorInfoIKT_T0_EES8_S8_bS8_S8_NS5_IS6_S8_EES8_NS5_IlS8_EES8_PS6_.has_indirect_call, 0
	.section	.AMDGPU.csdata,"",@progbits
; Kernel info:
; codeLenInByte = 15096
; TotalNumSgprs: 100
; NumVgprs: 48
; ScratchSize: 0
; MemoryBound: 0
; FloatMode: 240
; IeeeMode: 1
; LDSByteSize: 4112 bytes/workgroup (compile time only)
; SGPRBlocks: 12
; VGPRBlocks: 11
; NumSGPRsForWavesPerEU: 100
; NumVGPRsForWavesPerEU: 48
; Occupancy: 5
; WaveLimiterHint : 1
; COMPUTE_PGM_RSRC2:SCRATCH_EN: 0
; COMPUTE_PGM_RSRC2:USER_SGPR: 6
; COMPUTE_PGM_RSRC2:TRAP_HANDLER: 0
; COMPUTE_PGM_RSRC2:TGID_X_EN: 1
; COMPUTE_PGM_RSRC2:TGID_Y_EN: 1
; COMPUTE_PGM_RSRC2:TGID_Z_EN: 1
; COMPUTE_PGM_RSRC2:TIDIG_COMP_CNT: 0
	.section	.text._ZN2at6native6mbtopk23computeBlockDigitCountsIfjjLi3EEEvNS_4cuda6detail10TensorInfoIKT_T0_EEjPjjS8_iijT1_PSB_Ps,"axG",@progbits,_ZN2at6native6mbtopk23computeBlockDigitCountsIfjjLi3EEEvNS_4cuda6detail10TensorInfoIKT_T0_EEjPjjS8_iijT1_PSB_Ps,comdat
	.protected	_ZN2at6native6mbtopk23computeBlockDigitCountsIfjjLi3EEEvNS_4cuda6detail10TensorInfoIKT_T0_EEjPjjS8_iijT1_PSB_Ps ; -- Begin function _ZN2at6native6mbtopk23computeBlockDigitCountsIfjjLi3EEEvNS_4cuda6detail10TensorInfoIKT_T0_EEjPjjS8_iijT1_PSB_Ps
	.globl	_ZN2at6native6mbtopk23computeBlockDigitCountsIfjjLi3EEEvNS_4cuda6detail10TensorInfoIKT_T0_EEjPjjS8_iijT1_PSB_Ps
	.p2align	8
	.type	_ZN2at6native6mbtopk23computeBlockDigitCountsIfjjLi3EEEvNS_4cuda6detail10TensorInfoIKT_T0_EEjPjjS8_iijT1_PSB_Ps,@function
_ZN2at6native6mbtopk23computeBlockDigitCountsIfjjLi3EEEvNS_4cuda6detail10TensorInfoIKT_T0_EEjPjjS8_iijT1_PSB_Ps: ; @_ZN2at6native6mbtopk23computeBlockDigitCountsIfjjLi3EEEvNS_4cuda6detail10TensorInfoIKT_T0_EEjPjjS8_iijT1_PSB_Ps
; %bb.0:
	s_load_dwordx2 s[10:11], s[4:5], 0xf8
	s_load_dwordx4 s[12:15], s[4:5], 0xe8
	s_load_dwordx2 s[0:1], s[4:5], 0x110
	s_waitcnt lgkmcnt(0)
	v_cvt_f32_u32_e32 v1, s10
	s_sub_i32 s2, 0, s10
	s_mul_i32 s1, s1, s8
	s_add_i32 s1, s1, s7
	v_rcp_iflag_f32_e32 v1, v1
	s_mul_i32 s18, s1, s0
	s_add_i32 s18, s18, s6
	s_mov_b32 s7, 0
	v_mul_f32_e32 v1, 0x4f7ffffe, v1
	v_cvt_u32_f32_e32 v1, v1
	v_readfirstlane_b32 s0, v1
	s_mul_i32 s2, s2, s0
	s_mul_hi_u32 s1, s0, s2
	s_add_i32 s0, s0, s1
	s_mul_hi_u32 s0, s18, s0
	s_mul_i32 s1, s0, s10
	s_sub_i32 s1, s18, s1
	s_add_i32 s2, s0, 1
	s_sub_i32 s3, s1, s10
	s_cmp_ge_u32 s1, s10
	s_cselect_b32 s0, s2, s0
	s_cselect_b32 s1, s3, s1
	s_add_i32 s2, s0, 1
	s_cmp_ge_u32 s1, s10
	s_cselect_b32 s6, s2, s0
	s_cmp_ge_u32 s6, s12
	s_cbranch_scc1 .LBB86_27
; %bb.1:
	s_load_dwordx2 s[8:9], s[4:5], 0xc
	s_load_dwordx4 s[0:3], s[4:5], 0x100
	s_lshl_b64 s[16:17], s[6:7], 2
	s_movk_i32 s7, 0x100
	v_cmp_gt_u32_e32 vcc, s7, v0
	s_waitcnt lgkmcnt(0)
	v_cvt_f32_u32_e32 v1, s9
	v_cvt_f32_u32_e32 v2, s8
	s_add_u32 s0, s0, s16
	s_addc_u32 s1, s1, s17
	v_rcp_iflag_f32_e32 v1, v1
	s_sub_i32 s12, 0, s9
	v_rcp_iflag_f32_e32 v2, v2
	v_lshlrev_b32_e32 v3, 2, v0
	v_mul_f32_e32 v1, 0x4f7ffffe, v1
	v_cvt_u32_f32_e32 v1, v1
	v_mul_f32_e32 v2, 0x4f7ffffe, v2
	v_cvt_u32_f32_e32 v2, v2
	v_readfirstlane_b32 s16, v1
	s_mul_i32 s12, s12, s16
	s_mul_hi_u32 s12, s16, s12
	s_add_i32 s16, s16, s12
	s_mul_hi_u32 s12, s6, s16
	s_mul_i32 s16, s12, s9
	s_sub_i32 s16, s6, s16
	s_add_i32 s17, s12, 1
	s_sub_i32 s19, s16, s9
	s_cmp_ge_u32 s16, s9
	s_cselect_b32 s12, s17, s12
	s_cselect_b32 s16, s19, s16
	s_add_i32 s17, s12, 1
	s_cmp_ge_u32 s16, s9
	v_readfirstlane_b32 s20, v2
	s_cselect_b32 s19, s17, s12
	s_and_saveexec_b64 s[16:17], vcc
; %bb.2:
	v_mov_b32_e32 v1, 0
	ds_write_b32 v3, v1
; %bb.3:
	s_or_b64 exec, exec, s[16:17]
	s_load_dword s12, s[4:5], 0xd8
	s_mul_i32 s7, s6, s10
	s_sub_i32 s7, s18, s7
	s_add_i32 s17, s7, 1
	s_mul_i32 s7, s15, s7
	s_lshl_b32 s16, s7, 8
	s_waitcnt lgkmcnt(0)
	s_sub_i32 s7, s12, s16
	s_add_u32 s22, s7, 0xff
	s_addc_u32 s23, 0, 0
	s_lshr_b64 s[22:23], s[22:23], 8
	s_cmp_lt_u32 s17, s10
	s_cselect_b32 s15, s15, s22
	s_cmp_lt_i32 s15, 1
	s_mov_b32 s7, 0
	s_barrier
	s_cbranch_scc1 .LBB86_25
; %bb.4:
	s_sub_i32 s10, 0, s8
	s_mul_i32 s10, s10, s20
	s_mul_hi_u32 s10, s20, s10
	s_add_i32 s10, s20, s10
	s_load_dwordx4 s[20:23], s[4:5], 0x6c
	s_load_dwordx2 s[24:25], s[4:5], 0x0
	s_mul_hi_u32 s4, s19, s10
	s_load_dword s10, s[0:1], 0x0
	s_mul_i32 s1, s4, s8
	s_mul_i32 s0, s19, s9
	s_sub_i32 s1, s19, s1
	s_sub_i32 s0, s6, s0
	s_add_i32 s5, s4, 1
	s_sub_i32 s6, s1, s8
	s_cmp_ge_u32 s1, s8
	s_cselect_b32 s4, s5, s4
	s_cselect_b32 s1, s6, s1
	s_add_i32 s5, s4, 1
	s_cmp_ge_u32 s1, s8
	s_cselect_b32 s1, s5, s4
	s_mul_i32 s4, s1, s8
	s_sub_i32 s4, s19, s4
	s_waitcnt lgkmcnt(0)
	s_mul_i32 s0, s0, s22
	s_mul_i32 s4, s4, s21
	s_add_i32 s0, s4, s0
	s_mul_i32 s1, s1, s20
	s_add_i32 s6, s0, s1
	s_lshl_b64 s[0:1], s[6:7], 2
	s_add_u32 s6, s24, s0
	s_addc_u32 s8, s25, s1
	s_and_b32 s9, s14, 0xff
	s_cmp_lt_u32 s15, 4
	s_cbranch_scc1 .LBB86_19
; %bb.5:
	v_add_u32_e32 v1, s16, v0
	v_add_u32_e32 v2, 0x200, v1
	;; [unrolled: 1-line block ×3, first 2 shown]
	v_mul_lo_u32 v6, s13, v2
	v_add_u32_e32 v2, 0x100, v1
	v_mul_lo_u32 v5, s13, v4
	v_mul_lo_u32 v7, s13, v2
	;; [unrolled: 1-line block ×3, first 2 shown]
	s_and_b32 s7, s15, 0x7ffffffc
	s_lshl_b32 s14, s13, 10
	s_mov_b32 s17, 0
	v_mov_b32_e32 v2, 0
	v_mov_b32_e32 v9, 1
	v_bfrev_b32_e32 v10, 1
	s_mov_b32 s19, 0
	s_branch .LBB86_7
.LBB86_6:                               ;   in Loop: Header=BB86_7 Depth=1
	s_or_b64 exec, exec, s[4:5]
	s_add_i32 s19, s19, 4
	s_add_i32 s17, s17, s14
	s_cmp_eq_u32 s7, s19
	v_add_u32_e32 v4, 0x400, v4
	s_cbranch_scc1 .LBB86_19
.LBB86_7:                               ; =>This Inner Loop Header: Depth=1
	v_add_u32_e32 v1, 0xfffffd00, v4
	v_cmp_gt_u32_e64 s[0:1], s12, v1
	s_and_saveexec_b64 s[4:5], s[0:1]
	s_cbranch_execz .LBB86_10
; %bb.8:                                ;   in Loop: Header=BB86_7 Depth=1
	v_add_u32_e32 v1, s17, v8
	v_lshlrev_b64 v[11:12], 2, v[1:2]
	v_mov_b32_e32 v1, s8
	v_add_co_u32_e64 v11, s[0:1], s6, v11
	v_addc_co_u32_e64 v12, s[0:1], v1, v12, s[0:1]
	global_load_dword v1, v[11:12], off
	s_waitcnt vmcnt(0)
	v_cmp_lt_i32_e64 s[0:1], -1, v1
	v_cndmask_b32_e64 v11, -1, v10, s[0:1]
	v_xor_b32_e32 v11, v11, v1
	v_cmp_o_f32_e64 s[0:1], v1, v1
	v_cndmask_b32_e64 v1, -1, v11, s[0:1]
	v_xor_b32_e32 v11, s10, v1
	v_and_b32_e32 v11, s11, v11
	v_cmp_eq_u32_e64 s[0:1], 0, v11
	s_and_b64 exec, exec, s[0:1]
; %bb.9:                                ;   in Loop: Header=BB86_7 Depth=1
	v_bfe_u32 v1, v1, s9, 8
	v_lshlrev_b32_e32 v1, 2, v1
	ds_add_u32 v1, v9
.LBB86_10:                              ;   in Loop: Header=BB86_7 Depth=1
	s_or_b64 exec, exec, s[4:5]
	v_add_u32_e32 v1, 0xfffffe00, v4
	v_cmp_gt_u32_e64 s[0:1], s12, v1
	s_and_saveexec_b64 s[4:5], s[0:1]
	s_cbranch_execz .LBB86_13
; %bb.11:                               ;   in Loop: Header=BB86_7 Depth=1
	v_add_u32_e32 v1, s17, v7
	v_lshlrev_b64 v[11:12], 2, v[1:2]
	v_mov_b32_e32 v1, s8
	v_add_co_u32_e64 v11, s[0:1], s6, v11
	v_addc_co_u32_e64 v12, s[0:1], v1, v12, s[0:1]
	global_load_dword v1, v[11:12], off
	s_waitcnt vmcnt(0)
	v_cmp_lt_i32_e64 s[0:1], -1, v1
	v_cndmask_b32_e64 v11, -1, v10, s[0:1]
	v_xor_b32_e32 v11, v11, v1
	v_cmp_o_f32_e64 s[0:1], v1, v1
	v_cndmask_b32_e64 v1, -1, v11, s[0:1]
	v_xor_b32_e32 v11, s10, v1
	v_and_b32_e32 v11, s11, v11
	v_cmp_eq_u32_e64 s[0:1], 0, v11
	s_and_b64 exec, exec, s[0:1]
; %bb.12:                               ;   in Loop: Header=BB86_7 Depth=1
	v_bfe_u32 v1, v1, s9, 8
	v_lshlrev_b32_e32 v1, 2, v1
	ds_add_u32 v1, v9
.LBB86_13:                              ;   in Loop: Header=BB86_7 Depth=1
	s_or_b64 exec, exec, s[4:5]
	v_add_u32_e32 v1, 0xffffff00, v4
	v_cmp_gt_u32_e64 s[0:1], s12, v1
	s_and_saveexec_b64 s[4:5], s[0:1]
	s_cbranch_execz .LBB86_16
; %bb.14:                               ;   in Loop: Header=BB86_7 Depth=1
	v_add_u32_e32 v1, s17, v6
	v_lshlrev_b64 v[11:12], 2, v[1:2]
	v_mov_b32_e32 v1, s8
	v_add_co_u32_e64 v11, s[0:1], s6, v11
	v_addc_co_u32_e64 v12, s[0:1], v1, v12, s[0:1]
	global_load_dword v1, v[11:12], off
	s_waitcnt vmcnt(0)
	v_cmp_lt_i32_e64 s[0:1], -1, v1
	v_cndmask_b32_e64 v11, -1, v10, s[0:1]
	v_xor_b32_e32 v11, v11, v1
	v_cmp_o_f32_e64 s[0:1], v1, v1
	v_cndmask_b32_e64 v1, -1, v11, s[0:1]
	v_xor_b32_e32 v11, s10, v1
	v_and_b32_e32 v11, s11, v11
	v_cmp_eq_u32_e64 s[0:1], 0, v11
	s_and_b64 exec, exec, s[0:1]
; %bb.15:                               ;   in Loop: Header=BB86_7 Depth=1
	v_bfe_u32 v1, v1, s9, 8
	v_lshlrev_b32_e32 v1, 2, v1
	ds_add_u32 v1, v9
.LBB86_16:                              ;   in Loop: Header=BB86_7 Depth=1
	s_or_b64 exec, exec, s[4:5]
	v_cmp_gt_u32_e64 s[0:1], s12, v4
	s_and_saveexec_b64 s[4:5], s[0:1]
	s_cbranch_execz .LBB86_6
; %bb.17:                               ;   in Loop: Header=BB86_7 Depth=1
	v_add_u32_e32 v1, s17, v5
	v_lshlrev_b64 v[11:12], 2, v[1:2]
	v_mov_b32_e32 v1, s8
	v_add_co_u32_e64 v11, s[0:1], s6, v11
	v_addc_co_u32_e64 v12, s[0:1], v1, v12, s[0:1]
	global_load_dword v1, v[11:12], off
	s_waitcnt vmcnt(0)
	v_cmp_lt_i32_e64 s[0:1], -1, v1
	v_cndmask_b32_e64 v11, -1, v10, s[0:1]
	v_xor_b32_e32 v11, v11, v1
	v_cmp_o_f32_e64 s[0:1], v1, v1
	v_cndmask_b32_e64 v1, -1, v11, s[0:1]
	v_xor_b32_e32 v11, s10, v1
	v_and_b32_e32 v11, s11, v11
	v_cmp_eq_u32_e64 s[0:1], 0, v11
	s_and_b64 exec, exec, s[0:1]
	s_cbranch_execz .LBB86_6
; %bb.18:                               ;   in Loop: Header=BB86_7 Depth=1
	v_bfe_u32 v1, v1, s9, 8
	v_lshlrev_b32_e32 v1, 2, v1
	ds_add_u32 v1, v9
	s_branch .LBB86_6
.LBB86_19:
	s_and_b32 s14, s15, 3
	s_cmp_eq_u32 s14, 0
	s_cbranch_scc1 .LBB86_25
; %bb.20:
	s_lshl_b32 s0, s7, 8
	s_add_i32 s0, s0, s16
	v_add_u32_e32 v4, s0, v0
	v_mul_lo_u32 v1, s13, v4
	s_lshl_b32 s7, s13, 8
	v_mov_b32_e32 v2, 0
	v_mov_b32_e32 v5, 1
	v_bfrev_b32_e32 v6, 1
	s_branch .LBB86_22
.LBB86_21:                              ;   in Loop: Header=BB86_22 Depth=1
	s_or_b64 exec, exec, s[4:5]
	s_add_i32 s14, s14, -1
	v_add_u32_e32 v1, s7, v1
	s_cmp_lg_u32 s14, 0
	v_add_u32_e32 v4, 0x100, v4
	s_cbranch_scc0 .LBB86_25
.LBB86_22:                              ; =>This Inner Loop Header: Depth=1
	v_cmp_gt_u32_e64 s[0:1], s12, v4
	s_and_saveexec_b64 s[4:5], s[0:1]
	s_cbranch_execz .LBB86_21
; %bb.23:                               ;   in Loop: Header=BB86_22 Depth=1
	v_lshlrev_b64 v[7:8], 2, v[1:2]
	v_mov_b32_e32 v9, s8
	v_add_co_u32_e64 v7, s[0:1], s6, v7
	v_addc_co_u32_e64 v8, s[0:1], v9, v8, s[0:1]
	global_load_dword v7, v[7:8], off
	s_waitcnt vmcnt(0)
	v_cmp_lt_i32_e64 s[0:1], -1, v7
	v_cndmask_b32_e64 v8, -1, v6, s[0:1]
	v_xor_b32_e32 v8, v8, v7
	v_cmp_o_f32_e64 s[0:1], v7, v7
	v_cndmask_b32_e64 v7, -1, v8, s[0:1]
	v_xor_b32_e32 v8, s10, v7
	v_and_b32_e32 v8, s11, v8
	v_cmp_eq_u32_e64 s[0:1], 0, v8
	s_and_b64 exec, exec, s[0:1]
	s_cbranch_execz .LBB86_21
; %bb.24:                               ;   in Loop: Header=BB86_22 Depth=1
	v_bfe_u32 v7, v7, s9, 8
	v_lshlrev_b32_e32 v7, 2, v7
	ds_add_u32 v7, v5
	s_branch .LBB86_21
.LBB86_25:
	s_waitcnt lgkmcnt(0)
	s_barrier
	s_and_saveexec_b64 s[0:1], vcc
	s_cbranch_execz .LBB86_27
; %bb.26:
	v_lshl_or_b32 v0, s18, 8, v0
	v_mov_b32_e32 v1, 0
	ds_read_b32 v3, v3
	v_lshlrev_b64 v[0:1], 1, v[0:1]
	v_mov_b32_e32 v2, s3
	v_add_co_u32_e32 v0, vcc, s2, v0
	v_addc_co_u32_e32 v1, vcc, v2, v1, vcc
	s_waitcnt lgkmcnt(0)
	global_store_short v[0:1], v3, off
.LBB86_27:
	s_endpgm
	.section	.rodata,"a",@progbits
	.p2align	6, 0x0
	.amdhsa_kernel _ZN2at6native6mbtopk23computeBlockDigitCountsIfjjLi3EEEvNS_4cuda6detail10TensorInfoIKT_T0_EEjPjjS8_iijT1_PSB_Ps
		.amdhsa_group_segment_fixed_size 1024
		.amdhsa_private_segment_fixed_size 0
		.amdhsa_kernarg_size 528
		.amdhsa_user_sgpr_count 6
		.amdhsa_user_sgpr_private_segment_buffer 1
		.amdhsa_user_sgpr_dispatch_ptr 0
		.amdhsa_user_sgpr_queue_ptr 0
		.amdhsa_user_sgpr_kernarg_segment_ptr 1
		.amdhsa_user_sgpr_dispatch_id 0
		.amdhsa_user_sgpr_flat_scratch_init 0
		.amdhsa_user_sgpr_private_segment_size 0
		.amdhsa_uses_dynamic_stack 0
		.amdhsa_system_sgpr_private_segment_wavefront_offset 0
		.amdhsa_system_sgpr_workgroup_id_x 1
		.amdhsa_system_sgpr_workgroup_id_y 1
		.amdhsa_system_sgpr_workgroup_id_z 1
		.amdhsa_system_sgpr_workgroup_info 0
		.amdhsa_system_vgpr_workitem_id 0
		.amdhsa_next_free_vgpr 13
		.amdhsa_next_free_sgpr 26
		.amdhsa_reserve_vcc 1
		.amdhsa_reserve_flat_scratch 0
		.amdhsa_float_round_mode_32 0
		.amdhsa_float_round_mode_16_64 0
		.amdhsa_float_denorm_mode_32 3
		.amdhsa_float_denorm_mode_16_64 3
		.amdhsa_dx10_clamp 1
		.amdhsa_ieee_mode 1
		.amdhsa_fp16_overflow 0
		.amdhsa_exception_fp_ieee_invalid_op 0
		.amdhsa_exception_fp_denorm_src 0
		.amdhsa_exception_fp_ieee_div_zero 0
		.amdhsa_exception_fp_ieee_overflow 0
		.amdhsa_exception_fp_ieee_underflow 0
		.amdhsa_exception_fp_ieee_inexact 0
		.amdhsa_exception_int_div_zero 0
	.end_amdhsa_kernel
	.section	.text._ZN2at6native6mbtopk23computeBlockDigitCountsIfjjLi3EEEvNS_4cuda6detail10TensorInfoIKT_T0_EEjPjjS8_iijT1_PSB_Ps,"axG",@progbits,_ZN2at6native6mbtopk23computeBlockDigitCountsIfjjLi3EEEvNS_4cuda6detail10TensorInfoIKT_T0_EEjPjjS8_iijT1_PSB_Ps,comdat
.Lfunc_end86:
	.size	_ZN2at6native6mbtopk23computeBlockDigitCountsIfjjLi3EEEvNS_4cuda6detail10TensorInfoIKT_T0_EEjPjjS8_iijT1_PSB_Ps, .Lfunc_end86-_ZN2at6native6mbtopk23computeBlockDigitCountsIfjjLi3EEEvNS_4cuda6detail10TensorInfoIKT_T0_EEjPjjS8_iijT1_PSB_Ps
                                        ; -- End function
	.set _ZN2at6native6mbtopk23computeBlockDigitCountsIfjjLi3EEEvNS_4cuda6detail10TensorInfoIKT_T0_EEjPjjS8_iijT1_PSB_Ps.num_vgpr, 13
	.set _ZN2at6native6mbtopk23computeBlockDigitCountsIfjjLi3EEEvNS_4cuda6detail10TensorInfoIKT_T0_EEjPjjS8_iijT1_PSB_Ps.num_agpr, 0
	.set _ZN2at6native6mbtopk23computeBlockDigitCountsIfjjLi3EEEvNS_4cuda6detail10TensorInfoIKT_T0_EEjPjjS8_iijT1_PSB_Ps.numbered_sgpr, 26
	.set _ZN2at6native6mbtopk23computeBlockDigitCountsIfjjLi3EEEvNS_4cuda6detail10TensorInfoIKT_T0_EEjPjjS8_iijT1_PSB_Ps.num_named_barrier, 0
	.set _ZN2at6native6mbtopk23computeBlockDigitCountsIfjjLi3EEEvNS_4cuda6detail10TensorInfoIKT_T0_EEjPjjS8_iijT1_PSB_Ps.private_seg_size, 0
	.set _ZN2at6native6mbtopk23computeBlockDigitCountsIfjjLi3EEEvNS_4cuda6detail10TensorInfoIKT_T0_EEjPjjS8_iijT1_PSB_Ps.uses_vcc, 1
	.set _ZN2at6native6mbtopk23computeBlockDigitCountsIfjjLi3EEEvNS_4cuda6detail10TensorInfoIKT_T0_EEjPjjS8_iijT1_PSB_Ps.uses_flat_scratch, 0
	.set _ZN2at6native6mbtopk23computeBlockDigitCountsIfjjLi3EEEvNS_4cuda6detail10TensorInfoIKT_T0_EEjPjjS8_iijT1_PSB_Ps.has_dyn_sized_stack, 0
	.set _ZN2at6native6mbtopk23computeBlockDigitCountsIfjjLi3EEEvNS_4cuda6detail10TensorInfoIKT_T0_EEjPjjS8_iijT1_PSB_Ps.has_recursion, 0
	.set _ZN2at6native6mbtopk23computeBlockDigitCountsIfjjLi3EEEvNS_4cuda6detail10TensorInfoIKT_T0_EEjPjjS8_iijT1_PSB_Ps.has_indirect_call, 0
	.section	.AMDGPU.csdata,"",@progbits
; Kernel info:
; codeLenInByte = 1544
; TotalNumSgprs: 30
; NumVgprs: 13
; ScratchSize: 0
; MemoryBound: 0
; FloatMode: 240
; IeeeMode: 1
; LDSByteSize: 1024 bytes/workgroup (compile time only)
; SGPRBlocks: 3
; VGPRBlocks: 3
; NumSGPRsForWavesPerEU: 30
; NumVGPRsForWavesPerEU: 13
; Occupancy: 10
; WaveLimiterHint : 1
; COMPUTE_PGM_RSRC2:SCRATCH_EN: 0
; COMPUTE_PGM_RSRC2:USER_SGPR: 6
; COMPUTE_PGM_RSRC2:TRAP_HANDLER: 0
; COMPUTE_PGM_RSRC2:TGID_X_EN: 1
; COMPUTE_PGM_RSRC2:TGID_Y_EN: 1
; COMPUTE_PGM_RSRC2:TGID_Z_EN: 1
; COMPUTE_PGM_RSRC2:TIDIG_COMP_CNT: 0
	.section	.text._ZN2at6native6mbtopk10gatherTopKIfjLi3EEEvNS_4cuda6detail10TensorInfoIKT_T0_EES8_S8_bjS8_NS5_IS6_S8_EES8_NS5_IlS8_EES8_jjPS6_PjSD_j,"axG",@progbits,_ZN2at6native6mbtopk10gatherTopKIfjLi3EEEvNS_4cuda6detail10TensorInfoIKT_T0_EES8_S8_bjS8_NS5_IS6_S8_EES8_NS5_IlS8_EES8_jjPS6_PjSD_j,comdat
	.protected	_ZN2at6native6mbtopk10gatherTopKIfjLi3EEEvNS_4cuda6detail10TensorInfoIKT_T0_EES8_S8_bjS8_NS5_IS6_S8_EES8_NS5_IlS8_EES8_jjPS6_PjSD_j ; -- Begin function _ZN2at6native6mbtopk10gatherTopKIfjLi3EEEvNS_4cuda6detail10TensorInfoIKT_T0_EES8_S8_bjS8_NS5_IS6_S8_EES8_NS5_IlS8_EES8_jjPS6_PjSD_j
	.globl	_ZN2at6native6mbtopk10gatherTopKIfjLi3EEEvNS_4cuda6detail10TensorInfoIKT_T0_EES8_S8_bjS8_NS5_IS6_S8_EES8_NS5_IlS8_EES8_jjPS6_PjSD_j
	.p2align	8
	.type	_ZN2at6native6mbtopk10gatherTopKIfjLi3EEEvNS_4cuda6detail10TensorInfoIKT_T0_EES8_S8_bjS8_NS5_IS6_S8_EES8_NS5_IlS8_EES8_jjPS6_PjSD_j,@function
_ZN2at6native6mbtopk10gatherTopKIfjLi3EEEvNS_4cuda6detail10TensorInfoIKT_T0_EES8_S8_bjS8_NS5_IS6_S8_EES8_NS5_IlS8_EES8_jjPS6_PjSD_j: ; @_ZN2at6native6mbtopk10gatherTopKIfjLi3EEEvNS_4cuda6detail10TensorInfoIKT_T0_EES8_S8_bjS8_NS5_IS6_S8_EES8_NS5_IlS8_EES8_jjPS6_PjSD_j
; %bb.0:
	s_load_dwordx2 s[0:1], s[4:5], 0x2d8
	s_load_dword s2, s[4:5], 0x2d0
	s_waitcnt lgkmcnt(0)
	s_mul_i32 s1, s1, s8
	s_add_i32 s1, s1, s7
	s_mul_i32 s0, s1, s0
	s_add_i32 s0, s0, s6
	s_cmp_ge_u32 s0, s2
	s_cbranch_scc1 .LBB87_40
; %bb.1:
	s_load_dwordx8 s[8:15], s[4:5], 0x2a8
	s_load_dwordx4 s[16:19], s[4:5], 0x23c
	s_load_dwordx2 s[38:39], s[4:5], 0x1dc
	s_load_dwordx2 s[6:7], s[4:5], 0x1d0
	s_load_dwordx4 s[20:23], s[4:5], 0x15c
	s_load_dwordx2 s[40:41], s[4:5], 0xfc
	s_load_dwordx2 s[34:35], s[4:5], 0xf0
	;; [unrolled: 3-line block ×3, first 2 shown]
	s_mov_b32 s43, 0
	s_waitcnt lgkmcnt(0)
	v_cvt_f32_u32_e32 v1, s10
	s_sub_i32 s1, 0, s10
	v_cvt_f32_u32_e32 v2, s45
	v_rcp_iflag_f32_e32 v1, v1
	v_mul_f32_e32 v1, 0x4f7ffffe, v1
	v_cvt_u32_f32_e32 v1, v1
	v_readfirstlane_b32 s2, v1
	s_mul_i32 s1, s1, s2
	s_mul_hi_u32 s1, s2, s1
	s_add_i32 s2, s2, s1
	v_rcp_iflag_f32_e32 v1, v2
	s_mul_hi_u32 s1, s0, s2
	s_mul_i32 s2, s1, s10
	s_sub_i32 s2, s0, s2
	s_add_i32 s3, s1, 1
	s_sub_i32 s11, s2, s10
	v_mul_f32_e32 v1, 0x4f7ffffe, v1
	s_cmp_ge_u32 s2, s10
	v_cvt_u32_f32_e32 v1, v1
	s_cselect_b32 s1, s3, s1
	s_cselect_b32 s2, s11, s2
	s_add_i32 s3, s1, 1
	s_cmp_ge_u32 s2, s10
	s_cselect_b32 s42, s3, s1
	v_readfirstlane_b32 s1, v1
	v_cvt_f32_u32_e32 v1, s44
	s_mul_i32 s28, s42, s10
	s_sub_i32 s11, s0, s28
	s_sub_i32 s0, 0, s45
	s_mul_i32 s0, s0, s1
	s_mul_hi_u32 s0, s1, s0
	v_rcp_iflag_f32_e32 v1, v1
	s_add_i32 s1, s1, s0
	v_cvt_f32_u32_e32 v2, s41
	s_mul_hi_u32 s0, s42, s1
	s_mul_i32 s1, s0, s45
	s_sub_i32 s1, s42, s1
	v_mul_f32_e32 v1, 0x4f7ffffe, v1
	s_add_i32 s2, s0, 1
	s_sub_i32 s3, s1, s45
	v_cvt_u32_f32_e32 v1, v1
	v_rcp_iflag_f32_e32 v2, v2
	s_cmp_ge_u32 s1, s45
	s_cselect_b32 s0, s2, s0
	s_cselect_b32 s1, s3, s1
	s_add_i32 s2, s0, 1
	s_cmp_ge_u32 s1, s45
	v_readfirstlane_b32 s1, v1
	v_mul_f32_e32 v1, 0x4f7ffffe, v2
	s_cselect_b32 s19, s2, s0
	s_sub_i32 s0, 0, s44
	v_cvt_u32_f32_e32 v1, v1
	s_mul_i32 s0, s0, s1
	s_mul_hi_u32 s0, s1, s0
	s_add_i32 s1, s1, s0
	s_mul_hi_u32 s23, s19, s1
	v_readfirstlane_b32 s1, v1
	v_cvt_f32_u32_e32 v1, s40
	s_sub_i32 s0, 0, s41
	s_mul_i32 s0, s0, s1
	s_mul_hi_u32 s0, s1, s0
	v_rcp_iflag_f32_e32 v1, v1
	s_add_i32 s1, s1, s0
	v_cvt_f32_u32_e32 v2, s39
	s_mul_hi_u32 s0, s42, s1
	s_mul_i32 s1, s0, s41
	s_sub_i32 s1, s42, s1
	v_mul_f32_e32 v1, 0x4f7ffffe, v1
	s_add_i32 s2, s0, 1
	s_sub_i32 s3, s1, s41
	v_cvt_u32_f32_e32 v1, v1
	v_rcp_iflag_f32_e32 v2, v2
	s_cmp_ge_u32 s1, s41
	s_cselect_b32 s0, s2, s0
	s_cselect_b32 s1, s3, s1
	s_add_i32 s2, s0, 1
	s_cmp_ge_u32 s1, s41
	v_readfirstlane_b32 s1, v1
	v_mul_f32_e32 v1, 0x4f7ffffe, v2
	v_cvt_u32_f32_e32 v1, v1
	s_cselect_b32 s27, s2, s0
	s_sub_i32 s0, 0, s40
	s_mul_i32 s0, s0, s1
	s_mul_hi_u32 s0, s1, s0
	s_add_i32 s2, s1, s0
	v_readfirstlane_b32 s1, v1
	v_cvt_f32_u32_e32 v1, s38
	s_sub_i32 s0, 0, s39
	s_mul_i32 s0, s0, s1
	s_mul_hi_u32 s0, s1, s0
	s_add_i32 s1, s1, s0
	v_rcp_iflag_f32_e32 v1, v1
	s_mul_hi_u32 s0, s42, s1
	s_mul_i32 s1, s0, s39
	s_sub_i32 s1, s42, s1
	s_add_i32 s3, s0, 1
	s_sub_i32 s29, s1, s39
	v_mul_f32_e32 v1, 0x4f7ffffe, v1
	s_cmp_ge_u32 s1, s39
	v_cvt_u32_f32_e32 v1, v1
	s_cselect_b32 s0, s3, s0
	s_cselect_b32 s1, s29, s1
	s_add_i32 s3, s0, 1
	s_cmp_ge_u32 s1, s39
	s_cselect_b32 s52, s3, s0
	s_sub_i32 s0, 0, s38
	v_readfirstlane_b32 s1, v1
	s_mul_i32 s0, s0, s1
	s_mul_hi_u32 s0, s1, s0
	s_add_i32 s3, s1, s0
	s_lshl_b64 s[0:1], s[42:43], 2
	s_add_u32 s0, s12, s0
	s_addc_u32 s1, s13, s1
	s_load_dword s33, s[0:1], 0x0
	s_mul_hi_u32 s54, s27, s2
	s_mul_hi_u32 s53, s52, s3
	v_cmp_ne_u32_e64 s[0:1], 0, v0
	v_cmp_eq_u32_e64 s[2:3], 0, v0
	s_and_saveexec_b64 s[12:13], s[2:3]
	s_cbranch_execz .LBB87_17
; %bb.2:
	s_load_dwordx2 s[46:47], s[4:5], 0x2c8
	s_mov_b32 s29, s43
	s_lshl_b64 s[48:49], s[28:29], 2
	s_add_u32 s28, s14, s48
	s_addc_u32 s29, s15, s49
	s_waitcnt lgkmcnt(0)
	s_add_u32 s30, s46, s48
	s_addc_u32 s31, s47, s49
	s_cmp_lt_u32 s10, 4
	s_cbranch_scc1 .LBB87_14
; %bb.3:
	s_mov_b32 s55, s43
	s_mov_b32 s56, s43
	;; [unrolled: 1-line block ×3, first 2 shown]
.LBB87_4:                               ; =>This Inner Loop Header: Depth=1
	s_add_u32 s50, s14, s48
	s_addc_u32 s51, s15, s49
	s_load_dwordx4 s[28:31], s[50:51], 0x0
	s_add_u32 s50, s46, s48
	s_addc_u32 s51, s47, s49
	s_cmp_ge_u32 s57, s11
	s_cbranch_scc0 .LBB87_11
; %bb.5:                                ;   in Loop: Header=BB87_4 Depth=1
	s_add_i32 s58, s57, 1
	s_cmp_ge_u32 s58, s11
	s_cbranch_scc0 .LBB87_12
.LBB87_6:                               ;   in Loop: Header=BB87_4 Depth=1
	s_add_i32 s58, s58, 1
	s_cmp_ge_u32 s58, s11
	s_cbranch_scc0 .LBB87_13
.LBB87_7:                               ;   in Loop: Header=BB87_4 Depth=1
	s_add_i32 s58, s58, 1
	s_cmp_ge_u32 s58, s11
	s_cbranch_scc1 .LBB87_9
.LBB87_8:                               ;   in Loop: Header=BB87_4 Depth=1
	s_load_dword s50, s[50:51], 0xc
	s_waitcnt lgkmcnt(0)
	s_add_i32 s43, s43, s31
	s_add_i32 s55, s50, s55
.LBB87_9:                               ;   in Loop: Header=BB87_4 Depth=1
	s_waitcnt lgkmcnt(0)
	s_add_i32 s28, s28, s56
	s_add_i32 s28, s28, s29
	;; [unrolled: 1-line block ×4, first 2 shown]
	s_add_u32 s14, s14, 16
	s_addc_u32 s15, s15, 0
	s_add_u32 s46, s46, 16
	s_addc_u32 s47, s47, 0
	s_add_i32 s51, s58, 4
	s_add_u32 s30, s46, s48
	s_addc_u32 s31, s47, s49
	s_add_u32 s28, s14, s48
	s_addc_u32 s29, s15, s49
	s_add_i32 s50, s58, 1
	s_cmp_ge_u32 s51, s10
	s_cbranch_scc1 .LBB87_15
; %bb.10:                               ;   in Loop: Header=BB87_4 Depth=1
	s_mov_b32 s57, s50
	s_branch .LBB87_4
.LBB87_11:                              ;   in Loop: Header=BB87_4 Depth=1
	s_load_dword s58, s[50:51], 0x0
	s_waitcnt lgkmcnt(0)
	s_add_i32 s43, s28, s43
	s_add_i32 s55, s58, s55
	;; [unrolled: 1-line block ×3, first 2 shown]
	s_cmp_ge_u32 s58, s11
	s_cbranch_scc1 .LBB87_6
.LBB87_12:                              ;   in Loop: Header=BB87_4 Depth=1
	s_load_dword s59, s[50:51], 0x4
	s_waitcnt lgkmcnt(0)
	s_add_i32 s43, s43, s29
	s_add_i32 s55, s59, s55
	;; [unrolled: 1-line block ×3, first 2 shown]
	s_cmp_ge_u32 s58, s11
	s_cbranch_scc1 .LBB87_7
.LBB87_13:                              ;   in Loop: Header=BB87_4 Depth=1
	s_load_dword s59, s[50:51], 0x8
	s_waitcnt lgkmcnt(0)
	s_add_i32 s43, s43, s30
	s_add_i32 s55, s59, s55
	s_add_i32 s58, s58, 1
	s_cmp_ge_u32 s58, s11
	s_cbranch_scc0 .LBB87_8
	s_branch .LBB87_9
.LBB87_14:
	s_mov_b32 s55, 0
	s_mov_b32 s56, 0
	;; [unrolled: 1-line block ×3, first 2 shown]
	s_cmp_ge_u32 s14, s10
	s_cbranch_scc0 .LBB87_38
	s_branch .LBB87_16
.LBB87_15:
	s_add_i32 s14, s57, 4
	s_cmp_ge_u32 s14, s10
	s_cbranch_scc0 .LBB87_38
.LBB87_16:
	v_mov_b32_e32 v1, s55
	v_mov_b32_e32 v2, s56
	;; [unrolled: 1-line block ×4, first 2 shown]
	ds_write_b96 v4, v[1:3] offset:1056
.LBB87_17:
	s_or_b64 exec, exec, s[12:13]
	s_load_dwordx4 s[12:15], s[4:5], 0xd8
	s_mul_i32 s28, s9, s11
	s_lshl_b32 s28, s28, 8
	s_waitcnt lgkmcnt(0)
	s_add_i32 s15, s11, 1
	s_mov_b32 s11, 0
	s_sub_i32 s29, s12, s28
	s_add_u32 s30, s29, 0xff
	s_addc_u32 s31, 0, 0
	s_lshr_b64 s[30:31], s[30:31], 8
	s_cmp_lt_u32 s15, s10
	s_cselect_b32 s9, s9, s30
	s_cmp_eq_u32 s9, 0
	s_barrier
	s_cbranch_scc1 .LBB87_40
; %bb.18:
	s_mul_i32 s10, s19, s45
	s_mul_i32 s15, s23, s44
	s_sub_i32 s10, s42, s10
	s_sub_i32 s15, s19, s15
	s_mul_i32 s10, s10, s26
	s_add_i32 s26, s23, 1
	s_sub_i32 s29, s15, s44
	s_cmp_ge_u32 s15, s44
	s_cselect_b32 s23, s26, s23
	s_cselect_b32 s15, s29, s15
	s_add_i32 s26, s23, 1
	s_cmp_ge_u32 s15, s44
	s_cselect_b32 s15, s26, s23
	s_mul_i32 s23, s15, s44
	s_sub_i32 s19, s19, s23
	s_mul_i32 s19, s19, s25
	s_add_i32 s10, s19, s10
	s_mul_i32 s15, s15, s24
	s_add_i32 s10, s10, s15
	s_mul_i32 s15, s27, s41
	s_mul_i32 s19, s54, s40
	s_sub_i32 s15, s42, s15
	s_sub_i32 s19, s27, s19
	s_mul_i32 s15, s15, s22
	s_add_i32 s22, s54, 1
	s_sub_i32 s23, s19, s40
	s_cmp_ge_u32 s19, s40
	s_cselect_b32 s22, s22, s54
	s_cselect_b32 s19, s23, s19
	s_add_i32 s23, s22, 1
	s_cmp_ge_u32 s19, s40
	s_cselect_b32 s19, s23, s22
	s_mul_i32 s22, s19, s40
	s_sub_i32 s22, s27, s22
	s_mul_i32 s21, s22, s21
	s_add_i32 s15, s21, s15
	s_mul_i32 s19, s19, s20
	s_add_i32 s20, s15, s19
	s_mul_i32 s15, s52, s39
	s_sub_i32 s15, s42, s15
	s_mul_i32 s15, s15, s18
	s_mul_i32 s18, s53, s38
	s_sub_i32 s18, s52, s18
	s_add_i32 s19, s53, 1
	s_sub_i32 s21, s18, s38
	s_cmp_ge_u32 s18, s38
	s_cselect_b32 s19, s19, s53
	s_cselect_b32 s18, s21, s18
	s_add_i32 s21, s19, 1
	s_cmp_ge_u32 s18, s38
	s_cselect_b32 s18, s21, s19
	s_mul_i32 s19, s18, s38
	s_sub_i32 s19, s52, s19
	s_mul_i32 s17, s19, s17
	s_add_i32 s15, s17, s15
	s_mul_i32 s18, s18, s16
	s_add_i32 s22, s15, s18
	s_lshl_b64 s[16:17], s[10:11], 2
	s_add_u32 s15, s36, s16
	s_mov_b32 s21, s11
	s_addc_u32 s16, s37, s17
	s_lshl_b64 s[18:19], s[20:21], 2
	s_add_u32 s17, s34, s18
	s_mov_b32 s23, s11
	v_mov_b32_e32 v5, 0
	s_addc_u32 s18, s35, s19
	s_lshl_b64 s[10:11], s[22:23], 3
	ds_read_b96 v[1:3], v5 offset:1056
	s_add_u32 s19, s6, s10
	s_addc_u32 s20, s7, s11
	s_cmp_gt_i32 s33, -1
	s_cselect_b32 s10, 0x80000000, -1
	v_cmp_o_f32_e64 s[6:7], s33, s33
	s_xor_b32 s10, s10, s33
	s_waitcnt lgkmcnt(0)
	v_add_u32_e32 v2, v1, v2
	v_lshrrev_b32_e32 v1, 3, v0
	s_and_b64 s[6:7], s[6:7], exec
	v_and_b32_e32 v1, 28, v1
	s_cselect_b32 s21, s10, -1
	s_bitcmp1_b32 s14, 0
	s_load_dword s10, s[4:5], 0xe8
	s_load_dword s14, s[4:5], 0x1c8
	v_lshl_add_u32 v6, v0, 2, v1
	v_lshrrev_b32_e32 v1, 1, v0
	v_and_b32_e32 v7, 0x7c, v1
	v_add_u32_e32 v1, -1, v0
	v_lshrrev_b32_e32 v4, 3, v1
	v_cmp_gt_u32_e64 s[4:5], 64, v0
	v_lshlrev_b32_e32 v8, 4, v0
	v_and_b32_e32 v4, 0x1ffffffc, v4
	v_add_u32_e32 v0, s28, v0
	v_lshl_add_u32 v9, v1, 2, v4
	s_waitcnt lgkmcnt(0)
	v_mul_lo_u32 v4, s10, v0
	v_mbcnt_lo_u32_b32 v1, -1, 0
	s_cselect_b64 s[6:7], -1, 0
	s_lshl_b32 s22, s10, 8
	v_bfrev_b32_e32 v10, 1
	v_mbcnt_hi_u32_b32 v11, -1, v1
                                        ; implicit-def: $vgpr12
	s_branch .LBB87_21
.LBB87_19:                              ;   in Loop: Header=BB87_21 Depth=1
	s_or_b64 exec, exec, s[10:11]
	v_add_u32_e32 v2, v15, v2
.LBB87_20:                              ;   in Loop: Header=BB87_21 Depth=1
	s_add_i32 s9, s9, -1
	v_add_u32_e32 v3, v14, v3
	v_add_u32_e32 v4, s22, v4
	s_cmp_lg_u32 s9, 0
	v_add_u32_e32 v0, 0x100, v0
	s_cbranch_scc0 .LBB87_40
.LBB87_21:                              ; =>This Inner Loop Header: Depth=1
	v_cmp_gt_u32_e32 vcc, s12, v0
	v_mov_b32_e32 v1, 0
	v_mov_b32_e32 v13, 0
	s_and_saveexec_b64 s[10:11], vcc
	s_cbranch_execz .LBB87_23
; %bb.22:                               ;   in Loop: Header=BB87_21 Depth=1
	v_lshlrev_b64 v[12:13], 2, v[4:5]
	v_mov_b32_e32 v1, s16
	v_add_co_u32_e32 v12, vcc, s15, v12
	v_addc_co_u32_e32 v13, vcc, v1, v13, vcc
	global_load_dword v12, v[12:13], off
	s_waitcnt vmcnt(0)
	v_cmp_lt_i32_e32 vcc, -1, v12
	v_cndmask_b32_e32 v1, -1, v10, vcc
	v_xor_b32_e32 v1, v1, v12
	v_cmp_o_f32_e32 vcc, v12, v12
	v_cndmask_b32_e32 v13, -1, v1, vcc
	v_cmp_lt_u32_e32 vcc, s21, v13
	v_cndmask_b32_e64 v1, 0, 1, vcc
	v_cmp_gt_u32_e32 vcc, s21, v13
	v_cndmask_b32_e64 v14, 0, 1, vcc
	v_cndmask_b32_e64 v1, v14, v1, s[6:7]
	v_cmp_eq_u32_e32 vcc, s21, v13
	v_and_b32_e32 v1, 1, v1
	v_cndmask_b32_e64 v13, 0, 1, vcc
.LBB87_23:                              ;   in Loop: Header=BB87_21 Depth=1
	s_or_b64 exec, exec, s[10:11]
	ds_write_b32 v6, v1
	s_waitcnt vmcnt(0) lgkmcnt(0)
	s_barrier
	s_and_saveexec_b64 s[10:11], s[4:5]
	s_cbranch_execz .LBB87_25
; %bb.24:                               ;   in Loop: Header=BB87_21 Depth=1
	v_add_u32_e32 v18, v7, v8
	ds_read2_b32 v[14:15], v18 offset1:1
	ds_read2_b32 v[16:17], v18 offset0:2 offset1:3
	v_and_b32_e32 v19, 15, v11
	v_cmp_ne_u32_e32 vcc, 0, v19
	s_waitcnt lgkmcnt(1)
	v_add_u32_e32 v15, v15, v14
	s_waitcnt lgkmcnt(0)
	v_add3_u32 v15, v15, v16, v17
	v_bfe_i32 v17, v11, 4, 1
	; wave barrier
	s_nop 0
	v_mov_b32_dpp v16, v15 row_shr:1 row_mask:0xf bank_mask:0xf
	v_cndmask_b32_e32 v16, 0, v16, vcc
	v_add_u32_e32 v15, v16, v15
	v_cmp_lt_u32_e32 vcc, 1, v19
	s_nop 0
	v_mov_b32_dpp v16, v15 row_shr:2 row_mask:0xf bank_mask:0xf
	v_cndmask_b32_e32 v16, 0, v16, vcc
	v_add_u32_e32 v15, v15, v16
	v_cmp_lt_u32_e32 vcc, 3, v19
	;; [unrolled: 5-line block ×4, first 2 shown]
	s_nop 0
	v_mov_b32_dpp v16, v15 row_bcast:15 row_mask:0xf bank_mask:0xf
	v_and_b32_e32 v16, v17, v16
	v_add_u32_e32 v15, v15, v16
	v_and_b32_e32 v17, 64, v11
	s_nop 0
	v_mov_b32_dpp v16, v15 row_bcast:31 row_mask:0xf bank_mask:0xf
	v_cndmask_b32_e32 v16, 0, v16, vcc
	v_add_u32_e32 v15, v15, v16
	v_add_u32_e32 v16, -1, v11
	v_cmp_lt_i32_e32 vcc, v16, v17
	v_cndmask_b32_e32 v16, v16, v11, vcc
	v_lshlrev_b32_e32 v16, 2, v16
	ds_bpermute_b32 v15, v16, v15
	s_waitcnt lgkmcnt(0)
	v_add_u32_e32 v14, v15, v14
	v_cndmask_b32_e64 v16, v14, v1, s[2:3]
	ds_write_b32 v18, v16
	; wave barrier
	ds_read2_b32 v[14:15], v18 offset0:1 offset1:2
	ds_read_b32 v17, v18 offset:12
	s_waitcnt lgkmcnt(1)
	v_add_u32_e32 v14, v14, v16
	v_add_u32_e32 v15, v15, v14
	ds_write2_b32 v18, v14, v15 offset0:1 offset1:2
	s_waitcnt lgkmcnt(1)
	v_add_u32_e32 v14, v17, v15
	ds_write_b32 v18, v14 offset:12
.LBB87_25:                              ;   in Loop: Header=BB87_21 Depth=1
	s_or_b64 exec, exec, s[10:11]
	v_mov_b32_e32 v15, 0
	s_waitcnt lgkmcnt(0)
	s_barrier
	s_and_saveexec_b64 s[10:11], s[0:1]
; %bb.26:                               ;   in Loop: Header=BB87_21 Depth=1
	ds_read_b32 v15, v9
; %bb.27:                               ;   in Loop: Header=BB87_21 Depth=1
	s_or_b64 exec, exec, s[10:11]
	ds_read_b32 v14, v5 offset:1048
	v_cmp_ne_u32_e32 vcc, 0, v1
	s_waitcnt lgkmcnt(0)
	s_barrier
	s_and_saveexec_b64 s[10:11], vcc
	s_cbranch_execz .LBB87_29
; %bb.28:                               ;   in Loop: Header=BB87_21 Depth=1
	v_add_u32_e32 v1, v15, v3
	v_mul_lo_u32 v15, v1, s14
	v_mov_b32_e32 v16, v5
	v_mov_b32_e32 v17, s18
	v_mov_b32_e32 v18, v5
	v_lshlrev_b64 v[15:16], 2, v[15:16]
	v_add_co_u32_e32 v15, vcc, s17, v15
	v_addc_co_u32_e32 v16, vcc, v17, v16, vcc
	v_mul_lo_u32 v17, v1, s8
	global_store_dword v[15:16], v12, off
	v_mov_b32_e32 v1, v5
	v_lshlrev_b64 v[15:16], 3, v[17:18]
	v_mov_b32_e32 v17, s20
	v_add_co_u32_e32 v15, vcc, s19, v15
	v_addc_co_u32_e32 v16, vcc, v17, v16, vcc
	global_store_dwordx2 v[15:16], v[0:1], off
.LBB87_29:                              ;   in Loop: Header=BB87_21 Depth=1
	s_or_b64 exec, exec, s[10:11]
	v_cmp_le_u32_e32 vcc, s13, v2
	s_cbranch_vccnz .LBB87_20
; %bb.30:                               ;   in Loop: Header=BB87_21 Depth=1
	ds_write_b32 v6, v13
	s_waitcnt vmcnt(0) lgkmcnt(0)
	s_barrier
	s_and_saveexec_b64 s[10:11], s[4:5]
	s_cbranch_execz .LBB87_32
; %bb.31:                               ;   in Loop: Header=BB87_21 Depth=1
	v_add_u32_e32 v1, v7, v8
	ds_read2_b32 v[15:16], v1 offset1:1
	ds_read2_b32 v[17:18], v1 offset0:2 offset1:3
	v_and_b32_e32 v19, 15, v11
	v_cmp_ne_u32_e32 vcc, 0, v19
	s_waitcnt lgkmcnt(1)
	v_add_u32_e32 v16, v16, v15
	s_waitcnt lgkmcnt(0)
	v_add3_u32 v16, v16, v17, v18
	v_bfe_i32 v18, v11, 4, 1
	; wave barrier
	s_nop 0
	v_mov_b32_dpp v17, v16 row_shr:1 row_mask:0xf bank_mask:0xf
	v_cndmask_b32_e32 v17, 0, v17, vcc
	v_add_u32_e32 v16, v17, v16
	v_cmp_lt_u32_e32 vcc, 1, v19
	s_nop 0
	v_mov_b32_dpp v17, v16 row_shr:2 row_mask:0xf bank_mask:0xf
	v_cndmask_b32_e32 v17, 0, v17, vcc
	v_add_u32_e32 v16, v16, v17
	v_cmp_lt_u32_e32 vcc, 3, v19
	;; [unrolled: 5-line block ×4, first 2 shown]
	s_nop 0
	v_mov_b32_dpp v17, v16 row_bcast:15 row_mask:0xf bank_mask:0xf
	v_and_b32_e32 v17, v18, v17
	v_add_u32_e32 v16, v16, v17
	v_and_b32_e32 v18, 64, v11
	s_nop 0
	v_mov_b32_dpp v17, v16 row_bcast:31 row_mask:0xf bank_mask:0xf
	v_cndmask_b32_e32 v17, 0, v17, vcc
	v_add_u32_e32 v16, v16, v17
	v_add_u32_e32 v17, -1, v11
	v_cmp_lt_i32_e32 vcc, v17, v18
	v_cndmask_b32_e32 v17, v17, v11, vcc
	v_lshlrev_b32_e32 v17, 2, v17
	ds_bpermute_b32 v16, v17, v16
	s_waitcnt lgkmcnt(0)
	v_add_u32_e32 v15, v16, v15
	v_cndmask_b32_e64 v17, v15, v13, s[2:3]
	ds_write_b32 v1, v17
	; wave barrier
	ds_read2_b32 v[15:16], v1 offset0:1 offset1:2
	ds_read_b32 v18, v1 offset:12
	s_waitcnt lgkmcnt(1)
	v_add_u32_e32 v15, v15, v17
	v_add_u32_e32 v16, v16, v15
	ds_write2_b32 v1, v15, v16 offset0:1 offset1:2
	s_waitcnt lgkmcnt(1)
	v_add_u32_e32 v15, v18, v16
	ds_write_b32 v1, v15 offset:12
.LBB87_32:                              ;   in Loop: Header=BB87_21 Depth=1
	s_or_b64 exec, exec, s[10:11]
	v_mov_b32_e32 v1, 0
	s_waitcnt lgkmcnt(0)
	s_barrier
	s_and_saveexec_b64 s[10:11], s[0:1]
; %bb.33:                               ;   in Loop: Header=BB87_21 Depth=1
	ds_read_b32 v1, v9
; %bb.34:                               ;   in Loop: Header=BB87_21 Depth=1
	s_or_b64 exec, exec, s[10:11]
	ds_read_b32 v15, v5 offset:1048
	v_cmp_ne_u32_e32 vcc, 0, v13
	s_waitcnt lgkmcnt(0)
	s_barrier
	s_and_saveexec_b64 s[10:11], vcc
	s_cbranch_execz .LBB87_19
; %bb.35:                               ;   in Loop: Header=BB87_21 Depth=1
	v_add_u32_e32 v1, v1, v2
	v_cmp_gt_u32_e32 vcc, s13, v1
	s_and_b64 exec, exec, vcc
	s_cbranch_execz .LBB87_19
; %bb.36:                               ;   in Loop: Header=BB87_21 Depth=1
	v_mul_lo_u32 v16, v1, s14
	v_mov_b32_e32 v17, v5
	v_mul_lo_u32 v18, v1, s8
	v_mov_b32_e32 v13, s18
	v_lshlrev_b64 v[16:17], 2, v[16:17]
	v_mov_b32_e32 v19, v5
	v_add_co_u32_e32 v16, vcc, s17, v16
	v_addc_co_u32_e32 v17, vcc, v13, v17, vcc
	global_store_dword v[16:17], v12, off
	v_lshlrev_b64 v[16:17], 3, v[18:19]
	v_mov_b32_e32 v13, s20
	v_add_co_u32_e32 v16, vcc, s19, v16
	v_mov_b32_e32 v1, v5
	v_addc_co_u32_e32 v17, vcc, v13, v17, vcc
	global_store_dwordx2 v[16:17], v[0:1], off
	s_branch .LBB87_19
.LBB87_37:                              ;   in Loop: Header=BB87_38 Depth=1
	s_add_u32 s28, s28, 4
	s_addc_u32 s29, s29, 0
	s_waitcnt lgkmcnt(0)
	s_add_i32 s56, s15, s56
	s_add_u32 s30, s30, 4
	s_addc_u32 s31, s31, 0
	s_add_i32 s14, s14, 1
	s_cmp_lt_u32 s14, s10
	s_cbranch_scc0 .LBB87_16
.LBB87_38:                              ; =>This Inner Loop Header: Depth=1
	s_load_dword s15, s[28:29], 0x0
	s_cmp_ge_u32 s14, s11
	s_cbranch_scc1 .LBB87_37
; %bb.39:                               ;   in Loop: Header=BB87_38 Depth=1
	s_load_dword s46, s[30:31], 0x0
	s_waitcnt lgkmcnt(0)
	s_add_i32 s43, s15, s43
	s_add_i32 s55, s46, s55
	s_branch .LBB87_37
.LBB87_40:
	s_endpgm
	.section	.rodata,"a",@progbits
	.p2align	6, 0x0
	.amdhsa_kernel _ZN2at6native6mbtopk10gatherTopKIfjLi3EEEvNS_4cuda6detail10TensorInfoIKT_T0_EES8_S8_bjS8_NS5_IS6_S8_EES8_NS5_IlS8_EES8_jjPS6_PjSD_j
		.amdhsa_group_segment_fixed_size 1068
		.amdhsa_private_segment_fixed_size 0
		.amdhsa_kernarg_size 984
		.amdhsa_user_sgpr_count 6
		.amdhsa_user_sgpr_private_segment_buffer 1
		.amdhsa_user_sgpr_dispatch_ptr 0
		.amdhsa_user_sgpr_queue_ptr 0
		.amdhsa_user_sgpr_kernarg_segment_ptr 1
		.amdhsa_user_sgpr_dispatch_id 0
		.amdhsa_user_sgpr_flat_scratch_init 0
		.amdhsa_user_sgpr_private_segment_size 0
		.amdhsa_uses_dynamic_stack 0
		.amdhsa_system_sgpr_private_segment_wavefront_offset 0
		.amdhsa_system_sgpr_workgroup_id_x 1
		.amdhsa_system_sgpr_workgroup_id_y 1
		.amdhsa_system_sgpr_workgroup_id_z 1
		.amdhsa_system_sgpr_workgroup_info 0
		.amdhsa_system_vgpr_workitem_id 0
		.amdhsa_next_free_vgpr 20
		.amdhsa_next_free_sgpr 60
		.amdhsa_reserve_vcc 1
		.amdhsa_reserve_flat_scratch 0
		.amdhsa_float_round_mode_32 0
		.amdhsa_float_round_mode_16_64 0
		.amdhsa_float_denorm_mode_32 3
		.amdhsa_float_denorm_mode_16_64 3
		.amdhsa_dx10_clamp 1
		.amdhsa_ieee_mode 1
		.amdhsa_fp16_overflow 0
		.amdhsa_exception_fp_ieee_invalid_op 0
		.amdhsa_exception_fp_denorm_src 0
		.amdhsa_exception_fp_ieee_div_zero 0
		.amdhsa_exception_fp_ieee_overflow 0
		.amdhsa_exception_fp_ieee_underflow 0
		.amdhsa_exception_fp_ieee_inexact 0
		.amdhsa_exception_int_div_zero 0
	.end_amdhsa_kernel
	.section	.text._ZN2at6native6mbtopk10gatherTopKIfjLi3EEEvNS_4cuda6detail10TensorInfoIKT_T0_EES8_S8_bjS8_NS5_IS6_S8_EES8_NS5_IlS8_EES8_jjPS6_PjSD_j,"axG",@progbits,_ZN2at6native6mbtopk10gatherTopKIfjLi3EEEvNS_4cuda6detail10TensorInfoIKT_T0_EES8_S8_bjS8_NS5_IS6_S8_EES8_NS5_IlS8_EES8_jjPS6_PjSD_j,comdat
.Lfunc_end87:
	.size	_ZN2at6native6mbtopk10gatherTopKIfjLi3EEEvNS_4cuda6detail10TensorInfoIKT_T0_EES8_S8_bjS8_NS5_IS6_S8_EES8_NS5_IlS8_EES8_jjPS6_PjSD_j, .Lfunc_end87-_ZN2at6native6mbtopk10gatherTopKIfjLi3EEEvNS_4cuda6detail10TensorInfoIKT_T0_EES8_S8_bjS8_NS5_IS6_S8_EES8_NS5_IlS8_EES8_jjPS6_PjSD_j
                                        ; -- End function
	.set _ZN2at6native6mbtopk10gatherTopKIfjLi3EEEvNS_4cuda6detail10TensorInfoIKT_T0_EES8_S8_bjS8_NS5_IS6_S8_EES8_NS5_IlS8_EES8_jjPS6_PjSD_j.num_vgpr, 20
	.set _ZN2at6native6mbtopk10gatherTopKIfjLi3EEEvNS_4cuda6detail10TensorInfoIKT_T0_EES8_S8_bjS8_NS5_IS6_S8_EES8_NS5_IlS8_EES8_jjPS6_PjSD_j.num_agpr, 0
	.set _ZN2at6native6mbtopk10gatherTopKIfjLi3EEEvNS_4cuda6detail10TensorInfoIKT_T0_EES8_S8_bjS8_NS5_IS6_S8_EES8_NS5_IlS8_EES8_jjPS6_PjSD_j.numbered_sgpr, 60
	.set _ZN2at6native6mbtopk10gatherTopKIfjLi3EEEvNS_4cuda6detail10TensorInfoIKT_T0_EES8_S8_bjS8_NS5_IS6_S8_EES8_NS5_IlS8_EES8_jjPS6_PjSD_j.num_named_barrier, 0
	.set _ZN2at6native6mbtopk10gatherTopKIfjLi3EEEvNS_4cuda6detail10TensorInfoIKT_T0_EES8_S8_bjS8_NS5_IS6_S8_EES8_NS5_IlS8_EES8_jjPS6_PjSD_j.private_seg_size, 0
	.set _ZN2at6native6mbtopk10gatherTopKIfjLi3EEEvNS_4cuda6detail10TensorInfoIKT_T0_EES8_S8_bjS8_NS5_IS6_S8_EES8_NS5_IlS8_EES8_jjPS6_PjSD_j.uses_vcc, 1
	.set _ZN2at6native6mbtopk10gatherTopKIfjLi3EEEvNS_4cuda6detail10TensorInfoIKT_T0_EES8_S8_bjS8_NS5_IS6_S8_EES8_NS5_IlS8_EES8_jjPS6_PjSD_j.uses_flat_scratch, 0
	.set _ZN2at6native6mbtopk10gatherTopKIfjLi3EEEvNS_4cuda6detail10TensorInfoIKT_T0_EES8_S8_bjS8_NS5_IS6_S8_EES8_NS5_IlS8_EES8_jjPS6_PjSD_j.has_dyn_sized_stack, 0
	.set _ZN2at6native6mbtopk10gatherTopKIfjLi3EEEvNS_4cuda6detail10TensorInfoIKT_T0_EES8_S8_bjS8_NS5_IS6_S8_EES8_NS5_IlS8_EES8_jjPS6_PjSD_j.has_recursion, 0
	.set _ZN2at6native6mbtopk10gatherTopKIfjLi3EEEvNS_4cuda6detail10TensorInfoIKT_T0_EES8_S8_bjS8_NS5_IS6_S8_EES8_NS5_IlS8_EES8_jjPS6_PjSD_j.has_indirect_call, 0
	.section	.AMDGPU.csdata,"",@progbits
; Kernel info:
; codeLenInByte = 2764
; TotalNumSgprs: 64
; NumVgprs: 20
; ScratchSize: 0
; MemoryBound: 0
; FloatMode: 240
; IeeeMode: 1
; LDSByteSize: 1068 bytes/workgroup (compile time only)
; SGPRBlocks: 7
; VGPRBlocks: 4
; NumSGPRsForWavesPerEU: 64
; NumVGPRsForWavesPerEU: 20
; Occupancy: 10
; WaveLimiterHint : 1
; COMPUTE_PGM_RSRC2:SCRATCH_EN: 0
; COMPUTE_PGM_RSRC2:USER_SGPR: 6
; COMPUTE_PGM_RSRC2:TRAP_HANDLER: 0
; COMPUTE_PGM_RSRC2:TGID_X_EN: 1
; COMPUTE_PGM_RSRC2:TGID_Y_EN: 1
; COMPUTE_PGM_RSRC2:TGID_Z_EN: 1
; COMPUTE_PGM_RSRC2:TIDIG_COMP_CNT: 0
	.section	.text._ZN2at6native6sbtopk10gatherTopKIfjLi3ELb0EEEvNS_4cuda6detail10TensorInfoIKT_T0_EES8_S8_bS8_S8_NS5_IS6_S8_EES8_NS5_IlS8_EES8_PS6_,"axG",@progbits,_ZN2at6native6sbtopk10gatherTopKIfjLi3ELb0EEEvNS_4cuda6detail10TensorInfoIKT_T0_EES8_S8_bS8_S8_NS5_IS6_S8_EES8_NS5_IlS8_EES8_PS6_,comdat
	.protected	_ZN2at6native6sbtopk10gatherTopKIfjLi3ELb0EEEvNS_4cuda6detail10TensorInfoIKT_T0_EES8_S8_bS8_S8_NS5_IS6_S8_EES8_NS5_IlS8_EES8_PS6_ ; -- Begin function _ZN2at6native6sbtopk10gatherTopKIfjLi3ELb0EEEvNS_4cuda6detail10TensorInfoIKT_T0_EES8_S8_bS8_S8_NS5_IS6_S8_EES8_NS5_IlS8_EES8_PS6_
	.globl	_ZN2at6native6sbtopk10gatherTopKIfjLi3ELb0EEEvNS_4cuda6detail10TensorInfoIKT_T0_EES8_S8_bS8_S8_NS5_IS6_S8_EES8_NS5_IlS8_EES8_PS6_
	.p2align	8
	.type	_ZN2at6native6sbtopk10gatherTopKIfjLi3ELb0EEEvNS_4cuda6detail10TensorInfoIKT_T0_EES8_S8_bS8_S8_NS5_IS6_S8_EES8_NS5_IlS8_EES8_PS6_,@function
_ZN2at6native6sbtopk10gatherTopKIfjLi3ELb0EEEvNS_4cuda6detail10TensorInfoIKT_T0_EES8_S8_bS8_S8_NS5_IS6_S8_EES8_NS5_IlS8_EES8_PS6_: ; @_ZN2at6native6sbtopk10gatherTopKIfjLi3ELb0EEEvNS_4cuda6detail10TensorInfoIKT_T0_EES8_S8_bS8_S8_NS5_IS6_S8_EES8_NS5_IlS8_EES8_PS6_
; %bb.0:
	s_load_dwordx2 s[14:15], s[4:5], 0x2b8
	s_load_dwordx4 s[60:63], s[4:5], 0xd8
	s_mov_b64 s[20:21], s[4:5]
	s_add_u32 s12, s20, 0x2b8
	s_addc_u32 s13, s21, 0
	s_waitcnt lgkmcnt(0)
	s_mul_i32 s0, s15, s8
	s_add_i32 s0, s0, s7
	s_mul_i32 s0, s0, s14
	s_add_i32 s15, s0, s6
	s_cmp_ge_u32 s15, s63
	s_cbranch_scc1 .LBB88_413
; %bb.1:
	s_load_dwordx4 s[0:3], s[20:21], 0x23c
                                        ; implicit-def: $vgpr47 : SGPR spill to VGPR lane
	s_load_dwordx2 s[16:17], s[20:21], 0xc
	s_load_dwordx2 s[10:11], s[20:21], 0x0
	s_mov_b32 s81, 0
	s_waitcnt lgkmcnt(0)
	v_cvt_f32_u32_e32 v1, s17
	v_writelane_b32 v47, s0, 0
	v_writelane_b32 v47, s1, 1
	;; [unrolled: 1-line block ×4, first 2 shown]
	s_load_dwordx2 s[18:19], s[20:21], 0x1dc
	s_load_dwordx2 s[0:1], s[20:21], 0x1d0
	v_rcp_iflag_f32_e32 v1, v1
	v_cvt_f32_u32_e32 v2, s16
	s_waitcnt lgkmcnt(0)
	v_writelane_b32 v47, s0, 4
	v_writelane_b32 v47, s1, 5
	s_load_dwordx4 s[0:3], s[20:21], 0x15c
	v_mul_f32_e32 v1, 0x4f7ffffe, v1
	v_cvt_u32_f32_e32 v1, v1
	s_waitcnt lgkmcnt(0)
	v_writelane_b32 v47, s0, 6
	v_writelane_b32 v47, s1, 7
	;; [unrolled: 1-line block ×4, first 2 shown]
	s_load_dwordx2 s[22:23], s[20:21], 0xfc
	s_load_dwordx2 s[0:1], s[20:21], 0xf0
	v_readfirstlane_b32 s4, v1
	v_rcp_iflag_f32_e32 v1, v2
	s_waitcnt lgkmcnt(0)
	v_cvt_f32_u32_e32 v2, s23
	v_writelane_b32 v47, s0, 10
	v_writelane_b32 v47, s1, 11
	s_load_dword s0, s[20:21], 0xe8
	v_mul_f32_e32 v1, 0x4f7ffffe, v1
	v_cvt_u32_f32_e32 v1, v1
	v_rcp_iflag_f32_e32 v2, v2
	s_waitcnt lgkmcnt(0)
	v_writelane_b32 v47, s0, 12
	s_load_dwordx4 s[0:3], s[20:21], 0x6c
	s_waitcnt lgkmcnt(0)
	s_sub_i32 s3, 0, s17
	s_mul_i32 s3, s3, s4
	s_mul_hi_u32 s3, s4, s3
	s_add_i32 s4, s4, s3
	s_mul_hi_u32 s3, s15, s4
	s_mul_i32 s4, s3, s17
	s_sub_i32 s4, s15, s4
	s_add_i32 s5, s3, 1
	s_sub_i32 s7, s4, s17
	s_cmp_ge_u32 s4, s17
	s_cselect_b32 s3, s5, s3
	s_cselect_b32 s4, s7, s4
	s_add_i32 s5, s3, 1
	s_cmp_ge_u32 s4, s17
	s_cselect_b32 s3, s5, s3
	v_readfirstlane_b32 s5, v1
	v_mul_f32_e32 v1, 0x4f7ffffe, v2
	v_cvt_u32_f32_e32 v1, v1
	s_sub_i32 s4, 0, s16
	s_mul_i32 s4, s4, s5
	s_mul_hi_u32 s4, s5, s4
	v_readfirstlane_b32 s7, v1
	v_cvt_f32_u32_e32 v1, s22
	s_add_i32 s5, s5, s4
	s_mul_hi_u32 s4, s3, s5
	s_sub_i32 s5, 0, s23
	s_mul_i32 s5, s5, s7
	s_mul_hi_u32 s5, s7, s5
	v_rcp_iflag_f32_e32 v1, v1
	s_add_i32 s7, s7, s5
	v_cvt_f32_u32_e32 v2, s19
	s_mul_hi_u32 s5, s15, s7
	s_mul_i32 s7, s5, s23
	s_sub_i32 s7, s15, s7
	v_mul_f32_e32 v1, 0x4f7ffffe, v1
	s_add_i32 s8, s5, 1
	s_sub_i32 s9, s7, s23
	v_cvt_u32_f32_e32 v1, v1
	v_rcp_iflag_f32_e32 v2, v2
	s_cmp_ge_u32 s7, s23
	s_cselect_b32 s5, s8, s5
	s_cselect_b32 s7, s9, s7
	s_add_i32 s8, s5, 1
	s_cmp_ge_u32 s7, s23
	v_readfirstlane_b32 s7, v1
	v_mul_f32_e32 v1, 0x4f7ffffe, v2
	s_cselect_b32 s8, s8, s5
	v_writelane_b32 v47, s22, 13
	s_sub_i32 s5, 0, s22
	v_cvt_u32_f32_e32 v1, v1
	s_mul_i32 s5, s5, s7
	s_mul_hi_u32 s5, s7, s5
	v_writelane_b32 v47, s23, 14
	s_add_i32 s7, s7, s5
	v_writelane_b32 v47, s8, 15
	s_mul_hi_u32 s5, s8, s7
	v_readfirstlane_b32 s7, v1
	v_cvt_f32_u32_e32 v1, s18
	v_writelane_b32 v47, s5, 16
	s_sub_i32 s5, 0, s19
	s_mul_i32 s5, s5, s7
	s_mul_hi_u32 s5, s7, s5
	s_add_i32 s7, s7, s5
	v_rcp_iflag_f32_e32 v1, v1
	s_mul_hi_u32 s5, s15, s7
	s_mul_i32 s7, s5, s19
	s_sub_i32 s7, s15, s7
	s_add_i32 s8, s5, 1
	s_sub_i32 s9, s7, s19
	v_mul_f32_e32 v1, 0x4f7ffffe, v1
	s_cmp_ge_u32 s7, s19
	v_cvt_u32_f32_e32 v1, v1
	s_cselect_b32 s5, s8, s5
	s_cselect_b32 s7, s9, s7
	s_add_i32 s8, s5, 1
	s_cmp_ge_u32 s7, s19
	s_cselect_b32 s8, s8, s5
	v_writelane_b32 v47, s18, 17
	s_sub_i32 s5, 0, s18
	v_readfirstlane_b32 s7, v1
	s_mul_i32 s5, s5, s7
	s_mul_hi_u32 s5, s7, s5
	v_writelane_b32 v47, s19, 18
	s_add_i32 s7, s7, s5
	v_writelane_b32 v47, s8, 19
	s_mul_hi_u32 s5, s8, s7
	v_writelane_b32 v47, s5, 20
	v_cmp_eq_u32_e64 s[8:9], 0, v0
	s_mov_b64 s[18:19], exec
	v_writelane_b32 v47, s8, 21
	v_writelane_b32 v47, s9, 22
	s_and_b64 s[8:9], s[18:19], s[8:9]
	s_mov_b64 exec, s[8:9]
; %bb.2:
	v_mov_b32_e32 v1, 0
	v_mov_b32_e32 v2, s60
	;; [unrolled: 1-line block ×3, first 2 shown]
	ds_write_b96 v1, v[1:3] offset:4096
; %bb.3:
	s_or_b64 exec, exec, s[18:19]
	s_mul_i32 s5, s3, s17
	s_sub_i32 s5, s15, s5
	s_mul_i32 s5, s5, s2
	s_mul_i32 s2, s4, s16
	s_sub_i32 s2, s3, s2
	s_add_i32 s7, s4, 1
	s_sub_i32 s8, s2, s16
	s_cmp_ge_u32 s2, s16
	s_cselect_b32 s4, s7, s4
	s_cselect_b32 s2, s8, s2
	s_add_i32 s7, s4, 1
	s_cmp_ge_u32 s2, s16
	s_cselect_b32 s2, s7, s4
	s_mul_i32 s4, s2, s16
	s_sub_i32 s3, s3, s4
	s_mul_i32 s1, s3, s1
	s_add_i32 s1, s1, s5
	s_mul_i32 s2, s2, s0
	s_add_i32 s80, s1, s2
	s_lshl_b64 s[0:1], s[80:81], 2
	s_add_u32 s33, s10, s0
	s_waitcnt lgkmcnt(0)
	s_barrier
	s_load_dword s0, s[12:13], 0xc
	s_addc_u32 s80, s11, s1
	s_bitcmp1_b32 s62, 0
	v_writelane_b32 v47, s15, 23
	s_cselect_b64 s[2:3], -1, 0
	v_mbcnt_lo_u32_b32 v1, -1, 0
	v_writelane_b32 v47, s2, 24
	v_mbcnt_hi_u32_b32 v19, -1, v1
	v_writelane_b32 v47, s3, 25
	s_xor_b64 s[62:63], s[2:3], -1
	s_waitcnt lgkmcnt(0)
	s_and_b32 s8, s0, 0xffff
	v_cmp_gt_u32_e32 vcc, 64, v0
	v_cmp_gt_i32_e64 s[2:3], 4, v19
	s_lshl_b32 s85, s8, 2
	s_bfe_u32 s7, s0, 0xa0006
	s_and_b64 s[82:83], vcc, s[2:3]
	s_cmpk_gt_u32 s60, 0x300
	s_cselect_b64 s[2:3], -1, 0
	v_writelane_b32 v47, s2, 26
	v_writelane_b32 v47, s3, 27
	;; [unrolled: 1-line block ×3, first 2 shown]
	s_load_dword s10, s[20:21], 0xe8
	v_mov_b32_e32 v9, 0
	v_mov_b32_e32 v8, v9
	;; [unrolled: 1-line block ×3, first 2 shown]
	v_writelane_b32 v47, s21, 29
	s_waitcnt lgkmcnt(0)
	v_mul_lo_u32 v7, s10, v0
	v_cmp_gt_u32_e64 s[2:3], s60, v0
	v_writelane_b32 v47, s2, 30
	s_cmp_gt_u32 s8, 63
	v_lshlrev_b64 v[1:2], 2, v[7:8]
	v_writelane_b32 v47, s3, 31
	v_add_co_u32_e32 v5, vcc, s33, v1
	v_addc_co_u32_e32 v6, vcc, v20, v2, vcc
	v_lshlrev_b64 v[2:3], v19, -1
	s_cselect_b64 s[2:3], -1, 0
	v_not_b32_e32 v17, v2
	v_lshrrev_b32_e32 v2, 2, v0
	v_writelane_b32 v47, s2, 32
	v_and_b32_e32 v2, 0xf0, v2
	v_writelane_b32 v47, s3, 33
	s_add_i32 s2, s8, -1
	v_or_b32_e32 v22, 0xc00, v2
	v_cvt_f32_u32_e32 v2, s85
	v_writelane_b32 v47, s2, 34
	s_add_i32 s2, s2, s60
	s_cmp_lt_u32 s6, s14
	s_cselect_b32 s3, 12, 18
	s_add_u32 s12, s12, s3
	v_rcp_iflag_f32_e32 v2, v2
	s_addc_u32 s13, s13, 0
	s_add_i32 s3, s7, -1
	s_bfe_u32 s6, s8, 0x30006
	s_and_b32 s3, s3, 0xffff
	v_writelane_b32 v47, s12, 35
	s_cmp_gt_u32 s3, 6
	v_writelane_b32 v47, s13, 36
	s_cselect_b64 s[12:13], -1, 0
	v_mul_f32_e32 v2, 0x4f7ffffe, v2
	v_writelane_b32 v47, s12, 37
	s_and_b32 s17, s7, 0x3f8
	v_cvt_u32_f32_e32 v2, v2
	v_writelane_b32 v47, s13, 38
	s_cmp_lg_u32 s6, 0
	v_writelane_b32 v47, s6, 39
	s_cselect_b64 s[6:7], -1, 0
	v_writelane_b32 v47, s6, 40
	v_writelane_b32 v47, s7, 41
	s_sub_i32 s3, 0, s85
	v_readfirstlane_b32 s6, v2
	s_mul_i32 s3, s3, s6
	s_mul_hi_u32 s3, s6, s3
	s_add_i32 s3, s6, s3
	v_writelane_b32 v47, s3, 42
	s_mul_hi_u32 s3, s60, s3
	s_mul_i32 s3, s3, s85
	v_cvt_f32_u32_e32 v2, s8
	s_sub_i32 s3, s60, s3
	s_sub_i32 s6, s3, s85
	s_cmp_ge_u32 s3, s85
	s_cselect_b32 s3, s6, s3
	v_rcp_iflag_f32_e32 v4, v2
	s_sub_i32 s6, s3, s85
	s_cmp_ge_u32 s3, s85
	s_cselect_b32 s3, s6, s3
	v_lshlrev_b32_e32 v18, 2, v0
	s_sub_i32 s16, s60, s3
	v_mul_f32_e32 v4, 0x4f7ffffe, v4
	v_cmp_gt_u32_e64 s[6:7], s16, v18
	v_cvt_u32_f32_e32 v4, v4
	v_add_u32_e32 v23, s16, v0
	v_writelane_b32 v47, s6, 43
	v_writelane_b32 v47, s7, 44
	v_cmp_gt_u32_e64 s[6:7], s60, v23
	v_writelane_b32 v47, s6, 45
	v_writelane_b32 v47, s7, 46
	s_sub_i32 s6, 0, s8
	v_readfirstlane_b32 s7, v4
	s_mul_i32 s6, s6, s7
	v_mul_lo_u32 v8, v23, s10
	s_mul_hi_u32 s6, s7, s6
	s_add_i32 s6, s7, s6
	v_writelane_b32 v47, s6, 47
	s_mul_hi_u32 s6, s2, s6
	s_mul_i32 s6, s6, s8
	v_not_b32_e32 v16, v3
	v_lshlrev_b64 v[2:3], 2, v[8:9]
	s_sub_i32 s6, s2, s6
	s_sub_i32 s7, s6, s8
	v_add_co_u32_e32 v10, vcc, s33, v2
	s_cmp_ge_u32 s6, s8
	v_mul_lo_u32 v2, s10, v18
	s_cselect_b32 s6, s7, s6
	s_sub_i32 s7, s6, s8
	s_cmp_ge_u32 s6, s8
	s_cselect_b32 s6, s7, s6
	v_add_u32_e32 v25, s10, v2
	v_or_b32_e32 v2, 2, v18
	s_sub_i32 s86, s2, s6
	v_mul_lo_u32 v26, s10, v2
	v_or_b32_e32 v2, 3, v18
	s_add_i32 s2, s8, s60
	v_mul_lo_u32 v27, s10, v2
	v_add_u32_e32 v2, s2, v0
	v_subrev_u32_e32 v2, s3, v2
	v_mul_lo_u32 v29, s10, v2
	v_lshlrev_b32_e32 v1, 2, v19
	v_mov_b32_e32 v8, s80
	v_cmp_gt_u32_e64 s[6:7], s86, v0
	s_mul_i32 s9, s10, s8
	v_cmp_eq_u32_e64 s[0:1], 0, v19
	v_cmp_gt_u32_e64 s[4:5], 2, v0
	v_add_u32_e32 v21, 0xc00, v18
	v_and_b32_e32 v15, 0x100, v1
	v_addc_co_u32_e32 v11, vcc, v8, v3, vcc
	v_writelane_b32 v47, s6, 48
	s_lshl_b32 s87, s9, 2
	v_lshlrev_b32_e32 v28, 2, v7
	v_lshlrev_b32_e32 v30, 4, v0
	s_lshl_b32 s12, s8, 4
	v_or_b32_e32 v31, 0xc00, v1
	s_mov_b32 s13, 30
	s_mov_b64 s[94:95], 0
	v_mov_b32_e32 v34, s61
	v_bfrev_b32_e32 v32, 1
	v_mov_b32_e32 v24, 0
	v_mov_b32_e32 v33, 0
	v_mov_b32_e32 v12, 1.0
	v_mov_b32_e32 v14, 0
	v_writelane_b32 v47, s7, 49
                                        ; implicit-def: $sgpr72_sgpr73
                                        ; implicit-def: $sgpr74_sgpr75
                                        ; implicit-def: $sgpr66_sgpr67
                                        ; implicit-def: $sgpr68_sgpr69
                                        ; implicit-def: $sgpr64_sgpr65
                                        ; implicit-def: $sgpr70_sgpr71
                                        ; implicit-def: $sgpr20_sgpr21
                                        ; implicit-def: $sgpr76_sgpr77
                                        ; implicit-def: $sgpr78_sgpr79
                                        ; implicit-def: $sgpr88_sgpr89
	s_branch .LBB88_6
.LBB88_4:                               ;   in Loop: Header=BB88_6 Depth=1
	s_or_b64 exec, exec, s[22:23]
	s_andn2_b64 s[10:11], s[88:89], exec
	s_and_b64 s[14:15], s[18:19], exec
	s_or_b64 s[88:89], s[10:11], s[14:15]
	s_andn2_b64 s[78:79], s[78:79], exec
	s_andn2_b64 s[76:77], s[76:77], exec
	;; [unrolled: 1-line block ×4, first 2 shown]
	s_orn2_b64 s[6:7], s[6:7], exec
	v_mov_b32_e32 v34, v36
.LBB88_5:                               ;   in Loop: Header=BB88_6 Depth=1
	s_or_b64 exec, exec, s[2:3]
	s_and_b64 s[2:3], exec, s[6:7]
	s_or_b64 s[94:95], s[2:3], s[94:95]
	s_andn2_b64 s[2:3], s[64:65], exec
	s_and_b64 s[6:7], s[88:89], exec
	s_or_b64 s[64:65], s[2:3], s[6:7]
	s_andn2_b64 s[2:3], s[68:69], exec
	s_and_b64 s[6:7], s[78:79], exec
	;; [unrolled: 3-line block ×5, first 2 shown]
	s_or_b64 s[72:73], s[2:3], s[6:7]
	s_andn2_b64 exec, exec, s[94:95]
	s_cbranch_execz .LBB88_409
.LBB88_6:                               ; =>This Loop Header: Depth=1
                                        ;     Child Loop BB88_12 Depth 2
                                        ;     Child Loop BB88_25 Depth 2
	;; [unrolled: 1-line block ×24, first 2 shown]
	ds_read_b64 v[1:2], v9 offset:4096
	s_waitcnt lgkmcnt(0)
	v_readfirstlane_b32 s10, v1
	s_cmp_lg_u32 s10, 0
	s_cbranch_scc1 .LBB88_33
; %bb.7:                                ;   in Loop: Header=BB88_6 Depth=1
	v_readlane_b32 s2, v47, 26
	v_readlane_b32 s3, v47, 27
	s_and_b64 vcc, exec, s[2:3]
	s_cbranch_vccz .LBB88_20
; %bb.8:                                ;   in Loop: Header=BB88_6 Depth=1
	s_movk_i32 s2, 0x301
	v_cmp_gt_u32_e32 vcc, s2, v2
	s_mov_b64 s[22:23], 0
	s_mov_b64 s[2:3], 0
	s_cbranch_vccz .LBB88_21
; %bb.9:                                ;   in Loop: Header=BB88_6 Depth=1
	s_mov_b64 s[24:25], exec
	v_readlane_b32 s2, v47, 30
	v_readlane_b32 s3, v47, 31
	s_and_b64 s[2:3], s[24:25], s[2:3]
	s_mov_b64 exec, s[2:3]
	s_cbranch_execz .LBB88_82
; %bb.10:                               ;   in Loop: Header=BB88_6 Depth=1
	v_readlane_b32 s2, v47, 35
	v_readlane_b32 s3, v47, 36
	s_nop 4
	global_load_ushort v1, v9, s[2:3]
	global_load_dword v2, v[5:6], off
	v_readlane_b32 s2, v47, 28
	v_readlane_b32 s3, v47, 29
	s_load_dword s2, s[2:3], 0xe8
	s_mov_b64 s[26:27], 0
	v_mov_b32_e32 v4, v0
	s_waitcnt vmcnt(1)
	v_add_u32_e32 v3, v0, v1
	s_waitcnt lgkmcnt(0)
	v_mul_lo_u32 v8, s2, v3
	v_mul_lo_u32 v3, s2, v1
	s_branch .LBB88_12
.LBB88_11:                              ;   in Loop: Header=BB88_12 Depth=2
	s_or_b64 exec, exec, s[2:3]
	v_add_u32_e32 v8, v8, v3
	v_mov_b32_e32 v2, v13
	s_andn2_b64 exec, exec, s[26:27]
	s_cbranch_execz .LBB88_82
.LBB88_12:                              ;   Parent Loop BB88_6 Depth=1
                                        ; =>  This Inner Loop Header: Depth=2
	v_add_u32_e32 v4, v4, v1
	v_cmp_gt_u32_e64 s[6:7], s60, v4
	v_cmp_le_u32_e32 vcc, s60, v4
	s_waitcnt lgkmcnt(0)
	v_mov_b32_e32 v35, 0
	v_mov_b32_e32 v13, 0
	s_and_saveexec_b64 s[2:3], s[6:7]
	s_cbranch_execz .LBB88_14
; %bb.13:                               ;   in Loop: Header=BB88_12 Depth=2
	v_lshlrev_b64 v[36:37], 2, v[8:9]
	v_add_co_u32_e64 v36, s[6:7], s33, v36
	v_addc_co_u32_e64 v37, s[6:7], v20, v37, s[6:7]
	global_load_dword v13, v[36:37], off
.LBB88_14:                              ;   in Loop: Header=BB88_12 Depth=2
	s_or_b64 exec, exec, s[2:3]
	s_waitcnt vmcnt(0)
	v_cmp_lt_i32_e64 s[6:7], -1, v2
	v_cndmask_b32_e64 v36, -1, v32, s[6:7]
	v_xor_b32_e32 v36, v36, v2
	v_cmp_o_f32_e64 s[6:7], v2, v2
	v_cndmask_b32_e64 v36, -1, v36, s[6:7]
	v_and_b32_e32 v36, v36, v33
	v_cmp_eq_u32_e64 s[18:19], v36, v24
	s_cmp_lg_u64 s[18:19], 0
	s_cselect_b64 s[2:3], -1, 0
	s_and_b64 s[6:7], s[0:1], s[2:3]
	s_and_saveexec_b64 s[2:3], s[6:7]
	s_cbranch_execz .LBB88_18
; %bb.15:                               ;   in Loop: Header=BB88_12 Depth=2
	s_mov_b64 s[30:31], exec
	v_mbcnt_lo_u32_b32 v35, s30, 0
	v_mbcnt_hi_u32_b32 v35, s31, v35
	s_bcnt1_i32_b64 s10, s[18:19]
	v_cmp_eq_u32_e64 s[6:7], 0, v35
                                        ; implicit-def: $vgpr36
	s_and_saveexec_b64 s[28:29], s[6:7]
; %bb.16:                               ;   in Loop: Header=BB88_12 Depth=2
	s_bcnt1_i32_b64 s6, s[30:31]
	s_mul_i32 s6, s10, s6
	v_mov_b32_e32 v36, s6
	ds_add_rtn_u32 v36, v9, v36 offset:4104
; %bb.17:                               ;   in Loop: Header=BB88_12 Depth=2
	s_or_b64 exec, exec, s[28:29]
	s_waitcnt lgkmcnt(0)
	v_readfirstlane_b32 s6, v36
	v_mov_b32_e32 v36, s6
	v_mad_u32_u24 v35, s10, v35, v36
.LBB88_18:                              ;   in Loop: Header=BB88_12 Depth=2
	s_or_b64 exec, exec, s[2:3]
	ds_bpermute_b32 v35, v15, v35
	s_and_b64 s[2:3], exec, vcc
	s_or_b64 s[26:27], s[2:3], s[26:27]
	s_and_saveexec_b64 s[2:3], s[18:19]
	s_cbranch_execz .LBB88_11
; %bb.19:                               ;   in Loop: Header=BB88_12 Depth=2
	v_and_b32_e32 v37, s18, v17
	v_and_b32_e32 v36, s19, v16
	v_bcnt_u32_b32 v37, v37, 0
	v_bcnt_u32_b32 v36, v36, v37
	v_lshlrev_b32_e32 v36, 2, v36
	s_waitcnt lgkmcnt(0)
	v_lshl_add_u32 v35, v35, 2, v36
	ds_write_b32 v35, v2
	s_branch .LBB88_11
.LBB88_20:                              ;   in Loop: Header=BB88_6 Depth=1
	s_mov_b64 s[22:23], -1
	s_mov_b64 s[2:3], 0
.LBB88_21:                              ;   in Loop: Header=BB88_6 Depth=1
	s_and_b64 vcc, exec, s[22:23]
	s_cbranch_vccz .LBB88_31
.LBB88_22:                              ;   in Loop: Header=BB88_6 Depth=1
	s_mov_b64 s[2:3], exec
	v_readlane_b32 s6, v47, 30
	v_readlane_b32 s7, v47, 31
	s_and_b64 s[6:7], s[2:3], s[6:7]
	s_mov_b64 exec, s[6:7]
	s_cbranch_execz .LBB88_28
; %bb.23:                               ;   in Loop: Header=BB88_6 Depth=1
	v_readlane_b32 s6, v47, 35
	v_readlane_b32 s7, v47, 36
	s_nop 4
	global_load_ushort v1, v9, s[6:7]
	global_load_dword v2, v[5:6], off
	v_mov_b32_e32 v3, v0
	s_waitcnt vmcnt(1)
	v_add_u32_e32 v8, v0, v1
	v_cmp_gt_u32_e32 vcc, s60, v8
	s_and_saveexec_b64 s[6:7], vcc
	s_cbranch_execz .LBB88_27
; %bb.24:                               ;   in Loop: Header=BB88_6 Depth=1
	v_readlane_b32 s10, v47, 28
	v_readlane_b32 s11, v47, 29
	s_load_dword s10, s[10:11], 0xe8
	v_lshlrev_b32_e32 v4, 2, v1
	s_mov_b64 s[18:19], 0
	v_mov_b32_e32 v35, v18
	v_mov_b32_e32 v3, v0
	s_waitcnt lgkmcnt(0)
	v_mul_lo_u32 v8, s10, v8
	v_mul_lo_u32 v13, s10, v1
.LBB88_25:                              ;   Parent Loop BB88_6 Depth=1
                                        ; =>  This Inner Loop Header: Depth=2
	v_lshlrev_b64 v[36:37], 2, v[8:9]
	v_mov_b32_e32 v38, s80
	v_add_co_u32_e32 v36, vcc, s33, v36
	v_addc_co_u32_e32 v37, vcc, v38, v37, vcc
	global_load_dword v36, v[36:37], off
	v_add_u32_e32 v3, v3, v1
	s_waitcnt vmcnt(1)
	ds_write_b32 v35, v2
	v_add_u32_e32 v2, v1, v3
	v_cmp_le_u32_e32 vcc, s60, v2
	v_add_u32_e32 v35, v35, v4
	v_add_u32_e32 v8, v8, v13
	s_or_b64 s[18:19], vcc, s[18:19]
	s_waitcnt vmcnt(0)
	v_mov_b32_e32 v2, v36
	s_andn2_b64 exec, exec, s[18:19]
	s_cbranch_execnz .LBB88_25
; %bb.26:                               ;   in Loop: Header=BB88_6 Depth=1
	s_or_b64 exec, exec, s[18:19]
	v_mov_b32_e32 v2, v36
.LBB88_27:                              ;   in Loop: Header=BB88_6 Depth=1
	s_or_b64 exec, exec, s[6:7]
	v_lshlrev_b32_e32 v1, 2, v3
	s_waitcnt vmcnt(0)
	ds_write_b32 v1, v2
.LBB88_28:                              ;   in Loop: Header=BB88_6 Depth=1
	s_or_b64 exec, exec, s[2:3]
	s_waitcnt lgkmcnt(0)
	s_barrier
	s_mov_b64 s[2:3], exec
	v_readlane_b32 s6, v47, 21
	v_readlane_b32 s7, v47, 22
	s_and_b64 s[6:7], s[2:3], s[6:7]
	s_mov_b64 exec, s[6:7]
; %bb.29:                               ;   in Loop: Header=BB88_6 Depth=1
	v_mov_b32_e32 v1, s60
	ds_write_b32 v9, v1 offset:4096
; %bb.30:                               ;   in Loop: Header=BB88_6 Depth=1
	s_or_b64 exec, exec, s[2:3]
	s_mov_b64 s[2:3], -1
	s_waitcnt lgkmcnt(0)
	s_barrier
.LBB88_31:                              ;   in Loop: Header=BB88_6 Depth=1
	s_mov_b32 s10, 0
	s_and_b64 vcc, exec, s[2:3]
	s_cbranch_vccz .LBB88_33
; %bb.32:                               ;   in Loop: Header=BB88_6 Depth=1
	ds_read_b32 v1, v9 offset:4096
	s_waitcnt lgkmcnt(0)
	v_readfirstlane_b32 s10, v1
.LBB88_33:                              ;   in Loop: Header=BB88_6 Depth=1
	s_cmp_lt_i32 s10, 1
	s_mov_b64 s[2:3], -1
                                        ; implicit-def: $vgpr1
	s_cbranch_scc1 .LBB88_43
; %bb.34:                               ;   in Loop: Header=BB88_6 Depth=1
	s_and_b64 vcc, exec, s[2:3]
	s_cbranch_vccnz .LBB88_54
.LBB88_35:                              ;   in Loop: Header=BB88_6 Depth=1
	s_lshl_b32 s10, s81, 6
	s_and_saveexec_b64 s[2:3], s[0:1]
.LBB88_36:                              ;   in Loop: Header=BB88_6 Depth=1
	v_lshl_add_u32 v8, s10, 2, v22
	ds_write_b128 v8, v[1:4]
.LBB88_37:                              ;   in Loop: Header=BB88_6 Depth=1
	s_or_b64 exec, exec, s[2:3]
	s_waitcnt lgkmcnt(0)
	s_barrier
	s_and_saveexec_b64 s[6:7], s[82:83]
	s_cbranch_execz .LBB88_68
; %bb.38:                               ;   in Loop: Header=BB88_6 Depth=1
	v_readlane_b32 s2, v47, 32
	v_readlane_b32 s3, v47, 33
	s_andn2_b64 vcc, exec, s[2:3]
	v_mov_b32_e32 v1, 0
	s_cbranch_vccnz .LBB88_67
; %bb.39:                               ;   in Loop: Header=BB88_6 Depth=1
	v_readlane_b32 s2, v47, 37
	v_readlane_b32 s3, v47, 38
	s_andn2_b64 vcc, exec, s[2:3]
	s_cbranch_vccnz .LBB88_63
; %bb.40:                               ;   in Loop: Header=BB88_6 Depth=1
	v_lshl_add_u32 v2, s81, 8, v31
	s_mov_b32 s2, 0
	v_mov_b32_e32 v1, 0
.LBB88_41:                              ;   Parent Loop BB88_6 Depth=1
                                        ; =>  This Inner Loop Header: Depth=2
	ds_read2_b32 v[3:4], v2 offset1:4
	ds_read2_b32 v[35:36], v2 offset0:8 offset1:12
	ds_read2_b32 v[37:38], v2 offset0:16 offset1:20
	;; [unrolled: 1-line block ×3, first 2 shown]
	s_add_i32 s2, s2, 8
	s_waitcnt lgkmcnt(3)
	v_add3_u32 v1, v3, v1, v4
	s_waitcnt lgkmcnt(2)
	v_add3_u32 v1, v35, v1, v36
	;; [unrolled: 2-line block ×3, first 2 shown]
	v_add_u32_e32 v2, 0x80, v2
	s_cmp_eq_u32 s17, s2
	s_waitcnt lgkmcnt(0)
	v_add3_u32 v1, v39, v1, v40
	s_cbranch_scc0 .LBB88_41
; %bb.42:                               ;   in Loop: Header=BB88_6 Depth=1
	s_mov_b32 s2, s17
	s_branch .LBB88_64
.LBB88_43:                              ;   in Loop: Header=BB88_6 Depth=1
	v_mov_b32_e32 v1, 0
	v_mov_b32_e32 v2, 0
	;; [unrolled: 1-line block ×4, first 2 shown]
	s_mov_b64 s[48:49], exec
	v_readlane_b32 s2, v47, 43
	v_readlane_b32 s3, v47, 44
	s_and_b64 s[2:3], s[48:49], s[2:3]
	s_mov_b64 exec, s[2:3]
	s_cbranch_execz .LBB88_47
; %bb.44:                               ;   in Loop: Header=BB88_6 Depth=1
	s_mov_b32 s2, 0
	s_mov_b64 s[50:51], 0
	s_mov_b32 s3, 0
	s_mov_b32 s11, 0
	;; [unrolled: 1-line block ×4, first 2 shown]
	v_mov_b32_e32 v13, v18
.LBB88_45:                              ;   Parent Loop BB88_6 Depth=1
                                        ; =>  This Inner Loop Header: Depth=2
	v_add_u32_e32 v8, s2, v28
	v_lshlrev_b64 v[2:3], 2, v[8:9]
	v_add_u32_e32 v8, s2, v25
	v_mov_b32_e32 v1, s80
	v_lshlrev_b64 v[35:36], 2, v[8:9]
	v_add_co_u32_e64 v2, s[6:7], s33, v2
	v_add_u32_e32 v8, s2, v26
	v_addc_co_u32_e64 v3, s[6:7], v1, v3, s[6:7]
	v_lshlrev_b64 v[37:38], 2, v[8:9]
	global_load_dword v4, v[2:3], off
	v_add_co_u32_e64 v2, s[6:7], s33, v35
	v_add_u32_e32 v8, s2, v27
	v_addc_co_u32_e64 v3, s[6:7], v1, v36, s[6:7]
	v_lshlrev_b64 v[39:40], 2, v[8:9]
	global_load_dword v8, v[2:3], off
	v_add_co_u32_e64 v2, s[6:7], s33, v37
	v_addc_co_u32_e64 v3, s[6:7], v1, v38, s[6:7]
	global_load_dword v35, v[2:3], off
	v_add_co_u32_e64 v2, s[6:7], s33, v39
	v_addc_co_u32_e64 v3, s[6:7], v1, v40, s[6:7]
	global_load_dword v1, v[2:3], off
	v_add_u32_e32 v13, s85, v13
	v_cmp_le_u32_e32 vcc, s16, v13
	s_add_i32 s2, s2, s87
	s_waitcnt vmcnt(3)
	v_cmp_lt_i32_e64 s[6:7], -1, v4
	v_cndmask_b32_e64 v2, -1, v32, s[6:7]
	v_xor_b32_e32 v2, v2, v4
	s_waitcnt vmcnt(2)
	v_cmp_lt_i32_e64 s[6:7], -1, v8
	v_cndmask_b32_e64 v3, -1, v32, s[6:7]
	v_cmp_o_f32_e64 s[6:7], v4, v4
	v_cndmask_b32_e64 v2, -1, v2, s[6:7]
	v_xor_b32_e32 v3, v3, v8
	s_waitcnt vmcnt(1)
	v_cmp_lt_i32_e64 s[6:7], -1, v35
	v_cndmask_b32_e64 v4, -1, v32, s[6:7]
	v_cmp_o_f32_e64 s[6:7], v8, v8
	v_cndmask_b32_e64 v3, -1, v3, s[6:7]
	v_xor_b32_e32 v4, v4, v35
	s_waitcnt vmcnt(0)
	v_cmp_lt_i32_e64 s[6:7], -1, v1
	v_cndmask_b32_e64 v8, -1, v32, s[6:7]
	v_and_b32_e32 v36, v2, v33
	v_bfe_u32 v2, v2, s13, 2
	v_cmp_o_f32_e64 s[6:7], v35, v35
	v_cndmask_b32_e64 v4, -1, v4, s[6:7]
	v_cmp_eq_u32_e64 s[6:7], v36, v24
	v_cmp_eq_u32_e64 s[18:19], 0, v2
	v_and_b32_e32 v35, v3, v33
	v_bfe_u32 v3, v3, s13, 2
	v_cmp_eq_u32_e64 s[22:23], 1, v2
	s_and_b64 s[18:19], s[6:7], s[18:19]
	v_xor_b32_e32 v8, v8, v1
	v_cmp_eq_u32_e64 s[24:25], 2, v2
	v_cmp_eq_u32_e64 s[26:27], 3, v2
	v_cmp_o_f32_e64 s[28:29], v1, v1
	v_cmp_eq_u32_e64 s[30:31], 0, v3
	v_cmp_eq_u32_e64 s[34:35], 1, v3
	;; [unrolled: 1-line block ×4, first 2 shown]
	v_cndmask_b32_e64 v3, 0, 1, s[18:19]
	s_and_b64 s[18:19], s[6:7], s[22:23]
	v_cndmask_b32_e64 v1, -1, v8, s[28:29]
	v_cmp_eq_u32_e64 s[28:29], v35, v24
	v_and_b32_e32 v2, v4, v33
	v_bfe_u32 v4, v4, s13, 2
	v_cndmask_b32_e64 v8, 0, 1, s[18:19]
	s_and_b64 s[18:19], s[6:7], s[24:25]
	s_and_b64 s[6:7], s[6:7], s[26:27]
	v_cndmask_b32_e64 v35, 0, 1, s[18:19]
	v_cndmask_b32_e64 v36, 0, 1, s[6:7]
	v_cmp_eq_u32_e64 s[6:7], v2, v24
	v_and_b32_e32 v2, v1, v33
	v_bfe_u32 v1, v1, s13, 2
	v_cmp_eq_u32_e64 s[18:19], 0, v4
	s_and_b64 s[30:31], s[28:29], s[30:31]
	s_and_b64 s[34:35], s[28:29], s[34:35]
	;; [unrolled: 1-line block ×4, first 2 shown]
	v_cmp_eq_u32_e64 s[22:23], 1, v4
	v_cmp_eq_u32_e64 s[24:25], 2, v4
	;; [unrolled: 1-line block ×3, first 2 shown]
	v_cndmask_b32_e64 v4, 0, 1, s[34:35]
	v_cmp_ne_u32_e64 s[34:35], 0, v35
	v_cndmask_b32_e64 v35, 0, 1, s[28:29]
	v_cmp_eq_u32_e64 s[28:29], v2, v24
	v_cmp_eq_u32_e64 s[38:39], 0, v1
	s_and_b64 s[18:19], s[6:7], s[18:19]
	v_cmp_ne_u32_e64 s[40:41], 0, v3
	v_cndmask_b32_e64 v3, 0, 1, s[30:31]
	v_cmp_ne_u32_e64 s[30:31], 0, v8
	v_cmp_eq_u32_e64 s[42:43], 1, v1
	v_cmp_eq_u32_e64 s[44:45], 2, v1
	;; [unrolled: 1-line block ×3, first 2 shown]
	v_cndmask_b32_e64 v1, 0, 1, s[18:19]
	s_and_b64 s[22:23], s[6:7], s[22:23]
	s_and_b64 s[24:25], s[6:7], s[24:25]
	;; [unrolled: 1-line block ×4, first 2 shown]
	v_cndmask_b32_e64 v8, 0, 1, s[36:37]
	v_cmp_ne_u32_e64 s[36:37], 0, v36
	s_bcnt1_i32_b64 s52, s[40:41]
	s_bcnt1_i32_b64 s30, s[30:31]
	v_cmp_ne_u32_e64 s[18:19], 0, v4
	v_cndmask_b32_e64 v2, 0, 1, s[22:23]
	v_cndmask_b32_e64 v4, 0, 1, s[6:7]
	v_cmp_ne_u32_e64 s[6:7], 0, v1
	v_cndmask_b32_e64 v1, 0, 1, s[26:27]
	s_and_b64 s[26:27], s[28:29], s[42:43]
	v_cmp_ne_u32_e64 s[40:41], 0, v3
	s_bcnt1_i32_b64 s31, s[34:35]
	v_cmp_ne_u32_e64 s[22:23], 0, v8
	v_cndmask_b32_e64 v3, 0, 1, s[24:25]
	s_bcnt1_i32_b64 s34, s[36:37]
	s_add_i32 s36, s15, s52
	s_bcnt1_i32_b64 s37, s[18:19]
	v_cmp_ne_u32_e64 s[18:19], 0, v2
	v_cndmask_b32_e64 v2, 0, 1, s[26:27]
	s_add_i32 s26, s14, s30
	s_and_b64 s[14:15], s[28:29], s[44:45]
	v_cmp_ne_u32_e64 s[24:25], 0, v35
	s_bcnt1_i32_b64 s27, s[22:23]
	v_cmp_ne_u32_e64 s[22:23], 0, v3
	v_cndmask_b32_e64 v3, 0, 1, s[14:15]
	s_and_b64 s[14:15], s[28:29], s[46:47]
	s_bcnt1_i32_b64 s35, s[40:41]
	s_add_i32 s11, s11, s31
	s_bcnt1_i32_b64 s30, s[24:25]
	v_cmp_ne_u32_e64 s[24:25], 0, v4
	v_cndmask_b32_e64 v4, 0, 1, s[14:15]
	s_add_i32 s3, s3, s34
	s_bcnt1_i32_b64 s14, s[6:7]
	v_cmp_ne_u32_e64 s[6:7], 0, v1
	s_add_i32 s15, s36, s35
	s_bcnt1_i32_b64 s28, s[18:19]
	v_cmp_ne_u32_e64 s[18:19], 0, v2
	;; [unrolled: 3-line block ×4, first 2 shown]
	s_add_i32 s3, s3, s30
	s_bcnt1_i32_b64 s6, s[6:7]
	s_add_i32 s7, s15, s14
	s_bcnt1_i32_b64 s14, s[18:19]
	;; [unrolled: 2-line block ×4, first 2 shown]
	s_add_i32 s3, s3, s27
	s_add_i32 s15, s7, s6
	;; [unrolled: 1-line block ×5, first 2 shown]
	s_or_b64 s[50:51], vcc, s[50:51]
	v_mov_b32_e32 v1, s15
	v_mov_b32_e32 v2, s14
	;; [unrolled: 1-line block ×4, first 2 shown]
	s_andn2_b64 exec, exec, s[50:51]
	s_cbranch_execnz .LBB88_45
; %bb.46:                               ;   in Loop: Header=BB88_6 Depth=1
	s_or_b64 exec, exec, s[50:51]
.LBB88_47:                              ;   in Loop: Header=BB88_6 Depth=1
	s_or_b64 exec, exec, s[48:49]
	s_mov_b64 s[18:19], exec
	v_readlane_b32 s2, v47, 45
	v_readlane_b32 s3, v47, 46
	s_and_b64 s[2:3], s[18:19], s[2:3]
	s_mov_b64 exec, s[2:3]
	s_cbranch_execz .LBB88_53
; %bb.48:                               ;   in Loop: Header=BB88_6 Depth=1
	global_load_dword v35, v[10:11], off
	s_mov_b64 s[22:23], 0
	v_mov_b32_e32 v8, v29
	v_mov_b32_e32 v13, v23
	s_branch .LBB88_50
.LBB88_49:                              ;   in Loop: Header=BB88_50 Depth=2
	s_or_b64 exec, exec, s[2:3]
	s_and_b64 s[2:3], exec, vcc
	s_waitcnt vmcnt(0)
	v_cmp_lt_i32_e32 vcc, -1, v35
	v_cndmask_b32_e32 v37, -1, v32, vcc
	v_xor_b32_e32 v37, v37, v35
	v_cmp_o_f32_e32 vcc, v35, v35
	v_cndmask_b32_e32 v35, -1, v37, vcc
	v_and_b32_e32 v37, v35, v33
	v_bfe_u32 v35, v35, s13, 2
	s_or_b64 s[22:23], s[2:3], s[22:23]
	v_cmp_eq_u32_e32 vcc, v37, v24
	v_cmp_eq_u32_e64 s[6:7], 0, v35
	s_and_b64 s[2:3], vcc, s[6:7]
	v_cndmask_b32_e64 v37, 0, 1, s[2:3]
	v_cmp_ne_u32_e64 s[6:7], 0, v37
	s_bcnt1_i32_b64 s2, s[6:7]
	v_cmp_eq_u32_e64 s[6:7], 1, v35
	v_add_u32_e32 v1, s2, v1
	s_and_b64 s[2:3], vcc, s[6:7]
	v_cndmask_b32_e64 v37, 0, 1, s[2:3]
	v_cmp_ne_u32_e64 s[6:7], 0, v37
	s_bcnt1_i32_b64 s2, s[6:7]
	v_cmp_eq_u32_e64 s[6:7], 2, v35
	v_add_u32_e32 v2, s2, v2
	;; [unrolled: 6-line block ×3, first 2 shown]
	s_and_b64 s[2:3], vcc, s[6:7]
	v_cndmask_b32_e64 v35, 0, 1, s[2:3]
	v_cmp_ne_u32_e32 vcc, 0, v35
	s_bcnt1_i32_b64 s2, vcc
	v_add_u32_e32 v4, s2, v4
	v_add_u32_e32 v8, s9, v8
	v_mov_b32_e32 v35, v36
	s_andn2_b64 exec, exec, s[22:23]
	s_cbranch_execz .LBB88_52
.LBB88_50:                              ;   Parent Loop BB88_6 Depth=1
                                        ; =>  This Inner Loop Header: Depth=2
	v_add_u32_e32 v13, s8, v13
	v_cmp_gt_u32_e64 s[6:7], s60, v13
	v_cmp_le_u32_e32 vcc, s60, v13
	v_mov_b32_e32 v36, 0
	s_and_saveexec_b64 s[2:3], s[6:7]
	s_cbranch_execz .LBB88_49
; %bb.51:                               ;   in Loop: Header=BB88_50 Depth=2
	v_lshlrev_b64 v[36:37], 2, v[8:9]
	v_mov_b32_e32 v38, s80
	v_add_co_u32_e64 v36, s[6:7], s33, v36
	v_addc_co_u32_e64 v37, s[6:7], v38, v37, s[6:7]
	global_load_dword v36, v[36:37], off
	s_branch .LBB88_49
.LBB88_52:                              ;   in Loop: Header=BB88_6 Depth=1
	s_or_b64 exec, exec, s[22:23]
.LBB88_53:                              ;   in Loop: Header=BB88_6 Depth=1
	s_or_b64 exec, exec, s[18:19]
	s_branch .LBB88_35
.LBB88_54:                              ;   in Loop: Header=BB88_6 Depth=1
	v_readlane_b32 s2, v47, 42
	s_mul_hi_u32 s2, s10, s2
	s_mul_i32 s2, s2, s85
	s_sub_i32 s2, s10, s2
	s_sub_i32 s3, s2, s85
	s_cmp_ge_u32 s2, s85
	s_cselect_b32 s2, s3, s2
	s_sub_i32 s3, s2, s85
	s_cmp_ge_u32 s2, s85
	s_cselect_b32 s2, s3, s2
	s_sub_i32 s2, s10, s2
	v_cmp_gt_u32_e32 vcc, s2, v18
	v_mov_b32_e32 v1, 0
	v_mov_b32_e32 v2, 0
	;; [unrolled: 1-line block ×4, first 2 shown]
	s_and_saveexec_b64 s[90:91], vcc
	s_cbranch_execz .LBB88_58
; %bb.55:                               ;   in Loop: Header=BB88_6 Depth=1
	s_mov_b32 s3, 0
	s_mov_b64 s[92:93], 0
	v_mov_b32_e32 v8, v30
	s_mov_b32 s11, 0
	s_mov_b32 s14, 0
	;; [unrolled: 1-line block ×3, first 2 shown]
	v_mov_b32_e32 v13, v18
.LBB88_56:                              ;   Parent Loop BB88_6 Depth=1
                                        ; =>  This Inner Loop Header: Depth=2
	ds_read_b128 v[1:4], v8
	v_add_u32_e32 v13, s85, v13
	v_cmp_le_u32_e32 vcc, s2, v13
	v_add_u32_e32 v8, s12, v8
	s_waitcnt lgkmcnt(0)
	v_cmp_lt_i32_e64 s[6:7], -1, v1
	v_cndmask_b32_e64 v35, -1, v32, s[6:7]
	v_cmp_lt_i32_e64 s[6:7], -1, v2
	v_cndmask_b32_e64 v36, -1, v32, s[6:7]
	;; [unrolled: 2-line block ×4, first 2 shown]
	v_xor_b32_e32 v36, v36, v2
	v_cmp_o_f32_e64 s[6:7], v2, v2
	v_xor_b32_e32 v2, v37, v3
	v_cmp_o_f32_e64 s[18:19], v3, v3
	;; [unrolled: 2-line block ×4, first 2 shown]
	v_cndmask_b32_e64 v1, -1, v4, s[24:25]
	v_cndmask_b32_e64 v4, -1, v36, s[6:7]
	v_and_b32_e32 v35, v1, v33
	v_bfe_u32 v1, v1, s13, 2
	v_cndmask_b32_e64 v2, -1, v2, s[18:19]
	v_and_b32_e32 v36, v4, v33
	v_bfe_u32 v4, v4, s13, 2
	v_cmp_eq_u32_e64 s[6:7], v35, v24
	v_cmp_eq_u32_e64 s[26:27], 0, v1
	v_cndmask_b32_e64 v3, -1, v3, s[22:23]
	v_and_b32_e32 v37, v2, v33
	v_bfe_u32 v2, v2, s13, 2
	v_cmp_eq_u32_e64 s[18:19], v36, v24
	v_cmp_eq_u32_e64 s[28:29], 0, v4
	s_and_b64 s[26:27], s[6:7], s[26:27]
	v_and_b32_e32 v38, v3, v33
	v_bfe_u32 v3, v3, s13, 2
	v_cmp_eq_u32_e64 s[22:23], v37, v24
	v_cmp_eq_u32_e64 s[30:31], 0, v2
	;; [unrolled: 1-line block ×5, first 2 shown]
	v_cndmask_b32_e64 v1, 0, 1, s[26:27]
	s_and_b64 s[26:27], s[18:19], s[28:29]
	v_cmp_eq_u32_e64 s[24:25], v38, v24
	v_cmp_eq_u32_e64 s[34:35], 0, v3
	;; [unrolled: 1-line block ×5, first 2 shown]
	v_cndmask_b32_e64 v2, 0, 1, s[26:27]
	s_and_b64 s[26:27], s[22:23], s[30:31]
	v_cmp_eq_u32_e64 s[42:43], 1, v3
	v_cmp_eq_u32_e64 s[50:51], 2, v3
	;; [unrolled: 1-line block ×3, first 2 shown]
	v_cndmask_b32_e64 v3, 0, 1, s[26:27]
	s_and_b64 s[26:27], s[24:25], s[34:35]
	v_cmp_eq_u32_e64 s[38:39], 1, v4
	v_cmp_eq_u32_e64 s[46:47], 2, v4
	;; [unrolled: 1-line block ×3, first 2 shown]
	v_cndmask_b32_e64 v4, 0, 1, s[26:27]
	s_and_b64 s[26:27], s[6:7], s[36:37]
	v_cndmask_b32_e64 v35, 0, 1, s[26:27]
	s_and_b64 s[26:27], s[18:19], s[38:39]
	;; [unrolled: 2-line block ×5, first 2 shown]
	s_and_b64 s[6:7], s[6:7], s[52:53]
	v_cndmask_b32_e64 v39, 0, 1, s[26:27]
	s_and_b64 s[26:27], s[18:19], s[46:47]
	v_cndmask_b32_e64 v43, 0, 1, s[6:7]
	;; [unrolled: 2-line block ×7, first 2 shown]
	v_cndmask_b32_e64 v46, 0, 1, s[6:7]
	v_cmp_ne_u32_e64 s[6:7], 0, v1
	v_cmp_ne_u32_e64 s[18:19], 0, v2
	;; [unrolled: 1-line block ×11, first 2 shown]
	s_bcnt1_i32_b64 s6, s[6:7]
	s_bcnt1_i32_b64 s7, s[18:19]
	;; [unrolled: 1-line block ×8, first 2 shown]
	v_cmp_ne_u32_e64 s[34:35], 0, v38
	v_cmp_ne_u32_e64 s[40:41], 0, v41
	;; [unrolled: 1-line block ×3, first 2 shown]
	s_bcnt1_i32_b64 s23, s[28:29]
	s_bcnt1_i32_b64 s27, s[38:39]
	s_bcnt1_i32_b64 s31, s[46:47]
	s_add_i32 s6, s15, s6
	s_add_i32 s14, s14, s22
	;; [unrolled: 1-line block ×4, first 2 shown]
	v_cmp_ne_u32_e64 s[42:43], 0, v42
	v_cmp_ne_u32_e64 s[50:51], 0, v46
	s_bcnt1_i32_b64 s25, s[34:35]
	s_bcnt1_i32_b64 s28, s[40:41]
	;; [unrolled: 1-line block ×3, first 2 shown]
	s_add_i32 s6, s6, s7
	s_add_i32 s7, s14, s23
	;; [unrolled: 1-line block ×4, first 2 shown]
	s_bcnt1_i32_b64 s29, s[42:43]
	s_bcnt1_i32_b64 s35, s[50:51]
	s_add_i32 s6, s6, s18
	s_add_i32 s7, s7, s24
	;; [unrolled: 1-line block ×8, first 2 shown]
	s_or_b64 s[92:93], vcc, s[92:93]
	v_mov_b32_e32 v1, s15
	v_mov_b32_e32 v2, s14
	v_mov_b32_e32 v3, s11
	v_mov_b32_e32 v4, s3
	s_andn2_b64 exec, exec, s[92:93]
	s_cbranch_execnz .LBB88_56
; %bb.57:                               ;   in Loop: Header=BB88_6 Depth=1
	s_or_b64 exec, exec, s[92:93]
.LBB88_58:                              ;   in Loop: Header=BB88_6 Depth=1
	s_or_b64 exec, exec, s[90:91]
	v_add_u32_e32 v8, s2, v0
	v_cmp_gt_u32_e32 vcc, s10, v8
	s_and_saveexec_b64 s[28:29], vcc
	s_cbranch_execz .LBB88_62
; %bb.59:                               ;   in Loop: Header=BB88_6 Depth=1
	v_lshlrev_b32_e32 v13, 2, v8
	s_mov_b64 s[30:31], 0
.LBB88_60:                              ;   Parent Loop BB88_6 Depth=1
                                        ; =>  This Inner Loop Header: Depth=2
	ds_read_b32 v35, v13
	v_add_u32_e32 v8, s8, v8
	v_cmp_le_u32_e32 vcc, s10, v8
	v_add_u32_e32 v13, s85, v13
	s_waitcnt lgkmcnt(0)
	v_cmp_lt_i32_e64 s[6:7], -1, v35
	v_cndmask_b32_e64 v36, -1, v32, s[6:7]
	v_xor_b32_e32 v36, v36, v35
	v_cmp_o_f32_e64 s[6:7], v35, v35
	v_cndmask_b32_e64 v35, -1, v36, s[6:7]
	v_and_b32_e32 v36, v35, v33
	v_bfe_u32 v35, v35, s13, 2
	v_cmp_eq_u32_e64 s[6:7], v36, v24
	v_cmp_eq_u32_e64 s[18:19], 0, v35
	;; [unrolled: 1-line block ×3, first 2 shown]
	s_and_b64 s[2:3], s[6:7], s[18:19]
	v_cmp_eq_u32_e64 s[24:25], 2, v35
	v_cmp_eq_u32_e64 s[26:27], 3, v35
	v_cndmask_b32_e64 v35, 0, 1, s[2:3]
	s_and_b64 s[2:3], s[6:7], s[22:23]
	v_cndmask_b32_e64 v36, 0, 1, s[2:3]
	s_and_b64 s[2:3], s[6:7], s[24:25]
	;; [unrolled: 2-line block ×3, first 2 shown]
	v_cndmask_b32_e64 v38, 0, 1, s[2:3]
	v_cmp_ne_u32_e64 s[6:7], 0, v35
	v_cmp_ne_u32_e64 s[18:19], 0, v36
	v_cmp_ne_u32_e64 s[22:23], 0, v37
	v_cmp_ne_u32_e64 s[24:25], 0, v38
	s_bcnt1_i32_b64 s2, s[6:7]
	s_bcnt1_i32_b64 s3, s[18:19]
	;; [unrolled: 1-line block ×4, first 2 shown]
	v_add_u32_e32 v1, s2, v1
	v_add_u32_e32 v2, s3, v2
	;; [unrolled: 1-line block ×3, first 2 shown]
	s_or_b64 s[30:31], vcc, s[30:31]
	v_add_u32_e32 v4, s7, v4
	s_andn2_b64 exec, exec, s[30:31]
	s_cbranch_execnz .LBB88_60
; %bb.61:                               ;   in Loop: Header=BB88_6 Depth=1
	s_or_b64 exec, exec, s[30:31]
.LBB88_62:                              ;   in Loop: Header=BB88_6 Depth=1
	s_or_b64 exec, exec, s[28:29]
	s_lshl_b32 s10, s81, 6
	s_and_saveexec_b64 s[2:3], s[0:1]
	s_cbranch_execnz .LBB88_36
	s_branch .LBB88_37
.LBB88_63:                              ;   in Loop: Header=BB88_6 Depth=1
	v_mov_b32_e32 v1, 0
	s_mov_b32 s2, 0
.LBB88_64:                              ;   in Loop: Header=BB88_6 Depth=1
	v_readlane_b32 s14, v47, 40
	v_readlane_b32 s15, v47, 41
	s_andn2_b64 vcc, exec, s[14:15]
	s_cbranch_vccnz .LBB88_67
; %bb.65:                               ;   in Loop: Header=BB88_6 Depth=1
	s_lshl_b32 s3, s81, 8
	s_lshl_b32 s2, s2, 4
	s_add_i32 s3, s3, s2
	v_add_u32_e32 v2, s3, v31
	v_readlane_b32 s2, v47, 39
.LBB88_66:                              ;   Parent Loop BB88_6 Depth=1
                                        ; =>  This Inner Loop Header: Depth=2
	ds_read_b32 v3, v2
	s_add_i32 s2, s2, -1
	v_add_u32_e32 v2, 16, v2
	s_cmp_lg_u32 s2, 0
	s_waitcnt lgkmcnt(0)
	v_add_u32_e32 v1, v3, v1
	s_cbranch_scc1 .LBB88_66
.LBB88_67:                              ;   in Loop: Header=BB88_6 Depth=1
	v_add_lshl_u32 v2, s10, v19, 2
	ds_write_b32 v2, v1 offset:3072
.LBB88_68:                              ;   in Loop: Header=BB88_6 Depth=1
	s_or_b64 exec, exec, s[6:7]
	s_lshl_b32 s2, s10, 2
	v_mov_b32_e32 v1, s2
	s_waitcnt lgkmcnt(0)
	s_barrier
	ds_read_b128 v[1:4], v1 offset:3072
	s_lshl_b32 s15, 3, s13
	s_not_b32 s84, s15
	v_cmp_eq_u32_e64 s[18:19], 1, v34
	s_mov_b64 s[34:35], -1
	s_waitcnt lgkmcnt(0)
	v_readfirstlane_b32 s14, v1
	v_readfirstlane_b32 s92, v2
	;; [unrolled: 1-line block ×4, first 2 shown]
	s_mov_b64 s[22:23], 0
	s_andn2_b64 vcc, exec, s[62:63]
	s_mov_b64 s[26:27], 0
	s_mov_b64 s[24:25], 0
                                        ; implicit-def: $sgpr28_sgpr29
                                        ; implicit-def: $sgpr30_sgpr31
                                        ; implicit-def: $vgpr36
                                        ; implicit-def: $vgpr3
                                        ; implicit-def: $vgpr35
                                        ; implicit-def: $vgpr4
                                        ; implicit-def: $vgpr2
	s_cbranch_vccnz .LBB88_238
; %bb.69:                               ;   in Loop: Header=BB88_6 Depth=1
	s_cmp_eq_u32 s14, 1
	s_cselect_b64 s[2:3], -1, 0
	s_and_b64 s[6:7], s[2:3], s[18:19]
	s_mov_b64 s[2:3], -1
	v_mov_b32_e32 v35, v24
	v_mov_b32_e32 v4, v33
	;; [unrolled: 1-line block ×3, first 2 shown]
                                        ; implicit-def: $sgpr30_sgpr31
                                        ; implicit-def: $sgpr28_sgpr29
	s_and_saveexec_b64 s[24:25], s[6:7]
	s_cbranch_execz .LBB88_100
; %bb.70:                               ;   in Loop: Header=BB88_6 Depth=1
	ds_read_b32 v1, v9 offset:4096
	s_waitcnt lgkmcnt(0)
	s_barrier
	v_readfirstlane_b32 s11, v1
	s_and_saveexec_b64 s[2:3], s[4:5]
; %bb.71:                               ;   in Loop: Header=BB88_6 Depth=1
	ds_write_b32 v21, v9
; %bb.72:                               ;   in Loop: Header=BB88_6 Depth=1
	s_or_b64 exec, exec, s[2:3]
	v_and_b32_e32 v35, s84, v24
	v_or_b32_e32 v4, s15, v33
	s_mov_b64 s[28:29], -1
	s_mov_b64 s[30:31], 0
	s_cmp_eq_u32 s11, 0
	s_waitcnt lgkmcnt(0)
	s_barrier
                                        ; implicit-def: $vgpr2
	s_cbranch_scc1 .LBB88_87
; %bb.73:                               ;   in Loop: Header=BB88_6 Depth=1
	v_readlane_b32 s2, v47, 34
	s_add_i32 s2, s11, s2
	v_readlane_b32 s3, v47, 47
	s_mul_hi_u32 s3, s2, s3
	s_mul_i32 s3, s3, s8
	s_sub_i32 s3, s2, s3
	s_sub_i32 s26, s3, s8
	s_cmp_ge_u32 s3, s8
	s_cselect_b32 s3, s26, s3
	s_sub_i32 s26, s3, s8
	s_cmp_ge_u32 s3, s8
	s_cselect_b32 s3, s26, s3
	s_sub_i32 s42, s2, s3
	v_cmp_gt_u32_e32 vcc, s42, v0
	s_mov_b64 s[34:35], 0
	s_mov_b64 s[26:27], 0
                                        ; implicit-def: $vgpr2
	s_and_saveexec_b64 s[36:37], vcc
	s_cbranch_execz .LBB88_86
; %bb.74:                               ;   in Loop: Header=BB88_6 Depth=1
	v_mov_b32_e32 v3, v18
	v_mov_b32_e32 v8, v0
                                        ; implicit-def: $sgpr2_sgpr3
	s_branch .LBB88_78
.LBB88_75:                              ;   in Loop: Header=BB88_78 Depth=2
	s_or_b64 exec, exec, s[38:39]
	s_waitcnt lgkmcnt(0)
	s_barrier
	ds_read_b64 v[1:2], v9 offset:3072
	s_waitcnt lgkmcnt(0)
	s_barrier
	v_cmp_neq_f32_e32 vcc, 0, v1
	s_cbranch_vccnz .LBB88_81
; %bb.76:                               ;   in Loop: Header=BB88_78 Depth=2
	v_add_u32_e32 v8, s8, v8
	v_cmp_le_u32_e32 vcc, s42, v8
	v_add_u32_e32 v3, s85, v3
	s_mov_b64 s[38:39], 0
	s_orn2_b64 s[40:41], vcc, exec
.LBB88_77:                              ;   in Loop: Header=BB88_78 Depth=2
	s_and_b64 s[40:41], exec, s[40:41]
	s_or_b64 s[26:27], s[40:41], s[26:27]
	s_andn2_b64 s[2:3], s[2:3], exec
	s_and_b64 s[38:39], s[38:39], exec
	s_or_b64 s[2:3], s[2:3], s[38:39]
	s_andn2_b64 exec, exec, s[26:27]
	s_cbranch_execz .LBB88_85
.LBB88_78:                              ;   Parent Loop BB88_6 Depth=1
                                        ; =>  This Inner Loop Header: Depth=2
	v_cmp_gt_u32_e32 vcc, s11, v8
	s_and_saveexec_b64 s[38:39], vcc
	s_cbranch_execz .LBB88_75
; %bb.79:                               ;   in Loop: Header=BB88_78 Depth=2
	ds_read_b32 v13, v3
	s_waitcnt lgkmcnt(0)
	v_cmp_lt_i32_e32 vcc, -1, v13
	v_cndmask_b32_e32 v1, -1, v32, vcc
	v_xor_b32_e32 v1, v1, v13
	v_cmp_o_f32_e32 vcc, v13, v13
	v_cndmask_b32_e32 v1, -1, v1, vcc
	v_and_b32_e32 v1, v1, v4
	v_cmp_eq_u32_e32 vcc, v1, v35
	s_and_b64 exec, exec, vcc
	s_cbranch_execz .LBB88_75
; %bb.80:                               ;   in Loop: Header=BB88_78 Depth=2
	ds_write_b64 v9, v[12:13] offset:3072
	s_branch .LBB88_75
.LBB88_81:                              ;   in Loop: Header=BB88_78 Depth=2
	s_mov_b64 s[40:41], -1
                                        ; implicit-def: $vgpr8
                                        ; implicit-def: $vgpr3
	s_mov_b64 s[38:39], -1
	s_branch .LBB88_77
.LBB88_82:                              ;   in Loop: Header=BB88_6 Depth=1
	s_or_b64 exec, exec, s[24:25]
	s_waitcnt lgkmcnt(0)
	s_barrier
	s_mov_b64 s[2:3], exec
	v_readlane_b32 s6, v47, 21
	v_readlane_b32 s7, v47, 22
	s_and_b64 s[6:7], s[2:3], s[6:7]
	s_mov_b64 exec, s[6:7]
	s_cbranch_execz .LBB88_84
; %bb.83:                               ;   in Loop: Header=BB88_6 Depth=1
	ds_read_b32 v1, v9 offset:4104
	s_waitcnt lgkmcnt(0)
	ds_write_b32 v9, v1 offset:4096
.LBB88_84:                              ;   in Loop: Header=BB88_6 Depth=1
	s_or_b64 exec, exec, s[2:3]
	s_waitcnt lgkmcnt(0)
	s_barrier
	s_mov_b64 s[2:3], -1
	s_and_b64 vcc, exec, s[22:23]
	s_cbranch_vccnz .LBB88_22
	s_branch .LBB88_31
.LBB88_85:                              ;   in Loop: Header=BB88_6 Depth=1
	s_or_b64 exec, exec, s[26:27]
	s_and_b64 s[26:27], s[2:3], exec
.LBB88_86:                              ;   in Loop: Header=BB88_6 Depth=1
	s_or_b64 exec, exec, s[36:37]
.LBB88_87:                              ;   in Loop: Header=BB88_6 Depth=1
	s_and_b64 vcc, exec, s[34:35]
	s_cbranch_vccz .LBB88_99
; %bb.88:                               ;   in Loop: Header=BB88_6 Depth=1
                                        ; implicit-def: $vgpr2
	s_mov_b64 s[28:29], exec
	v_readlane_b32 s2, v47, 48
	v_readlane_b32 s3, v47, 49
	s_and_b64 s[2:3], s[28:29], s[2:3]
	s_mov_b64 exec, s[2:3]
	s_cbranch_execz .LBB88_98
; %bb.89:                               ;   in Loop: Header=BB88_6 Depth=1
	s_mov_b64 s[30:31], 0
	v_mov_b32_e32 v8, v7
	v_mov_b32_e32 v3, v0
                                        ; implicit-def: $sgpr34_sgpr35
	s_branch .LBB88_93
.LBB88_90:                              ;   in Loop: Header=BB88_93 Depth=2
	s_or_b64 exec, exec, s[2:3]
	s_waitcnt lgkmcnt(0)
	s_barrier
	ds_read_b64 v[1:2], v9 offset:3072
	s_waitcnt lgkmcnt(0)
	s_barrier
	v_cmp_neq_f32_e32 vcc, 0, v1
	s_cbranch_vccnz .LBB88_96
; %bb.91:                               ;   in Loop: Header=BB88_93 Depth=2
	v_add_u32_e32 v3, s8, v3
	v_cmp_le_u32_e32 vcc, s86, v3
	v_add_u32_e32 v8, s9, v8
	s_mov_b64 s[2:3], 0
	s_orn2_b64 s[36:37], vcc, exec
.LBB88_92:                              ;   in Loop: Header=BB88_93 Depth=2
	s_and_b64 s[36:37], exec, s[36:37]
	s_or_b64 s[30:31], s[36:37], s[30:31]
	s_andn2_b64 s[34:35], s[34:35], exec
	s_and_b64 s[2:3], s[2:3], exec
	s_or_b64 s[34:35], s[34:35], s[2:3]
	s_andn2_b64 exec, exec, s[30:31]
	s_cbranch_execz .LBB88_97
.LBB88_93:                              ;   Parent Loop BB88_6 Depth=1
                                        ; =>  This Inner Loop Header: Depth=2
	v_cmp_gt_u32_e32 vcc, s60, v3
	s_and_saveexec_b64 s[2:3], vcc
	s_cbranch_execz .LBB88_90
; %bb.94:                               ;   in Loop: Header=BB88_93 Depth=2
	v_lshlrev_b64 v[1:2], 2, v[8:9]
	v_mov_b32_e32 v13, s80
	v_add_co_u32_e32 v1, vcc, s33, v1
	v_addc_co_u32_e32 v2, vcc, v13, v2, vcc
	global_load_dword v13, v[1:2], off
	s_waitcnt vmcnt(0)
	v_cmp_lt_i32_e32 vcc, -1, v13
	v_cndmask_b32_e32 v1, -1, v32, vcc
	v_xor_b32_e32 v1, v1, v13
	v_cmp_o_f32_e32 vcc, v13, v13
	v_cndmask_b32_e32 v1, -1, v1, vcc
	v_and_b32_e32 v1, v1, v4
	v_cmp_eq_u32_e32 vcc, v1, v35
	s_and_b64 exec, exec, vcc
	s_cbranch_execz .LBB88_90
; %bb.95:                               ;   in Loop: Header=BB88_93 Depth=2
	ds_write_b64 v9, v[12:13] offset:3072
	s_branch .LBB88_90
.LBB88_96:                              ;   in Loop: Header=BB88_93 Depth=2
	s_mov_b64 s[36:37], -1
                                        ; implicit-def: $vgpr3
	s_mov_b64 s[2:3], -1
	s_branch .LBB88_92
.LBB88_97:                              ;   in Loop: Header=BB88_6 Depth=1
	s_or_b64 exec, exec, s[30:31]
	s_andn2_b64 s[2:3], s[26:27], exec
	s_and_b64 s[26:27], s[34:35], exec
	s_or_b64 s[26:27], s[2:3], s[26:27]
.LBB88_98:                              ;   in Loop: Header=BB88_6 Depth=1
	s_or_b64 exec, exec, s[28:29]
	s_mov_b64 s[28:29], 0
	s_mov_b64 s[30:31], -1
.LBB88_99:                              ;   in Loop: Header=BB88_6 Depth=1
	s_orn2_b64 s[2:3], s[26:27], exec
.LBB88_100:                             ;   in Loop: Header=BB88_6 Depth=1
	s_or_b64 exec, exec, s[24:25]
	s_mov_b64 s[34:35], 0
	s_mov_b64 s[26:27], 0
	s_mov_b64 s[24:25], 0
                                        ; implicit-def: $vgpr36
                                        ; implicit-def: $vgpr3
	s_and_saveexec_b64 s[36:37], s[2:3]
	s_cbranch_execz .LBB88_237
; %bb.101:                              ;   in Loop: Header=BB88_6 Depth=1
	s_xor_b64 s[2:3], s[6:7], -1
	s_mov_b64 s[38:39], 0
	v_mov_b32_e32 v36, 1
	v_mov_b32_e32 v3, 1
	s_and_saveexec_b64 s[6:7], s[2:3]
	s_cbranch_execz .LBB88_110
; %bb.102:                              ;   in Loop: Header=BB88_6 Depth=1
	v_cmp_ge_u32_e32 vcc, s14, v34
	s_and_saveexec_b64 s[2:3], vcc
	s_xor_b64 s[2:3], exec, s[2:3]
	s_cbranch_execz .LBB88_107
; %bb.103:                              ;   in Loop: Header=BB88_6 Depth=1
	ds_read_b32 v1, v9 offset:4096
	v_and_b32_e32 v35, s84, v35
	v_or_b32_e32 v4, s15, v4
	s_waitcnt lgkmcnt(0)
	v_cmp_ne_u32_e32 vcc, 0, v1
	s_cbranch_vccnz .LBB88_107
; %bb.104:                              ;   in Loop: Header=BB88_6 Depth=1
	s_mov_b64 s[24:25], exec
	v_readlane_b32 s26, v47, 21
	v_readlane_b32 s27, v47, 22
	s_and_b64 s[26:27], s[24:25], s[26:27]
	s_mov_b64 exec, s[26:27]
; %bb.105:                              ;   in Loop: Header=BB88_6 Depth=1
	v_mov_b32_e32 v1, s14
	ds_write_b32 v9, v1 offset:4100
; %bb.106:                              ;   in Loop: Header=BB88_6 Depth=1
	s_or_b64 exec, exec, s[24:25]
	s_waitcnt lgkmcnt(0)
	s_barrier
.LBB88_107:                             ;   in Loop: Header=BB88_6 Depth=1
	s_or_saveexec_b64 s[2:3], s[2:3]
	s_mov_b64 s[24:25], 0
	v_mov_b32_e32 v3, 8
	v_mov_b32_e32 v36, v34
	s_xor_b64 exec, exec, s[2:3]
; %bb.108:                              ;   in Loop: Header=BB88_6 Depth=1
	s_mov_b64 s[24:25], exec
	v_subrev_u32_e32 v36, s14, v34
	v_mov_b32_e32 v3, 0
; %bb.109:                              ;   in Loop: Header=BB88_6 Depth=1
	s_or_b64 exec, exec, s[2:3]
	s_and_b64 s[38:39], s[24:25], exec
.LBB88_110:                             ;   in Loop: Header=BB88_6 Depth=1
	s_or_b64 exec, exec, s[6:7]
	s_mov_b64 s[2:3], -1
                                        ; implicit-def: $sgpr24_sgpr25
                                        ; implicit-def: $sgpr26_sgpr27
	s_and_saveexec_b64 s[6:7], s[38:39]
	s_xor_b64 s[6:7], exec, s[6:7]
	s_cbranch_execz .LBB88_234
; %bb.111:                              ;   in Loop: Header=BB88_6 Depth=1
	s_cmp_eq_u32 s92, 1
	s_cselect_b64 s[2:3], -1, 0
	v_cmp_eq_u32_e32 vcc, 1, v36
	s_and_b64 s[40:41], s[2:3], vcc
	s_mov_b64 s[2:3], -1
                                        ; implicit-def: $sgpr26_sgpr27
                                        ; implicit-def: $sgpr24_sgpr25
	s_and_saveexec_b64 s[38:39], s[40:41]
	s_cbranch_execz .LBB88_139
; %bb.112:                              ;   in Loop: Header=BB88_6 Depth=1
	ds_read_b32 v1, v9 offset:4096
	s_waitcnt lgkmcnt(0)
	s_barrier
	v_readfirstlane_b32 s11, v1
	s_and_saveexec_b64 s[2:3], s[4:5]
; %bb.113:                              ;   in Loop: Header=BB88_6 Depth=1
	ds_write_b32 v21, v9
; %bb.114:                              ;   in Loop: Header=BB88_6 Depth=1
	s_or_b64 exec, exec, s[2:3]
	v_and_b32_e32 v1, s84, v35
	v_lshl_or_b32 v35, 1, s13, v1
	v_or_b32_e32 v4, s15, v4
	s_mov_b64 s[24:25], -1
	s_mov_b64 s[26:27], 0
	s_cmp_eq_u32 s11, 0
	s_mov_b64 s[42:43], 0
	s_mov_b64 s[44:45], -1
	s_waitcnt lgkmcnt(0)
	s_barrier
                                        ; implicit-def: $vgpr2
	s_cbranch_scc1 .LBB88_126
; %bb.115:                              ;   in Loop: Header=BB88_6 Depth=1
	v_readlane_b32 s2, v47, 34
	s_add_i32 s2, s11, s2
	v_readlane_b32 s3, v47, 47
	s_mul_hi_u32 s3, s2, s3
	s_mul_i32 s3, s3, s8
	s_sub_i32 s3, s2, s3
	s_sub_i32 s42, s3, s8
	s_cmp_ge_u32 s3, s8
	s_cselect_b32 s3, s42, s3
	s_sub_i32 s42, s3, s8
	s_cmp_ge_u32 s3, s8
	s_cselect_b32 s3, s42, s3
	s_sub_i32 s52, s2, s3
	v_cmp_gt_u32_e32 vcc, s52, v0
	s_mov_b64 s[44:45], 0
	s_mov_b64 s[42:43], 0
                                        ; implicit-def: $vgpr2
	s_and_saveexec_b64 s[46:47], vcc
	s_cbranch_execz .LBB88_125
; %bb.116:                              ;   in Loop: Header=BB88_6 Depth=1
	v_mov_b32_e32 v8, v18
	v_mov_b32_e32 v37, v0
                                        ; implicit-def: $sgpr48_sgpr49
	s_branch .LBB88_120
.LBB88_117:                             ;   in Loop: Header=BB88_120 Depth=2
	s_or_b64 exec, exec, s[2:3]
	s_waitcnt lgkmcnt(0)
	s_barrier
	ds_read_b64 v[1:2], v9 offset:3072
	s_waitcnt lgkmcnt(0)
	s_barrier
	v_cmp_neq_f32_e32 vcc, 0, v1
	s_cbranch_vccnz .LBB88_123
; %bb.118:                              ;   in Loop: Header=BB88_120 Depth=2
	v_add_u32_e32 v37, s8, v37
	v_cmp_le_u32_e32 vcc, s52, v37
	v_add_u32_e32 v8, s85, v8
	s_mov_b64 s[2:3], 0
	s_orn2_b64 s[50:51], vcc, exec
.LBB88_119:                             ;   in Loop: Header=BB88_120 Depth=2
	s_and_b64 s[50:51], exec, s[50:51]
	s_or_b64 s[42:43], s[50:51], s[42:43]
	s_andn2_b64 s[48:49], s[48:49], exec
	s_and_b64 s[2:3], s[2:3], exec
	s_or_b64 s[48:49], s[48:49], s[2:3]
	s_andn2_b64 exec, exec, s[42:43]
	s_cbranch_execz .LBB88_124
.LBB88_120:                             ;   Parent Loop BB88_6 Depth=1
                                        ; =>  This Inner Loop Header: Depth=2
	v_cmp_gt_u32_e32 vcc, s11, v37
	s_and_saveexec_b64 s[2:3], vcc
	s_cbranch_execz .LBB88_117
; %bb.121:                              ;   in Loop: Header=BB88_120 Depth=2
	ds_read_b32 v13, v8
	s_waitcnt lgkmcnt(0)
	v_cmp_lt_i32_e32 vcc, -1, v13
	v_cndmask_b32_e32 v1, -1, v32, vcc
	v_xor_b32_e32 v1, v1, v13
	v_cmp_o_f32_e32 vcc, v13, v13
	v_cndmask_b32_e32 v1, -1, v1, vcc
	v_and_b32_e32 v1, v1, v4
	v_cmp_eq_u32_e32 vcc, v1, v35
	s_and_b64 exec, exec, vcc
	s_cbranch_execz .LBB88_117
; %bb.122:                              ;   in Loop: Header=BB88_120 Depth=2
	ds_write_b64 v9, v[12:13] offset:3072
	s_branch .LBB88_117
.LBB88_123:                             ;   in Loop: Header=BB88_120 Depth=2
	s_mov_b64 s[50:51], -1
                                        ; implicit-def: $vgpr37
                                        ; implicit-def: $vgpr8
	s_mov_b64 s[2:3], -1
	s_branch .LBB88_119
.LBB88_124:                             ;   in Loop: Header=BB88_6 Depth=1
	s_or_b64 exec, exec, s[42:43]
	s_and_b64 s[42:43], s[48:49], exec
.LBB88_125:                             ;   in Loop: Header=BB88_6 Depth=1
	s_or_b64 exec, exec, s[46:47]
.LBB88_126:                             ;   in Loop: Header=BB88_6 Depth=1
	s_and_b64 vcc, exec, s[44:45]
	s_cbranch_vccz .LBB88_138
; %bb.127:                              ;   in Loop: Header=BB88_6 Depth=1
                                        ; implicit-def: $vgpr2
	s_mov_b64 s[24:25], exec
	v_readlane_b32 s2, v47, 48
	v_readlane_b32 s3, v47, 49
	s_and_b64 s[2:3], s[24:25], s[2:3]
	s_mov_b64 exec, s[2:3]
	s_cbranch_execz .LBB88_137
; %bb.128:                              ;   in Loop: Header=BB88_6 Depth=1
	s_mov_b64 s[26:27], 0
	v_mov_b32_e32 v8, v7
	v_mov_b32_e32 v37, v0
                                        ; implicit-def: $sgpr44_sgpr45
	s_branch .LBB88_132
.LBB88_129:                             ;   in Loop: Header=BB88_132 Depth=2
	s_or_b64 exec, exec, s[2:3]
	s_waitcnt lgkmcnt(0)
	s_barrier
	ds_read_b64 v[1:2], v9 offset:3072
	s_waitcnt lgkmcnt(0)
	s_barrier
	v_cmp_eq_f32_e32 vcc, 0, v1
	s_cbranch_vccz .LBB88_135
; %bb.130:                              ;   in Loop: Header=BB88_132 Depth=2
	v_add_u32_e32 v37, s8, v37
	v_cmp_le_u32_e32 vcc, s86, v37
	v_add_u32_e32 v8, s9, v8
	s_mov_b64 s[2:3], 0
	s_orn2_b64 s[46:47], vcc, exec
.LBB88_131:                             ;   in Loop: Header=BB88_132 Depth=2
	s_and_b64 s[46:47], exec, s[46:47]
	s_or_b64 s[26:27], s[46:47], s[26:27]
	s_andn2_b64 s[44:45], s[44:45], exec
	s_and_b64 s[2:3], s[2:3], exec
	s_or_b64 s[44:45], s[44:45], s[2:3]
	s_andn2_b64 exec, exec, s[26:27]
	s_cbranch_execz .LBB88_136
.LBB88_132:                             ;   Parent Loop BB88_6 Depth=1
                                        ; =>  This Inner Loop Header: Depth=2
	v_cmp_gt_u32_e32 vcc, s60, v37
	s_and_saveexec_b64 s[2:3], vcc
	s_cbranch_execz .LBB88_129
; %bb.133:                              ;   in Loop: Header=BB88_132 Depth=2
	v_lshlrev_b64 v[1:2], 2, v[8:9]
	v_mov_b32_e32 v13, s80
	v_add_co_u32_e32 v1, vcc, s33, v1
	v_addc_co_u32_e32 v2, vcc, v13, v2, vcc
	global_load_dword v13, v[1:2], off
	s_waitcnt vmcnt(0)
	v_cmp_lt_i32_e32 vcc, -1, v13
	v_cndmask_b32_e32 v1, -1, v32, vcc
	v_xor_b32_e32 v1, v1, v13
	v_cmp_o_f32_e32 vcc, v13, v13
	v_cndmask_b32_e32 v1, -1, v1, vcc
	v_and_b32_e32 v1, v1, v4
	v_cmp_eq_u32_e32 vcc, v1, v35
	s_and_b64 exec, exec, vcc
	s_cbranch_execz .LBB88_129
; %bb.134:                              ;   in Loop: Header=BB88_132 Depth=2
	ds_write_b64 v9, v[12:13] offset:3072
	s_branch .LBB88_129
.LBB88_135:                             ;   in Loop: Header=BB88_132 Depth=2
	s_mov_b64 s[46:47], -1
                                        ; implicit-def: $vgpr37
	s_mov_b64 s[2:3], -1
	s_branch .LBB88_131
.LBB88_136:                             ;   in Loop: Header=BB88_6 Depth=1
	s_or_b64 exec, exec, s[26:27]
	s_andn2_b64 s[2:3], s[42:43], exec
	s_and_b64 s[26:27], s[44:45], exec
	s_or_b64 s[42:43], s[2:3], s[26:27]
.LBB88_137:                             ;   in Loop: Header=BB88_6 Depth=1
	s_or_b64 exec, exec, s[24:25]
	s_mov_b64 s[24:25], 0
	s_mov_b64 s[26:27], -1
.LBB88_138:                             ;   in Loop: Header=BB88_6 Depth=1
	s_orn2_b64 s[2:3], s[42:43], exec
.LBB88_139:                             ;   in Loop: Header=BB88_6 Depth=1
	s_or_b64 exec, exec, s[38:39]
	s_mov_b64 s[42:43], 0
	s_and_saveexec_b64 s[38:39], s[2:3]
	s_cbranch_execz .LBB88_233
; %bb.140:                              ;   in Loop: Header=BB88_6 Depth=1
	s_xor_b64 s[2:3], s[40:41], -1
	s_mov_b64 s[46:47], 0
	v_mov_b32_e32 v37, 1
	v_mov_b32_e32 v3, 1
	s_and_saveexec_b64 s[40:41], s[2:3]
	s_cbranch_execz .LBB88_149
; %bb.141:                              ;   in Loop: Header=BB88_6 Depth=1
	v_cmp_ge_u32_e32 vcc, s92, v36
	s_and_saveexec_b64 s[2:3], vcc
	s_xor_b64 s[2:3], exec, s[2:3]
	s_cbranch_execz .LBB88_146
; %bb.142:                              ;   in Loop: Header=BB88_6 Depth=1
	ds_read_b32 v1, v9 offset:4096
	v_and_b32_e32 v3, s84, v35
	v_lshl_or_b32 v35, 1, s13, v3
	v_or_b32_e32 v4, s15, v4
	s_waitcnt lgkmcnt(0)
	v_cmp_ne_u32_e32 vcc, 0, v1
	s_cbranch_vccnz .LBB88_146
; %bb.143:                              ;   in Loop: Header=BB88_6 Depth=1
	s_mov_b64 s[42:43], exec
	v_readlane_b32 s44, v47, 21
	v_readlane_b32 s45, v47, 22
	s_and_b64 s[44:45], s[42:43], s[44:45]
	s_mov_b64 exec, s[44:45]
; %bb.144:                              ;   in Loop: Header=BB88_6 Depth=1
	v_mov_b32_e32 v1, s92
	ds_write_b32 v9, v1 offset:4100
; %bb.145:                              ;   in Loop: Header=BB88_6 Depth=1
	s_or_b64 exec, exec, s[42:43]
	s_waitcnt lgkmcnt(0)
	s_barrier
.LBB88_146:                             ;   in Loop: Header=BB88_6 Depth=1
	s_or_saveexec_b64 s[2:3], s[2:3]
	s_mov_b64 s[42:43], 0
	v_mov_b32_e32 v3, 8
	s_xor_b64 exec, exec, s[2:3]
; %bb.147:                              ;   in Loop: Header=BB88_6 Depth=1
	s_mov_b64 s[42:43], exec
	v_subrev_u32_e32 v36, s92, v36
	v_mov_b32_e32 v3, 0
; %bb.148:                              ;   in Loop: Header=BB88_6 Depth=1
	s_or_b64 exec, exec, s[2:3]
	s_and_b64 s[46:47], s[42:43], exec
	v_mov_b32_e32 v37, v36
.LBB88_149:                             ;   in Loop: Header=BB88_6 Depth=1
	s_or_b64 exec, exec, s[40:41]
	s_mov_b64 s[2:3], -1
                                        ; implicit-def: $sgpr42_sgpr43
                                        ; implicit-def: $sgpr44_sgpr45
	s_and_saveexec_b64 s[40:41], s[46:47]
	s_cbranch_execz .LBB88_232
; %bb.150:                              ;   in Loop: Header=BB88_6 Depth=1
	s_cmp_eq_u32 s93, 1
	s_cselect_b64 s[2:3], -1, 0
	v_cmp_eq_u32_e32 vcc, 1, v37
	s_and_b64 s[48:49], s[2:3], vcc
	s_mov_b64 s[2:3], -1
                                        ; implicit-def: $sgpr44_sgpr45
                                        ; implicit-def: $sgpr42_sgpr43
	s_and_saveexec_b64 s[46:47], s[48:49]
	s_cbranch_execz .LBB88_178
; %bb.151:                              ;   in Loop: Header=BB88_6 Depth=1
	ds_read_b32 v1, v9 offset:4096
	s_waitcnt lgkmcnt(0)
	s_barrier
	v_readfirstlane_b32 s11, v1
	s_and_saveexec_b64 s[2:3], s[4:5]
; %bb.152:                              ;   in Loop: Header=BB88_6 Depth=1
	ds_write_b32 v21, v9
; %bb.153:                              ;   in Loop: Header=BB88_6 Depth=1
	s_or_b64 exec, exec, s[2:3]
	v_and_b32_e32 v1, s84, v35
	v_lshl_or_b32 v35, 2, s13, v1
	v_or_b32_e32 v4, s15, v4
	s_mov_b64 s[42:43], -1
	s_mov_b64 s[44:45], 0
	s_cmp_eq_u32 s11, 0
	s_mov_b64 s[50:51], 0
	s_mov_b64 s[52:53], -1
	s_waitcnt lgkmcnt(0)
	s_barrier
                                        ; implicit-def: $vgpr2
	s_cbranch_scc1 .LBB88_165
; %bb.154:                              ;   in Loop: Header=BB88_6 Depth=1
	v_readlane_b32 s2, v47, 34
	s_add_i32 s2, s11, s2
	v_readlane_b32 s3, v47, 47
	s_mul_hi_u32 s3, s2, s3
	s_mul_i32 s3, s3, s8
	s_sub_i32 s3, s2, s3
	s_sub_i32 s50, s3, s8
	s_cmp_ge_u32 s3, s8
	s_cselect_b32 s3, s50, s3
	s_sub_i32 s50, s3, s8
	s_cmp_ge_u32 s3, s8
	s_cselect_b32 s3, s50, s3
	s_sub_i32 s90, s2, s3
	v_cmp_gt_u32_e32 vcc, s90, v0
	s_mov_b64 s[52:53], 0
	s_mov_b64 s[50:51], 0
                                        ; implicit-def: $vgpr2
	s_and_saveexec_b64 s[54:55], vcc
	s_cbranch_execz .LBB88_164
; %bb.155:                              ;   in Loop: Header=BB88_6 Depth=1
	v_mov_b32_e32 v8, v18
	v_mov_b32_e32 v36, v0
                                        ; implicit-def: $sgpr56_sgpr57
	s_branch .LBB88_159
.LBB88_156:                             ;   in Loop: Header=BB88_159 Depth=2
	s_or_b64 exec, exec, s[2:3]
	s_waitcnt lgkmcnt(0)
	s_barrier
	ds_read_b64 v[1:2], v9 offset:3072
	s_waitcnt lgkmcnt(0)
	s_barrier
	v_cmp_neq_f32_e32 vcc, 0, v1
	s_cbranch_vccnz .LBB88_162
; %bb.157:                              ;   in Loop: Header=BB88_159 Depth=2
	v_add_u32_e32 v36, s8, v36
	v_cmp_le_u32_e32 vcc, s90, v36
	v_add_u32_e32 v8, s85, v8
	s_mov_b64 s[2:3], 0
	s_orn2_b64 s[58:59], vcc, exec
.LBB88_158:                             ;   in Loop: Header=BB88_159 Depth=2
	s_and_b64 s[58:59], exec, s[58:59]
	s_or_b64 s[50:51], s[58:59], s[50:51]
	s_andn2_b64 s[56:57], s[56:57], exec
	s_and_b64 s[2:3], s[2:3], exec
	s_or_b64 s[56:57], s[56:57], s[2:3]
	s_andn2_b64 exec, exec, s[50:51]
	s_cbranch_execz .LBB88_163
.LBB88_159:                             ;   Parent Loop BB88_6 Depth=1
                                        ; =>  This Inner Loop Header: Depth=2
	v_cmp_gt_u32_e32 vcc, s11, v36
	s_and_saveexec_b64 s[2:3], vcc
	s_cbranch_execz .LBB88_156
; %bb.160:                              ;   in Loop: Header=BB88_159 Depth=2
	ds_read_b32 v13, v8
	s_waitcnt lgkmcnt(0)
	v_cmp_lt_i32_e32 vcc, -1, v13
	v_cndmask_b32_e32 v1, -1, v32, vcc
	v_xor_b32_e32 v1, v1, v13
	v_cmp_o_f32_e32 vcc, v13, v13
	v_cndmask_b32_e32 v1, -1, v1, vcc
	v_and_b32_e32 v1, v1, v4
	v_cmp_eq_u32_e32 vcc, v1, v35
	s_and_b64 exec, exec, vcc
	s_cbranch_execz .LBB88_156
; %bb.161:                              ;   in Loop: Header=BB88_159 Depth=2
	ds_write_b64 v9, v[12:13] offset:3072
	s_branch .LBB88_156
.LBB88_162:                             ;   in Loop: Header=BB88_159 Depth=2
	s_mov_b64 s[58:59], -1
                                        ; implicit-def: $vgpr36
                                        ; implicit-def: $vgpr8
	s_mov_b64 s[2:3], -1
	s_branch .LBB88_158
.LBB88_163:                             ;   in Loop: Header=BB88_6 Depth=1
	s_or_b64 exec, exec, s[50:51]
	s_and_b64 s[50:51], s[56:57], exec
.LBB88_164:                             ;   in Loop: Header=BB88_6 Depth=1
	s_or_b64 exec, exec, s[54:55]
.LBB88_165:                             ;   in Loop: Header=BB88_6 Depth=1
	s_and_b64 vcc, exec, s[52:53]
	s_cbranch_vccz .LBB88_177
; %bb.166:                              ;   in Loop: Header=BB88_6 Depth=1
                                        ; implicit-def: $vgpr2
	s_mov_b64 s[42:43], exec
	v_readlane_b32 s2, v47, 48
	v_readlane_b32 s3, v47, 49
	s_and_b64 s[2:3], s[42:43], s[2:3]
	s_mov_b64 exec, s[2:3]
	s_cbranch_execz .LBB88_176
; %bb.167:                              ;   in Loop: Header=BB88_6 Depth=1
	s_mov_b64 s[44:45], 0
	v_mov_b32_e32 v8, v7
	v_mov_b32_e32 v36, v0
                                        ; implicit-def: $sgpr52_sgpr53
	s_branch .LBB88_171
.LBB88_168:                             ;   in Loop: Header=BB88_171 Depth=2
	s_or_b64 exec, exec, s[2:3]
	s_waitcnt lgkmcnt(0)
	s_barrier
	ds_read_b64 v[1:2], v9 offset:3072
	s_waitcnt lgkmcnt(0)
	s_barrier
	v_cmp_eq_f32_e32 vcc, 0, v1
	s_cbranch_vccz .LBB88_174
; %bb.169:                              ;   in Loop: Header=BB88_171 Depth=2
	v_add_u32_e32 v36, s8, v36
	v_cmp_le_u32_e32 vcc, s86, v36
	v_add_u32_e32 v8, s9, v8
	s_mov_b64 s[2:3], 0
	s_orn2_b64 s[54:55], vcc, exec
.LBB88_170:                             ;   in Loop: Header=BB88_171 Depth=2
	s_and_b64 s[54:55], exec, s[54:55]
	s_or_b64 s[44:45], s[54:55], s[44:45]
	s_andn2_b64 s[52:53], s[52:53], exec
	s_and_b64 s[2:3], s[2:3], exec
	s_or_b64 s[52:53], s[52:53], s[2:3]
	s_andn2_b64 exec, exec, s[44:45]
	s_cbranch_execz .LBB88_175
.LBB88_171:                             ;   Parent Loop BB88_6 Depth=1
                                        ; =>  This Inner Loop Header: Depth=2
	v_cmp_gt_u32_e32 vcc, s60, v36
	s_and_saveexec_b64 s[2:3], vcc
	s_cbranch_execz .LBB88_168
; %bb.172:                              ;   in Loop: Header=BB88_171 Depth=2
	v_lshlrev_b64 v[1:2], 2, v[8:9]
	v_mov_b32_e32 v13, s80
	v_add_co_u32_e32 v1, vcc, s33, v1
	v_addc_co_u32_e32 v2, vcc, v13, v2, vcc
	global_load_dword v13, v[1:2], off
	s_waitcnt vmcnt(0)
	v_cmp_lt_i32_e32 vcc, -1, v13
	v_cndmask_b32_e32 v1, -1, v32, vcc
	v_xor_b32_e32 v1, v1, v13
	v_cmp_o_f32_e32 vcc, v13, v13
	v_cndmask_b32_e32 v1, -1, v1, vcc
	v_and_b32_e32 v1, v1, v4
	v_cmp_eq_u32_e32 vcc, v1, v35
	s_and_b64 exec, exec, vcc
	s_cbranch_execz .LBB88_168
; %bb.173:                              ;   in Loop: Header=BB88_171 Depth=2
	ds_write_b64 v9, v[12:13] offset:3072
	s_branch .LBB88_168
.LBB88_174:                             ;   in Loop: Header=BB88_171 Depth=2
	s_mov_b64 s[54:55], -1
                                        ; implicit-def: $vgpr36
	s_mov_b64 s[2:3], -1
	s_branch .LBB88_170
.LBB88_175:                             ;   in Loop: Header=BB88_6 Depth=1
	s_or_b64 exec, exec, s[44:45]
	s_andn2_b64 s[2:3], s[50:51], exec
	s_and_b64 s[44:45], s[52:53], exec
	s_or_b64 s[50:51], s[2:3], s[44:45]
.LBB88_176:                             ;   in Loop: Header=BB88_6 Depth=1
	s_or_b64 exec, exec, s[42:43]
	s_mov_b64 s[42:43], 0
	s_mov_b64 s[44:45], -1
.LBB88_177:                             ;   in Loop: Header=BB88_6 Depth=1
	s_orn2_b64 s[2:3], s[50:51], exec
.LBB88_178:                             ;   in Loop: Header=BB88_6 Depth=1
	s_or_b64 exec, exec, s[46:47]
	s_mov_b64 s[50:51], 0
	s_and_saveexec_b64 s[46:47], s[2:3]
	s_cbranch_execz .LBB88_231
; %bb.179:                              ;   in Loop: Header=BB88_6 Depth=1
	s_xor_b64 s[2:3], s[48:49], -1
	v_mov_b32_e32 v36, 1
	v_mov_b32_e32 v3, 1
	s_and_saveexec_b64 s[48:49], s[2:3]
	s_cbranch_execz .LBB88_188
; %bb.180:                              ;   in Loop: Header=BB88_6 Depth=1
	v_cmp_ge_u32_e32 vcc, s93, v37
	s_and_saveexec_b64 s[2:3], vcc
	s_xor_b64 s[2:3], exec, s[2:3]
	s_cbranch_execz .LBB88_185
; %bb.181:                              ;   in Loop: Header=BB88_6 Depth=1
	ds_read_b32 v1, v9 offset:4096
	v_and_b32_e32 v3, s84, v35
	v_lshl_or_b32 v35, 2, s13, v3
	v_or_b32_e32 v4, s15, v4
	s_waitcnt lgkmcnt(0)
	v_cmp_ne_u32_e32 vcc, 0, v1
	s_cbranch_vccnz .LBB88_185
; %bb.182:                              ;   in Loop: Header=BB88_6 Depth=1
	s_mov_b64 s[50:51], exec
	v_readlane_b32 s52, v47, 21
	v_readlane_b32 s53, v47, 22
	s_and_b64 s[52:53], s[50:51], s[52:53]
	s_mov_b64 exec, s[52:53]
; %bb.183:                              ;   in Loop: Header=BB88_6 Depth=1
	v_mov_b32_e32 v1, s93
	ds_write_b32 v9, v1 offset:4100
; %bb.184:                              ;   in Loop: Header=BB88_6 Depth=1
	s_or_b64 exec, exec, s[50:51]
	s_waitcnt lgkmcnt(0)
	s_barrier
.LBB88_185:                             ;   in Loop: Header=BB88_6 Depth=1
	s_or_saveexec_b64 s[2:3], s[2:3]
	s_mov_b64 s[50:51], 0
	v_mov_b32_e32 v3, 8
	s_xor_b64 exec, exec, s[2:3]
; %bb.186:                              ;   in Loop: Header=BB88_6 Depth=1
	s_mov_b64 s[50:51], exec
	v_subrev_u32_e32 v37, s93, v37
	v_mov_b32_e32 v3, 0
; %bb.187:                              ;   in Loop: Header=BB88_6 Depth=1
	s_or_b64 exec, exec, s[2:3]
	s_and_b64 s[50:51], s[50:51], exec
	v_mov_b32_e32 v36, v37
.LBB88_188:                             ;   in Loop: Header=BB88_6 Depth=1
	s_or_b64 exec, exec, s[48:49]
	s_mov_b64 s[2:3], -1
                                        ; implicit-def: $sgpr54_sgpr55
                                        ; implicit-def: $sgpr90_sgpr91
	s_and_saveexec_b64 s[48:49], s[50:51]
	s_cbranch_execz .LBB88_230
; %bb.189:                              ;   in Loop: Header=BB88_6 Depth=1
	s_cmp_eq_u32 s10, 1
	s_cselect_b64 s[2:3], -1, 0
	v_cmp_eq_u32_e32 vcc, 1, v36
	s_and_b64 s[50:51], s[2:3], vcc
	s_mov_b64 s[2:3], -1
                                        ; implicit-def: $sgpr54_sgpr55
                                        ; implicit-def: $sgpr90_sgpr91
	s_mov_b64 s[56:57], exec
	v_writelane_b32 v47, s50, 50
	v_writelane_b32 v47, s51, 51
	s_and_b64 s[50:51], s[56:57], s[50:51]
	s_mov_b64 exec, s[50:51]
	s_cbranch_execz .LBB88_218
; %bb.190:                              ;   in Loop: Header=BB88_6 Depth=1
	ds_read_b32 v1, v9 offset:4096
	s_waitcnt lgkmcnt(0)
	s_barrier
	v_readfirstlane_b32 s11, v1
	s_and_saveexec_b64 s[2:3], s[4:5]
; %bb.191:                              ;   in Loop: Header=BB88_6 Depth=1
	ds_write_b32 v21, v9
; %bb.192:                              ;   in Loop: Header=BB88_6 Depth=1
	s_or_b64 exec, exec, s[2:3]
	v_or_b32_e32 v35, s15, v35
	v_or_b32_e32 v4, s15, v4
	s_mov_b64 s[54:55], 0
	s_cmp_eq_u32 s11, 0
	s_mov_b64 s[58:59], 0
	s_mov_b64 s[90:91], -1
	s_waitcnt lgkmcnt(0)
	s_barrier
                                        ; implicit-def: $vgpr2
	s_cbranch_scc1 .LBB88_204
; %bb.193:                              ;   in Loop: Header=BB88_6 Depth=1
	v_readlane_b32 s2, v47, 34
	s_add_i32 s2, s11, s2
	v_readlane_b32 s3, v47, 47
	s_mul_hi_u32 s3, s2, s3
	s_mul_i32 s3, s3, s8
	s_sub_i32 s3, s2, s3
	s_sub_i32 s50, s3, s8
	s_cmp_ge_u32 s3, s8
	s_cselect_b32 s3, s50, s3
	s_sub_i32 s50, s3, s8
	s_cmp_ge_u32 s3, s8
	s_cselect_b32 s3, s50, s3
	s_sub_i32 s52, s2, s3
	v_cmp_gt_u32_e32 vcc, s52, v0
	s_mov_b64 s[90:91], 0
                                        ; implicit-def: $vgpr2
	s_and_saveexec_b64 s[50:51], vcc
	s_cbranch_execz .LBB88_203
; %bb.194:                              ;   in Loop: Header=BB88_6 Depth=1
	v_writelane_b32 v47, s50, 52
	v_mov_b32_e32 v8, v18
	v_mov_b32_e32 v37, v0
	v_writelane_b32 v47, s51, 53
                                        ; implicit-def: $sgpr2_sgpr3
	s_branch .LBB88_198
.LBB88_195:                             ;   in Loop: Header=BB88_198 Depth=2
	s_or_b64 exec, exec, s[50:51]
	s_waitcnt lgkmcnt(0)
	s_barrier
	ds_read_b64 v[1:2], v9 offset:3072
	s_waitcnt lgkmcnt(0)
	s_barrier
	v_cmp_neq_f32_e32 vcc, 0, v1
	s_cbranch_vccnz .LBB88_201
; %bb.196:                              ;   in Loop: Header=BB88_198 Depth=2
	v_add_u32_e32 v37, s8, v37
	v_cmp_le_u32_e32 vcc, s52, v37
	v_add_u32_e32 v8, s85, v8
	s_mov_b64 s[50:51], 0
	s_orn2_b64 vcc, vcc, exec
.LBB88_197:                             ;   in Loop: Header=BB88_198 Depth=2
	s_and_b64 vcc, exec, vcc
	s_or_b64 s[58:59], vcc, s[58:59]
	s_andn2_b64 s[2:3], s[2:3], exec
	s_and_b64 s[50:51], s[50:51], exec
	s_or_b64 s[2:3], s[2:3], s[50:51]
	s_andn2_b64 exec, exec, s[58:59]
	s_cbranch_execz .LBB88_202
.LBB88_198:                             ;   Parent Loop BB88_6 Depth=1
                                        ; =>  This Inner Loop Header: Depth=2
	v_cmp_gt_u32_e32 vcc, s11, v37
	s_and_saveexec_b64 s[50:51], vcc
	s_cbranch_execz .LBB88_195
; %bb.199:                              ;   in Loop: Header=BB88_198 Depth=2
	ds_read_b32 v13, v8
	s_waitcnt lgkmcnt(0)
	v_cmp_lt_i32_e32 vcc, -1, v13
	v_cndmask_b32_e32 v1, -1, v32, vcc
	v_xor_b32_e32 v1, v1, v13
	v_cmp_o_f32_e32 vcc, v13, v13
	v_cndmask_b32_e32 v1, -1, v1, vcc
	v_and_b32_e32 v1, v1, v4
	v_cmp_eq_u32_e32 vcc, v1, v35
	s_and_b64 exec, exec, vcc
	s_cbranch_execz .LBB88_195
; %bb.200:                              ;   in Loop: Header=BB88_198 Depth=2
	ds_write_b64 v9, v[12:13] offset:3072
	s_branch .LBB88_195
.LBB88_201:                             ;   in Loop: Header=BB88_198 Depth=2
	s_mov_b64 vcc, -1
                                        ; implicit-def: $vgpr37
                                        ; implicit-def: $vgpr8
	s_mov_b64 s[50:51], -1
	s_branch .LBB88_197
.LBB88_202:                             ;   in Loop: Header=BB88_6 Depth=1
	s_or_b64 exec, exec, s[58:59]
	v_readlane_b32 s50, v47, 52
	s_and_b64 s[58:59], s[2:3], exec
	v_readlane_b32 s51, v47, 53
.LBB88_203:                             ;   in Loop: Header=BB88_6 Depth=1
	s_or_b64 exec, exec, s[50:51]
.LBB88_204:                             ;   in Loop: Header=BB88_6 Depth=1
	s_and_b64 vcc, exec, s[90:91]
	s_cbranch_vccz .LBB88_214
; %bb.205:                              ;   in Loop: Header=BB88_6 Depth=1
                                        ; implicit-def: $vgpr2
	s_mov_b64 s[52:53], exec
	v_readlane_b32 s2, v47, 48
	v_readlane_b32 s3, v47, 49
	s_and_b64 s[2:3], s[52:53], s[2:3]
	s_mov_b64 exec, s[2:3]
	s_cbranch_execz .LBB88_216
; %bb.206:                              ;   in Loop: Header=BB88_6 Depth=1
	s_mov_b64 s[54:55], 0
	v_mov_b32_e32 v8, v7
	v_mov_b32_e32 v37, v0
                                        ; implicit-def: $sgpr90_sgpr91
	s_branch .LBB88_210
.LBB88_207:                             ;   in Loop: Header=BB88_210 Depth=2
	s_or_b64 exec, exec, s[2:3]
	s_waitcnt lgkmcnt(0)
	s_barrier
	ds_read_b64 v[1:2], v9 offset:3072
	s_waitcnt lgkmcnt(0)
	s_barrier
	v_cmp_eq_f32_e32 vcc, 0, v1
	s_cbranch_vccz .LBB88_213
; %bb.208:                              ;   in Loop: Header=BB88_210 Depth=2
	v_add_u32_e32 v37, s8, v37
	v_cmp_le_u32_e32 vcc, s86, v37
	v_add_u32_e32 v8, s9, v8
	s_mov_b64 s[2:3], 0
	s_orn2_b64 s[50:51], vcc, exec
.LBB88_209:                             ;   in Loop: Header=BB88_210 Depth=2
	s_and_b64 s[50:51], exec, s[50:51]
	s_or_b64 s[54:55], s[50:51], s[54:55]
	s_andn2_b64 s[50:51], s[90:91], exec
	s_and_b64 s[2:3], s[2:3], exec
	s_or_b64 s[90:91], s[50:51], s[2:3]
	s_andn2_b64 exec, exec, s[54:55]
	s_cbranch_execz .LBB88_215
.LBB88_210:                             ;   Parent Loop BB88_6 Depth=1
                                        ; =>  This Inner Loop Header: Depth=2
	v_cmp_gt_u32_e32 vcc, s60, v37
	s_and_saveexec_b64 s[2:3], vcc
	s_cbranch_execz .LBB88_207
; %bb.211:                              ;   in Loop: Header=BB88_210 Depth=2
	v_lshlrev_b64 v[1:2], 2, v[8:9]
	v_mov_b32_e32 v13, s80
	v_add_co_u32_e32 v1, vcc, s33, v1
	v_addc_co_u32_e32 v2, vcc, v13, v2, vcc
	global_load_dword v13, v[1:2], off
	s_waitcnt vmcnt(0)
	v_cmp_lt_i32_e32 vcc, -1, v13
	v_cndmask_b32_e32 v1, -1, v32, vcc
	v_xor_b32_e32 v1, v1, v13
	v_cmp_o_f32_e32 vcc, v13, v13
	v_cndmask_b32_e32 v1, -1, v1, vcc
	v_and_b32_e32 v1, v1, v4
	v_cmp_eq_u32_e32 vcc, v1, v35
	s_and_b64 exec, exec, vcc
	s_cbranch_execz .LBB88_207
; %bb.212:                              ;   in Loop: Header=BB88_210 Depth=2
	ds_write_b64 v9, v[12:13] offset:3072
	s_branch .LBB88_207
.LBB88_213:                             ;   in Loop: Header=BB88_210 Depth=2
	s_mov_b64 s[50:51], -1
                                        ; implicit-def: $vgpr37
	s_mov_b64 s[2:3], -1
	s_branch .LBB88_209
.LBB88_214:                             ;   in Loop: Header=BB88_6 Depth=1
	s_mov_b64 s[90:91], -1
	s_branch .LBB88_217
.LBB88_215:                             ;   in Loop: Header=BB88_6 Depth=1
	s_or_b64 exec, exec, s[54:55]
	s_andn2_b64 s[2:3], s[58:59], exec
	s_and_b64 s[50:51], s[90:91], exec
	s_or_b64 s[58:59], s[2:3], s[50:51]
.LBB88_216:                             ;   in Loop: Header=BB88_6 Depth=1
	s_or_b64 exec, exec, s[52:53]
	s_mov_b64 s[90:91], 0
	s_mov_b64 s[54:55], -1
.LBB88_217:                             ;   in Loop: Header=BB88_6 Depth=1
	s_orn2_b64 s[2:3], s[58:59], exec
.LBB88_218:                             ;   in Loop: Header=BB88_6 Depth=1
	s_or_b64 exec, exec, s[56:57]
	s_mov_b64 s[50:51], 0
	s_and_saveexec_b64 s[56:57], s[2:3]
	s_cbranch_execz .LBB88_229
; %bb.219:                              ;   in Loop: Header=BB88_6 Depth=1
	v_readlane_b32 s2, v47, 50
	v_readlane_b32 s3, v47, 51
	s_xor_b64 s[50:51], s[2:3], -1
	v_mov_b32_e32 v3, 1
	v_mov_b32_e32 v1, 1
	s_and_saveexec_b64 s[2:3], s[50:51]
	s_cbranch_execz .LBB88_228
; %bb.220:                              ;   in Loop: Header=BB88_6 Depth=1
	v_cmp_ge_u32_e32 vcc, s10, v36
	s_and_saveexec_b64 s[50:51], vcc
	s_xor_b64 s[50:51], exec, s[50:51]
	s_cbranch_execz .LBB88_225
; %bb.221:                              ;   in Loop: Header=BB88_6 Depth=1
	ds_read_b32 v1, v9 offset:4096
	v_or_b32_e32 v35, s15, v35
	v_or_b32_e32 v4, s15, v4
	s_waitcnt lgkmcnt(0)
	v_cmp_ne_u32_e32 vcc, 0, v1
	s_cbranch_vccnz .LBB88_225
; %bb.222:                              ;   in Loop: Header=BB88_6 Depth=1
	s_mov_b64 s[58:59], exec
	v_readlane_b32 s52, v47, 21
	v_readlane_b32 s53, v47, 22
	s_and_b64 s[52:53], s[58:59], s[52:53]
	s_mov_b64 exec, s[52:53]
; %bb.223:                              ;   in Loop: Header=BB88_6 Depth=1
	v_mov_b32_e32 v1, s10
	ds_write_b32 v9, v1 offset:4100
; %bb.224:                              ;   in Loop: Header=BB88_6 Depth=1
	s_or_b64 exec, exec, s[58:59]
	s_waitcnt lgkmcnt(0)
	s_barrier
.LBB88_225:                             ;   in Loop: Header=BB88_6 Depth=1
	s_andn2_saveexec_b64 s[50:51], s[50:51]
; %bb.226:                              ;   in Loop: Header=BB88_6 Depth=1
	v_subrev_u32_e32 v36, s10, v36
; %bb.227:                              ;   in Loop: Header=BB88_6 Depth=1
	s_or_b64 exec, exec, s[50:51]
	v_mov_b32_e32 v3, 8
	v_mov_b32_e32 v1, v36
.LBB88_228:                             ;   in Loop: Header=BB88_6 Depth=1
	s_or_b64 exec, exec, s[2:3]
	s_mov_b64 s[50:51], exec
	v_mov_b32_e32 v36, v1
.LBB88_229:                             ;   in Loop: Header=BB88_6 Depth=1
	s_or_b64 exec, exec, s[56:57]
	s_orn2_b64 s[2:3], s[50:51], exec
.LBB88_230:                             ;   in Loop: Header=BB88_6 Depth=1
	s_or_b64 exec, exec, s[48:49]
	s_andn2_b64 s[44:45], s[44:45], exec
	s_and_b64 s[48:49], s[54:55], exec
	s_or_b64 s[44:45], s[44:45], s[48:49]
	s_andn2_b64 s[42:43], s[42:43], exec
	s_and_b64 s[48:49], s[90:91], exec
	s_or_b64 s[42:43], s[42:43], s[48:49]
	s_and_b64 s[50:51], s[2:3], exec
	v_mov_b32_e32 v37, v36
.LBB88_231:                             ;   in Loop: Header=BB88_6 Depth=1
	s_or_b64 exec, exec, s[46:47]
	s_orn2_b64 s[2:3], s[50:51], exec
.LBB88_232:                             ;   in Loop: Header=BB88_6 Depth=1
	s_or_b64 exec, exec, s[40:41]
	s_andn2_b64 s[26:27], s[26:27], exec
	s_and_b64 s[40:41], s[44:45], exec
	s_or_b64 s[26:27], s[26:27], s[40:41]
	s_andn2_b64 s[24:25], s[24:25], exec
	s_and_b64 s[40:41], s[42:43], exec
	s_or_b64 s[24:25], s[24:25], s[40:41]
	s_and_b64 s[42:43], s[2:3], exec
	v_mov_b32_e32 v36, v37
.LBB88_233:                             ;   in Loop: Header=BB88_6 Depth=1
	s_or_b64 exec, exec, s[38:39]
	s_orn2_b64 s[2:3], s[42:43], exec
.LBB88_234:                             ;   in Loop: Header=BB88_6 Depth=1
	s_or_b64 exec, exec, s[6:7]
	s_mov_b64 s[6:7], 0
	s_mov_b64 s[38:39], 0
	s_and_saveexec_b64 s[40:41], s[2:3]
	s_xor_b64 s[2:3], exec, s[40:41]
; %bb.235:                              ;   in Loop: Header=BB88_6 Depth=1
	v_cmp_eq_u32_e32 vcc, 8, v3
	v_cmp_ne_u32_e64 s[6:7], 8, v3
	s_and_b64 s[38:39], s[6:7], exec
	s_and_b64 s[6:7], vcc, exec
; %bb.236:                              ;   in Loop: Header=BB88_6 Depth=1
	s_or_b64 exec, exec, s[2:3]
	s_andn2_b64 s[2:3], s[30:31], exec
	s_and_b64 s[26:27], s[26:27], exec
	s_or_b64 s[30:31], s[2:3], s[26:27]
	s_andn2_b64 s[2:3], s[28:29], exec
	s_and_b64 s[24:25], s[24:25], exec
	s_or_b64 s[28:29], s[2:3], s[24:25]
	s_and_b64 s[24:25], s[38:39], exec
	s_and_b64 s[26:27], s[6:7], exec
.LBB88_237:                             ;   in Loop: Header=BB88_6 Depth=1
	s_or_b64 exec, exec, s[36:37]
.LBB88_238:                             ;   in Loop: Header=BB88_6 Depth=1
	s_and_b64 vcc, exec, s[34:35]
	s_cbranch_vccz .LBB88_252
; %bb.239:                              ;   in Loop: Header=BB88_6 Depth=1
	s_cmp_eq_u32 s10, 1
	s_cselect_b64 s[2:3], -1, 0
	s_and_b64 s[6:7], s[2:3], s[18:19]
	s_mov_b64 s[2:3], -1
                                        ; implicit-def: $sgpr18_sgpr19
                                        ; implicit-def: $sgpr22_sgpr23
	s_and_saveexec_b64 s[28:29], s[6:7]
	s_cbranch_execz .LBB88_268
; %bb.240:                              ;   in Loop: Header=BB88_6 Depth=1
	ds_read_b32 v1, v9 offset:4096
	s_waitcnt lgkmcnt(0)
	s_barrier
	v_readfirstlane_b32 s11, v1
	s_and_saveexec_b64 s[2:3], s[4:5]
; %bb.241:                              ;   in Loop: Header=BB88_6 Depth=1
	ds_write_b32 v21, v9
; %bb.242:                              ;   in Loop: Header=BB88_6 Depth=1
	s_or_b64 exec, exec, s[2:3]
	v_or_b32_e32 v24, s15, v24
	v_or_b32_e32 v33, s15, v33
	s_mov_b64 s[22:23], -1
	s_mov_b64 s[18:19], 0
	s_cmp_eq_u32 s11, 0
	s_mov_b64 s[30:31], 0
	s_mov_b64 s[34:35], -1
	s_waitcnt lgkmcnt(0)
	s_barrier
                                        ; implicit-def: $vgpr14
	s_cbranch_scc1 .LBB88_255
; %bb.243:                              ;   in Loop: Header=BB88_6 Depth=1
	v_readlane_b32 s2, v47, 34
	s_add_i32 s2, s11, s2
	v_readlane_b32 s3, v47, 47
	s_mul_hi_u32 s3, s2, s3
	s_mul_i32 s3, s3, s8
	s_sub_i32 s3, s2, s3
	s_sub_i32 s30, s3, s8
	s_cmp_ge_u32 s3, s8
	s_cselect_b32 s3, s30, s3
	s_sub_i32 s30, s3, s8
	s_cmp_ge_u32 s3, s8
	s_cselect_b32 s3, s30, s3
	s_sub_i32 s42, s2, s3
	v_cmp_gt_u32_e32 vcc, s42, v0
	s_mov_b64 s[34:35], 0
	s_mov_b64 s[30:31], 0
                                        ; implicit-def: $vgpr14
	s_and_saveexec_b64 s[36:37], vcc
	s_cbranch_execz .LBB88_254
; %bb.244:                              ;   in Loop: Header=BB88_6 Depth=1
	v_mov_b32_e32 v1, v18
	v_mov_b32_e32 v2, v0
                                        ; implicit-def: $sgpr38_sgpr39
	s_branch .LBB88_248
.LBB88_245:                             ;   in Loop: Header=BB88_248 Depth=2
	s_or_b64 exec, exec, s[2:3]
	s_waitcnt lgkmcnt(0)
	s_barrier
	ds_read_b64 v[13:14], v9 offset:3072
	s_waitcnt lgkmcnt(0)
	s_barrier
	v_cmp_neq_f32_e32 vcc, 0, v13
	s_cbranch_vccnz .LBB88_251
; %bb.246:                              ;   in Loop: Header=BB88_248 Depth=2
	v_add_u32_e32 v2, s8, v2
	v_cmp_le_u32_e32 vcc, s42, v2
	v_add_u32_e32 v1, s85, v1
	s_mov_b64 s[2:3], 0
	s_orn2_b64 s[40:41], vcc, exec
.LBB88_247:                             ;   in Loop: Header=BB88_248 Depth=2
	s_and_b64 s[40:41], exec, s[40:41]
	s_or_b64 s[30:31], s[40:41], s[30:31]
	s_andn2_b64 s[38:39], s[38:39], exec
	s_and_b64 s[2:3], s[2:3], exec
	s_or_b64 s[38:39], s[38:39], s[2:3]
	s_andn2_b64 exec, exec, s[30:31]
	s_cbranch_execz .LBB88_253
.LBB88_248:                             ;   Parent Loop BB88_6 Depth=1
                                        ; =>  This Inner Loop Header: Depth=2
	v_cmp_gt_u32_e32 vcc, s11, v2
	s_and_saveexec_b64 s[2:3], vcc
	s_cbranch_execz .LBB88_245
; %bb.249:                              ;   in Loop: Header=BB88_248 Depth=2
	ds_read_b32 v13, v1
	s_waitcnt lgkmcnt(0)
	v_cmp_lt_i32_e32 vcc, -1, v13
	v_cndmask_b32_e32 v3, -1, v32, vcc
	v_xor_b32_e32 v3, v3, v13
	v_cmp_o_f32_e32 vcc, v13, v13
	v_cndmask_b32_e32 v3, -1, v3, vcc
	v_and_b32_e32 v3, v3, v33
	v_cmp_eq_u32_e32 vcc, v3, v24
	s_and_b64 exec, exec, vcc
	s_cbranch_execz .LBB88_245
; %bb.250:                              ;   in Loop: Header=BB88_248 Depth=2
	ds_write_b64 v9, v[12:13] offset:3072
	s_branch .LBB88_245
.LBB88_251:                             ;   in Loop: Header=BB88_248 Depth=2
	s_mov_b64 s[40:41], -1
                                        ; implicit-def: $vgpr2
                                        ; implicit-def: $vgpr1
	s_mov_b64 s[2:3], -1
	s_branch .LBB88_247
.LBB88_252:                             ;   in Loop: Header=BB88_6 Depth=1
	s_mov_b64 s[18:19], 0
	v_mov_b32_e32 v24, v35
	v_mov_b32_e32 v33, v4
	;; [unrolled: 1-line block ×3, first 2 shown]
	s_and_saveexec_b64 s[2:3], s[26:27]
	s_cbranch_execnz .LBB88_405
	s_branch .LBB88_406
.LBB88_253:                             ;   in Loop: Header=BB88_6 Depth=1
	s_or_b64 exec, exec, s[30:31]
	s_and_b64 s[30:31], s[38:39], exec
.LBB88_254:                             ;   in Loop: Header=BB88_6 Depth=1
	s_or_b64 exec, exec, s[36:37]
.LBB88_255:                             ;   in Loop: Header=BB88_6 Depth=1
	s_and_b64 vcc, exec, s[34:35]
	s_cbranch_vccz .LBB88_267
; %bb.256:                              ;   in Loop: Header=BB88_6 Depth=1
                                        ; implicit-def: $vgpr14
	s_mov_b64 s[18:19], exec
	v_readlane_b32 s2, v47, 48
	v_readlane_b32 s3, v47, 49
	s_and_b64 s[2:3], s[18:19], s[2:3]
	s_mov_b64 exec, s[2:3]
	s_cbranch_execz .LBB88_266
; %bb.257:                              ;   in Loop: Header=BB88_6 Depth=1
	s_mov_b64 s[22:23], 0
	v_mov_b32_e32 v8, v7
	v_mov_b32_e32 v1, v0
                                        ; implicit-def: $sgpr34_sgpr35
	s_branch .LBB88_261
.LBB88_258:                             ;   in Loop: Header=BB88_261 Depth=2
	s_or_b64 exec, exec, s[2:3]
	s_waitcnt lgkmcnt(0)
	s_barrier
	ds_read_b64 v[13:14], v9 offset:3072
	s_waitcnt lgkmcnt(0)
	s_barrier
	v_cmp_neq_f32_e32 vcc, 0, v13
	s_cbranch_vccnz .LBB88_264
; %bb.259:                              ;   in Loop: Header=BB88_261 Depth=2
	v_add_u32_e32 v1, s8, v1
	v_cmp_le_u32_e32 vcc, s86, v1
	v_add_u32_e32 v8, s9, v8
	s_mov_b64 s[2:3], 0
	s_orn2_b64 s[36:37], vcc, exec
.LBB88_260:                             ;   in Loop: Header=BB88_261 Depth=2
	s_and_b64 s[36:37], exec, s[36:37]
	s_or_b64 s[22:23], s[36:37], s[22:23]
	s_andn2_b64 s[34:35], s[34:35], exec
	s_and_b64 s[2:3], s[2:3], exec
	s_or_b64 s[34:35], s[34:35], s[2:3]
	s_andn2_b64 exec, exec, s[22:23]
	s_cbranch_execz .LBB88_265
.LBB88_261:                             ;   Parent Loop BB88_6 Depth=1
                                        ; =>  This Inner Loop Header: Depth=2
	v_cmp_gt_u32_e32 vcc, s60, v1
	s_and_saveexec_b64 s[2:3], vcc
	s_cbranch_execz .LBB88_258
; %bb.262:                              ;   in Loop: Header=BB88_261 Depth=2
	v_lshlrev_b64 v[2:3], 2, v[8:9]
	v_mov_b32_e32 v4, s80
	v_add_co_u32_e32 v2, vcc, s33, v2
	v_addc_co_u32_e32 v3, vcc, v4, v3, vcc
	global_load_dword v13, v[2:3], off
	s_waitcnt vmcnt(0)
	v_cmp_lt_i32_e32 vcc, -1, v13
	v_cndmask_b32_e32 v2, -1, v32, vcc
	v_xor_b32_e32 v2, v2, v13
	v_cmp_o_f32_e32 vcc, v13, v13
	v_cndmask_b32_e32 v2, -1, v2, vcc
	v_and_b32_e32 v2, v2, v33
	v_cmp_eq_u32_e32 vcc, v2, v24
	s_and_b64 exec, exec, vcc
	s_cbranch_execz .LBB88_258
; %bb.263:                              ;   in Loop: Header=BB88_261 Depth=2
	ds_write_b64 v9, v[12:13] offset:3072
	s_branch .LBB88_258
.LBB88_264:                             ;   in Loop: Header=BB88_261 Depth=2
	s_mov_b64 s[36:37], -1
                                        ; implicit-def: $vgpr1
	s_mov_b64 s[2:3], -1
	s_branch .LBB88_260
.LBB88_265:                             ;   in Loop: Header=BB88_6 Depth=1
	s_or_b64 exec, exec, s[22:23]
	s_andn2_b64 s[2:3], s[30:31], exec
	s_and_b64 s[22:23], s[34:35], exec
	s_or_b64 s[30:31], s[2:3], s[22:23]
.LBB88_266:                             ;   in Loop: Header=BB88_6 Depth=1
	s_or_b64 exec, exec, s[18:19]
	s_mov_b64 s[22:23], 0
	s_mov_b64 s[18:19], -1
.LBB88_267:                             ;   in Loop: Header=BB88_6 Depth=1
	s_orn2_b64 s[2:3], s[30:31], exec
.LBB88_268:                             ;   in Loop: Header=BB88_6 Depth=1
	s_or_b64 exec, exec, s[28:29]
                                        ; implicit-def: $vgpr36
                                        ; implicit-def: $vgpr3
	s_and_saveexec_b64 s[28:29], s[2:3]
	s_cbranch_execz .LBB88_404
; %bb.269:                              ;   in Loop: Header=BB88_6 Depth=1
	s_xor_b64 s[2:3], s[6:7], -1
	s_mov_b64 s[36:37], 0
	v_mov_b32_e32 v36, 1
	v_mov_b32_e32 v3, 1
	s_and_saveexec_b64 s[6:7], s[2:3]
	s_cbranch_execz .LBB88_278
; %bb.270:                              ;   in Loop: Header=BB88_6 Depth=1
	v_cmp_ge_u32_e32 vcc, s10, v34
	s_and_saveexec_b64 s[2:3], vcc
	s_xor_b64 s[2:3], exec, s[2:3]
	s_cbranch_execz .LBB88_275
; %bb.271:                              ;   in Loop: Header=BB88_6 Depth=1
	ds_read_b32 v1, v9 offset:4096
	v_or_b32_e32 v24, s15, v24
	v_or_b32_e32 v33, s15, v33
	s_waitcnt lgkmcnt(0)
	v_cmp_ne_u32_e32 vcc, 0, v1
	s_cbranch_vccnz .LBB88_275
; %bb.272:                              ;   in Loop: Header=BB88_6 Depth=1
	s_mov_b64 s[30:31], exec
	v_readlane_b32 s34, v47, 21
	v_readlane_b32 s35, v47, 22
	s_and_b64 s[34:35], s[30:31], s[34:35]
	s_mov_b64 exec, s[34:35]
; %bb.273:                              ;   in Loop: Header=BB88_6 Depth=1
	v_mov_b32_e32 v1, s10
	ds_write_b32 v9, v1 offset:4100
; %bb.274:                              ;   in Loop: Header=BB88_6 Depth=1
	s_or_b64 exec, exec, s[30:31]
	s_waitcnt lgkmcnt(0)
	s_barrier
.LBB88_275:                             ;   in Loop: Header=BB88_6 Depth=1
	s_or_saveexec_b64 s[2:3], s[2:3]
	s_mov_b64 s[30:31], 0
	v_mov_b32_e32 v3, 5
	s_xor_b64 exec, exec, s[2:3]
; %bb.276:                              ;   in Loop: Header=BB88_6 Depth=1
	s_mov_b64 s[30:31], exec
	v_subrev_u32_e32 v34, s10, v34
	v_mov_b32_e32 v3, 0
; %bb.277:                              ;   in Loop: Header=BB88_6 Depth=1
	s_or_b64 exec, exec, s[2:3]
	s_and_b64 s[36:37], s[30:31], exec
	v_mov_b32_e32 v36, v34
.LBB88_278:                             ;   in Loop: Header=BB88_6 Depth=1
	s_or_b64 exec, exec, s[6:7]
	s_mov_b64 s[2:3], -1
                                        ; implicit-def: $sgpr30_sgpr31
                                        ; implicit-def: $sgpr34_sgpr35
	s_and_saveexec_b64 s[6:7], s[36:37]
	s_xor_b64 s[6:7], exec, s[6:7]
	s_cbranch_execz .LBB88_401
; %bb.279:                              ;   in Loop: Header=BB88_6 Depth=1
	s_cmp_eq_u32 s93, 1
	s_cselect_b64 s[2:3], -1, 0
	v_cmp_eq_u32_e32 vcc, 1, v36
	s_and_b64 s[38:39], s[2:3], vcc
	s_mov_b64 s[2:3], -1
                                        ; implicit-def: $sgpr34_sgpr35
                                        ; implicit-def: $sgpr30_sgpr31
	s_and_saveexec_b64 s[36:37], s[38:39]
	s_cbranch_execz .LBB88_307
; %bb.280:                              ;   in Loop: Header=BB88_6 Depth=1
	ds_read_b32 v1, v9 offset:4096
	s_waitcnt lgkmcnt(0)
	s_barrier
	v_readfirstlane_b32 s10, v1
	s_and_saveexec_b64 s[2:3], s[4:5]
; %bb.281:                              ;   in Loop: Header=BB88_6 Depth=1
	ds_write_b32 v21, v9
; %bb.282:                              ;   in Loop: Header=BB88_6 Depth=1
	s_or_b64 exec, exec, s[2:3]
	v_and_b32_e32 v1, s84, v24
	v_lshl_or_b32 v24, 2, s13, v1
	v_or_b32_e32 v33, s15, v33
	s_mov_b64 s[30:31], -1
	s_mov_b64 s[34:35], 0
	s_cmp_eq_u32 s10, 0
	s_mov_b64 s[40:41], 0
	s_mov_b64 s[42:43], -1
	s_waitcnt lgkmcnt(0)
	s_barrier
                                        ; implicit-def: $vgpr14
	s_cbranch_scc1 .LBB88_294
; %bb.283:                              ;   in Loop: Header=BB88_6 Depth=1
	v_readlane_b32 s2, v47, 34
	s_add_i32 s2, s10, s2
	v_readlane_b32 s3, v47, 47
	s_mul_hi_u32 s3, s2, s3
	s_mul_i32 s3, s3, s8
	s_sub_i32 s3, s2, s3
	s_sub_i32 s11, s3, s8
	s_cmp_ge_u32 s3, s8
	s_cselect_b32 s3, s11, s3
	s_sub_i32 s11, s3, s8
	s_cmp_ge_u32 s3, s8
	s_cselect_b32 s3, s11, s3
	s_sub_i32 s11, s2, s3
	v_cmp_gt_u32_e32 vcc, s11, v0
	s_mov_b64 s[42:43], 0
                                        ; implicit-def: $vgpr14
	s_and_saveexec_b64 s[44:45], vcc
	s_cbranch_execz .LBB88_293
; %bb.284:                              ;   in Loop: Header=BB88_6 Depth=1
	v_mov_b32_e32 v1, v18
	v_mov_b32_e32 v2, v0
                                        ; implicit-def: $sgpr46_sgpr47
	s_branch .LBB88_288
.LBB88_285:                             ;   in Loop: Header=BB88_288 Depth=2
	s_or_b64 exec, exec, s[2:3]
	s_waitcnt lgkmcnt(0)
	s_barrier
	ds_read_b64 v[13:14], v9 offset:3072
	s_waitcnt lgkmcnt(0)
	s_barrier
	v_cmp_neq_f32_e32 vcc, 0, v13
	s_cbranch_vccnz .LBB88_291
; %bb.286:                              ;   in Loop: Header=BB88_288 Depth=2
	v_add_u32_e32 v2, s8, v2
	v_cmp_le_u32_e32 vcc, s11, v2
	v_add_u32_e32 v1, s85, v1
	s_mov_b64 s[2:3], 0
	s_orn2_b64 s[48:49], vcc, exec
.LBB88_287:                             ;   in Loop: Header=BB88_288 Depth=2
	s_and_b64 s[48:49], exec, s[48:49]
	s_or_b64 s[40:41], s[48:49], s[40:41]
	s_andn2_b64 s[46:47], s[46:47], exec
	s_and_b64 s[2:3], s[2:3], exec
	s_or_b64 s[46:47], s[46:47], s[2:3]
	s_andn2_b64 exec, exec, s[40:41]
	s_cbranch_execz .LBB88_292
.LBB88_288:                             ;   Parent Loop BB88_6 Depth=1
                                        ; =>  This Inner Loop Header: Depth=2
	v_cmp_gt_u32_e32 vcc, s10, v2
	s_and_saveexec_b64 s[2:3], vcc
	s_cbranch_execz .LBB88_285
; %bb.289:                              ;   in Loop: Header=BB88_288 Depth=2
	ds_read_b32 v13, v1
	s_waitcnt lgkmcnt(0)
	v_cmp_lt_i32_e32 vcc, -1, v13
	v_cndmask_b32_e32 v4, -1, v32, vcc
	v_xor_b32_e32 v4, v4, v13
	v_cmp_o_f32_e32 vcc, v13, v13
	v_cndmask_b32_e32 v4, -1, v4, vcc
	v_and_b32_e32 v4, v4, v33
	v_cmp_eq_u32_e32 vcc, v4, v24
	s_and_b64 exec, exec, vcc
	s_cbranch_execz .LBB88_285
; %bb.290:                              ;   in Loop: Header=BB88_288 Depth=2
	ds_write_b64 v9, v[12:13] offset:3072
	s_branch .LBB88_285
.LBB88_291:                             ;   in Loop: Header=BB88_288 Depth=2
	s_mov_b64 s[48:49], -1
                                        ; implicit-def: $vgpr2
                                        ; implicit-def: $vgpr1
	s_mov_b64 s[2:3], -1
	s_branch .LBB88_287
.LBB88_292:                             ;   in Loop: Header=BB88_6 Depth=1
	s_or_b64 exec, exec, s[40:41]
	s_and_b64 s[40:41], s[46:47], exec
.LBB88_293:                             ;   in Loop: Header=BB88_6 Depth=1
	s_or_b64 exec, exec, s[44:45]
.LBB88_294:                             ;   in Loop: Header=BB88_6 Depth=1
	s_and_b64 vcc, exec, s[42:43]
	s_cbranch_vccz .LBB88_306
; %bb.295:                              ;   in Loop: Header=BB88_6 Depth=1
                                        ; implicit-def: $vgpr14
	s_mov_b64 s[30:31], exec
	v_readlane_b32 s2, v47, 48
	v_readlane_b32 s3, v47, 49
	s_and_b64 s[2:3], s[30:31], s[2:3]
	s_mov_b64 exec, s[2:3]
	s_cbranch_execz .LBB88_305
; %bb.296:                              ;   in Loop: Header=BB88_6 Depth=1
	s_mov_b64 s[34:35], 0
	v_mov_b32_e32 v8, v7
	v_mov_b32_e32 v1, v0
                                        ; implicit-def: $sgpr42_sgpr43
	s_branch .LBB88_300
.LBB88_297:                             ;   in Loop: Header=BB88_300 Depth=2
	s_or_b64 exec, exec, s[2:3]
	s_waitcnt lgkmcnt(0)
	s_barrier
	ds_read_b64 v[13:14], v9 offset:3072
	s_waitcnt lgkmcnt(0)
	s_barrier
	v_cmp_eq_f32_e32 vcc, 0, v13
	s_cbranch_vccz .LBB88_303
; %bb.298:                              ;   in Loop: Header=BB88_300 Depth=2
	v_add_u32_e32 v1, s8, v1
	v_cmp_le_u32_e32 vcc, s86, v1
	v_add_u32_e32 v8, s9, v8
	s_mov_b64 s[2:3], 0
	s_orn2_b64 s[44:45], vcc, exec
.LBB88_299:                             ;   in Loop: Header=BB88_300 Depth=2
	s_and_b64 s[10:11], exec, s[44:45]
	s_or_b64 s[34:35], s[10:11], s[34:35]
	s_andn2_b64 s[10:11], s[42:43], exec
	s_and_b64 s[2:3], s[2:3], exec
	s_or_b64 s[42:43], s[10:11], s[2:3]
	s_andn2_b64 exec, exec, s[34:35]
	s_cbranch_execz .LBB88_304
.LBB88_300:                             ;   Parent Loop BB88_6 Depth=1
                                        ; =>  This Inner Loop Header: Depth=2
	v_cmp_gt_u32_e32 vcc, s60, v1
	s_and_saveexec_b64 s[2:3], vcc
	s_cbranch_execz .LBB88_297
; %bb.301:                              ;   in Loop: Header=BB88_300 Depth=2
	v_lshlrev_b64 v[13:14], 2, v[8:9]
	v_mov_b32_e32 v2, s80
	v_add_co_u32_e32 v13, vcc, s33, v13
	v_addc_co_u32_e32 v14, vcc, v2, v14, vcc
	global_load_dword v13, v[13:14], off
	s_waitcnt vmcnt(0)
	v_cmp_lt_i32_e32 vcc, -1, v13
	v_cndmask_b32_e32 v2, -1, v32, vcc
	v_xor_b32_e32 v2, v2, v13
	v_cmp_o_f32_e32 vcc, v13, v13
	v_cndmask_b32_e32 v2, -1, v2, vcc
	v_and_b32_e32 v2, v2, v33
	v_cmp_eq_u32_e32 vcc, v2, v24
	s_and_b64 exec, exec, vcc
	s_cbranch_execz .LBB88_297
; %bb.302:                              ;   in Loop: Header=BB88_300 Depth=2
	ds_write_b64 v9, v[12:13] offset:3072
	s_branch .LBB88_297
.LBB88_303:                             ;   in Loop: Header=BB88_300 Depth=2
	s_mov_b64 s[44:45], -1
                                        ; implicit-def: $vgpr1
	s_mov_b64 s[2:3], -1
	s_branch .LBB88_299
.LBB88_304:                             ;   in Loop: Header=BB88_6 Depth=1
	s_or_b64 exec, exec, s[34:35]
	s_andn2_b64 s[2:3], s[40:41], exec
	s_and_b64 s[10:11], s[42:43], exec
	s_or_b64 s[40:41], s[2:3], s[10:11]
.LBB88_305:                             ;   in Loop: Header=BB88_6 Depth=1
	s_or_b64 exec, exec, s[30:31]
	s_mov_b64 s[30:31], 0
	s_mov_b64 s[34:35], -1
.LBB88_306:                             ;   in Loop: Header=BB88_6 Depth=1
	s_orn2_b64 s[2:3], s[40:41], exec
.LBB88_307:                             ;   in Loop: Header=BB88_6 Depth=1
	s_or_b64 exec, exec, s[36:37]
	s_mov_b64 s[40:41], 0
	s_and_saveexec_b64 s[36:37], s[2:3]
	s_cbranch_execz .LBB88_400
; %bb.308:                              ;   in Loop: Header=BB88_6 Depth=1
	s_xor_b64 s[2:3], s[38:39], -1
	s_mov_b64 s[44:45], 0
	v_mov_b32_e32 v1, 1
	v_mov_b32_e32 v3, 1
	s_and_saveexec_b64 s[38:39], s[2:3]
	s_cbranch_execz .LBB88_317
; %bb.309:                              ;   in Loop: Header=BB88_6 Depth=1
	v_cmp_ge_u32_e32 vcc, s93, v36
	s_and_saveexec_b64 s[2:3], vcc
	s_xor_b64 s[2:3], exec, s[2:3]
	s_cbranch_execz .LBB88_314
; %bb.310:                              ;   in Loop: Header=BB88_6 Depth=1
	ds_read_b32 v1, v9 offset:4096
	v_and_b32_e32 v2, s84, v24
	v_lshl_or_b32 v24, 2, s13, v2
	v_or_b32_e32 v33, s15, v33
	s_waitcnt lgkmcnt(0)
	v_cmp_ne_u32_e32 vcc, 0, v1
	s_cbranch_vccnz .LBB88_314
; %bb.311:                              ;   in Loop: Header=BB88_6 Depth=1
	s_mov_b64 s[40:41], exec
	v_readlane_b32 s10, v47, 21
	v_readlane_b32 s11, v47, 22
	s_and_b64 s[10:11], s[40:41], s[10:11]
	s_mov_b64 exec, s[10:11]
; %bb.312:                              ;   in Loop: Header=BB88_6 Depth=1
	v_mov_b32_e32 v1, s93
	ds_write_b32 v9, v1 offset:4100
; %bb.313:                              ;   in Loop: Header=BB88_6 Depth=1
	s_or_b64 exec, exec, s[40:41]
	s_waitcnt lgkmcnt(0)
	s_barrier
.LBB88_314:                             ;   in Loop: Header=BB88_6 Depth=1
	s_or_saveexec_b64 s[2:3], s[2:3]
	s_mov_b64 s[40:41], 0
	v_mov_b32_e32 v3, 5
	s_xor_b64 exec, exec, s[2:3]
; %bb.315:                              ;   in Loop: Header=BB88_6 Depth=1
	s_mov_b64 s[40:41], exec
	v_subrev_u32_e32 v36, s93, v36
	v_mov_b32_e32 v3, 0
; %bb.316:                              ;   in Loop: Header=BB88_6 Depth=1
	s_or_b64 exec, exec, s[2:3]
	s_and_b64 s[44:45], s[40:41], exec
	v_mov_b32_e32 v1, v36
.LBB88_317:                             ;   in Loop: Header=BB88_6 Depth=1
	s_or_b64 exec, exec, s[38:39]
	s_mov_b64 s[2:3], -1
                                        ; implicit-def: $sgpr40_sgpr41
                                        ; implicit-def: $sgpr42_sgpr43
	s_and_saveexec_b64 s[38:39], s[44:45]
	s_cbranch_execz .LBB88_399
; %bb.318:                              ;   in Loop: Header=BB88_6 Depth=1
	s_cmp_eq_u32 s92, 1
	s_cselect_b64 s[2:3], -1, 0
	v_cmp_eq_u32_e32 vcc, 1, v1
	s_and_b64 s[46:47], s[2:3], vcc
	s_mov_b64 s[2:3], -1
                                        ; implicit-def: $sgpr42_sgpr43
                                        ; implicit-def: $sgpr40_sgpr41
	s_and_saveexec_b64 s[44:45], s[46:47]
	s_cbranch_execz .LBB88_346
; %bb.319:                              ;   in Loop: Header=BB88_6 Depth=1
	ds_read_b32 v2, v9 offset:4096
	s_waitcnt lgkmcnt(0)
	s_barrier
	v_readfirstlane_b32 s10, v2
	s_and_saveexec_b64 s[2:3], s[4:5]
; %bb.320:                              ;   in Loop: Header=BB88_6 Depth=1
	ds_write_b32 v21, v9
; %bb.321:                              ;   in Loop: Header=BB88_6 Depth=1
	s_or_b64 exec, exec, s[2:3]
	v_and_b32_e32 v2, s84, v24
	v_lshl_or_b32 v24, 1, s13, v2
	v_or_b32_e32 v33, s15, v33
	s_mov_b64 s[40:41], -1
	s_mov_b64 s[42:43], 0
	s_cmp_eq_u32 s10, 0
	s_mov_b64 s[48:49], 0
	s_mov_b64 s[50:51], -1
	s_waitcnt lgkmcnt(0)
	s_barrier
                                        ; implicit-def: $vgpr14
	s_cbranch_scc1 .LBB88_333
; %bb.322:                              ;   in Loop: Header=BB88_6 Depth=1
	v_readlane_b32 s2, v47, 34
	s_add_i32 s2, s10, s2
	v_readlane_b32 s3, v47, 47
	s_mul_hi_u32 s3, s2, s3
	s_mul_i32 s3, s3, s8
	s_sub_i32 s3, s2, s3
	s_sub_i32 s11, s3, s8
	s_cmp_ge_u32 s3, s8
	s_cselect_b32 s3, s11, s3
	s_sub_i32 s11, s3, s8
	s_cmp_ge_u32 s3, s8
	s_cselect_b32 s3, s11, s3
	s_sub_i32 s11, s2, s3
	v_cmp_gt_u32_e32 vcc, s11, v0
	s_mov_b64 s[50:51], 0
                                        ; implicit-def: $vgpr14
	s_and_saveexec_b64 s[52:53], vcc
	s_cbranch_execz .LBB88_332
; %bb.323:                              ;   in Loop: Header=BB88_6 Depth=1
	v_mov_b32_e32 v2, v18
	v_mov_b32_e32 v4, v0
                                        ; implicit-def: $sgpr54_sgpr55
	s_branch .LBB88_327
.LBB88_324:                             ;   in Loop: Header=BB88_327 Depth=2
	s_or_b64 exec, exec, s[2:3]
	s_waitcnt lgkmcnt(0)
	s_barrier
	ds_read_b64 v[13:14], v9 offset:3072
	s_waitcnt lgkmcnt(0)
	s_barrier
	v_cmp_neq_f32_e32 vcc, 0, v13
	s_cbranch_vccnz .LBB88_330
; %bb.325:                              ;   in Loop: Header=BB88_327 Depth=2
	v_add_u32_e32 v4, s8, v4
	v_cmp_le_u32_e32 vcc, s11, v4
	v_add_u32_e32 v2, s85, v2
	s_mov_b64 s[2:3], 0
	s_orn2_b64 s[56:57], vcc, exec
.LBB88_326:                             ;   in Loop: Header=BB88_327 Depth=2
	s_and_b64 s[56:57], exec, s[56:57]
	s_or_b64 s[48:49], s[56:57], s[48:49]
	s_andn2_b64 s[54:55], s[54:55], exec
	s_and_b64 s[2:3], s[2:3], exec
	s_or_b64 s[54:55], s[54:55], s[2:3]
	s_andn2_b64 exec, exec, s[48:49]
	s_cbranch_execz .LBB88_331
.LBB88_327:                             ;   Parent Loop BB88_6 Depth=1
                                        ; =>  This Inner Loop Header: Depth=2
	v_cmp_gt_u32_e32 vcc, s10, v4
	s_and_saveexec_b64 s[2:3], vcc
	s_cbranch_execz .LBB88_324
; %bb.328:                              ;   in Loop: Header=BB88_327 Depth=2
	ds_read_b32 v13, v2
	s_waitcnt lgkmcnt(0)
	v_cmp_lt_i32_e32 vcc, -1, v13
	v_cndmask_b32_e32 v8, -1, v32, vcc
	v_xor_b32_e32 v8, v8, v13
	v_cmp_o_f32_e32 vcc, v13, v13
	v_cndmask_b32_e32 v8, -1, v8, vcc
	v_and_b32_e32 v8, v8, v33
	v_cmp_eq_u32_e32 vcc, v8, v24
	s_and_b64 exec, exec, vcc
	s_cbranch_execz .LBB88_324
; %bb.329:                              ;   in Loop: Header=BB88_327 Depth=2
	ds_write_b64 v9, v[12:13] offset:3072
	s_branch .LBB88_324
.LBB88_330:                             ;   in Loop: Header=BB88_327 Depth=2
	s_mov_b64 s[56:57], -1
                                        ; implicit-def: $vgpr4
                                        ; implicit-def: $vgpr2
	s_mov_b64 s[2:3], -1
	s_branch .LBB88_326
.LBB88_331:                             ;   in Loop: Header=BB88_6 Depth=1
	s_or_b64 exec, exec, s[48:49]
	s_and_b64 s[48:49], s[54:55], exec
.LBB88_332:                             ;   in Loop: Header=BB88_6 Depth=1
	s_or_b64 exec, exec, s[52:53]
.LBB88_333:                             ;   in Loop: Header=BB88_6 Depth=1
	s_and_b64 vcc, exec, s[50:51]
	s_cbranch_vccz .LBB88_345
; %bb.334:                              ;   in Loop: Header=BB88_6 Depth=1
                                        ; implicit-def: $vgpr14
	s_mov_b64 s[40:41], exec
	v_readlane_b32 s2, v47, 48
	v_readlane_b32 s3, v47, 49
	s_and_b64 s[2:3], s[40:41], s[2:3]
	s_mov_b64 exec, s[2:3]
	s_cbranch_execz .LBB88_344
; %bb.335:                              ;   in Loop: Header=BB88_6 Depth=1
	s_mov_b64 s[42:43], 0
	v_mov_b32_e32 v8, v7
	v_mov_b32_e32 v2, v0
                                        ; implicit-def: $sgpr50_sgpr51
	s_branch .LBB88_339
.LBB88_336:                             ;   in Loop: Header=BB88_339 Depth=2
	s_or_b64 exec, exec, s[2:3]
	s_waitcnt lgkmcnt(0)
	s_barrier
	ds_read_b64 v[13:14], v9 offset:3072
	s_waitcnt lgkmcnt(0)
	s_barrier
	v_cmp_eq_f32_e32 vcc, 0, v13
	s_cbranch_vccz .LBB88_342
; %bb.337:                              ;   in Loop: Header=BB88_339 Depth=2
	v_add_u32_e32 v2, s8, v2
	v_cmp_le_u32_e32 vcc, s86, v2
	v_add_u32_e32 v8, s9, v8
	s_mov_b64 s[2:3], 0
	s_orn2_b64 s[52:53], vcc, exec
.LBB88_338:                             ;   in Loop: Header=BB88_339 Depth=2
	s_and_b64 s[10:11], exec, s[52:53]
	s_or_b64 s[42:43], s[10:11], s[42:43]
	s_andn2_b64 s[10:11], s[50:51], exec
	s_and_b64 s[2:3], s[2:3], exec
	s_or_b64 s[50:51], s[10:11], s[2:3]
	s_andn2_b64 exec, exec, s[42:43]
	s_cbranch_execz .LBB88_343
.LBB88_339:                             ;   Parent Loop BB88_6 Depth=1
                                        ; =>  This Inner Loop Header: Depth=2
	v_cmp_gt_u32_e32 vcc, s60, v2
	s_and_saveexec_b64 s[2:3], vcc
	s_cbranch_execz .LBB88_336
; %bb.340:                              ;   in Loop: Header=BB88_339 Depth=2
	v_lshlrev_b64 v[13:14], 2, v[8:9]
	v_mov_b32_e32 v4, s80
	v_add_co_u32_e32 v13, vcc, s33, v13
	v_addc_co_u32_e32 v14, vcc, v4, v14, vcc
	global_load_dword v13, v[13:14], off
	s_waitcnt vmcnt(0)
	v_cmp_lt_i32_e32 vcc, -1, v13
	v_cndmask_b32_e32 v4, -1, v32, vcc
	v_xor_b32_e32 v4, v4, v13
	v_cmp_o_f32_e32 vcc, v13, v13
	v_cndmask_b32_e32 v4, -1, v4, vcc
	v_and_b32_e32 v4, v4, v33
	v_cmp_eq_u32_e32 vcc, v4, v24
	s_and_b64 exec, exec, vcc
	s_cbranch_execz .LBB88_336
; %bb.341:                              ;   in Loop: Header=BB88_339 Depth=2
	ds_write_b64 v9, v[12:13] offset:3072
	s_branch .LBB88_336
.LBB88_342:                             ;   in Loop: Header=BB88_339 Depth=2
	s_mov_b64 s[52:53], -1
                                        ; implicit-def: $vgpr2
	s_mov_b64 s[2:3], -1
	s_branch .LBB88_338
.LBB88_343:                             ;   in Loop: Header=BB88_6 Depth=1
	s_or_b64 exec, exec, s[42:43]
	s_andn2_b64 s[2:3], s[48:49], exec
	s_and_b64 s[10:11], s[50:51], exec
	s_or_b64 s[48:49], s[2:3], s[10:11]
.LBB88_344:                             ;   in Loop: Header=BB88_6 Depth=1
	s_or_b64 exec, exec, s[40:41]
	s_mov_b64 s[40:41], 0
	s_mov_b64 s[42:43], -1
.LBB88_345:                             ;   in Loop: Header=BB88_6 Depth=1
	s_orn2_b64 s[2:3], s[48:49], exec
.LBB88_346:                             ;   in Loop: Header=BB88_6 Depth=1
	s_or_b64 exec, exec, s[44:45]
	s_mov_b64 s[48:49], 0
	s_and_saveexec_b64 s[44:45], s[2:3]
	s_cbranch_execz .LBB88_398
; %bb.347:                              ;   in Loop: Header=BB88_6 Depth=1
	s_xor_b64 s[2:3], s[46:47], -1
	v_mov_b32_e32 v2, 1
	v_mov_b32_e32 v3, 1
	s_and_saveexec_b64 s[46:47], s[2:3]
	s_cbranch_execz .LBB88_356
; %bb.348:                              ;   in Loop: Header=BB88_6 Depth=1
	v_cmp_ge_u32_e32 vcc, s92, v1
	s_and_saveexec_b64 s[2:3], vcc
	s_xor_b64 s[2:3], exec, s[2:3]
	s_cbranch_execz .LBB88_353
; %bb.349:                              ;   in Loop: Header=BB88_6 Depth=1
	ds_read_b32 v2, v9 offset:4096
	v_and_b32_e32 v3, s84, v24
	v_lshl_or_b32 v24, 1, s13, v3
	v_or_b32_e32 v33, s15, v33
	s_waitcnt lgkmcnt(0)
	v_cmp_ne_u32_e32 vcc, 0, v2
	s_cbranch_vccnz .LBB88_353
; %bb.350:                              ;   in Loop: Header=BB88_6 Depth=1
	s_mov_b64 s[48:49], exec
	v_readlane_b32 s10, v47, 21
	v_readlane_b32 s11, v47, 22
	s_and_b64 s[10:11], s[48:49], s[10:11]
	s_mov_b64 exec, s[10:11]
; %bb.351:                              ;   in Loop: Header=BB88_6 Depth=1
	v_mov_b32_e32 v2, s92
	ds_write_b32 v9, v2 offset:4100
; %bb.352:                              ;   in Loop: Header=BB88_6 Depth=1
	s_or_b64 exec, exec, s[48:49]
	s_waitcnt lgkmcnt(0)
	s_barrier
.LBB88_353:                             ;   in Loop: Header=BB88_6 Depth=1
	s_or_saveexec_b64 s[2:3], s[2:3]
	s_mov_b64 s[48:49], 0
	v_mov_b32_e32 v3, 5
	s_xor_b64 exec, exec, s[2:3]
; %bb.354:                              ;   in Loop: Header=BB88_6 Depth=1
	s_mov_b64 s[48:49], exec
	v_subrev_u32_e32 v1, s92, v1
	v_mov_b32_e32 v3, 0
; %bb.355:                              ;   in Loop: Header=BB88_6 Depth=1
	s_or_b64 exec, exec, s[2:3]
	s_and_b64 s[48:49], s[48:49], exec
	v_mov_b32_e32 v2, v1
.LBB88_356:                             ;   in Loop: Header=BB88_6 Depth=1
	s_or_b64 exec, exec, s[46:47]
	s_mov_b64 s[2:3], -1
                                        ; implicit-def: $sgpr52_sgpr53
                                        ; implicit-def: $sgpr50_sgpr51
	s_and_saveexec_b64 s[46:47], s[48:49]
	s_cbranch_execz .LBB88_397
; %bb.357:                              ;   in Loop: Header=BB88_6 Depth=1
	s_cmp_eq_u32 s14, 1
	s_cselect_b64 s[2:3], -1, 0
	v_cmp_eq_u32_e32 vcc, 1, v2
	s_and_b64 s[48:49], s[2:3], vcc
	s_mov_b64 s[2:3], -1
                                        ; implicit-def: $sgpr52_sgpr53
                                        ; implicit-def: $sgpr50_sgpr51
	s_and_saveexec_b64 s[54:55], s[48:49]
	s_cbranch_execz .LBB88_385
; %bb.358:                              ;   in Loop: Header=BB88_6 Depth=1
	ds_read_b32 v1, v9 offset:4096
	s_waitcnt lgkmcnt(0)
	s_barrier
	v_readfirstlane_b32 s10, v1
	s_and_saveexec_b64 s[2:3], s[4:5]
; %bb.359:                              ;   in Loop: Header=BB88_6 Depth=1
	ds_write_b32 v21, v9
; %bb.360:                              ;   in Loop: Header=BB88_6 Depth=1
	s_or_b64 exec, exec, s[2:3]
	v_and_b32_e32 v24, s84, v24
	v_or_b32_e32 v33, s15, v33
	s_mov_b64 s[50:51], -1
	s_mov_b64 s[52:53], 0
	s_cmp_eq_u32 s10, 0
	s_mov_b64 s[56:57], 0
	s_mov_b64 s[58:59], -1
	s_waitcnt lgkmcnt(0)
	s_barrier
                                        ; implicit-def: $vgpr14
	s_cbranch_scc1 .LBB88_372
; %bb.361:                              ;   in Loop: Header=BB88_6 Depth=1
	v_readlane_b32 s2, v47, 34
	s_add_i32 s2, s10, s2
	v_readlane_b32 s3, v47, 47
	s_mul_hi_u32 s3, s2, s3
	s_mul_i32 s3, s3, s8
	s_sub_i32 s3, s2, s3
	s_sub_i32 s11, s3, s8
	s_cmp_ge_u32 s3, s8
	s_cselect_b32 s3, s11, s3
	s_sub_i32 s11, s3, s8
	s_cmp_ge_u32 s3, s8
	s_cselect_b32 s3, s11, s3
	s_sub_i32 s11, s2, s3
	v_cmp_gt_u32_e32 vcc, s11, v0
	s_mov_b64 s[58:59], 0
                                        ; implicit-def: $vgpr14
	s_and_saveexec_b64 s[90:91], vcc
	s_cbranch_execz .LBB88_371
; %bb.362:                              ;   in Loop: Header=BB88_6 Depth=1
	v_mov_b32_e32 v1, v18
	v_mov_b32_e32 v4, v0
                                        ; implicit-def: $sgpr92_sgpr93
	s_branch .LBB88_366
.LBB88_363:                             ;   in Loop: Header=BB88_366 Depth=2
	s_or_b64 exec, exec, s[2:3]
	s_waitcnt lgkmcnt(0)
	s_barrier
	ds_read_b64 v[13:14], v9 offset:3072
	s_waitcnt lgkmcnt(0)
	s_barrier
	v_cmp_neq_f32_e32 vcc, 0, v13
	s_cbranch_vccnz .LBB88_369
; %bb.364:                              ;   in Loop: Header=BB88_366 Depth=2
	v_add_u32_e32 v4, s8, v4
	v_cmp_le_u32_e32 vcc, s11, v4
	v_add_u32_e32 v1, s85, v1
	s_mov_b64 s[2:3], 0
	s_orn2_b64 vcc, vcc, exec
.LBB88_365:                             ;   in Loop: Header=BB88_366 Depth=2
	s_and_b64 vcc, exec, vcc
	s_or_b64 s[56:57], vcc, s[56:57]
	s_andn2_b64 s[92:93], s[92:93], exec
	s_and_b64 s[2:3], s[2:3], exec
	s_or_b64 s[92:93], s[92:93], s[2:3]
	s_andn2_b64 exec, exec, s[56:57]
	s_cbranch_execz .LBB88_370
.LBB88_366:                             ;   Parent Loop BB88_6 Depth=1
                                        ; =>  This Inner Loop Header: Depth=2
	v_cmp_gt_u32_e32 vcc, s10, v4
	s_and_saveexec_b64 s[2:3], vcc
	s_cbranch_execz .LBB88_363
; %bb.367:                              ;   in Loop: Header=BB88_366 Depth=2
	ds_read_b32 v13, v1
	s_waitcnt lgkmcnt(0)
	v_cmp_lt_i32_e32 vcc, -1, v13
	v_cndmask_b32_e32 v8, -1, v32, vcc
	v_xor_b32_e32 v8, v8, v13
	v_cmp_o_f32_e32 vcc, v13, v13
	v_cndmask_b32_e32 v8, -1, v8, vcc
	v_and_b32_e32 v8, v8, v33
	v_cmp_eq_u32_e32 vcc, v8, v24
	s_and_b64 exec, exec, vcc
	s_cbranch_execz .LBB88_363
; %bb.368:                              ;   in Loop: Header=BB88_366 Depth=2
	ds_write_b64 v9, v[12:13] offset:3072
	s_branch .LBB88_363
.LBB88_369:                             ;   in Loop: Header=BB88_366 Depth=2
	s_mov_b64 vcc, -1
                                        ; implicit-def: $vgpr4
                                        ; implicit-def: $vgpr1
	s_mov_b64 s[2:3], -1
	s_branch .LBB88_365
.LBB88_370:                             ;   in Loop: Header=BB88_6 Depth=1
	s_or_b64 exec, exec, s[56:57]
	s_and_b64 s[56:57], s[92:93], exec
.LBB88_371:                             ;   in Loop: Header=BB88_6 Depth=1
	s_or_b64 exec, exec, s[90:91]
.LBB88_372:                             ;   in Loop: Header=BB88_6 Depth=1
	s_and_b64 vcc, exec, s[58:59]
	s_cbranch_vccz .LBB88_384
; %bb.373:                              ;   in Loop: Header=BB88_6 Depth=1
                                        ; implicit-def: $vgpr14
	s_mov_b64 s[50:51], exec
	v_readlane_b32 s2, v47, 48
	v_readlane_b32 s3, v47, 49
	s_and_b64 s[2:3], s[50:51], s[2:3]
	s_mov_b64 exec, s[2:3]
	s_cbranch_execz .LBB88_383
; %bb.374:                              ;   in Loop: Header=BB88_6 Depth=1
	s_mov_b64 s[52:53], 0
	v_mov_b32_e32 v8, v7
	v_mov_b32_e32 v1, v0
                                        ; implicit-def: $sgpr58_sgpr59
	s_branch .LBB88_378
.LBB88_375:                             ;   in Loop: Header=BB88_378 Depth=2
	s_or_b64 exec, exec, s[2:3]
	s_waitcnt lgkmcnt(0)
	s_barrier
	ds_read_b64 v[13:14], v9 offset:3072
	s_waitcnt lgkmcnt(0)
	s_barrier
	v_cmp_eq_f32_e32 vcc, 0, v13
	s_cbranch_vccz .LBB88_381
; %bb.376:                              ;   in Loop: Header=BB88_378 Depth=2
	v_add_u32_e32 v1, s8, v1
	v_cmp_le_u32_e32 vcc, s86, v1
	v_add_u32_e32 v8, s9, v8
	s_mov_b64 s[2:3], 0
	s_orn2_b64 s[90:91], vcc, exec
.LBB88_377:                             ;   in Loop: Header=BB88_378 Depth=2
	s_and_b64 s[10:11], exec, s[90:91]
	s_or_b64 s[52:53], s[10:11], s[52:53]
	s_andn2_b64 s[10:11], s[58:59], exec
	s_and_b64 s[2:3], s[2:3], exec
	s_or_b64 s[58:59], s[10:11], s[2:3]
	s_andn2_b64 exec, exec, s[52:53]
	s_cbranch_execz .LBB88_382
.LBB88_378:                             ;   Parent Loop BB88_6 Depth=1
                                        ; =>  This Inner Loop Header: Depth=2
	v_cmp_gt_u32_e32 vcc, s60, v1
	s_and_saveexec_b64 s[2:3], vcc
	s_cbranch_execz .LBB88_375
; %bb.379:                              ;   in Loop: Header=BB88_378 Depth=2
	v_lshlrev_b64 v[13:14], 2, v[8:9]
	v_mov_b32_e32 v4, s80
	v_add_co_u32_e32 v13, vcc, s33, v13
	v_addc_co_u32_e32 v14, vcc, v4, v14, vcc
	global_load_dword v13, v[13:14], off
	s_waitcnt vmcnt(0)
	v_cmp_lt_i32_e32 vcc, -1, v13
	v_cndmask_b32_e32 v4, -1, v32, vcc
	v_xor_b32_e32 v4, v4, v13
	v_cmp_o_f32_e32 vcc, v13, v13
	v_cndmask_b32_e32 v4, -1, v4, vcc
	v_and_b32_e32 v4, v4, v33
	v_cmp_eq_u32_e32 vcc, v4, v24
	s_and_b64 exec, exec, vcc
	s_cbranch_execz .LBB88_375
; %bb.380:                              ;   in Loop: Header=BB88_378 Depth=2
	ds_write_b64 v9, v[12:13] offset:3072
	s_branch .LBB88_375
.LBB88_381:                             ;   in Loop: Header=BB88_378 Depth=2
	s_mov_b64 s[90:91], -1
                                        ; implicit-def: $vgpr1
	s_mov_b64 s[2:3], -1
	s_branch .LBB88_377
.LBB88_382:                             ;   in Loop: Header=BB88_6 Depth=1
	s_or_b64 exec, exec, s[52:53]
	s_andn2_b64 s[2:3], s[56:57], exec
	s_and_b64 s[10:11], s[58:59], exec
	s_or_b64 s[56:57], s[2:3], s[10:11]
.LBB88_383:                             ;   in Loop: Header=BB88_6 Depth=1
	s_or_b64 exec, exec, s[50:51]
	s_mov_b64 s[50:51], 0
	s_mov_b64 s[52:53], -1
.LBB88_384:                             ;   in Loop: Header=BB88_6 Depth=1
	s_orn2_b64 s[2:3], s[56:57], exec
.LBB88_385:                             ;   in Loop: Header=BB88_6 Depth=1
	s_or_b64 exec, exec, s[54:55]
	s_mov_b64 s[56:57], 0
	s_and_saveexec_b64 s[54:55], s[2:3]
	s_cbranch_execz .LBB88_396
; %bb.386:                              ;   in Loop: Header=BB88_6 Depth=1
	s_xor_b64 s[10:11], s[48:49], -1
	v_mov_b32_e32 v3, 1
	v_mov_b32_e32 v1, 1
	s_and_saveexec_b64 s[2:3], s[10:11]
	s_cbranch_execz .LBB88_395
; %bb.387:                              ;   in Loop: Header=BB88_6 Depth=1
	v_cmp_ge_u32_e32 vcc, s14, v2
	s_and_saveexec_b64 s[10:11], vcc
	s_xor_b64 s[48:49], exec, s[10:11]
	s_cbranch_execz .LBB88_392
; %bb.388:                              ;   in Loop: Header=BB88_6 Depth=1
	ds_read_b32 v1, v9 offset:4096
	v_and_b32_e32 v24, s84, v24
	v_or_b32_e32 v33, s15, v33
	s_waitcnt lgkmcnt(0)
	v_cmp_ne_u32_e32 vcc, 0, v1
	s_cbranch_vccnz .LBB88_392
; %bb.389:                              ;   in Loop: Header=BB88_6 Depth=1
	s_mov_b64 s[56:57], exec
	v_readlane_b32 s10, v47, 21
	v_readlane_b32 s11, v47, 22
	s_and_b64 s[10:11], s[56:57], s[10:11]
	s_mov_b64 exec, s[10:11]
; %bb.390:                              ;   in Loop: Header=BB88_6 Depth=1
	v_mov_b32_e32 v1, s14
	ds_write_b32 v9, v1 offset:4100
; %bb.391:                              ;   in Loop: Header=BB88_6 Depth=1
	s_or_b64 exec, exec, s[56:57]
	s_waitcnt lgkmcnt(0)
	s_barrier
.LBB88_392:                             ;   in Loop: Header=BB88_6 Depth=1
	s_andn2_saveexec_b64 s[48:49], s[48:49]
; %bb.393:                              ;   in Loop: Header=BB88_6 Depth=1
	v_subrev_u32_e32 v2, s14, v2
; %bb.394:                              ;   in Loop: Header=BB88_6 Depth=1
	s_or_b64 exec, exec, s[48:49]
	v_mov_b32_e32 v3, 5
	v_mov_b32_e32 v1, v2
.LBB88_395:                             ;   in Loop: Header=BB88_6 Depth=1
	s_or_b64 exec, exec, s[2:3]
	s_mov_b64 s[56:57], exec
	v_mov_b32_e32 v2, v1
.LBB88_396:                             ;   in Loop: Header=BB88_6 Depth=1
	s_or_b64 exec, exec, s[54:55]
	s_orn2_b64 s[2:3], s[56:57], exec
.LBB88_397:                             ;   in Loop: Header=BB88_6 Depth=1
	s_or_b64 exec, exec, s[46:47]
	s_andn2_b64 s[10:11], s[42:43], exec
	s_and_b64 s[14:15], s[52:53], exec
	s_or_b64 s[42:43], s[10:11], s[14:15]
	s_andn2_b64 s[10:11], s[40:41], exec
	s_and_b64 s[14:15], s[50:51], exec
	s_or_b64 s[40:41], s[10:11], s[14:15]
	s_and_b64 s[48:49], s[2:3], exec
	v_mov_b32_e32 v1, v2
.LBB88_398:                             ;   in Loop: Header=BB88_6 Depth=1
	s_or_b64 exec, exec, s[44:45]
	s_orn2_b64 s[2:3], s[48:49], exec
.LBB88_399:                             ;   in Loop: Header=BB88_6 Depth=1
	s_or_b64 exec, exec, s[38:39]
	s_andn2_b64 s[10:11], s[34:35], exec
	s_and_b64 s[14:15], s[42:43], exec
	s_or_b64 s[34:35], s[10:11], s[14:15]
	s_andn2_b64 s[10:11], s[30:31], exec
	s_and_b64 s[14:15], s[40:41], exec
	s_or_b64 s[30:31], s[10:11], s[14:15]
	s_and_b64 s[40:41], s[2:3], exec
	v_mov_b32_e32 v36, v1
.LBB88_400:                             ;   in Loop: Header=BB88_6 Depth=1
	s_or_b64 exec, exec, s[36:37]
	s_orn2_b64 s[2:3], s[40:41], exec
.LBB88_401:                             ;   in Loop: Header=BB88_6 Depth=1
	s_or_b64 exec, exec, s[6:7]
	s_mov_b64 s[6:7], s[26:27]
	s_mov_b64 s[36:37], s[24:25]
	s_and_saveexec_b64 s[38:39], s[2:3]
; %bb.402:                              ;   in Loop: Header=BB88_6 Depth=1
	v_cmp_ne_u32_e64 s[6:7], 5, v3
	v_cmp_eq_u32_e32 vcc, 5, v3
	s_andn2_b64 s[2:3], s[24:25], exec
	s_and_b64 s[6:7], s[6:7], exec
	s_or_b64 s[36:37], s[2:3], s[6:7]
	s_andn2_b64 s[2:3], s[26:27], exec
	s_and_b64 s[6:7], vcc, exec
	s_or_b64 s[6:7], s[2:3], s[6:7]
; %bb.403:                              ;   in Loop: Header=BB88_6 Depth=1
	s_or_b64 exec, exec, s[38:39]
	s_andn2_b64 s[2:3], s[18:19], exec
	s_and_b64 s[10:11], s[34:35], exec
	s_or_b64 s[18:19], s[2:3], s[10:11]
	s_andn2_b64 s[2:3], s[22:23], exec
	s_and_b64 s[10:11], s[30:31], exec
	s_or_b64 s[22:23], s[2:3], s[10:11]
	;; [unrolled: 3-line block ×4, first 2 shown]
.LBB88_404:                             ;   in Loop: Header=BB88_6 Depth=1
	s_or_b64 exec, exec, s[28:29]
	s_mov_b64 s[28:29], 0
	s_mov_b64 s[30:31], 0
	s_and_saveexec_b64 s[2:3], s[26:27]
.LBB88_405:                             ;   in Loop: Header=BB88_6 Depth=1
	v_mov_b32_e32 v3, 0
	s_or_b64 s[24:25], s[24:25], exec
.LBB88_406:                             ;   in Loop: Header=BB88_6 Depth=1
	s_or_b64 exec, exec, s[2:3]
	s_andn2_b64 s[2:3], s[78:79], exec
	s_and_b64 s[10:11], s[18:19], exec
	s_or_b64 s[78:79], s[2:3], s[10:11]
	s_andn2_b64 s[2:3], s[76:77], exec
	s_and_b64 s[10:11], s[22:23], exec
	s_or_b64 s[76:77], s[2:3], s[10:11]
	;; [unrolled: 3-line block ×3, first 2 shown]
	s_andn2_b64 s[2:3], s[70:71], exec
	s_and_b64 s[10:11], s[28:29], exec
	s_mov_b64 s[6:7], -1
	s_andn2_b64 s[88:89], s[88:89], exec
	s_or_b64 s[70:71], s[2:3], s[10:11]
	v_mov_b32_e32 v34, v36
	s_and_saveexec_b64 s[2:3], s[24:25]
	s_xor_b64 s[2:3], exec, s[2:3]
	s_cbranch_execz .LBB88_5
; %bb.407:                              ;   in Loop: Header=BB88_6 Depth=1
	v_cmp_eq_u32_e32 vcc, 0, v3
	s_mov_b64 s[18:19], -1
	s_and_saveexec_b64 s[22:23], vcc
	s_cbranch_execz .LBB88_4
; %bb.408:                              ;   in Loop: Header=BB88_6 Depth=1
	s_xor_b32 s81, s81, 1
	s_add_i32 s10, s13, -2
	s_cmp_eq_u32 s13, 0
	s_cselect_b64 s[6:7], -1, 0
	s_xor_b64 s[18:19], exec, -1
	s_orn2_b64 s[6:7], s[6:7], exec
	s_mov_b32 s13, s10
	s_branch .LBB88_4
.LBB88_409:
	s_or_b64 exec, exec, s[94:95]
	s_xor_b64 s[6:7], s[68:69], -1
	s_xor_b64 s[18:19], s[66:67], -1
	;; [unrolled: 1-line block ×5, first 2 shown]
	s_mov_b64 s[12:13], 0
	s_and_saveexec_b64 s[10:11], s[4:5]
	s_xor_b64 s[10:11], exec, s[10:11]
	s_cbranch_execnz .LBB88_414
; %bb.410:
	s_andn2_saveexec_b64 s[0:1], s[10:11]
	s_cbranch_execnz .LBB88_433
.LBB88_411:
	s_or_b64 exec, exec, s[0:1]
	s_and_saveexec_b64 s[0:1], s[12:13]
.LBB88_412:
	; divergent unreachable
.LBB88_413:
	s_endpgm
.LBB88_414:
	s_mov_b64 s[14:15], 0
	s_and_saveexec_b64 s[4:5], s[16:17]
	s_xor_b64 s[12:13], exec, s[4:5]
	s_cbranch_execz .LBB88_431
; %bb.415:
	s_mov_b64 s[16:17], 0
	s_and_saveexec_b64 s[4:5], s[18:19]
	s_xor_b64 s[14:15], exec, s[4:5]
	s_cbranch_execz .LBB88_429
; %bb.416:
	;; [unrolled: 5-line block ×3, first 2 shown]
	s_and_saveexec_b64 s[4:5], s[2:3]
	s_xor_b64 s[2:3], exec, s[4:5]
; %bb.418:
	v_bfrev_b32_e32 v1, 1
	v_cmp_lt_i32_e32 vcc, -1, v24
	v_cndmask_b32_e64 v1, v1, -1, vcc
	v_xor_b32_e32 v14, v1, v24
; %bb.419:
	s_or_b64 exec, exec, s[2:3]
	s_mov_b64 s[2:3], exec
	v_readlane_b32 s4, v47, 21
	v_readlane_b32 s5, v47, 22
	;; [unrolled: 1-line block ×4, first 2 shown]
	s_and_b64 s[4:5], s[2:3], s[4:5]
	v_readlane_b32 s19, v47, 29
	v_readlane_b32 s43, v47, 25
	s_mov_b64 exec, s[4:5]
; %bb.420:
	v_mov_b32_e32 v1, 0
	ds_write_b32 v1, v1 offset:4108
; %bb.421:
	s_or_b64 exec, exec, s[2:3]
	v_mov_b32_e32 v4, 0
	s_waitcnt lgkmcnt(0)
	s_barrier
	s_mov_b64 s[2:3], exec
	v_readlane_b32 s4, v47, 30
	v_readlane_b32 s5, v47, 31
	s_and_b64 s[4:5], s[2:3], s[4:5]
	s_mov_b64 exec, s[4:5]
	s_cbranch_execz .LBB88_423
; %bb.422:
	global_load_dword v4, v[5:6], off
.LBB88_423:
	s_or_b64 exec, exec, s[2:3]
	v_readlane_b32 s24, v47, 13
	v_readlane_b32 s25, v47, 14
	;; [unrolled: 1-line block ×3, first 2 shown]
	s_mul_i32 s2, s7, s25
	v_readlane_b32 s6, v47, 23
	v_readlane_b32 s20, v47, 6
	s_sub_i32 s2, s6, s2
	v_readlane_b32 s22, v47, 8
	s_mul_i32 s2, s2, s22
	v_readlane_b32 s22, v47, 16
	s_mul_i32 s3, s22, s24
	s_add_i32 s34, s60, 63
	s_sub_i32 s3, s7, s3
	s_andn2_b32 s34, s34, 63
	s_add_i32 s4, s22, 1
	s_sub_i32 s5, s3, s24
	s_cmp_ge_u32 s3, s24
	s_cselect_b32 s4, s4, s22
	s_cselect_b32 s3, s5, s3
	s_add_i32 s5, s4, 1
	s_cmp_ge_u32 s3, s24
	s_cselect_b32 s3, s5, s4
	s_mul_i32 s4, s3, s24
	v_readlane_b32 s21, v47, 7
	s_sub_i32 s4, s7, s4
	v_readlane_b32 s23, v47, 9
	s_mul_i32 s4, s4, s21
	v_readlane_b32 s24, v47, 17
	s_add_i32 s2, s4, s2
	s_mul_i32 s3, s3, s20
	v_readlane_b32 s25, v47, 18
	v_readlane_b32 s23, v47, 19
	s_add_i32 s2, s2, s3
	s_mul_i32 s3, s23, s25
	s_sub_i32 s3, s6, s3
	v_readlane_b32 s4, v47, 0
	v_readlane_b32 s6, v47, 2
	;; [unrolled: 1-line block ×4, first 2 shown]
	s_mov_b32 s22, s6
	v_readlane_b32 s7, v47, 20
	s_mov_b64 s[20:21], s[4:5]
	s_mul_i32 s4, s7, s24
	s_sub_i32 s4, s23, s4
	s_add_i32 s5, s7, 1
	s_sub_i32 s6, s4, s24
	s_cmp_ge_u32 s4, s24
	s_cselect_b32 s5, s5, s7
	s_cselect_b32 s4, s6, s4
	s_add_i32 s6, s5, 1
	s_cmp_ge_u32 s4, s24
	s_cselect_b32 s4, s6, s5
	s_mul_i32 s5, s4, s24
	s_sub_i32 s5, s23, s5
	s_mul_i32 s3, s3, s22
	s_mul_i32 s5, s5, s21
	s_add_i32 s3, s5, s3
	s_mul_i32 s4, s4, s20
	s_add_i32 s4, s3, s4
	s_mov_b32 s3, 0
	s_lshl_b64 s[6:7], s[2:3], 2
	v_readlane_b32 s20, v47, 10
	s_load_dword s39, s[18:19], 0x1c8
	s_load_dword s40, s[18:19], 0x2a8
	v_bfrev_b32_e32 v8, 1
	v_cmp_lt_i32_e32 vcc, -1, v14
	v_readlane_b32 s21, v47, 11
	s_add_u32 s35, s20, s6
	s_mov_b32 s5, s3
	v_cndmask_b32_e32 v1, -1, v8, vcc
	s_addc_u32 s36, s21, s7
	s_lshl_b64 s[2:3], s[4:5], 3
	v_readlane_b32 s4, v47, 4
	v_xor_b32_e32 v1, v1, v14
	v_cmp_o_f32_e32 vcc, v14, v14
	v_readlane_b32 s5, v47, 5
	s_add_u32 s37, s4, s2
	v_cndmask_b32_e32 v7, -1, v1, vcc
	s_addc_u32 s38, s5, s3
	v_cmp_gt_u32_e32 vcc, s34, v0
	s_mov_b64 s[2:3], -1
	s_mov_b64 s[30:31], 0
	s_mov_b64 s[4:5], 0
	s_and_saveexec_b64 s[18:19], vcc
	s_cbranch_execnz .LBB88_434
; %bb.424:
	s_or_b64 exec, exec, s[18:19]
	s_and_saveexec_b64 s[6:7], s[2:3]
	s_cbranch_execnz .LBB88_451
.LBB88_425:
	s_or_b64 exec, exec, s[6:7]
	s_and_saveexec_b64 s[0:1], s[4:5]
	s_xor_b64 s[0:1], exec, s[0:1]
	s_cbranch_execnz .LBB88_474
.LBB88_426:
	s_or_b64 exec, exec, s[0:1]
	s_and_b64 s[18:19], s[30:31], exec
.LBB88_427:
	s_andn2_saveexec_b64 s[0:1], s[16:17]
	s_cbranch_execnz .LBB88_476
.LBB88_428:
	s_or_b64 exec, exec, s[0:1]
	s_and_b64 s[16:17], s[18:19], exec
.LBB88_429:
	s_andn2_saveexec_b64 s[0:1], s[14:15]
	s_cbranch_execnz .LBB88_475
.LBB88_430:
	s_or_b64 exec, exec, s[0:1]
	s_and_b64 s[14:15], s[16:17], exec
.LBB88_431:
	s_andn2_saveexec_b64 s[0:1], s[12:13]
	s_cbranch_execnz .LBB88_470
.LBB88_432:
	s_or_b64 exec, exec, s[0:1]
	s_and_b64 s[12:13], s[14:15], exec
	s_andn2_saveexec_b64 s[0:1], s[10:11]
	s_cbranch_execz .LBB88_411
.LBB88_433:
	s_or_b64 s[12:13], s[12:13], exec
	s_trap 2
	s_or_b64 exec, exec, s[0:1]
	s_and_saveexec_b64 s[0:1], s[12:13]
	s_cbranch_execnz .LBB88_412
	s_branch .LBB88_413
.LBB88_434:
	v_add_u32_e32 v1, s8, v0
	v_readlane_b32 s2, v47, 12
	v_mul_lo_u32 v1, s2, v1
	s_mov_b64 s[20:21], 0
	v_mov_b32_e32 v2, 0
	v_mov_b32_e32 v3, v0
                                        ; implicit-def: $sgpr22_sgpr23
                                        ; implicit-def: $vgpr10
	s_branch .LBB88_436
.LBB88_435:                             ;   in Loop: Header=BB88_436 Depth=1
	s_or_b64 exec, exec, s[24:25]
	s_xor_b64 s[4:5], s[6:7], -1
	s_and_b64 s[2:3], exec, s[2:3]
	s_or_b64 s[20:21], s[2:3], s[20:21]
	s_andn2_b64 s[2:3], s[22:23], exec
	s_and_b64 s[4:5], s[4:5], exec
	s_or_b64 s[22:23], s[2:3], s[4:5]
	s_waitcnt vmcnt(0)
	v_mov_b32_e32 v4, v11
	v_mov_b32_e32 v3, v9
	s_andn2_b64 exec, exec, s[20:21]
	s_cbranch_execz .LBB88_450
.LBB88_436:                             ; =>This Inner Loop Header: Depth=1
	v_add_u32_e32 v9, s8, v3
	v_cmp_gt_u32_e64 s[4:5], s60, v9
	v_mov_b32_e32 v11, 0
	s_and_saveexec_b64 s[2:3], s[4:5]
	s_cbranch_execz .LBB88_438
; %bb.437:                              ;   in Loop: Header=BB88_436 Depth=1
	v_lshlrev_b64 v[11:12], 2, v[1:2]
	v_mov_b32_e32 v13, s80
	v_add_co_u32_e64 v11, s[4:5], s33, v11
	v_addc_co_u32_e64 v12, s[4:5], v13, v12, s[4:5]
	global_load_dword v11, v[11:12], off
.LBB88_438:                             ;   in Loop: Header=BB88_436 Depth=1
	s_or_b64 exec, exec, s[2:3]
	v_cmp_gt_u32_e64 s[4:5], s60, v3
	s_mov_b64 s[24:25], 0
	s_and_saveexec_b64 s[2:3], s[4:5]
	s_cbranch_execz .LBB88_440
; %bb.439:                              ;   in Loop: Header=BB88_436 Depth=1
	s_waitcnt vmcnt(0)
	v_cmp_lt_i32_e64 s[4:5], -1, v4
	v_cndmask_b32_e64 v12, -1, v8, s[4:5]
	v_xor_b32_e32 v12, v12, v4
	v_cmp_o_f32_e64 s[4:5], v4, v4
	v_cndmask_b32_e64 v12, -1, v12, s[4:5]
	v_cmp_gt_u32_e64 s[4:5], v12, v7
	v_cndmask_b32_e64 v13, 0, 1, s[4:5]
	v_cmp_lt_u32_e64 s[4:5], v12, v7
	v_cndmask_b32_e64 v12, 0, 1, s[4:5]
	v_cndmask_b32_e64 v12, v12, v13, s[42:43]
	v_and_b32_e32 v12, 1, v12
	v_cmp_eq_u32_e64 s[4:5], 1, v12
	s_and_b64 s[24:25], s[4:5], exec
.LBB88_440:                             ;   in Loop: Header=BB88_436 Depth=1
	s_or_b64 exec, exec, s[2:3]
	v_cndmask_b32_e64 v12, 0, 1, s[24:25]
	v_cmp_ne_u32_e64 s[4:5], 0, v12
	s_cmp_lg_u64 s[4:5], 0
	s_cselect_b64 s[2:3], -1, 0
	s_and_b64 s[6:7], s[0:1], s[2:3]
	s_and_saveexec_b64 s[2:3], s[6:7]
	s_cbranch_execz .LBB88_444
; %bb.441:                              ;   in Loop: Header=BB88_436 Depth=1
	s_mov_b64 s[28:29], exec
	s_waitcnt lgkmcnt(0)
	v_mbcnt_lo_u32_b32 v10, s28, 0
	v_mbcnt_hi_u32_b32 v10, s29, v10
	s_bcnt1_i32_b64 s41, s[4:5]
	v_cmp_eq_u32_e64 s[6:7], 0, v10
                                        ; implicit-def: $vgpr12
	s_and_saveexec_b64 s[26:27], s[6:7]
; %bb.442:                              ;   in Loop: Header=BB88_436 Depth=1
	s_bcnt1_i32_b64 s6, s[28:29]
	s_mul_i32 s6, s41, s6
	v_mov_b32_e32 v12, s6
	ds_add_rtn_u32 v12, v2, v12 offset:4108
; %bb.443:                              ;   in Loop: Header=BB88_436 Depth=1
	s_or_b64 exec, exec, s[26:27]
	s_waitcnt lgkmcnt(0)
	v_readfirstlane_b32 s6, v12
	v_mov_b32_e32 v12, s6
	v_mad_u32_u24 v10, s41, v10, v12
.LBB88_444:                             ;   in Loop: Header=BB88_436 Depth=1
	s_or_b64 exec, exec, s[2:3]
	s_waitcnt lgkmcnt(0)
	ds_bpermute_b32 v10, v15, v10
	s_mov_b64 s[2:3], -1
	s_mov_b64 s[26:27], -1
	s_and_saveexec_b64 s[6:7], s[24:25]
	s_cbranch_execz .LBB88_448
; %bb.445:                              ;   in Loop: Header=BB88_436 Depth=1
	v_and_b32_e32 v13, s4, v17
	v_and_b32_e32 v12, s5, v16
	v_bcnt_u32_b32 v13, v13, 0
	v_bcnt_u32_b32 v12, v12, v13
	s_waitcnt lgkmcnt(0)
	v_add_u32_e32 v12, v10, v12
	v_cmp_gt_u32_e64 s[4:5], s61, v12
	s_mov_b64 s[24:25], 0
	s_and_saveexec_b64 s[26:27], s[4:5]
	s_cbranch_execz .LBB88_447
; %bb.446:                              ;   in Loop: Header=BB88_436 Depth=1
	v_mul_lo_u32 v13, v12, s39
	v_mov_b32_e32 v14, v2
	v_mul_lo_u32 v12, v12, s40
	v_mov_b32_e32 v18, s36
	v_lshlrev_b64 v[13:14], 2, v[13:14]
	s_mov_b64 s[24:25], exec
	v_add_co_u32_e64 v13, s[4:5], s35, v13
	v_addc_co_u32_e64 v14, s[4:5], v18, v14, s[4:5]
	s_waitcnt vmcnt(0)
	global_store_dword v[13:14], v4, off
	v_mov_b32_e32 v13, v2
	v_lshlrev_b64 v[12:13], 3, v[12:13]
	v_mov_b32_e32 v14, s38
	v_add_co_u32_e64 v12, s[4:5], s37, v12
	v_mov_b32_e32 v4, v2
	v_addc_co_u32_e64 v13, s[4:5], v14, v13, s[4:5]
	global_store_dwordx2 v[12:13], v[3:4], off
.LBB88_447:                             ;   in Loop: Header=BB88_436 Depth=1
	s_or_b64 exec, exec, s[26:27]
	s_orn2_b64 s[26:27], s[24:25], exec
.LBB88_448:                             ;   in Loop: Header=BB88_436 Depth=1
	s_or_b64 exec, exec, s[6:7]
	s_mov_b64 s[6:7], -1
	s_and_saveexec_b64 s[24:25], s[26:27]
	s_cbranch_execz .LBB88_435
; %bb.449:                              ;   in Loop: Header=BB88_436 Depth=1
	v_cmp_le_u32_e64 s[4:5], s34, v9
	v_add_u32_e32 v1, s9, v1
	s_xor_b64 s[6:7], exec, -1
	s_orn2_b64 s[2:3], s[4:5], exec
	s_branch .LBB88_435
.LBB88_450:
	s_or_b64 exec, exec, s[20:21]
	s_mov_b64 s[4:5], exec
	s_orn2_b64 s[2:3], s[22:23], exec
	s_or_b64 exec, exec, s[18:19]
	s_and_saveexec_b64 s[6:7], s[2:3]
	s_cbranch_execz .LBB88_425
.LBB88_451:
	v_mov_b32_e32 v1, 0
	s_waitcnt vmcnt(0) lgkmcnt(0)
	s_barrier
	s_mov_b64 s[2:3], exec
	v_readlane_b32 s18, v47, 30
	v_readlane_b32 s19, v47, 31
	s_and_b64 s[18:19], s[2:3], s[18:19]
	s_mov_b64 exec, s[18:19]
	s_cbranch_execz .LBB88_453
; %bb.452:
	global_load_dword v1, v[5:6], off
.LBB88_453:
	s_or_b64 exec, exec, s[2:3]
	s_mov_b64 s[2:3], 0
	s_and_saveexec_b64 s[30:31], vcc
	s_cbranch_execz .LBB88_473
; %bb.454:
	v_add_u32_e32 v2, s8, v0
	v_readlane_b32 s2, v47, 12
	v_mul_lo_u32 v2, s2, v2
	s_mov_b64 s[18:19], 0
	v_mov_b32_e32 v3, 0
	v_bfrev_b32_e32 v4, 1
                                        ; implicit-def: $sgpr20_sgpr21
                                        ; implicit-def: $vgpr6
	s_branch .LBB88_457
.LBB88_455:                             ;   in Loop: Header=BB88_457 Depth=1
	s_or_b64 exec, exec, s[24:25]
	s_orn2_b64 s[26:27], s[28:29], exec
	s_orn2_b64 s[24:25], s[22:23], exec
.LBB88_456:                             ;   in Loop: Header=BB88_457 Depth=1
	s_or_b64 exec, exec, s[2:3]
	s_xor_b64 s[2:3], s[26:27], -1
	s_and_b64 s[22:23], exec, s[24:25]
	s_or_b64 s[18:19], s[22:23], s[18:19]
	s_andn2_b64 s[20:21], s[20:21], exec
	s_and_b64 s[2:3], s[2:3], exec
	s_or_b64 s[20:21], s[20:21], s[2:3]
	v_mov_b32_e32 v0, v5
	v_mov_b32_e32 v1, v8
	s_andn2_b64 exec, exec, s[18:19]
	s_cbranch_execz .LBB88_471
.LBB88_457:                             ; =>This Inner Loop Header: Depth=1
	v_add_u32_e32 v5, s8, v0
	v_cmp_gt_u32_e32 vcc, s60, v5
	v_mov_b32_e32 v8, 0
	s_and_saveexec_b64 s[2:3], vcc
	s_cbranch_execz .LBB88_459
; %bb.458:                              ;   in Loop: Header=BB88_457 Depth=1
	v_lshlrev_b64 v[8:9], 2, v[2:3]
	v_mov_b32_e32 v10, s80
	v_add_co_u32_e32 v8, vcc, s33, v8
	v_addc_co_u32_e32 v9, vcc, v10, v9, vcc
	global_load_dword v8, v[8:9], off
.LBB88_459:                             ;   in Loop: Header=BB88_457 Depth=1
	s_or_b64 exec, exec, s[2:3]
	s_waitcnt vmcnt(0)
	v_cmp_lt_i32_e64 s[2:3], -1, v1
	v_cndmask_b32_e64 v9, -1, v4, s[2:3]
	v_xor_b32_e32 v9, v9, v1
	v_cmp_o_f32_e64 s[2:3], v1, v1
	v_cndmask_b32_e64 v9, -1, v9, s[2:3]
	v_cmp_gt_u32_e32 vcc, s60, v0
	v_cmp_eq_u32_e64 s[2:3], v9, v7
	s_and_b64 s[22:23], vcc, s[2:3]
	v_cndmask_b32_e64 v9, 0, 1, s[22:23]
	v_cmp_ne_u32_e32 vcc, 0, v9
	s_cmp_lg_u64 vcc, 0
	s_cselect_b64 s[2:3], -1, 0
	s_and_b64 s[2:3], s[0:1], s[2:3]
	s_and_saveexec_b64 s[24:25], s[2:3]
	s_cbranch_execz .LBB88_463
; %bb.460:                              ;   in Loop: Header=BB88_457 Depth=1
	s_mov_b64 s[28:29], exec
	v_mbcnt_lo_u32_b32 v6, s28, 0
	v_mbcnt_hi_u32_b32 v6, s29, v6
	s_bcnt1_i32_b64 s41, vcc
	v_cmp_eq_u32_e64 s[2:3], 0, v6
                                        ; implicit-def: $vgpr9
	s_and_saveexec_b64 s[26:27], s[2:3]
; %bb.461:                              ;   in Loop: Header=BB88_457 Depth=1
	s_bcnt1_i32_b64 s2, s[28:29]
	s_mul_i32 s2, s41, s2
	v_mov_b32_e32 v9, s2
	ds_add_rtn_u32 v9, v3, v9 offset:4108
; %bb.462:                              ;   in Loop: Header=BB88_457 Depth=1
	s_or_b64 exec, exec, s[26:27]
	s_waitcnt lgkmcnt(0)
	v_readfirstlane_b32 s2, v9
	v_mov_b32_e32 v9, s2
	v_mad_u32_u24 v6, s41, v6, v9
.LBB88_463:                             ;   in Loop: Header=BB88_457 Depth=1
	s_or_b64 exec, exec, s[24:25]
	ds_bpermute_b32 v6, v15, v6
	s_cmp_eq_u64 vcc, 0
	s_cselect_b64 s[26:27], -1, 0
	s_mov_b64 s[24:25], -1
	s_waitcnt lgkmcnt(0)
	v_cmp_gt_u32_e64 s[2:3], s61, v6
	s_or_b64 s[28:29], s[26:27], s[2:3]
	s_mov_b64 s[26:27], -1
	s_and_saveexec_b64 s[2:3], s[28:29]
	s_cbranch_execz .LBB88_456
; %bb.464:                              ;   in Loop: Header=BB88_457 Depth=1
	v_and_b32_e32 v10, vcc_lo, v17
	v_and_b32_e32 v9, vcc_hi, v16
	v_bcnt_u32_b32 v10, v10, 0
	v_bcnt_u32_b32 v9, v9, v10
	v_sub_u32_e32 v10, s61, v6
	v_cmp_gt_u32_e32 vcc, v10, v9
	s_and_b64 s[42:43], s[22:23], vcc
	s_mov_b64 s[22:23], -1
	s_mov_b64 s[28:29], -1
	s_and_saveexec_b64 s[24:25], s[42:43]
	s_cbranch_execz .LBB88_468
; %bb.465:                              ;   in Loop: Header=BB88_457 Depth=1
	v_add_u32_e32 v9, v6, v9
	v_cmp_gt_u32_e32 vcc, s61, v9
	s_mov_b64 s[26:27], 0
	s_and_saveexec_b64 s[28:29], vcc
; %bb.466:                              ;   in Loop: Header=BB88_457 Depth=1
	v_mul_lo_u32 v10, v9, s39
	v_mov_b32_e32 v11, v3
	v_mul_lo_u32 v9, v9, s40
	v_mov_b32_e32 v12, s36
	v_lshlrev_b64 v[10:11], 2, v[10:11]
	s_mov_b64 s[26:27], exec
	v_add_co_u32_e32 v10, vcc, s35, v10
	v_addc_co_u32_e32 v11, vcc, v12, v11, vcc
	global_store_dword v[10:11], v1, off
	v_mov_b32_e32 v10, v3
	v_lshlrev_b64 v[9:10], 3, v[9:10]
	v_mov_b32_e32 v11, s38
	v_add_co_u32_e32 v9, vcc, s37, v9
	v_mov_b32_e32 v1, v3
	v_addc_co_u32_e32 v10, vcc, v11, v10, vcc
	global_store_dwordx2 v[9:10], v[0:1], off
; %bb.467:                              ;   in Loop: Header=BB88_457 Depth=1
	s_or_b64 exec, exec, s[28:29]
	s_xor_b64 s[28:29], exec, -1
	s_orn2_b64 s[26:27], s[26:27], exec
.LBB88_468:                             ;   in Loop: Header=BB88_457 Depth=1
	s_or_b64 exec, exec, s[24:25]
	s_and_saveexec_b64 s[24:25], s[26:27]
	s_cbranch_execz .LBB88_455
; %bb.469:                              ;   in Loop: Header=BB88_457 Depth=1
	v_cmp_le_u32_e32 vcc, s34, v5
	v_add_u32_e32 v2, s9, v2
	s_or_b64 s[28:29], s[28:29], exec
	s_orn2_b64 s[22:23], vcc, exec
	s_branch .LBB88_455
.LBB88_470:
	s_or_b64 s[14:15], s[14:15], exec
	s_trap 2
	s_branch .LBB88_432
.LBB88_471:
	s_or_b64 exec, exec, s[18:19]
	s_mov_b64 s[0:1], 0
	s_and_saveexec_b64 s[2:3], s[20:21]
	s_xor_b64 s[2:3], exec, s[2:3]
	s_cbranch_execnz .LBB88_477
.LBB88_472:
	s_or_b64 exec, exec, s[2:3]
	s_and_b64 s[2:3], s[0:1], exec
.LBB88_473:
	s_or_b64 exec, exec, s[30:31]
	s_and_b64 s[30:31], s[2:3], exec
	s_andn2_b64 s[4:5], s[4:5], exec
	s_or_b64 exec, exec, s[6:7]
	s_and_saveexec_b64 s[0:1], s[4:5]
	s_xor_b64 s[0:1], exec, s[0:1]
	s_cbranch_execz .LBB88_426
.LBB88_474:
	s_trap 2
	s_or_b64 s[30:31], s[30:31], exec
	s_branch .LBB88_426
.LBB88_475:
	s_or_b64 s[16:17], s[16:17], exec
	s_trap 2
	s_branch .LBB88_430
.LBB88_476:
	s_trap 2
	s_or_b64 s[18:19], s[18:19], exec
	s_branch .LBB88_428
.LBB88_477:
	s_mov_b64 s[0:1], exec
	s_trap 2
	s_branch .LBB88_472
	.section	.rodata,"a",@progbits
	.p2align	6, 0x0
	.amdhsa_kernel _ZN2at6native6sbtopk10gatherTopKIfjLi3ELb0EEEvNS_4cuda6detail10TensorInfoIKT_T0_EES8_S8_bS8_S8_NS5_IS6_S8_EES8_NS5_IlS8_EES8_PS6_
		.amdhsa_group_segment_fixed_size 4112
		.amdhsa_private_segment_fixed_size 0
		.amdhsa_kernarg_size 952
		.amdhsa_user_sgpr_count 6
		.amdhsa_user_sgpr_private_segment_buffer 1
		.amdhsa_user_sgpr_dispatch_ptr 0
		.amdhsa_user_sgpr_queue_ptr 0
		.amdhsa_user_sgpr_kernarg_segment_ptr 1
		.amdhsa_user_sgpr_dispatch_id 0
		.amdhsa_user_sgpr_flat_scratch_init 0
		.amdhsa_user_sgpr_private_segment_size 0
		.amdhsa_uses_dynamic_stack 0
		.amdhsa_system_sgpr_private_segment_wavefront_offset 0
		.amdhsa_system_sgpr_workgroup_id_x 1
		.amdhsa_system_sgpr_workgroup_id_y 1
		.amdhsa_system_sgpr_workgroup_id_z 1
		.amdhsa_system_sgpr_workgroup_info 0
		.amdhsa_system_vgpr_workitem_id 0
		.amdhsa_next_free_vgpr 48
		.amdhsa_next_free_sgpr 96
		.amdhsa_reserve_vcc 1
		.amdhsa_reserve_flat_scratch 0
		.amdhsa_float_round_mode_32 0
		.amdhsa_float_round_mode_16_64 0
		.amdhsa_float_denorm_mode_32 3
		.amdhsa_float_denorm_mode_16_64 3
		.amdhsa_dx10_clamp 1
		.amdhsa_ieee_mode 1
		.amdhsa_fp16_overflow 0
		.amdhsa_exception_fp_ieee_invalid_op 0
		.amdhsa_exception_fp_denorm_src 0
		.amdhsa_exception_fp_ieee_div_zero 0
		.amdhsa_exception_fp_ieee_overflow 0
		.amdhsa_exception_fp_ieee_underflow 0
		.amdhsa_exception_fp_ieee_inexact 0
		.amdhsa_exception_int_div_zero 0
	.end_amdhsa_kernel
	.section	.text._ZN2at6native6sbtopk10gatherTopKIfjLi3ELb0EEEvNS_4cuda6detail10TensorInfoIKT_T0_EES8_S8_bS8_S8_NS5_IS6_S8_EES8_NS5_IlS8_EES8_PS6_,"axG",@progbits,_ZN2at6native6sbtopk10gatherTopKIfjLi3ELb0EEEvNS_4cuda6detail10TensorInfoIKT_T0_EES8_S8_bS8_S8_NS5_IS6_S8_EES8_NS5_IlS8_EES8_PS6_,comdat
.Lfunc_end88:
	.size	_ZN2at6native6sbtopk10gatherTopKIfjLi3ELb0EEEvNS_4cuda6detail10TensorInfoIKT_T0_EES8_S8_bS8_S8_NS5_IS6_S8_EES8_NS5_IlS8_EES8_PS6_, .Lfunc_end88-_ZN2at6native6sbtopk10gatherTopKIfjLi3ELb0EEEvNS_4cuda6detail10TensorInfoIKT_T0_EES8_S8_bS8_S8_NS5_IS6_S8_EES8_NS5_IlS8_EES8_PS6_
                                        ; -- End function
	.set _ZN2at6native6sbtopk10gatherTopKIfjLi3ELb0EEEvNS_4cuda6detail10TensorInfoIKT_T0_EES8_S8_bS8_S8_NS5_IS6_S8_EES8_NS5_IlS8_EES8_PS6_.num_vgpr, 48
	.set _ZN2at6native6sbtopk10gatherTopKIfjLi3ELb0EEEvNS_4cuda6detail10TensorInfoIKT_T0_EES8_S8_bS8_S8_NS5_IS6_S8_EES8_NS5_IlS8_EES8_PS6_.num_agpr, 0
	.set _ZN2at6native6sbtopk10gatherTopKIfjLi3ELb0EEEvNS_4cuda6detail10TensorInfoIKT_T0_EES8_S8_bS8_S8_NS5_IS6_S8_EES8_NS5_IlS8_EES8_PS6_.numbered_sgpr, 96
	.set _ZN2at6native6sbtopk10gatherTopKIfjLi3ELb0EEEvNS_4cuda6detail10TensorInfoIKT_T0_EES8_S8_bS8_S8_NS5_IS6_S8_EES8_NS5_IlS8_EES8_PS6_.num_named_barrier, 0
	.set _ZN2at6native6sbtopk10gatherTopKIfjLi3ELb0EEEvNS_4cuda6detail10TensorInfoIKT_T0_EES8_S8_bS8_S8_NS5_IS6_S8_EES8_NS5_IlS8_EES8_PS6_.private_seg_size, 0
	.set _ZN2at6native6sbtopk10gatherTopKIfjLi3ELb0EEEvNS_4cuda6detail10TensorInfoIKT_T0_EES8_S8_bS8_S8_NS5_IS6_S8_EES8_NS5_IlS8_EES8_PS6_.uses_vcc, 1
	.set _ZN2at6native6sbtopk10gatherTopKIfjLi3ELb0EEEvNS_4cuda6detail10TensorInfoIKT_T0_EES8_S8_bS8_S8_NS5_IS6_S8_EES8_NS5_IlS8_EES8_PS6_.uses_flat_scratch, 0
	.set _ZN2at6native6sbtopk10gatherTopKIfjLi3ELb0EEEvNS_4cuda6detail10TensorInfoIKT_T0_EES8_S8_bS8_S8_NS5_IS6_S8_EES8_NS5_IlS8_EES8_PS6_.has_dyn_sized_stack, 0
	.set _ZN2at6native6sbtopk10gatherTopKIfjLi3ELb0EEEvNS_4cuda6detail10TensorInfoIKT_T0_EES8_S8_bS8_S8_NS5_IS6_S8_EES8_NS5_IlS8_EES8_PS6_.has_recursion, 0
	.set _ZN2at6native6sbtopk10gatherTopKIfjLi3ELb0EEEvNS_4cuda6detail10TensorInfoIKT_T0_EES8_S8_bS8_S8_NS5_IS6_S8_EES8_NS5_IlS8_EES8_PS6_.has_indirect_call, 0
	.section	.AMDGPU.csdata,"",@progbits
; Kernel info:
; codeLenInByte = 15540
; TotalNumSgprs: 100
; NumVgprs: 48
; ScratchSize: 0
; MemoryBound: 0
; FloatMode: 240
; IeeeMode: 1
; LDSByteSize: 4112 bytes/workgroup (compile time only)
; SGPRBlocks: 12
; VGPRBlocks: 11
; NumSGPRsForWavesPerEU: 100
; NumVGPRsForWavesPerEU: 48
; Occupancy: 5
; WaveLimiterHint : 1
; COMPUTE_PGM_RSRC2:SCRATCH_EN: 0
; COMPUTE_PGM_RSRC2:USER_SGPR: 6
; COMPUTE_PGM_RSRC2:TRAP_HANDLER: 0
; COMPUTE_PGM_RSRC2:TGID_X_EN: 1
; COMPUTE_PGM_RSRC2:TGID_Y_EN: 1
; COMPUTE_PGM_RSRC2:TGID_Z_EN: 1
; COMPUTE_PGM_RSRC2:TIDIG_COMP_CNT: 0
	.section	.text._ZN2at6native6mbtopk23computeBlockDigitCountsIfjjLin1EEEvNS_4cuda6detail10TensorInfoIKT_T0_EEjPjjS8_iijT1_PSB_Ps,"axG",@progbits,_ZN2at6native6mbtopk23computeBlockDigitCountsIfjjLin1EEEvNS_4cuda6detail10TensorInfoIKT_T0_EEjPjjS8_iijT1_PSB_Ps,comdat
	.protected	_ZN2at6native6mbtopk23computeBlockDigitCountsIfjjLin1EEEvNS_4cuda6detail10TensorInfoIKT_T0_EEjPjjS8_iijT1_PSB_Ps ; -- Begin function _ZN2at6native6mbtopk23computeBlockDigitCountsIfjjLin1EEEvNS_4cuda6detail10TensorInfoIKT_T0_EEjPjjS8_iijT1_PSB_Ps
	.globl	_ZN2at6native6mbtopk23computeBlockDigitCountsIfjjLin1EEEvNS_4cuda6detail10TensorInfoIKT_T0_EEjPjjS8_iijT1_PSB_Ps
	.p2align	8
	.type	_ZN2at6native6mbtopk23computeBlockDigitCountsIfjjLin1EEEvNS_4cuda6detail10TensorInfoIKT_T0_EEjPjjS8_iijT1_PSB_Ps,@function
_ZN2at6native6mbtopk23computeBlockDigitCountsIfjjLin1EEEvNS_4cuda6detail10TensorInfoIKT_T0_EEjPjjS8_iijT1_PSB_Ps: ; @_ZN2at6native6mbtopk23computeBlockDigitCountsIfjjLin1EEEvNS_4cuda6detail10TensorInfoIKT_T0_EEjPjjS8_iijT1_PSB_Ps
; %bb.0:
	s_load_dwordx2 s[10:11], s[4:5], 0xf8
	s_load_dwordx4 s[12:15], s[4:5], 0xe8
	s_load_dwordx2 s[0:1], s[4:5], 0x110
	s_mov_b32 s9, 0
	s_waitcnt lgkmcnt(0)
	v_cvt_f32_u32_e32 v1, s10
	s_sub_i32 s2, 0, s10
	s_mul_i32 s1, s1, s8
	s_add_i32 s1, s1, s7
	v_rcp_iflag_f32_e32 v1, v1
	s_mul_i32 s16, s1, s0
	s_add_i32 s16, s16, s6
	v_mul_f32_e32 v1, 0x4f7ffffe, v1
	v_cvt_u32_f32_e32 v1, v1
	v_readfirstlane_b32 s0, v1
	s_mul_i32 s2, s2, s0
	s_mul_hi_u32 s1, s0, s2
	s_add_i32 s0, s0, s1
	s_mul_hi_u32 s0, s16, s0
	s_mul_i32 s1, s0, s10
	s_sub_i32 s1, s16, s1
	s_add_i32 s2, s0, 1
	s_sub_i32 s3, s1, s10
	s_cmp_ge_u32 s1, s10
	s_cselect_b32 s0, s2, s0
	s_cselect_b32 s1, s3, s1
	s_add_i32 s2, s0, 1
	s_cmp_ge_u32 s1, s10
	s_cselect_b32 s8, s2, s0
	s_cmp_ge_u32 s8, s12
	s_cbranch_scc1 .LBB89_30
; %bb.1:
	s_load_dwordx4 s[0:3], s[4:5], 0x100
	s_load_dword s6, s[4:5], 0xd0
	s_lshl_b64 s[18:19], s[8:9], 2
	s_waitcnt lgkmcnt(0)
	s_add_u32 s0, s0, s18
	s_addc_u32 s1, s1, s19
	s_cmp_lt_i32 s6, 2
	s_mov_b32 s19, s8
	s_cbranch_scc1 .LBB89_4
; %bb.2:
	s_add_i32 s20, s6, -1
	s_mov_b32 s21, 0
	s_add_i32 s12, s6, 1
	s_lshl_b64 s[6:7], s[20:21], 2
	s_add_u32 s6, s4, s6
	s_addc_u32 s7, s5, s7
	s_add_u32 s6, s6, 8
	s_addc_u32 s7, s7, 0
	s_mov_b32 s19, s8
	s_mov_b32 s9, s21
.LBB89_3:                               ; =>This Inner Loop Header: Depth=1
	s_load_dword s17, s[6:7], 0x0
	s_load_dword s20, s[6:7], 0x64
	s_mov_b32 s18, s19
	s_waitcnt lgkmcnt(0)
	v_cvt_f32_u32_e32 v1, s17
	s_sub_i32 s19, 0, s17
	v_rcp_iflag_f32_e32 v1, v1
	v_mul_f32_e32 v1, 0x4f7ffffe, v1
	v_cvt_u32_f32_e32 v1, v1
	v_readfirstlane_b32 s21, v1
	s_mul_i32 s19, s19, s21
	s_mul_hi_u32 s19, s21, s19
	s_add_i32 s21, s21, s19
	s_mul_hi_u32 s19, s18, s21
	s_mul_i32 s21, s19, s17
	s_sub_i32 s21, s18, s21
	s_add_i32 s22, s19, 1
	s_sub_i32 s23, s21, s17
	s_cmp_ge_u32 s21, s17
	s_cselect_b32 s19, s22, s19
	s_cselect_b32 s21, s23, s21
	s_add_i32 s22, s19, 1
	s_cmp_ge_u32 s21, s17
	s_cselect_b32 s19, s22, s19
	s_mul_i32 s17, s19, s17
	s_sub_i32 s17, s18, s17
	s_mul_i32 s17, s20, s17
	s_add_i32 s12, s12, -1
	s_add_i32 s9, s17, s9
	s_add_u32 s6, s6, -4
	s_addc_u32 s7, s7, -1
	s_cmp_gt_u32 s12, 2
	s_cbranch_scc1 .LBB89_3
.LBB89_4:
	s_load_dword s12, s[0:1], 0x0
	s_movk_i32 s0, 0x100
	v_cmp_gt_u32_e32 vcc, s0, v0
	v_lshlrev_b32_e32 v3, 2, v0
	s_and_saveexec_b64 s[0:1], vcc
; %bb.5:
	v_mov_b32_e32 v1, 0
	ds_write_b32 v3, v1
; %bb.6:
	s_or_b64 exec, exec, s[0:1]
	s_load_dword s17, s[4:5], 0xd8
	s_mul_i32 s0, s8, s10
	s_sub_i32 s0, s16, s0
	s_add_i32 s6, s0, 1
	s_mul_i32 s0, s15, s0
	s_lshl_b32 s18, s0, 8
	s_waitcnt lgkmcnt(0)
	s_sub_i32 s0, s17, s18
	s_add_u32 s0, s0, 0xff
	s_addc_u32 s1, 0, 0
	s_lshr_b64 s[0:1], s[0:1], 8
	s_cmp_lt_u32 s6, s10
	s_cselect_b32 s10, s15, s0
	s_cmp_lt_i32 s10, 1
	s_mov_b32 s7, 0
	s_barrier
	s_cbranch_scc1 .LBB89_28
; %bb.7:
	s_load_dword s6, s[4:5], 0x6c
	s_load_dwordx2 s[0:1], s[4:5], 0x0
	s_waitcnt lgkmcnt(0)
	s_mul_i32 s4, s6, s19
	s_add_i32 s6, s4, s9
	s_lshl_b64 s[4:5], s[6:7], 2
	s_add_u32 s6, s0, s4
	s_addc_u32 s8, s1, s5
	s_and_b32 s9, s14, 0xff
	s_cmp_lt_u32 s10, 4
	s_cbranch_scc1 .LBB89_22
; %bb.8:
	v_add_u32_e32 v1, s18, v0
	v_add_u32_e32 v2, 0x200, v1
	;; [unrolled: 1-line block ×3, first 2 shown]
	v_mul_lo_u32 v6, s13, v2
	v_add_u32_e32 v2, 0x100, v1
	v_mul_lo_u32 v5, s13, v4
	v_mul_lo_u32 v7, s13, v2
	;; [unrolled: 1-line block ×3, first 2 shown]
	s_and_b32 s7, s10, 0x7ffffffc
	s_lshl_b32 s14, s13, 10
	s_mov_b32 s15, 0
	v_mov_b32_e32 v2, 0
	v_mov_b32_e32 v9, 1
	v_bfrev_b32_e32 v10, 1
	s_mov_b32 s19, 0
	s_branch .LBB89_10
.LBB89_9:                               ;   in Loop: Header=BB89_10 Depth=1
	s_or_b64 exec, exec, s[4:5]
	s_add_i32 s19, s19, 4
	s_add_i32 s15, s15, s14
	s_cmp_eq_u32 s7, s19
	v_add_u32_e32 v4, 0x400, v4
	s_cbranch_scc1 .LBB89_22
.LBB89_10:                              ; =>This Inner Loop Header: Depth=1
	v_add_u32_e32 v1, 0xfffffd00, v4
	v_cmp_gt_u32_e64 s[0:1], s17, v1
	s_and_saveexec_b64 s[4:5], s[0:1]
	s_cbranch_execz .LBB89_13
; %bb.11:                               ;   in Loop: Header=BB89_10 Depth=1
	v_add_u32_e32 v1, s15, v8
	v_lshlrev_b64 v[11:12], 2, v[1:2]
	v_mov_b32_e32 v1, s8
	v_add_co_u32_e64 v11, s[0:1], s6, v11
	v_addc_co_u32_e64 v12, s[0:1], v1, v12, s[0:1]
	global_load_dword v1, v[11:12], off
	s_waitcnt vmcnt(0)
	v_cmp_lt_i32_e64 s[0:1], -1, v1
	v_cndmask_b32_e64 v11, -1, v10, s[0:1]
	v_xor_b32_e32 v11, v11, v1
	v_cmp_o_f32_e64 s[0:1], v1, v1
	v_cndmask_b32_e64 v1, -1, v11, s[0:1]
	v_xor_b32_e32 v11, s12, v1
	v_and_b32_e32 v11, s11, v11
	v_cmp_eq_u32_e64 s[0:1], 0, v11
	s_and_b64 exec, exec, s[0:1]
; %bb.12:                               ;   in Loop: Header=BB89_10 Depth=1
	v_bfe_u32 v1, v1, s9, 8
	v_lshlrev_b32_e32 v1, 2, v1
	ds_add_u32 v1, v9
.LBB89_13:                              ;   in Loop: Header=BB89_10 Depth=1
	s_or_b64 exec, exec, s[4:5]
	v_add_u32_e32 v1, 0xfffffe00, v4
	v_cmp_gt_u32_e64 s[0:1], s17, v1
	s_and_saveexec_b64 s[4:5], s[0:1]
	s_cbranch_execz .LBB89_16
; %bb.14:                               ;   in Loop: Header=BB89_10 Depth=1
	v_add_u32_e32 v1, s15, v7
	v_lshlrev_b64 v[11:12], 2, v[1:2]
	v_mov_b32_e32 v1, s8
	v_add_co_u32_e64 v11, s[0:1], s6, v11
	v_addc_co_u32_e64 v12, s[0:1], v1, v12, s[0:1]
	global_load_dword v1, v[11:12], off
	s_waitcnt vmcnt(0)
	v_cmp_lt_i32_e64 s[0:1], -1, v1
	v_cndmask_b32_e64 v11, -1, v10, s[0:1]
	v_xor_b32_e32 v11, v11, v1
	v_cmp_o_f32_e64 s[0:1], v1, v1
	v_cndmask_b32_e64 v1, -1, v11, s[0:1]
	v_xor_b32_e32 v11, s12, v1
	v_and_b32_e32 v11, s11, v11
	v_cmp_eq_u32_e64 s[0:1], 0, v11
	s_and_b64 exec, exec, s[0:1]
; %bb.15:                               ;   in Loop: Header=BB89_10 Depth=1
	v_bfe_u32 v1, v1, s9, 8
	v_lshlrev_b32_e32 v1, 2, v1
	ds_add_u32 v1, v9
.LBB89_16:                              ;   in Loop: Header=BB89_10 Depth=1
	s_or_b64 exec, exec, s[4:5]
	;; [unrolled: 27-line block ×3, first 2 shown]
	v_cmp_gt_u32_e64 s[0:1], s17, v4
	s_and_saveexec_b64 s[4:5], s[0:1]
	s_cbranch_execz .LBB89_9
; %bb.20:                               ;   in Loop: Header=BB89_10 Depth=1
	v_add_u32_e32 v1, s15, v5
	v_lshlrev_b64 v[11:12], 2, v[1:2]
	v_mov_b32_e32 v1, s8
	v_add_co_u32_e64 v11, s[0:1], s6, v11
	v_addc_co_u32_e64 v12, s[0:1], v1, v12, s[0:1]
	global_load_dword v1, v[11:12], off
	s_waitcnt vmcnt(0)
	v_cmp_lt_i32_e64 s[0:1], -1, v1
	v_cndmask_b32_e64 v11, -1, v10, s[0:1]
	v_xor_b32_e32 v11, v11, v1
	v_cmp_o_f32_e64 s[0:1], v1, v1
	v_cndmask_b32_e64 v1, -1, v11, s[0:1]
	v_xor_b32_e32 v11, s12, v1
	v_and_b32_e32 v11, s11, v11
	v_cmp_eq_u32_e64 s[0:1], 0, v11
	s_and_b64 exec, exec, s[0:1]
	s_cbranch_execz .LBB89_9
; %bb.21:                               ;   in Loop: Header=BB89_10 Depth=1
	v_bfe_u32 v1, v1, s9, 8
	v_lshlrev_b32_e32 v1, 2, v1
	ds_add_u32 v1, v9
	s_branch .LBB89_9
.LBB89_22:
	s_and_b32 s10, s10, 3
	s_cmp_eq_u32 s10, 0
	s_cbranch_scc1 .LBB89_28
; %bb.23:
	s_lshl_b32 s0, s7, 8
	s_add_i32 s0, s0, s18
	v_add_u32_e32 v4, s0, v0
	v_mul_lo_u32 v1, s13, v4
	s_lshl_b32 s7, s13, 8
	v_mov_b32_e32 v2, 0
	v_mov_b32_e32 v5, 1
	v_bfrev_b32_e32 v6, 1
	s_branch .LBB89_25
.LBB89_24:                              ;   in Loop: Header=BB89_25 Depth=1
	s_or_b64 exec, exec, s[4:5]
	s_add_i32 s10, s10, -1
	v_add_u32_e32 v1, s7, v1
	s_cmp_lg_u32 s10, 0
	v_add_u32_e32 v4, 0x100, v4
	s_cbranch_scc0 .LBB89_28
.LBB89_25:                              ; =>This Inner Loop Header: Depth=1
	v_cmp_gt_u32_e64 s[0:1], s17, v4
	s_and_saveexec_b64 s[4:5], s[0:1]
	s_cbranch_execz .LBB89_24
; %bb.26:                               ;   in Loop: Header=BB89_25 Depth=1
	v_lshlrev_b64 v[7:8], 2, v[1:2]
	v_mov_b32_e32 v9, s8
	v_add_co_u32_e64 v7, s[0:1], s6, v7
	v_addc_co_u32_e64 v8, s[0:1], v9, v8, s[0:1]
	global_load_dword v7, v[7:8], off
	s_waitcnt vmcnt(0)
	v_cmp_lt_i32_e64 s[0:1], -1, v7
	v_cndmask_b32_e64 v8, -1, v6, s[0:1]
	v_xor_b32_e32 v8, v8, v7
	v_cmp_o_f32_e64 s[0:1], v7, v7
	v_cndmask_b32_e64 v7, -1, v8, s[0:1]
	v_xor_b32_e32 v8, s12, v7
	v_and_b32_e32 v8, s11, v8
	v_cmp_eq_u32_e64 s[0:1], 0, v8
	s_and_b64 exec, exec, s[0:1]
	s_cbranch_execz .LBB89_24
; %bb.27:                               ;   in Loop: Header=BB89_25 Depth=1
	v_bfe_u32 v7, v7, s9, 8
	v_lshlrev_b32_e32 v7, 2, v7
	ds_add_u32 v7, v5
	s_branch .LBB89_24
.LBB89_28:
	s_waitcnt lgkmcnt(0)
	s_barrier
	s_and_saveexec_b64 s[0:1], vcc
	s_cbranch_execz .LBB89_30
; %bb.29:
	v_lshl_or_b32 v0, s16, 8, v0
	v_mov_b32_e32 v1, 0
	ds_read_b32 v3, v3
	v_lshlrev_b64 v[0:1], 1, v[0:1]
	v_mov_b32_e32 v2, s3
	v_add_co_u32_e32 v0, vcc, s2, v0
	v_addc_co_u32_e32 v1, vcc, v2, v1, vcc
	s_waitcnt lgkmcnt(0)
	global_store_short v[0:1], v3, off
.LBB89_30:
	s_endpgm
	.section	.rodata,"a",@progbits
	.p2align	6, 0x0
	.amdhsa_kernel _ZN2at6native6mbtopk23computeBlockDigitCountsIfjjLin1EEEvNS_4cuda6detail10TensorInfoIKT_T0_EEjPjjS8_iijT1_PSB_Ps
		.amdhsa_group_segment_fixed_size 1024
		.amdhsa_private_segment_fixed_size 0
		.amdhsa_kernarg_size 528
		.amdhsa_user_sgpr_count 6
		.amdhsa_user_sgpr_private_segment_buffer 1
		.amdhsa_user_sgpr_dispatch_ptr 0
		.amdhsa_user_sgpr_queue_ptr 0
		.amdhsa_user_sgpr_kernarg_segment_ptr 1
		.amdhsa_user_sgpr_dispatch_id 0
		.amdhsa_user_sgpr_flat_scratch_init 0
		.amdhsa_user_sgpr_private_segment_size 0
		.amdhsa_uses_dynamic_stack 0
		.amdhsa_system_sgpr_private_segment_wavefront_offset 0
		.amdhsa_system_sgpr_workgroup_id_x 1
		.amdhsa_system_sgpr_workgroup_id_y 1
		.amdhsa_system_sgpr_workgroup_id_z 1
		.amdhsa_system_sgpr_workgroup_info 0
		.amdhsa_system_vgpr_workitem_id 0
		.amdhsa_next_free_vgpr 13
		.amdhsa_next_free_sgpr 24
		.amdhsa_reserve_vcc 1
		.amdhsa_reserve_flat_scratch 0
		.amdhsa_float_round_mode_32 0
		.amdhsa_float_round_mode_16_64 0
		.amdhsa_float_denorm_mode_32 3
		.amdhsa_float_denorm_mode_16_64 3
		.amdhsa_dx10_clamp 1
		.amdhsa_ieee_mode 1
		.amdhsa_fp16_overflow 0
		.amdhsa_exception_fp_ieee_invalid_op 0
		.amdhsa_exception_fp_denorm_src 0
		.amdhsa_exception_fp_ieee_div_zero 0
		.amdhsa_exception_fp_ieee_overflow 0
		.amdhsa_exception_fp_ieee_underflow 0
		.amdhsa_exception_fp_ieee_inexact 0
		.amdhsa_exception_int_div_zero 0
	.end_amdhsa_kernel
	.section	.text._ZN2at6native6mbtopk23computeBlockDigitCountsIfjjLin1EEEvNS_4cuda6detail10TensorInfoIKT_T0_EEjPjjS8_iijT1_PSB_Ps,"axG",@progbits,_ZN2at6native6mbtopk23computeBlockDigitCountsIfjjLin1EEEvNS_4cuda6detail10TensorInfoIKT_T0_EEjPjjS8_iijT1_PSB_Ps,comdat
.Lfunc_end89:
	.size	_ZN2at6native6mbtopk23computeBlockDigitCountsIfjjLin1EEEvNS_4cuda6detail10TensorInfoIKT_T0_EEjPjjS8_iijT1_PSB_Ps, .Lfunc_end89-_ZN2at6native6mbtopk23computeBlockDigitCountsIfjjLin1EEEvNS_4cuda6detail10TensorInfoIKT_T0_EEjPjjS8_iijT1_PSB_Ps
                                        ; -- End function
	.set _ZN2at6native6mbtopk23computeBlockDigitCountsIfjjLin1EEEvNS_4cuda6detail10TensorInfoIKT_T0_EEjPjjS8_iijT1_PSB_Ps.num_vgpr, 13
	.set _ZN2at6native6mbtopk23computeBlockDigitCountsIfjjLin1EEEvNS_4cuda6detail10TensorInfoIKT_T0_EEjPjjS8_iijT1_PSB_Ps.num_agpr, 0
	.set _ZN2at6native6mbtopk23computeBlockDigitCountsIfjjLin1EEEvNS_4cuda6detail10TensorInfoIKT_T0_EEjPjjS8_iijT1_PSB_Ps.numbered_sgpr, 24
	.set _ZN2at6native6mbtopk23computeBlockDigitCountsIfjjLin1EEEvNS_4cuda6detail10TensorInfoIKT_T0_EEjPjjS8_iijT1_PSB_Ps.num_named_barrier, 0
	.set _ZN2at6native6mbtopk23computeBlockDigitCountsIfjjLin1EEEvNS_4cuda6detail10TensorInfoIKT_T0_EEjPjjS8_iijT1_PSB_Ps.private_seg_size, 0
	.set _ZN2at6native6mbtopk23computeBlockDigitCountsIfjjLin1EEEvNS_4cuda6detail10TensorInfoIKT_T0_EEjPjjS8_iijT1_PSB_Ps.uses_vcc, 1
	.set _ZN2at6native6mbtopk23computeBlockDigitCountsIfjjLin1EEEvNS_4cuda6detail10TensorInfoIKT_T0_EEjPjjS8_iijT1_PSB_Ps.uses_flat_scratch, 0
	.set _ZN2at6native6mbtopk23computeBlockDigitCountsIfjjLin1EEEvNS_4cuda6detail10TensorInfoIKT_T0_EEjPjjS8_iijT1_PSB_Ps.has_dyn_sized_stack, 0
	.set _ZN2at6native6mbtopk23computeBlockDigitCountsIfjjLin1EEEvNS_4cuda6detail10TensorInfoIKT_T0_EEjPjjS8_iijT1_PSB_Ps.has_recursion, 0
	.set _ZN2at6native6mbtopk23computeBlockDigitCountsIfjjLin1EEEvNS_4cuda6detail10TensorInfoIKT_T0_EEjPjjS8_iijT1_PSB_Ps.has_indirect_call, 0
	.section	.AMDGPU.csdata,"",@progbits
; Kernel info:
; codeLenInByte = 1544
; TotalNumSgprs: 28
; NumVgprs: 13
; ScratchSize: 0
; MemoryBound: 0
; FloatMode: 240
; IeeeMode: 1
; LDSByteSize: 1024 bytes/workgroup (compile time only)
; SGPRBlocks: 3
; VGPRBlocks: 3
; NumSGPRsForWavesPerEU: 28
; NumVGPRsForWavesPerEU: 13
; Occupancy: 10
; WaveLimiterHint : 1
; COMPUTE_PGM_RSRC2:SCRATCH_EN: 0
; COMPUTE_PGM_RSRC2:USER_SGPR: 6
; COMPUTE_PGM_RSRC2:TRAP_HANDLER: 0
; COMPUTE_PGM_RSRC2:TGID_X_EN: 1
; COMPUTE_PGM_RSRC2:TGID_Y_EN: 1
; COMPUTE_PGM_RSRC2:TGID_Z_EN: 1
; COMPUTE_PGM_RSRC2:TIDIG_COMP_CNT: 0
	.section	.text._ZN2at6native6mbtopk10gatherTopKIfjLin1EEEvNS_4cuda6detail10TensorInfoIKT_T0_EES8_S8_bjS8_NS5_IS6_S8_EES8_NS5_IlS8_EES8_jjPS6_PjSD_j,"axG",@progbits,_ZN2at6native6mbtopk10gatherTopKIfjLin1EEEvNS_4cuda6detail10TensorInfoIKT_T0_EES8_S8_bjS8_NS5_IS6_S8_EES8_NS5_IlS8_EES8_jjPS6_PjSD_j,comdat
	.protected	_ZN2at6native6mbtopk10gatherTopKIfjLin1EEEvNS_4cuda6detail10TensorInfoIKT_T0_EES8_S8_bjS8_NS5_IS6_S8_EES8_NS5_IlS8_EES8_jjPS6_PjSD_j ; -- Begin function _ZN2at6native6mbtopk10gatherTopKIfjLin1EEEvNS_4cuda6detail10TensorInfoIKT_T0_EES8_S8_bjS8_NS5_IS6_S8_EES8_NS5_IlS8_EES8_jjPS6_PjSD_j
	.globl	_ZN2at6native6mbtopk10gatherTopKIfjLin1EEEvNS_4cuda6detail10TensorInfoIKT_T0_EES8_S8_bjS8_NS5_IS6_S8_EES8_NS5_IlS8_EES8_jjPS6_PjSD_j
	.p2align	8
	.type	_ZN2at6native6mbtopk10gatherTopKIfjLin1EEEvNS_4cuda6detail10TensorInfoIKT_T0_EES8_S8_bjS8_NS5_IS6_S8_EES8_NS5_IlS8_EES8_jjPS6_PjSD_j,@function
_ZN2at6native6mbtopk10gatherTopKIfjLin1EEEvNS_4cuda6detail10TensorInfoIKT_T0_EES8_S8_bjS8_NS5_IS6_S8_EES8_NS5_IlS8_EES8_jjPS6_PjSD_j: ; @_ZN2at6native6mbtopk10gatherTopKIfjLin1EEEvNS_4cuda6detail10TensorInfoIKT_T0_EES8_S8_bjS8_NS5_IS6_S8_EES8_NS5_IlS8_EES8_jjPS6_PjSD_j
; %bb.0:
	s_load_dwordx2 s[0:1], s[4:5], 0x2d8
	s_load_dword s2, s[4:5], 0x2d0
	s_waitcnt lgkmcnt(0)
	s_mul_i32 s1, s1, s8
	s_add_i32 s1, s1, s7
	s_mul_i32 s12, s1, s0
	s_add_i32 s12, s12, s6
	s_cmp_ge_u32 s12, s2
	s_cbranch_scc1 .LBB90_49
; %bb.1:
	s_load_dwordx4 s[8:11], s[4:5], 0x2a8
	s_load_dword s0, s[4:5], 0xd0
	s_mov_b32 s7, 0
	s_waitcnt lgkmcnt(0)
	v_cvt_f32_u32_e32 v1, s10
	s_sub_i32 s1, 0, s10
	v_rcp_iflag_f32_e32 v1, v1
	v_mul_f32_e32 v1, 0x4f7ffffe, v1
	v_cvt_u32_f32_e32 v1, v1
	v_readfirstlane_b32 s2, v1
	s_mul_i32 s1, s1, s2
	s_mul_hi_u32 s1, s2, s1
	s_add_i32 s2, s2, s1
	s_mul_hi_u32 s1, s12, s2
	s_mul_i32 s2, s1, s10
	s_sub_i32 s2, s12, s2
	s_add_i32 s3, s1, 1
	s_sub_i32 s6, s2, s10
	s_cmp_ge_u32 s2, s10
	s_cselect_b32 s1, s3, s1
	s_cselect_b32 s2, s6, s2
	s_add_i32 s3, s1, 1
	s_cmp_ge_u32 s2, s10
	s_cselect_b32 s20, s3, s1
	s_cmp_lt_i32 s0, 2
	s_mov_b32 s6, s20
	s_cbranch_scc1 .LBB90_4
; %bb.2:
	s_add_i32 s6, s0, -1
	s_add_i32 s2, s0, 1
	s_lshl_b64 s[0:1], s[6:7], 2
	s_add_u32 s0, s4, s0
	s_addc_u32 s1, s5, s1
	s_add_u32 s0, s0, 8
	s_addc_u32 s1, s1, 0
	s_mov_b32 s6, s20
.LBB90_3:                               ; =>This Inner Loop Header: Depth=1
	s_load_dword s3, s[0:1], 0x0
	s_load_dword s13, s[0:1], 0x64
	s_mov_b32 s11, s6
	s_waitcnt lgkmcnt(0)
	v_cvt_f32_u32_e32 v1, s3
	s_sub_i32 s6, 0, s3
	v_rcp_iflag_f32_e32 v1, v1
	v_mul_f32_e32 v1, 0x4f7ffffe, v1
	v_cvt_u32_f32_e32 v1, v1
	v_readfirstlane_b32 s14, v1
	s_mul_i32 s6, s6, s14
	s_mul_hi_u32 s6, s14, s6
	s_add_i32 s14, s14, s6
	s_mul_hi_u32 s6, s11, s14
	s_mul_i32 s14, s6, s3
	s_sub_i32 s14, s11, s14
	s_add_i32 s15, s6, 1
	s_sub_i32 s16, s14, s3
	s_cmp_ge_u32 s14, s3
	s_cselect_b32 s6, s15, s6
	s_cselect_b32 s14, s16, s14
	s_add_i32 s15, s6, 1
	s_cmp_ge_u32 s14, s3
	s_cselect_b32 s6, s15, s6
	s_mul_i32 s3, s6, s3
	s_sub_i32 s3, s11, s3
	s_mul_i32 s3, s13, s3
	s_add_i32 s2, s2, -1
	s_add_i32 s7, s3, s7
	s_add_u32 s0, s0, -4
	s_addc_u32 s1, s1, -1
	s_cmp_gt_u32 s2, 2
	s_cbranch_scc1 .LBB90_3
.LBB90_4:
	s_load_dword s2, s[4:5], 0x1c0
	s_add_u32 s0, s4, 0xf0
	s_addc_u32 s1, s5, 0
	s_mov_b32 s23, 0
	s_mov_b32 s22, s20
	s_waitcnt lgkmcnt(0)
	s_cmp_lt_i32 s2, 2
	s_cbranch_scc1 .LBB90_7
; %bb.5:
	s_add_i32 s22, s2, -1
	s_add_i32 s11, s2, 1
	s_lshl_b64 s[2:3], s[22:23], 2
	s_add_u32 s2, s0, s2
	s_addc_u32 s3, s1, s3
	s_add_u32 s2, s2, 8
	s_addc_u32 s3, s3, 0
	s_mov_b32 s22, s20
.LBB90_6:                               ; =>This Inner Loop Header: Depth=1
	s_load_dword s13, s[2:3], 0x0
	s_load_dword s15, s[2:3], 0x64
	s_mov_b32 s14, s22
	s_waitcnt lgkmcnt(0)
	v_cvt_f32_u32_e32 v1, s13
	s_sub_i32 s16, 0, s13
	v_rcp_iflag_f32_e32 v1, v1
	v_mul_f32_e32 v1, 0x4f7ffffe, v1
	v_cvt_u32_f32_e32 v1, v1
	v_readfirstlane_b32 s17, v1
	s_mul_i32 s16, s16, s17
	s_mul_hi_u32 s16, s17, s16
	s_add_i32 s17, s17, s16
	s_mul_hi_u32 s16, s22, s17
	s_mul_i32 s17, s16, s13
	s_sub_i32 s17, s22, s17
	s_add_i32 s18, s16, 1
	s_sub_i32 s19, s17, s13
	s_cmp_ge_u32 s17, s13
	s_cselect_b32 s16, s18, s16
	s_cselect_b32 s17, s19, s17
	s_add_i32 s18, s16, 1
	s_cmp_ge_u32 s17, s13
	s_cselect_b32 s22, s18, s16
	s_mul_i32 s13, s22, s13
	s_sub_i32 s13, s14, s13
	s_mul_i32 s13, s15, s13
	s_add_i32 s11, s11, -1
	s_add_i32 s23, s13, s23
	s_add_u32 s2, s2, -4
	s_addc_u32 s3, s3, -1
	s_cmp_gt_u32 s11, 2
	s_cbranch_scc1 .LBB90_6
.LBB90_7:
	s_load_dword s33, s[4:5], 0x6c
	s_load_dword s13, s[4:5], 0x2a0
	s_add_u32 s2, s4, 0x1d0
	s_addc_u32 s3, s5, 0
	s_mov_b32 s25, 0
	s_mov_b32 s24, s20
	s_waitcnt lgkmcnt(0)
	s_cmp_lt_i32 s13, 2
	s_cbranch_scc1 .LBB90_10
; %bb.8:
	s_add_i32 s24, s13, -1
	s_add_i32 s11, s13, 1
	s_lshl_b64 s[14:15], s[24:25], 2
	s_add_u32 s2, s2, s14
	s_addc_u32 s3, s3, s15
	s_add_u32 s2, s2, 8
	s_addc_u32 s3, s3, 0
	s_mov_b32 s24, s20
.LBB90_9:                               ; =>This Inner Loop Header: Depth=1
	s_load_dword s13, s[2:3], 0x0
	s_load_dword s15, s[2:3], 0x64
	s_mov_b32 s14, s24
	s_waitcnt lgkmcnt(0)
	v_cvt_f32_u32_e32 v1, s13
	s_sub_i32 s16, 0, s13
	v_rcp_iflag_f32_e32 v1, v1
	v_mul_f32_e32 v1, 0x4f7ffffe, v1
	v_cvt_u32_f32_e32 v1, v1
	v_readfirstlane_b32 s17, v1
	s_mul_i32 s16, s16, s17
	s_mul_hi_u32 s16, s17, s16
	s_add_i32 s17, s17, s16
	s_mul_hi_u32 s16, s24, s17
	s_mul_i32 s17, s16, s13
	s_sub_i32 s17, s24, s17
	s_add_i32 s18, s16, 1
	s_sub_i32 s19, s17, s13
	s_cmp_ge_u32 s17, s13
	s_cselect_b32 s16, s18, s16
	s_cselect_b32 s17, s19, s17
	s_add_i32 s18, s16, 1
	s_cmp_ge_u32 s17, s13
	s_cselect_b32 s24, s18, s16
	s_mul_i32 s13, s24, s13
	s_sub_i32 s13, s14, s13
	s_mul_i32 s13, s15, s13
	s_add_i32 s11, s11, -1
	s_add_i32 s25, s13, s25
	s_add_u32 s2, s2, -4
	s_addc_u32 s3, s3, -1
	s_cmp_gt_u32 s11, 2
	s_cbranch_scc1 .LBB90_9
.LBB90_10:
	s_mul_i32 s16, s20, s10
	s_sub_i32 s11, s12, s16
	s_load_dwordx4 s[12:15], s[4:5], 0x2b8
	s_load_dwordx2 s[30:31], s[4:5], 0x0
	s_load_dwordx2 s[28:29], s[4:5], 0xf0
	;; [unrolled: 1-line block ×3, first 2 shown]
	s_mov_b32 s21, 0
	s_load_dword s41, s[0:1], 0x6c
	s_lshl_b64 s[0:1], s[20:21], 2
	s_waitcnt lgkmcnt(0)
	s_add_u32 s0, s12, s0
	s_addc_u32 s1, s13, s1
	s_load_dword s40, s[0:1], 0x0
	v_cmp_ne_u32_e64 s[0:1], 0, v0
	v_cmp_eq_u32_e64 s[2:3], 0, v0
	s_and_saveexec_b64 s[12:13], s[2:3]
	s_cbranch_execz .LBB90_26
; %bb.11:
	s_load_dwordx2 s[34:35], s[4:5], 0x2c8
	s_mov_b32 s17, s21
	s_lshl_b64 s[36:37], s[16:17], 2
	s_add_u32 s16, s14, s36
	s_addc_u32 s17, s15, s37
	s_waitcnt lgkmcnt(0)
	s_add_u32 s18, s34, s36
	s_addc_u32 s19, s35, s37
	s_mov_b32 s20, 0
	s_mov_b32 s42, 0
	s_cmp_lt_u32 s10, 4
	s_cbranch_scc1 .LBB90_23
; %bb.12:
	s_mov_b32 s43, 0
.LBB90_13:                              ; =>This Inner Loop Header: Depth=1
	s_add_u32 s38, s14, s36
	s_addc_u32 s39, s15, s37
	s_load_dwordx4 s[16:19], s[38:39], 0x0
	s_add_u32 s38, s34, s36
	s_addc_u32 s39, s35, s37
	s_cmp_ge_u32 s43, s11
	s_cbranch_scc0 .LBB90_20
; %bb.14:                               ;   in Loop: Header=BB90_13 Depth=1
	s_add_i32 s44, s43, 1
	s_cmp_ge_u32 s44, s11
	s_cbranch_scc0 .LBB90_21
.LBB90_15:                              ;   in Loop: Header=BB90_13 Depth=1
	s_add_i32 s44, s44, 1
	s_cmp_ge_u32 s44, s11
	s_cbranch_scc0 .LBB90_22
.LBB90_16:                              ;   in Loop: Header=BB90_13 Depth=1
	s_add_i32 s44, s44, 1
	s_cmp_ge_u32 s44, s11
	s_cbranch_scc1 .LBB90_18
.LBB90_17:                              ;   in Loop: Header=BB90_13 Depth=1
	s_load_dword s38, s[38:39], 0xc
	s_waitcnt lgkmcnt(0)
	s_add_i32 s21, s21, s19
	s_add_i32 s20, s38, s20
.LBB90_18:                              ;   in Loop: Header=BB90_13 Depth=1
	s_waitcnt lgkmcnt(0)
	s_add_i32 s16, s16, s42
	s_add_i32 s16, s16, s17
	;; [unrolled: 1-line block ×4, first 2 shown]
	s_add_u32 s14, s14, 16
	s_addc_u32 s15, s15, 0
	s_add_u32 s34, s34, 16
	s_addc_u32 s35, s35, 0
	s_add_i32 s39, s44, 4
	s_add_u32 s18, s34, s36
	s_addc_u32 s19, s35, s37
	s_add_u32 s16, s14, s36
	s_addc_u32 s17, s15, s37
	s_add_i32 s38, s44, 1
	s_cmp_ge_u32 s39, s10
	s_cbranch_scc1 .LBB90_24
; %bb.19:                               ;   in Loop: Header=BB90_13 Depth=1
	s_mov_b32 s43, s38
	s_branch .LBB90_13
.LBB90_20:                              ;   in Loop: Header=BB90_13 Depth=1
	s_load_dword s44, s[38:39], 0x0
	s_waitcnt lgkmcnt(0)
	s_add_i32 s21, s16, s21
	s_add_i32 s20, s44, s20
	;; [unrolled: 1-line block ×3, first 2 shown]
	s_cmp_ge_u32 s44, s11
	s_cbranch_scc1 .LBB90_15
.LBB90_21:                              ;   in Loop: Header=BB90_13 Depth=1
	s_load_dword s45, s[38:39], 0x4
	s_waitcnt lgkmcnt(0)
	s_add_i32 s21, s21, s17
	s_add_i32 s20, s45, s20
	;; [unrolled: 1-line block ×3, first 2 shown]
	s_cmp_ge_u32 s44, s11
	s_cbranch_scc1 .LBB90_16
.LBB90_22:                              ;   in Loop: Header=BB90_13 Depth=1
	s_load_dword s45, s[38:39], 0x8
	s_waitcnt lgkmcnt(0)
	s_add_i32 s21, s21, s18
	s_add_i32 s20, s45, s20
	s_add_i32 s44, s44, 1
	s_cmp_ge_u32 s44, s11
	s_cbranch_scc0 .LBB90_17
	s_branch .LBB90_18
.LBB90_23:
	s_mov_b32 s14, 0
	s_cmp_ge_u32 s14, s10
	s_cbranch_scc0 .LBB90_47
	s_branch .LBB90_25
.LBB90_24:
	s_add_i32 s14, s43, 4
	s_cmp_ge_u32 s14, s10
	s_cbranch_scc0 .LBB90_47
.LBB90_25:
	v_mov_b32_e32 v1, s20
	v_mov_b32_e32 v2, s42
	;; [unrolled: 1-line block ×4, first 2 shown]
	ds_write_b96 v4, v[1:3] offset:1056
.LBB90_26:
	s_or_b64 exec, exec, s[12:13]
	s_load_dword s16, s[4:5], 0x23c
	s_load_dwordx4 s[12:15], s[4:5], 0xd8
	s_mul_i32 s17, s9, s11
	s_lshl_b32 s34, s17, 8
	s_waitcnt lgkmcnt(0)
	s_add_i32 s15, s11, 1
	s_mov_b32 s11, 0
	s_sub_i32 s17, s12, s34
	s_add_u32 s18, s17, 0xff
	s_addc_u32 s19, 0, 0
	s_lshr_b64 s[18:19], s[18:19], 8
	s_cmp_lt_u32 s15, s10
	s_cselect_b32 s9, s9, s18
	s_cmp_eq_u32 s9, 0
	s_barrier
	s_cbranch_scc1 .LBB90_49
; %bb.27:
	s_mul_i32 s10, s41, s22
	s_mul_i32 s6, s33, s6
	s_add_i32 s18, s10, s23
	s_add_i32 s10, s6, s7
	s_mul_i32 s6, s16, s24
	s_add_i32 s6, s6, s25
	s_lshl_b64 s[16:17], s[10:11], 2
	s_add_u32 s15, s30, s16
	s_mov_b32 s19, s11
	s_addc_u32 s16, s31, s17
	s_lshl_b64 s[18:19], s[18:19], 2
	s_add_u32 s17, s28, s18
	s_mov_b32 s7, s11
	v_mov_b32_e32 v5, 0
	s_addc_u32 s18, s29, s19
	s_lshl_b64 s[6:7], s[6:7], 3
	ds_read_b96 v[1:3], v5 offset:1056
	s_add_u32 s19, s26, s6
	s_addc_u32 s20, s27, s7
	s_cmp_gt_i32 s40, -1
	s_cselect_b32 s10, 0x80000000, -1
	v_cmp_o_f32_e64 s[6:7], s40, s40
	s_xor_b32 s10, s10, s40
	s_waitcnt lgkmcnt(0)
	v_add_u32_e32 v2, v1, v2
	v_lshrrev_b32_e32 v1, 3, v0
	s_and_b64 s[6:7], s[6:7], exec
	v_and_b32_e32 v1, 28, v1
	s_cselect_b32 s21, s10, -1
	s_bitcmp1_b32 s14, 0
	s_load_dword s10, s[4:5], 0xe8
	s_load_dword s14, s[4:5], 0x1c8
	v_lshl_add_u32 v6, v0, 2, v1
	v_lshrrev_b32_e32 v1, 1, v0
	v_and_b32_e32 v7, 0x7c, v1
	v_add_u32_e32 v1, -1, v0
	v_lshrrev_b32_e32 v4, 3, v1
	v_cmp_gt_u32_e64 s[4:5], 64, v0
	v_lshlrev_b32_e32 v8, 4, v0
	v_and_b32_e32 v4, 0x1ffffffc, v4
	v_add_u32_e32 v0, s34, v0
	v_lshl_add_u32 v9, v1, 2, v4
	s_waitcnt lgkmcnt(0)
	v_mul_lo_u32 v4, s10, v0
	v_mbcnt_lo_u32_b32 v1, -1, 0
	s_cselect_b64 s[6:7], -1, 0
	s_lshl_b32 s22, s10, 8
	v_bfrev_b32_e32 v10, 1
	v_mbcnt_hi_u32_b32 v11, -1, v1
                                        ; implicit-def: $vgpr12
	s_branch .LBB90_30
.LBB90_28:                              ;   in Loop: Header=BB90_30 Depth=1
	s_or_b64 exec, exec, s[10:11]
	v_add_u32_e32 v2, v15, v2
.LBB90_29:                              ;   in Loop: Header=BB90_30 Depth=1
	s_add_i32 s9, s9, -1
	v_add_u32_e32 v3, v14, v3
	v_add_u32_e32 v4, s22, v4
	s_cmp_lg_u32 s9, 0
	v_add_u32_e32 v0, 0x100, v0
	s_cbranch_scc0 .LBB90_49
.LBB90_30:                              ; =>This Inner Loop Header: Depth=1
	v_cmp_gt_u32_e32 vcc, s12, v0
	v_mov_b32_e32 v1, 0
	v_mov_b32_e32 v13, 0
	s_and_saveexec_b64 s[10:11], vcc
	s_cbranch_execz .LBB90_32
; %bb.31:                               ;   in Loop: Header=BB90_30 Depth=1
	v_lshlrev_b64 v[12:13], 2, v[4:5]
	v_mov_b32_e32 v1, s16
	v_add_co_u32_e32 v12, vcc, s15, v12
	v_addc_co_u32_e32 v13, vcc, v1, v13, vcc
	global_load_dword v12, v[12:13], off
	s_waitcnt vmcnt(0)
	v_cmp_lt_i32_e32 vcc, -1, v12
	v_cndmask_b32_e32 v1, -1, v10, vcc
	v_xor_b32_e32 v1, v1, v12
	v_cmp_o_f32_e32 vcc, v12, v12
	v_cndmask_b32_e32 v13, -1, v1, vcc
	v_cmp_lt_u32_e32 vcc, s21, v13
	v_cndmask_b32_e64 v1, 0, 1, vcc
	v_cmp_gt_u32_e32 vcc, s21, v13
	v_cndmask_b32_e64 v14, 0, 1, vcc
	v_cndmask_b32_e64 v1, v14, v1, s[6:7]
	v_cmp_eq_u32_e32 vcc, s21, v13
	v_and_b32_e32 v1, 1, v1
	v_cndmask_b32_e64 v13, 0, 1, vcc
.LBB90_32:                              ;   in Loop: Header=BB90_30 Depth=1
	s_or_b64 exec, exec, s[10:11]
	ds_write_b32 v6, v1
	s_waitcnt vmcnt(0) lgkmcnt(0)
	s_barrier
	s_and_saveexec_b64 s[10:11], s[4:5]
	s_cbranch_execz .LBB90_34
; %bb.33:                               ;   in Loop: Header=BB90_30 Depth=1
	v_add_u32_e32 v18, v7, v8
	ds_read2_b32 v[14:15], v18 offset1:1
	ds_read2_b32 v[16:17], v18 offset0:2 offset1:3
	v_and_b32_e32 v19, 15, v11
	v_cmp_ne_u32_e32 vcc, 0, v19
	s_waitcnt lgkmcnt(1)
	v_add_u32_e32 v15, v15, v14
	s_waitcnt lgkmcnt(0)
	v_add3_u32 v15, v15, v16, v17
	v_bfe_i32 v17, v11, 4, 1
	; wave barrier
	s_nop 0
	v_mov_b32_dpp v16, v15 row_shr:1 row_mask:0xf bank_mask:0xf
	v_cndmask_b32_e32 v16, 0, v16, vcc
	v_add_u32_e32 v15, v16, v15
	v_cmp_lt_u32_e32 vcc, 1, v19
	s_nop 0
	v_mov_b32_dpp v16, v15 row_shr:2 row_mask:0xf bank_mask:0xf
	v_cndmask_b32_e32 v16, 0, v16, vcc
	v_add_u32_e32 v15, v15, v16
	v_cmp_lt_u32_e32 vcc, 3, v19
	s_nop 0
	v_mov_b32_dpp v16, v15 row_shr:4 row_mask:0xf bank_mask:0xf
	v_cndmask_b32_e32 v16, 0, v16, vcc
	v_add_u32_e32 v15, v15, v16
	v_cmp_lt_u32_e32 vcc, 7, v19
	s_nop 0
	v_mov_b32_dpp v16, v15 row_shr:8 row_mask:0xf bank_mask:0xf
	v_cndmask_b32_e32 v16, 0, v16, vcc
	v_add_u32_e32 v15, v15, v16
	v_cmp_lt_u32_e32 vcc, 31, v11
	s_nop 0
	v_mov_b32_dpp v16, v15 row_bcast:15 row_mask:0xf bank_mask:0xf
	v_and_b32_e32 v16, v17, v16
	v_add_u32_e32 v15, v15, v16
	v_and_b32_e32 v17, 64, v11
	s_nop 0
	v_mov_b32_dpp v16, v15 row_bcast:31 row_mask:0xf bank_mask:0xf
	v_cndmask_b32_e32 v16, 0, v16, vcc
	v_add_u32_e32 v15, v15, v16
	v_add_u32_e32 v16, -1, v11
	v_cmp_lt_i32_e32 vcc, v16, v17
	v_cndmask_b32_e32 v16, v16, v11, vcc
	v_lshlrev_b32_e32 v16, 2, v16
	ds_bpermute_b32 v15, v16, v15
	s_waitcnt lgkmcnt(0)
	v_add_u32_e32 v14, v15, v14
	v_cndmask_b32_e64 v16, v14, v1, s[2:3]
	ds_write_b32 v18, v16
	; wave barrier
	ds_read2_b32 v[14:15], v18 offset0:1 offset1:2
	ds_read_b32 v17, v18 offset:12
	s_waitcnt lgkmcnt(1)
	v_add_u32_e32 v14, v14, v16
	v_add_u32_e32 v15, v15, v14
	ds_write2_b32 v18, v14, v15 offset0:1 offset1:2
	s_waitcnt lgkmcnt(1)
	v_add_u32_e32 v14, v17, v15
	ds_write_b32 v18, v14 offset:12
.LBB90_34:                              ;   in Loop: Header=BB90_30 Depth=1
	s_or_b64 exec, exec, s[10:11]
	v_mov_b32_e32 v15, 0
	s_waitcnt lgkmcnt(0)
	s_barrier
	s_and_saveexec_b64 s[10:11], s[0:1]
; %bb.35:                               ;   in Loop: Header=BB90_30 Depth=1
	ds_read_b32 v15, v9
; %bb.36:                               ;   in Loop: Header=BB90_30 Depth=1
	s_or_b64 exec, exec, s[10:11]
	ds_read_b32 v14, v5 offset:1048
	v_cmp_ne_u32_e32 vcc, 0, v1
	s_waitcnt lgkmcnt(0)
	s_barrier
	s_and_saveexec_b64 s[10:11], vcc
	s_cbranch_execz .LBB90_38
; %bb.37:                               ;   in Loop: Header=BB90_30 Depth=1
	v_add_u32_e32 v1, v15, v3
	v_mul_lo_u32 v15, v1, s14
	v_mov_b32_e32 v16, v5
	v_mov_b32_e32 v17, s18
	;; [unrolled: 1-line block ×3, first 2 shown]
	v_lshlrev_b64 v[15:16], 2, v[15:16]
	v_add_co_u32_e32 v15, vcc, s17, v15
	v_addc_co_u32_e32 v16, vcc, v17, v16, vcc
	v_mul_lo_u32 v17, v1, s8
	global_store_dword v[15:16], v12, off
	v_mov_b32_e32 v1, v5
	v_lshlrev_b64 v[15:16], 3, v[17:18]
	v_mov_b32_e32 v17, s20
	v_add_co_u32_e32 v15, vcc, s19, v15
	v_addc_co_u32_e32 v16, vcc, v17, v16, vcc
	global_store_dwordx2 v[15:16], v[0:1], off
.LBB90_38:                              ;   in Loop: Header=BB90_30 Depth=1
	s_or_b64 exec, exec, s[10:11]
	v_cmp_le_u32_e32 vcc, s13, v2
	s_cbranch_vccnz .LBB90_29
; %bb.39:                               ;   in Loop: Header=BB90_30 Depth=1
	ds_write_b32 v6, v13
	s_waitcnt vmcnt(0) lgkmcnt(0)
	s_barrier
	s_and_saveexec_b64 s[10:11], s[4:5]
	s_cbranch_execz .LBB90_41
; %bb.40:                               ;   in Loop: Header=BB90_30 Depth=1
	v_add_u32_e32 v1, v7, v8
	ds_read2_b32 v[15:16], v1 offset1:1
	ds_read2_b32 v[17:18], v1 offset0:2 offset1:3
	v_and_b32_e32 v19, 15, v11
	v_cmp_ne_u32_e32 vcc, 0, v19
	s_waitcnt lgkmcnt(1)
	v_add_u32_e32 v16, v16, v15
	s_waitcnt lgkmcnt(0)
	v_add3_u32 v16, v16, v17, v18
	v_bfe_i32 v18, v11, 4, 1
	; wave barrier
	s_nop 0
	v_mov_b32_dpp v17, v16 row_shr:1 row_mask:0xf bank_mask:0xf
	v_cndmask_b32_e32 v17, 0, v17, vcc
	v_add_u32_e32 v16, v17, v16
	v_cmp_lt_u32_e32 vcc, 1, v19
	s_nop 0
	v_mov_b32_dpp v17, v16 row_shr:2 row_mask:0xf bank_mask:0xf
	v_cndmask_b32_e32 v17, 0, v17, vcc
	v_add_u32_e32 v16, v16, v17
	v_cmp_lt_u32_e32 vcc, 3, v19
	;; [unrolled: 5-line block ×4, first 2 shown]
	s_nop 0
	v_mov_b32_dpp v17, v16 row_bcast:15 row_mask:0xf bank_mask:0xf
	v_and_b32_e32 v17, v18, v17
	v_add_u32_e32 v16, v16, v17
	v_and_b32_e32 v18, 64, v11
	s_nop 0
	v_mov_b32_dpp v17, v16 row_bcast:31 row_mask:0xf bank_mask:0xf
	v_cndmask_b32_e32 v17, 0, v17, vcc
	v_add_u32_e32 v16, v16, v17
	v_add_u32_e32 v17, -1, v11
	v_cmp_lt_i32_e32 vcc, v17, v18
	v_cndmask_b32_e32 v17, v17, v11, vcc
	v_lshlrev_b32_e32 v17, 2, v17
	ds_bpermute_b32 v16, v17, v16
	s_waitcnt lgkmcnt(0)
	v_add_u32_e32 v15, v16, v15
	v_cndmask_b32_e64 v17, v15, v13, s[2:3]
	ds_write_b32 v1, v17
	; wave barrier
	ds_read2_b32 v[15:16], v1 offset0:1 offset1:2
	ds_read_b32 v18, v1 offset:12
	s_waitcnt lgkmcnt(1)
	v_add_u32_e32 v15, v15, v17
	v_add_u32_e32 v16, v16, v15
	ds_write2_b32 v1, v15, v16 offset0:1 offset1:2
	s_waitcnt lgkmcnt(1)
	v_add_u32_e32 v15, v18, v16
	ds_write_b32 v1, v15 offset:12
.LBB90_41:                              ;   in Loop: Header=BB90_30 Depth=1
	s_or_b64 exec, exec, s[10:11]
	v_mov_b32_e32 v1, 0
	s_waitcnt lgkmcnt(0)
	s_barrier
	s_and_saveexec_b64 s[10:11], s[0:1]
; %bb.42:                               ;   in Loop: Header=BB90_30 Depth=1
	ds_read_b32 v1, v9
; %bb.43:                               ;   in Loop: Header=BB90_30 Depth=1
	s_or_b64 exec, exec, s[10:11]
	ds_read_b32 v15, v5 offset:1048
	v_cmp_ne_u32_e32 vcc, 0, v13
	s_waitcnt lgkmcnt(0)
	s_barrier
	s_and_saveexec_b64 s[10:11], vcc
	s_cbranch_execz .LBB90_28
; %bb.44:                               ;   in Loop: Header=BB90_30 Depth=1
	v_add_u32_e32 v1, v1, v2
	v_cmp_gt_u32_e32 vcc, s13, v1
	s_and_b64 exec, exec, vcc
	s_cbranch_execz .LBB90_28
; %bb.45:                               ;   in Loop: Header=BB90_30 Depth=1
	v_mul_lo_u32 v16, v1, s14
	v_mov_b32_e32 v17, v5
	v_mul_lo_u32 v18, v1, s8
	v_mov_b32_e32 v13, s18
	v_lshlrev_b64 v[16:17], 2, v[16:17]
	v_mov_b32_e32 v19, v5
	v_add_co_u32_e32 v16, vcc, s17, v16
	v_addc_co_u32_e32 v17, vcc, v13, v17, vcc
	global_store_dword v[16:17], v12, off
	v_lshlrev_b64 v[16:17], 3, v[18:19]
	v_mov_b32_e32 v13, s20
	v_add_co_u32_e32 v16, vcc, s19, v16
	v_mov_b32_e32 v1, v5
	v_addc_co_u32_e32 v17, vcc, v13, v17, vcc
	global_store_dwordx2 v[16:17], v[0:1], off
	s_branch .LBB90_28
.LBB90_46:                              ;   in Loop: Header=BB90_47 Depth=1
	s_add_u32 s16, s16, 4
	s_addc_u32 s17, s17, 0
	s_waitcnt lgkmcnt(0)
	s_add_i32 s42, s15, s42
	s_add_u32 s18, s18, 4
	s_addc_u32 s19, s19, 0
	s_add_i32 s14, s14, 1
	s_cmp_lt_u32 s14, s10
	s_cbranch_scc0 .LBB90_25
.LBB90_47:                              ; =>This Inner Loop Header: Depth=1
	s_load_dword s15, s[16:17], 0x0
	s_cmp_ge_u32 s14, s11
	s_cbranch_scc1 .LBB90_46
; %bb.48:                               ;   in Loop: Header=BB90_47 Depth=1
	s_load_dword s34, s[18:19], 0x0
	s_waitcnt lgkmcnt(0)
	s_add_i32 s21, s15, s21
	s_add_i32 s20, s34, s20
	s_branch .LBB90_46
.LBB90_49:
	s_endpgm
	.section	.rodata,"a",@progbits
	.p2align	6, 0x0
	.amdhsa_kernel _ZN2at6native6mbtopk10gatherTopKIfjLin1EEEvNS_4cuda6detail10TensorInfoIKT_T0_EES8_S8_bjS8_NS5_IS6_S8_EES8_NS5_IlS8_EES8_jjPS6_PjSD_j
		.amdhsa_group_segment_fixed_size 1068
		.amdhsa_private_segment_fixed_size 0
		.amdhsa_kernarg_size 984
		.amdhsa_user_sgpr_count 6
		.amdhsa_user_sgpr_private_segment_buffer 1
		.amdhsa_user_sgpr_dispatch_ptr 0
		.amdhsa_user_sgpr_queue_ptr 0
		.amdhsa_user_sgpr_kernarg_segment_ptr 1
		.amdhsa_user_sgpr_dispatch_id 0
		.amdhsa_user_sgpr_flat_scratch_init 0
		.amdhsa_user_sgpr_private_segment_size 0
		.amdhsa_uses_dynamic_stack 0
		.amdhsa_system_sgpr_private_segment_wavefront_offset 0
		.amdhsa_system_sgpr_workgroup_id_x 1
		.amdhsa_system_sgpr_workgroup_id_y 1
		.amdhsa_system_sgpr_workgroup_id_z 1
		.amdhsa_system_sgpr_workgroup_info 0
		.amdhsa_system_vgpr_workitem_id 0
		.amdhsa_next_free_vgpr 20
		.amdhsa_next_free_sgpr 46
		.amdhsa_reserve_vcc 1
		.amdhsa_reserve_flat_scratch 0
		.amdhsa_float_round_mode_32 0
		.amdhsa_float_round_mode_16_64 0
		.amdhsa_float_denorm_mode_32 3
		.amdhsa_float_denorm_mode_16_64 3
		.amdhsa_dx10_clamp 1
		.amdhsa_ieee_mode 1
		.amdhsa_fp16_overflow 0
		.amdhsa_exception_fp_ieee_invalid_op 0
		.amdhsa_exception_fp_denorm_src 0
		.amdhsa_exception_fp_ieee_div_zero 0
		.amdhsa_exception_fp_ieee_overflow 0
		.amdhsa_exception_fp_ieee_underflow 0
		.amdhsa_exception_fp_ieee_inexact 0
		.amdhsa_exception_int_div_zero 0
	.end_amdhsa_kernel
	.section	.text._ZN2at6native6mbtopk10gatherTopKIfjLin1EEEvNS_4cuda6detail10TensorInfoIKT_T0_EES8_S8_bjS8_NS5_IS6_S8_EES8_NS5_IlS8_EES8_jjPS6_PjSD_j,"axG",@progbits,_ZN2at6native6mbtopk10gatherTopKIfjLin1EEEvNS_4cuda6detail10TensorInfoIKT_T0_EES8_S8_bjS8_NS5_IS6_S8_EES8_NS5_IlS8_EES8_jjPS6_PjSD_j,comdat
.Lfunc_end90:
	.size	_ZN2at6native6mbtopk10gatherTopKIfjLin1EEEvNS_4cuda6detail10TensorInfoIKT_T0_EES8_S8_bjS8_NS5_IS6_S8_EES8_NS5_IlS8_EES8_jjPS6_PjSD_j, .Lfunc_end90-_ZN2at6native6mbtopk10gatherTopKIfjLin1EEEvNS_4cuda6detail10TensorInfoIKT_T0_EES8_S8_bjS8_NS5_IS6_S8_EES8_NS5_IlS8_EES8_jjPS6_PjSD_j
                                        ; -- End function
	.set _ZN2at6native6mbtopk10gatherTopKIfjLin1EEEvNS_4cuda6detail10TensorInfoIKT_T0_EES8_S8_bjS8_NS5_IS6_S8_EES8_NS5_IlS8_EES8_jjPS6_PjSD_j.num_vgpr, 20
	.set _ZN2at6native6mbtopk10gatherTopKIfjLin1EEEvNS_4cuda6detail10TensorInfoIKT_T0_EES8_S8_bjS8_NS5_IS6_S8_EES8_NS5_IlS8_EES8_jjPS6_PjSD_j.num_agpr, 0
	.set _ZN2at6native6mbtopk10gatherTopKIfjLin1EEEvNS_4cuda6detail10TensorInfoIKT_T0_EES8_S8_bjS8_NS5_IS6_S8_EES8_NS5_IlS8_EES8_jjPS6_PjSD_j.numbered_sgpr, 46
	.set _ZN2at6native6mbtopk10gatherTopKIfjLin1EEEvNS_4cuda6detail10TensorInfoIKT_T0_EES8_S8_bjS8_NS5_IS6_S8_EES8_NS5_IlS8_EES8_jjPS6_PjSD_j.num_named_barrier, 0
	.set _ZN2at6native6mbtopk10gatherTopKIfjLin1EEEvNS_4cuda6detail10TensorInfoIKT_T0_EES8_S8_bjS8_NS5_IS6_S8_EES8_NS5_IlS8_EES8_jjPS6_PjSD_j.private_seg_size, 0
	.set _ZN2at6native6mbtopk10gatherTopKIfjLin1EEEvNS_4cuda6detail10TensorInfoIKT_T0_EES8_S8_bjS8_NS5_IS6_S8_EES8_NS5_IlS8_EES8_jjPS6_PjSD_j.uses_vcc, 1
	.set _ZN2at6native6mbtopk10gatherTopKIfjLin1EEEvNS_4cuda6detail10TensorInfoIKT_T0_EES8_S8_bjS8_NS5_IS6_S8_EES8_NS5_IlS8_EES8_jjPS6_PjSD_j.uses_flat_scratch, 0
	.set _ZN2at6native6mbtopk10gatherTopKIfjLin1EEEvNS_4cuda6detail10TensorInfoIKT_T0_EES8_S8_bjS8_NS5_IS6_S8_EES8_NS5_IlS8_EES8_jjPS6_PjSD_j.has_dyn_sized_stack, 0
	.set _ZN2at6native6mbtopk10gatherTopKIfjLin1EEEvNS_4cuda6detail10TensorInfoIKT_T0_EES8_S8_bjS8_NS5_IS6_S8_EES8_NS5_IlS8_EES8_jjPS6_PjSD_j.has_recursion, 0
	.set _ZN2at6native6mbtopk10gatherTopKIfjLin1EEEvNS_4cuda6detail10TensorInfoIKT_T0_EES8_S8_bjS8_NS5_IS6_S8_EES8_NS5_IlS8_EES8_jjPS6_PjSD_j.has_indirect_call, 0
	.section	.AMDGPU.csdata,"",@progbits
; Kernel info:
; codeLenInByte = 2788
; TotalNumSgprs: 50
; NumVgprs: 20
; ScratchSize: 0
; MemoryBound: 0
; FloatMode: 240
; IeeeMode: 1
; LDSByteSize: 1068 bytes/workgroup (compile time only)
; SGPRBlocks: 6
; VGPRBlocks: 4
; NumSGPRsForWavesPerEU: 50
; NumVGPRsForWavesPerEU: 20
; Occupancy: 10
; WaveLimiterHint : 1
; COMPUTE_PGM_RSRC2:SCRATCH_EN: 0
; COMPUTE_PGM_RSRC2:USER_SGPR: 6
; COMPUTE_PGM_RSRC2:TRAP_HANDLER: 0
; COMPUTE_PGM_RSRC2:TGID_X_EN: 1
; COMPUTE_PGM_RSRC2:TGID_Y_EN: 1
; COMPUTE_PGM_RSRC2:TGID_Z_EN: 1
; COMPUTE_PGM_RSRC2:TIDIG_COMP_CNT: 0
	.section	.text._ZN2at6native6sbtopk10gatherTopKIfjLin1ELb0EEEvNS_4cuda6detail10TensorInfoIKT_T0_EES8_S8_bS8_S8_NS5_IS6_S8_EES8_NS5_IlS8_EES8_PS6_,"axG",@progbits,_ZN2at6native6sbtopk10gatherTopKIfjLin1ELb0EEEvNS_4cuda6detail10TensorInfoIKT_T0_EES8_S8_bS8_S8_NS5_IS6_S8_EES8_NS5_IlS8_EES8_PS6_,comdat
	.protected	_ZN2at6native6sbtopk10gatherTopKIfjLin1ELb0EEEvNS_4cuda6detail10TensorInfoIKT_T0_EES8_S8_bS8_S8_NS5_IS6_S8_EES8_NS5_IlS8_EES8_PS6_ ; -- Begin function _ZN2at6native6sbtopk10gatherTopKIfjLin1ELb0EEEvNS_4cuda6detail10TensorInfoIKT_T0_EES8_S8_bS8_S8_NS5_IS6_S8_EES8_NS5_IlS8_EES8_PS6_
	.globl	_ZN2at6native6sbtopk10gatherTopKIfjLin1ELb0EEEvNS_4cuda6detail10TensorInfoIKT_T0_EES8_S8_bS8_S8_NS5_IS6_S8_EES8_NS5_IlS8_EES8_PS6_
	.p2align	8
	.type	_ZN2at6native6sbtopk10gatherTopKIfjLin1ELb0EEEvNS_4cuda6detail10TensorInfoIKT_T0_EES8_S8_bS8_S8_NS5_IS6_S8_EES8_NS5_IlS8_EES8_PS6_,@function
_ZN2at6native6sbtopk10gatherTopKIfjLin1ELb0EEEvNS_4cuda6detail10TensorInfoIKT_T0_EES8_S8_bS8_S8_NS5_IS6_S8_EES8_NS5_IlS8_EES8_PS6_: ; @_ZN2at6native6sbtopk10gatherTopKIfjLin1ELb0EEEvNS_4cuda6detail10TensorInfoIKT_T0_EES8_S8_bS8_S8_NS5_IS6_S8_EES8_NS5_IlS8_EES8_PS6_
; %bb.0:
	s_load_dwordx2 s[14:15], s[4:5], 0x2b8
	s_load_dwordx4 s[60:63], s[4:5], 0xd8
	s_mov_b64 s[20:21], s[4:5]
	s_add_u32 s12, s20, 0x2b8
	s_addc_u32 s13, s21, 0
	s_waitcnt lgkmcnt(0)
	s_mul_i32 s0, s15, s8
	s_add_i32 s0, s0, s7
	s_mul_i32 s0, s0, s14
	s_add_i32 s77, s0, s6
	s_cmp_ge_u32 s77, s63
	s_cbranch_scc1 .LBB91_422
; %bb.1:
	s_load_dword s2, s[20:21], 0xd0
	s_load_dword s0, s[20:21], 0xe8
                                        ; implicit-def: $vgpr47 : SGPR spill to VGPR lane
	s_mov_b32 s1, 0
	s_waitcnt lgkmcnt(0)
	s_cmp_lt_i32 s2, 2
	v_writelane_b32 v47, s0, 0
	s_mov_b32 s0, s77
	s_cbranch_scc1 .LBB91_4
; %bb.2:
	s_add_i32 s0, s2, -1
	s_add_i32 s4, s2, 1
	s_lshl_b64 s[2:3], s[0:1], 2
	s_add_u32 s0, s20, s2
	s_addc_u32 s3, s21, s3
	s_add_u32 s2, s0, 8
	s_addc_u32 s3, s3, 0
	s_mov_b32 s0, s77
.LBB91_3:                               ; =>This Inner Loop Header: Depth=1
	s_load_dword s5, s[2:3], 0x0
	s_load_dword s8, s[2:3], 0x64
	s_mov_b32 s7, s0
	s_waitcnt lgkmcnt(0)
	v_cvt_f32_u32_e32 v1, s5
	s_sub_i32 s0, 0, s5
	v_rcp_iflag_f32_e32 v1, v1
	v_mul_f32_e32 v1, 0x4f7ffffe, v1
	v_cvt_u32_f32_e32 v1, v1
	v_readfirstlane_b32 s9, v1
	s_mul_i32 s0, s0, s9
	s_mul_hi_u32 s0, s9, s0
	s_add_i32 s9, s9, s0
	s_mul_hi_u32 s0, s7, s9
	s_mul_i32 s9, s0, s5
	s_sub_i32 s9, s7, s9
	s_add_i32 s10, s0, 1
	s_sub_i32 s11, s9, s5
	s_cmp_ge_u32 s9, s5
	s_cselect_b32 s0, s10, s0
	s_cselect_b32 s9, s11, s9
	s_add_i32 s10, s0, 1
	s_cmp_ge_u32 s9, s5
	s_cselect_b32 s0, s10, s0
	s_mul_i32 s5, s0, s5
	s_sub_i32 s5, s7, s5
	s_mul_i32 s5, s8, s5
	s_add_i32 s4, s4, -1
	s_add_i32 s1, s5, s1
	s_add_u32 s2, s2, -4
	s_addc_u32 s3, s3, -1
	s_cmp_gt_u32 s4, 2
	s_cbranch_scc1 .LBB91_3
.LBB91_4:
	s_load_dword s5, s[20:21], 0x1c0
	s_add_u32 s2, s20, 0xf0
	s_addc_u32 s3, s21, 0
	s_mov_b32 s65, 0
	s_mov_b32 s76, s77
	s_waitcnt lgkmcnt(0)
	s_cmp_lt_i32 s5, 2
	s_cbranch_scc1 .LBB91_7
; %bb.5:
	s_add_i32 s64, s5, -1
	s_add_i32 s4, s5, 1
	s_lshl_b64 s[8:9], s[64:65], 2
	s_add_u32 s5, s2, s8
	s_addc_u32 s7, s3, s9
	s_add_u32 s8, s5, 8
	s_addc_u32 s9, s7, 0
	s_mov_b32 s76, s77
.LBB91_6:                               ; =>This Inner Loop Header: Depth=1
	s_load_dword s5, s[8:9], 0x0
	s_load_dword s10, s[8:9], 0x64
	s_mov_b32 s7, s76
	s_waitcnt lgkmcnt(0)
	v_cvt_f32_u32_e32 v1, s5
	s_sub_i32 s11, 0, s5
	v_rcp_iflag_f32_e32 v1, v1
	v_mul_f32_e32 v1, 0x4f7ffffe, v1
	v_cvt_u32_f32_e32 v1, v1
	v_readfirstlane_b32 s15, v1
	s_mul_i32 s11, s11, s15
	s_mul_hi_u32 s11, s15, s11
	s_add_i32 s15, s15, s11
	s_mul_hi_u32 s11, s76, s15
	s_mul_i32 s15, s11, s5
	s_sub_i32 s15, s76, s15
	s_add_i32 s16, s11, 1
	s_sub_i32 s17, s15, s5
	s_cmp_ge_u32 s15, s5
	s_cselect_b32 s11, s16, s11
	s_cselect_b32 s15, s17, s15
	s_add_i32 s16, s11, 1
	s_cmp_ge_u32 s15, s5
	s_cselect_b32 s76, s16, s11
	s_mul_i32 s5, s76, s5
	s_sub_i32 s5, s7, s5
	s_mul_i32 s5, s10, s5
	s_add_i32 s4, s4, -1
	s_add_i32 s65, s5, s65
	s_add_u32 s8, s8, -4
	s_addc_u32 s9, s9, -1
	s_cmp_gt_u32 s4, 2
	s_cbranch_scc1 .LBB91_6
.LBB91_7:
	s_load_dword s4, s[20:21], 0x6c
	s_load_dword s9, s[20:21], 0x2a0
	s_add_u32 s7, s20, 0x1d0
	s_addc_u32 s8, s21, 0
	s_mov_b32 s67, 0
	s_waitcnt lgkmcnt(0)
	s_cmp_lt_i32 s9, 2
	s_cbranch_scc1 .LBB91_10
; %bb.8:
	s_add_i32 s66, s9, -1
	s_add_i32 s5, s9, 1
	s_lshl_b64 s[10:11], s[66:67], 2
	s_add_u32 s7, s7, s10
	s_addc_u32 s9, s8, s11
	s_add_u32 s8, s7, 8
	s_addc_u32 s9, s9, 0
.LBB91_9:                               ; =>This Inner Loop Header: Depth=1
	s_load_dword s7, s[8:9], 0x0
	s_load_dword s11, s[8:9], 0x64
	s_mov_b32 s10, s77
	s_waitcnt lgkmcnt(0)
	v_cvt_f32_u32_e32 v1, s7
	s_sub_i32 s15, 0, s7
	v_rcp_iflag_f32_e32 v1, v1
	v_mul_f32_e32 v1, 0x4f7ffffe, v1
	v_cvt_u32_f32_e32 v1, v1
	v_readfirstlane_b32 s16, v1
	s_mul_i32 s15, s15, s16
	s_mul_hi_u32 s15, s16, s15
	s_add_i32 s16, s16, s15
	s_mul_hi_u32 s15, s77, s16
	s_mul_i32 s16, s15, s7
	s_sub_i32 s16, s77, s16
	s_add_i32 s17, s15, 1
	s_sub_i32 s18, s16, s7
	s_cmp_ge_u32 s16, s7
	s_cselect_b32 s15, s17, s15
	s_cselect_b32 s16, s18, s16
	s_add_i32 s17, s15, 1
	s_cmp_ge_u32 s16, s7
	s_cselect_b32 s77, s17, s15
	s_mul_i32 s7, s77, s7
	s_sub_i32 s7, s10, s7
	s_mul_i32 s7, s11, s7
	s_add_i32 s5, s5, -1
	s_add_i32 s67, s7, s67
	s_add_u32 s8, s8, -4
	s_addc_u32 s9, s9, -1
	s_cmp_gt_u32 s5, 2
	s_cbranch_scc1 .LBB91_9
.LBB91_10:
	s_load_dword s2, s[2:3], 0x6c
	s_mov_b32 s73, 0
	s_waitcnt lgkmcnt(0)
	v_writelane_b32 v47, s2, 1
	s_load_dwordx2 s[2:3], s[20:21], 0x0
	s_load_dwordx2 s[8:9], s[20:21], 0xf0
	s_waitcnt lgkmcnt(0)
	v_writelane_b32 v47, s8, 2
	v_writelane_b32 v47, s9, 3
	s_load_dwordx2 s[8:9], s[20:21], 0x1d0
	s_waitcnt lgkmcnt(0)
	v_writelane_b32 v47, s8, 4
	v_writelane_b32 v47, s9, 5
	v_cmp_eq_u32_e64 s[8:9], 0, v0
	s_mov_b64 s[10:11], exec
	v_writelane_b32 v47, s8, 6
	v_writelane_b32 v47, s9, 7
	s_and_b64 s[8:9], s[10:11], s[8:9]
	s_mov_b64 exec, s[8:9]
; %bb.11:
	v_mov_b32_e32 v1, 0
	v_mov_b32_e32 v2, s60
	;; [unrolled: 1-line block ×3, first 2 shown]
	ds_write_b96 v1, v[1:3] offset:4096
; %bb.12:
	s_or_b64 exec, exec, s[10:11]
	s_mul_i32 s0, s4, s0
	s_add_i32 s72, s0, s1
	s_lshl_b64 s[0:1], s[72:73], 2
	s_add_u32 s64, s2, s0
	s_addc_u32 s66, s3, s1
	s_waitcnt lgkmcnt(0)
	s_barrier
	s_load_dword s0, s[12:13], 0xc
	s_bitcmp1_b32 s62, 0
	s_cselect_b64 s[2:3], -1, 0
	v_writelane_b32 v47, s2, 8
	v_writelane_b32 v47, s3, 9
	s_xor_b64 s[2:3], s[2:3], -1
	v_mbcnt_lo_u32_b32 v1, -1, 0
	v_writelane_b32 v47, s2, 10
	v_mbcnt_hi_u32_b32 v19, -1, v1
	v_writelane_b32 v47, s3, 11
	s_waitcnt lgkmcnt(0)
	s_and_b32 s72, s0, 0xffff
	v_cmp_gt_u32_e32 vcc, 64, v0
	v_cmp_gt_i32_e64 s[2:3], 4, v19
	s_lshl_b32 s8, s72, 2
	s_bfe_u32 s4, s0, 0xa0006
	s_and_b64 s[74:75], vcc, s[2:3]
	s_cmpk_gt_u32 s60, 0x300
	s_cselect_b64 s[2:3], -1, 0
	v_writelane_b32 v47, s2, 12
	v_writelane_b32 v47, s3, 13
	;; [unrolled: 1-line block ×3, first 2 shown]
	s_load_dword s7, s[20:21], 0xe8
	v_mov_b32_e32 v9, 0
	v_mov_b32_e32 v8, v9
	v_writelane_b32 v47, s21, 15
	v_cmp_gt_u32_e64 s[2:3], s60, v0
	s_waitcnt lgkmcnt(0)
	v_mul_lo_u32 v7, s7, v0
	v_writelane_b32 v47, s2, 16
	v_mov_b32_e32 v20, s66
	s_cmp_gt_u32 s72, 63
	v_lshlrev_b64 v[1:2], 2, v[7:8]
	v_writelane_b32 v47, s3, 17
	v_add_co_u32_e32 v5, vcc, s64, v1
	v_addc_co_u32_e32 v6, vcc, v20, v2, vcc
	s_cselect_b64 s[2:3], -1, 0
	v_lshlrev_b64 v[2:3], v19, -1
	v_writelane_b32 v47, s2, 18
	v_writelane_b32 v47, s3, 19
	v_cmp_gt_u32_e64 s[2:3], 2, v0
	v_not_b32_e32 v17, v2
	v_lshrrev_b32_e32 v2, 2, v0
	v_writelane_b32 v47, s2, 20
	v_and_b32_e32 v2, 0xf0, v2
	v_writelane_b32 v47, s3, 21
	s_add_i32 s2, s72, -1
	v_or_b32_e32 v22, 0xc00, v2
	v_cvt_f32_u32_e32 v2, s8
	v_writelane_b32 v47, s2, 22
	s_add_i32 s2, s2, s60
	s_cmp_lt_u32 s6, s14
	s_cselect_b32 s3, 12, 18
	s_add_u32 s10, s12, s3
	v_rcp_iflag_f32_e32 v2, v2
	s_addc_u32 s11, s13, 0
	s_add_i32 s3, s4, -1
	s_bfe_u32 s5, s72, 0x30006
	s_and_b32 s3, s3, 0xffff
	v_writelane_b32 v47, s10, 23
	s_cmp_gt_u32 s3, 6
	v_writelane_b32 v47, s11, 24
	s_cselect_b64 s[10:11], -1, 0
	v_mul_f32_e32 v2, 0x4f7ffffe, v2
	v_writelane_b32 v47, s10, 25
	s_and_b32 s9, s4, 0x3f8
	v_cvt_u32_f32_e32 v2, v2
	v_writelane_b32 v47, s11, 26
	s_cmp_lg_u32 s5, 0
	v_writelane_b32 v47, s5, 27
	s_cselect_b64 s[4:5], -1, 0
	v_writelane_b32 v47, s4, 28
	v_writelane_b32 v47, s5, 29
	s_sub_i32 s3, 0, s8
	v_readfirstlane_b32 s4, v2
	s_mul_i32 s3, s3, s4
	s_mul_hi_u32 s3, s4, s3
	s_add_i32 s3, s4, s3
	v_writelane_b32 v47, s3, 30
	s_mul_hi_u32 s3, s60, s3
	s_mul_i32 s3, s3, s8
	v_cvt_f32_u32_e32 v2, s72
	s_sub_i32 s3, s60, s3
	s_sub_i32 s4, s3, s8
	s_cmp_ge_u32 s3, s8
	s_cselect_b32 s3, s4, s3
	v_rcp_iflag_f32_e32 v4, v2
	s_sub_i32 s4, s3, s8
	s_cmp_ge_u32 s3, s8
	s_cselect_b32 s3, s4, s3
	v_lshlrev_b32_e32 v18, 2, v0
	s_sub_i32 s79, s60, s3
	v_mul_f32_e32 v4, 0x4f7ffffe, v4
	v_cmp_gt_u32_e64 s[4:5], s79, v18
	v_cvt_u32_f32_e32 v4, v4
	v_add_u32_e32 v23, s79, v0
	v_writelane_b32 v47, s4, 31
	v_writelane_b32 v47, s5, 32
	v_cmp_gt_u32_e64 s[4:5], s60, v23
	v_writelane_b32 v47, s4, 33
	v_writelane_b32 v47, s5, 34
	s_sub_i32 s4, 0, s72
	v_readfirstlane_b32 s5, v4
	s_mul_i32 s4, s4, s5
	v_mul_lo_u32 v8, v23, s7
	s_mul_hi_u32 s4, s5, s4
	s_add_i32 s4, s5, s4
	v_writelane_b32 v47, s4, 35
	s_mul_hi_u32 s4, s2, s4
	s_mul_i32 s4, s4, s72
	v_not_b32_e32 v16, v3
	v_lshlrev_b64 v[2:3], 2, v[8:9]
	s_sub_i32 s4, s2, s4
	s_sub_i32 s5, s4, s72
	v_add_co_u32_e32 v10, vcc, s64, v2
	s_cmp_ge_u32 s4, s72
	v_mul_lo_u32 v2, s7, v18
	s_cselect_b32 s4, s5, s4
	s_sub_i32 s5, s4, s72
	s_cmp_ge_u32 s4, s72
	s_cselect_b32 s4, s5, s4
	v_add_u32_e32 v25, s7, v2
	v_or_b32_e32 v2, 2, v18
	s_sub_i32 s12, s2, s4
	v_mul_lo_u32 v26, s7, v2
	v_or_b32_e32 v2, 3, v18
	s_add_i32 s2, s72, s60
	v_mul_lo_u32 v27, s7, v2
	v_add_u32_e32 v2, s2, v0
	v_subrev_u32_e32 v2, s3, v2
	v_mul_lo_u32 v29, s7, v2
	v_lshlrev_b32_e32 v1, 2, v19
	v_mov_b32_e32 v8, s66
	v_cmp_gt_u32_e64 s[4:5], s12, v0
	s_mul_i32 s33, s7, s72
	v_cmp_eq_u32_e64 s[0:1], 0, v19
	v_add_u32_e32 v21, 0xc00, v18
	v_and_b32_e32 v15, 0x100, v1
	v_addc_co_u32_e32 v11, vcc, v8, v3, vcc
	v_writelane_b32 v47, s4, 36
	s_lshl_b32 s13, s33, 2
	v_lshlrev_b32_e32 v28, 2, v7
	v_lshlrev_b32_e32 v30, 4, v0
	s_lshl_b32 s14, s72, 4
	v_or_b32_e32 v31, 0xc00, v1
	s_mov_b32 s15, 30
	s_mov_b64 s[86:87], 0
	v_mov_b32_e32 v34, s61
	v_bfrev_b32_e32 v32, 1
	v_mov_b32_e32 v24, 0
	v_mov_b32_e32 v33, 0
	v_mov_b32_e32 v12, 1.0
	v_mov_b32_e32 v14, 0
	v_writelane_b32 v47, s5, 37
                                        ; implicit-def: $sgpr88_sgpr89
                                        ; implicit-def: $sgpr90_sgpr91
                                        ; implicit-def: $sgpr94_sgpr95
                                        ; implicit-def: $sgpr68_sgpr69
                                        ; implicit-def: $sgpr92_sgpr93
                                        ; implicit-def: $sgpr70_sgpr71
                                        ; implicit-def: $sgpr20_sgpr21
                                        ; implicit-def: $sgpr80_sgpr81
                                        ; implicit-def: $sgpr82_sgpr83
                                        ; implicit-def: $sgpr84_sgpr85
	s_branch .LBB91_15
.LBB91_13:                              ;   in Loop: Header=BB91_15 Depth=1
	s_or_b64 exec, exec, s[18:19]
	s_andn2_b64 s[4:5], s[84:85], exec
	s_and_b64 s[10:11], s[16:17], exec
	s_or_b64 s[84:85], s[4:5], s[10:11]
	s_andn2_b64 s[82:83], s[82:83], exec
	s_andn2_b64 s[80:81], s[80:81], exec
	;; [unrolled: 1-line block ×4, first 2 shown]
	s_orn2_b64 s[6:7], s[6:7], exec
	v_mov_b32_e32 v34, v36
.LBB91_14:                              ;   in Loop: Header=BB91_15 Depth=1
	s_or_b64 exec, exec, s[2:3]
	s_and_b64 s[2:3], exec, s[6:7]
	s_or_b64 s[86:87], s[2:3], s[86:87]
	s_andn2_b64 s[2:3], s[92:93], exec
	s_and_b64 s[4:5], s[84:85], exec
	s_or_b64 s[92:93], s[2:3], s[4:5]
	s_andn2_b64 s[2:3], s[68:69], exec
	s_and_b64 s[4:5], s[82:83], exec
	;; [unrolled: 3-line block ×5, first 2 shown]
	s_or_b64 s[88:89], s[2:3], s[4:5]
	s_andn2_b64 exec, exec, s[86:87]
	s_cbranch_execz .LBB91_418
.LBB91_15:                              ; =>This Loop Header: Depth=1
                                        ;     Child Loop BB91_21 Depth 2
                                        ;     Child Loop BB91_34 Depth 2
	;; [unrolled: 1-line block ×24, first 2 shown]
	ds_read_b64 v[1:2], v9 offset:4096
	s_waitcnt lgkmcnt(0)
	v_readfirstlane_b32 s4, v1
	s_cmp_lg_u32 s4, 0
	s_cbranch_scc1 .LBB91_42
; %bb.16:                               ;   in Loop: Header=BB91_15 Depth=1
	v_readlane_b32 s2, v47, 12
	v_readlane_b32 s3, v47, 13
	s_and_b64 vcc, exec, s[2:3]
	s_cbranch_vccz .LBB91_29
; %bb.17:                               ;   in Loop: Header=BB91_15 Depth=1
	s_movk_i32 s4, 0x301
	v_cmp_gt_u32_e32 vcc, s4, v2
	s_mov_b64 s[2:3], 0
	s_mov_b64 s[6:7], 0
	s_cbranch_vccz .LBB91_30
; %bb.18:                               ;   in Loop: Header=BB91_15 Depth=1
	s_mov_b64 s[16:17], exec
	v_readlane_b32 s4, v47, 16
	v_readlane_b32 s5, v47, 17
	s_and_b64 s[4:5], s[16:17], s[4:5]
	s_mov_b64 exec, s[4:5]
	s_cbranch_execz .LBB91_91
; %bb.19:                               ;   in Loop: Header=BB91_15 Depth=1
	v_readlane_b32 s4, v47, 23
	v_readlane_b32 s5, v47, 24
	s_nop 4
	global_load_ushort v1, v9, s[4:5]
	global_load_dword v2, v[5:6], off
	v_readlane_b32 s4, v47, 14
	v_readlane_b32 s5, v47, 15
	s_load_dword s4, s[4:5], 0xe8
	s_mov_b64 s[22:23], 0
	v_mov_b32_e32 v4, v0
	s_waitcnt vmcnt(1)
	v_add_u32_e32 v3, v0, v1
	s_waitcnt lgkmcnt(0)
	v_mul_lo_u32 v8, s4, v3
	v_mul_lo_u32 v3, s4, v1
	s_branch .LBB91_21
.LBB91_20:                              ;   in Loop: Header=BB91_21 Depth=2
	s_or_b64 exec, exec, s[6:7]
	v_add_u32_e32 v8, v8, v3
	v_mov_b32_e32 v2, v13
	s_andn2_b64 exec, exec, s[22:23]
	s_cbranch_execz .LBB91_91
.LBB91_21:                              ;   Parent Loop BB91_15 Depth=1
                                        ; =>  This Inner Loop Header: Depth=2
	v_add_u32_e32 v4, v4, v1
	v_cmp_gt_u32_e64 s[6:7], s60, v4
	v_cmp_le_u32_e32 vcc, s60, v4
	s_waitcnt lgkmcnt(0)
	v_mov_b32_e32 v35, 0
	v_mov_b32_e32 v13, 0
	s_and_saveexec_b64 s[18:19], s[6:7]
	s_cbranch_execz .LBB91_23
; %bb.22:                               ;   in Loop: Header=BB91_21 Depth=2
	v_lshlrev_b64 v[36:37], 2, v[8:9]
	v_add_co_u32_e64 v36, s[6:7], s64, v36
	v_addc_co_u32_e64 v37, s[6:7], v20, v37, s[6:7]
	global_load_dword v13, v[36:37], off
.LBB91_23:                              ;   in Loop: Header=BB91_21 Depth=2
	s_or_b64 exec, exec, s[18:19]
	s_waitcnt vmcnt(0)
	v_cmp_lt_i32_e64 s[6:7], -1, v2
	v_cndmask_b32_e64 v36, -1, v32, s[6:7]
	v_xor_b32_e32 v36, v36, v2
	v_cmp_o_f32_e64 s[6:7], v2, v2
	v_cndmask_b32_e64 v36, -1, v36, s[6:7]
	v_and_b32_e32 v36, v36, v33
	v_cmp_eq_u32_e64 s[18:19], v36, v24
	s_cmp_lg_u64 s[18:19], 0
	s_cselect_b64 s[4:5], -1, 0
	s_and_b64 s[4:5], s[0:1], s[4:5]
	s_and_saveexec_b64 s[24:25], s[4:5]
	s_cbranch_execz .LBB91_27
; %bb.24:                               ;   in Loop: Header=BB91_21 Depth=2
	s_mov_b64 s[28:29], exec
	v_mbcnt_lo_u32_b32 v35, s28, 0
	v_mbcnt_hi_u32_b32 v35, s29, v35
	s_bcnt1_i32_b64 s4, s[18:19]
	v_cmp_eq_u32_e64 s[6:7], 0, v35
                                        ; implicit-def: $vgpr36
	s_and_saveexec_b64 s[26:27], s[6:7]
; %bb.25:                               ;   in Loop: Header=BB91_21 Depth=2
	s_bcnt1_i32_b64 s5, s[28:29]
	s_mul_i32 s5, s4, s5
	v_mov_b32_e32 v36, s5
	ds_add_rtn_u32 v36, v9, v36 offset:4104
; %bb.26:                               ;   in Loop: Header=BB91_21 Depth=2
	s_or_b64 exec, exec, s[26:27]
	s_waitcnt lgkmcnt(0)
	v_readfirstlane_b32 s5, v36
	v_mov_b32_e32 v36, s5
	v_mad_u32_u24 v35, s4, v35, v36
.LBB91_27:                              ;   in Loop: Header=BB91_21 Depth=2
	s_or_b64 exec, exec, s[24:25]
	ds_bpermute_b32 v35, v15, v35
	s_and_b64 s[4:5], exec, vcc
	s_or_b64 s[22:23], s[4:5], s[22:23]
	s_and_saveexec_b64 s[6:7], s[18:19]
	s_cbranch_execz .LBB91_20
; %bb.28:                               ;   in Loop: Header=BB91_21 Depth=2
	v_and_b32_e32 v37, s18, v17
	v_and_b32_e32 v36, s19, v16
	v_bcnt_u32_b32 v37, v37, 0
	v_bcnt_u32_b32 v36, v36, v37
	v_lshlrev_b32_e32 v36, 2, v36
	s_waitcnt lgkmcnt(0)
	v_lshl_add_u32 v35, v35, 2, v36
	ds_write_b32 v35, v2
	s_branch .LBB91_20
.LBB91_29:                              ;   in Loop: Header=BB91_15 Depth=1
	s_mov_b64 s[2:3], -1
	s_mov_b64 s[6:7], 0
.LBB91_30:                              ;   in Loop: Header=BB91_15 Depth=1
	s_and_b64 vcc, exec, s[2:3]
	s_cbranch_vccz .LBB91_40
.LBB91_31:                              ;   in Loop: Header=BB91_15 Depth=1
	s_mov_b64 s[2:3], exec
	v_readlane_b32 s4, v47, 16
	v_readlane_b32 s5, v47, 17
	s_and_b64 s[4:5], s[2:3], s[4:5]
	s_mov_b64 exec, s[4:5]
	s_cbranch_execz .LBB91_37
; %bb.32:                               ;   in Loop: Header=BB91_15 Depth=1
	v_readlane_b32 s4, v47, 23
	v_readlane_b32 s5, v47, 24
	s_nop 4
	global_load_ushort v1, v9, s[4:5]
	global_load_dword v2, v[5:6], off
	v_mov_b32_e32 v3, v0
	s_waitcnt vmcnt(1)
	v_add_u32_e32 v8, v0, v1
	v_cmp_gt_u32_e32 vcc, s60, v8
	s_and_saveexec_b64 s[6:7], vcc
	s_cbranch_execz .LBB91_36
; %bb.33:                               ;   in Loop: Header=BB91_15 Depth=1
	v_readlane_b32 s4, v47, 14
	v_readlane_b32 s5, v47, 15
	s_load_dword s4, s[4:5], 0xe8
	v_lshlrev_b32_e32 v4, 2, v1
	s_mov_b64 s[16:17], 0
	v_mov_b32_e32 v35, v18
	v_mov_b32_e32 v3, v0
	s_waitcnt lgkmcnt(0)
	v_mul_lo_u32 v8, s4, v8
	v_mul_lo_u32 v13, s4, v1
.LBB91_34:                              ;   Parent Loop BB91_15 Depth=1
                                        ; =>  This Inner Loop Header: Depth=2
	v_lshlrev_b64 v[36:37], 2, v[8:9]
	v_mov_b32_e32 v38, s66
	v_add_co_u32_e32 v36, vcc, s64, v36
	v_addc_co_u32_e32 v37, vcc, v38, v37, vcc
	global_load_dword v36, v[36:37], off
	v_add_u32_e32 v3, v3, v1
	s_waitcnt vmcnt(1)
	ds_write_b32 v35, v2
	v_add_u32_e32 v2, v1, v3
	v_cmp_le_u32_e32 vcc, s60, v2
	v_add_u32_e32 v35, v35, v4
	v_add_u32_e32 v8, v8, v13
	s_or_b64 s[16:17], vcc, s[16:17]
	s_waitcnt vmcnt(0)
	v_mov_b32_e32 v2, v36
	s_andn2_b64 exec, exec, s[16:17]
	s_cbranch_execnz .LBB91_34
; %bb.35:                               ;   in Loop: Header=BB91_15 Depth=1
	s_or_b64 exec, exec, s[16:17]
	v_mov_b32_e32 v2, v36
.LBB91_36:                              ;   in Loop: Header=BB91_15 Depth=1
	s_or_b64 exec, exec, s[6:7]
	v_lshlrev_b32_e32 v1, 2, v3
	s_waitcnt vmcnt(0)
	ds_write_b32 v1, v2
.LBB91_37:                              ;   in Loop: Header=BB91_15 Depth=1
	s_or_b64 exec, exec, s[2:3]
	s_waitcnt lgkmcnt(0)
	s_barrier
	s_mov_b64 s[2:3], exec
	v_readlane_b32 s4, v47, 6
	v_readlane_b32 s5, v47, 7
	s_and_b64 s[4:5], s[2:3], s[4:5]
	s_mov_b64 exec, s[4:5]
; %bb.38:                               ;   in Loop: Header=BB91_15 Depth=1
	v_mov_b32_e32 v1, s60
	ds_write_b32 v9, v1 offset:4096
; %bb.39:                               ;   in Loop: Header=BB91_15 Depth=1
	s_or_b64 exec, exec, s[2:3]
	s_mov_b64 s[6:7], -1
	s_waitcnt lgkmcnt(0)
	s_barrier
.LBB91_40:                              ;   in Loop: Header=BB91_15 Depth=1
	s_mov_b32 s4, 0
	s_and_b64 vcc, exec, s[6:7]
	s_cbranch_vccz .LBB91_42
; %bb.41:                               ;   in Loop: Header=BB91_15 Depth=1
	ds_read_b32 v1, v9 offset:4096
	s_waitcnt lgkmcnt(0)
	v_readfirstlane_b32 s4, v1
.LBB91_42:                              ;   in Loop: Header=BB91_15 Depth=1
	s_cmp_lt_i32 s4, 1
	s_mov_b64 s[2:3], -1
                                        ; implicit-def: $vgpr1
	s_cbranch_scc1 .LBB91_52
; %bb.43:                               ;   in Loop: Header=BB91_15 Depth=1
	s_and_b64 vcc, exec, s[2:3]
	s_cbranch_vccnz .LBB91_63
.LBB91_44:                              ;   in Loop: Header=BB91_15 Depth=1
	s_lshl_b32 s4, s73, 6
	s_and_saveexec_b64 s[2:3], s[0:1]
.LBB91_45:                              ;   in Loop: Header=BB91_15 Depth=1
	v_lshl_add_u32 v8, s4, 2, v22
	ds_write_b128 v8, v[1:4]
.LBB91_46:                              ;   in Loop: Header=BB91_15 Depth=1
	s_or_b64 exec, exec, s[2:3]
	s_waitcnt lgkmcnt(0)
	s_barrier
	s_and_saveexec_b64 s[2:3], s[74:75]
	s_cbranch_execz .LBB91_77
; %bb.47:                               ;   in Loop: Header=BB91_15 Depth=1
	v_readlane_b32 s6, v47, 18
	v_readlane_b32 s7, v47, 19
	s_andn2_b64 vcc, exec, s[6:7]
	v_mov_b32_e32 v1, 0
	s_cbranch_vccnz .LBB91_76
; %bb.48:                               ;   in Loop: Header=BB91_15 Depth=1
	v_readlane_b32 s6, v47, 25
	v_readlane_b32 s7, v47, 26
	s_andn2_b64 vcc, exec, s[6:7]
	s_cbranch_vccnz .LBB91_72
; %bb.49:                               ;   in Loop: Header=BB91_15 Depth=1
	v_lshl_add_u32 v2, s73, 8, v31
	s_mov_b32 s5, 0
	v_mov_b32_e32 v1, 0
.LBB91_50:                              ;   Parent Loop BB91_15 Depth=1
                                        ; =>  This Inner Loop Header: Depth=2
	ds_read2_b32 v[3:4], v2 offset1:4
	ds_read2_b32 v[35:36], v2 offset0:8 offset1:12
	ds_read2_b32 v[37:38], v2 offset0:16 offset1:20
	;; [unrolled: 1-line block ×3, first 2 shown]
	s_add_i32 s5, s5, 8
	s_waitcnt lgkmcnt(3)
	v_add3_u32 v1, v3, v1, v4
	s_waitcnt lgkmcnt(2)
	v_add3_u32 v1, v35, v1, v36
	;; [unrolled: 2-line block ×3, first 2 shown]
	v_add_u32_e32 v2, 0x80, v2
	s_cmp_eq_u32 s9, s5
	s_waitcnt lgkmcnt(0)
	v_add3_u32 v1, v39, v1, v40
	s_cbranch_scc0 .LBB91_50
; %bb.51:                               ;   in Loop: Header=BB91_15 Depth=1
	s_mov_b32 s5, s9
	s_branch .LBB91_73
.LBB91_52:                              ;   in Loop: Header=BB91_15 Depth=1
	v_mov_b32_e32 v1, 0
	v_mov_b32_e32 v2, 0
	;; [unrolled: 1-line block ×4, first 2 shown]
	s_mov_b64 s[48:49], exec
	v_readlane_b32 s2, v47, 31
	v_readlane_b32 s3, v47, 32
	s_and_b64 s[2:3], s[48:49], s[2:3]
	s_mov_b64 exec, s[2:3]
	s_cbranch_execz .LBB91_56
; %bb.53:                               ;   in Loop: Header=BB91_15 Depth=1
	s_mov_b32 s2, 0
	s_mov_b64 s[50:51], 0
	s_mov_b32 s3, 0
	s_mov_b32 s5, 0
	;; [unrolled: 1-line block ×4, first 2 shown]
	v_mov_b32_e32 v13, v18
.LBB91_54:                              ;   Parent Loop BB91_15 Depth=1
                                        ; =>  This Inner Loop Header: Depth=2
	v_add_u32_e32 v8, s2, v28
	v_lshlrev_b64 v[2:3], 2, v[8:9]
	v_add_u32_e32 v8, s2, v25
	v_mov_b32_e32 v1, s66
	v_lshlrev_b64 v[35:36], 2, v[8:9]
	v_add_co_u32_e64 v2, s[6:7], s64, v2
	v_add_u32_e32 v8, s2, v26
	v_addc_co_u32_e64 v3, s[6:7], v1, v3, s[6:7]
	v_lshlrev_b64 v[37:38], 2, v[8:9]
	global_load_dword v4, v[2:3], off
	v_add_co_u32_e64 v2, s[6:7], s64, v35
	v_add_u32_e32 v8, s2, v27
	v_addc_co_u32_e64 v3, s[6:7], v1, v36, s[6:7]
	v_lshlrev_b64 v[39:40], 2, v[8:9]
	global_load_dword v8, v[2:3], off
	v_add_co_u32_e64 v2, s[6:7], s64, v37
	v_addc_co_u32_e64 v3, s[6:7], v1, v38, s[6:7]
	global_load_dword v35, v[2:3], off
	v_add_co_u32_e64 v2, s[6:7], s64, v39
	v_addc_co_u32_e64 v3, s[6:7], v1, v40, s[6:7]
	global_load_dword v1, v[2:3], off
	v_add_u32_e32 v13, s8, v13
	v_cmp_le_u32_e32 vcc, s79, v13
	s_add_i32 s2, s2, s13
	s_waitcnt vmcnt(3)
	v_cmp_lt_i32_e64 s[6:7], -1, v4
	v_cndmask_b32_e64 v2, -1, v32, s[6:7]
	v_xor_b32_e32 v2, v2, v4
	s_waitcnt vmcnt(2)
	v_cmp_lt_i32_e64 s[6:7], -1, v8
	v_cndmask_b32_e64 v3, -1, v32, s[6:7]
	v_cmp_o_f32_e64 s[6:7], v4, v4
	v_cndmask_b32_e64 v2, -1, v2, s[6:7]
	v_xor_b32_e32 v3, v3, v8
	s_waitcnt vmcnt(1)
	v_cmp_lt_i32_e64 s[6:7], -1, v35
	v_cndmask_b32_e64 v4, -1, v32, s[6:7]
	v_cmp_o_f32_e64 s[6:7], v8, v8
	v_cndmask_b32_e64 v3, -1, v3, s[6:7]
	v_xor_b32_e32 v4, v4, v35
	s_waitcnt vmcnt(0)
	v_cmp_lt_i32_e64 s[6:7], -1, v1
	v_cndmask_b32_e64 v8, -1, v32, s[6:7]
	v_and_b32_e32 v36, v2, v33
	v_bfe_u32 v2, v2, s15, 2
	v_cmp_o_f32_e64 s[6:7], v35, v35
	v_cndmask_b32_e64 v4, -1, v4, s[6:7]
	v_cmp_eq_u32_e64 s[6:7], v36, v24
	v_cmp_eq_u32_e64 s[18:19], 0, v2
	v_and_b32_e32 v35, v3, v33
	v_bfe_u32 v3, v3, s15, 2
	v_cmp_eq_u32_e64 s[22:23], 1, v2
	s_and_b64 s[16:17], s[6:7], s[18:19]
	v_xor_b32_e32 v8, v8, v1
	v_cmp_eq_u32_e64 s[24:25], 2, v2
	v_cmp_o_f32_e64 s[28:29], v1, v1
	v_cmp_eq_u32_e64 s[30:31], 0, v3
	v_cmp_eq_u32_e64 s[34:35], 1, v3
	;; [unrolled: 1-line block ×4, first 2 shown]
	v_cndmask_b32_e64 v3, 0, 1, s[16:17]
	s_and_b64 s[16:17], s[6:7], s[22:23]
	v_cndmask_b32_e64 v1, -1, v8, s[28:29]
	v_cmp_eq_u32_e64 s[28:29], v35, v24
	v_cndmask_b32_e64 v8, 0, 1, s[16:17]
	s_and_b64 s[16:17], s[6:7], s[24:25]
	v_cndmask_b32_e64 v35, 0, 1, s[16:17]
	s_and_b64 s[16:17], s[28:29], s[30:31]
	v_cmp_eq_u32_e64 s[26:27], 3, v2
	v_and_b32_e32 v2, v4, v33
	v_bfe_u32 v4, v4, s15, 2
	v_cmp_ne_u32_e64 s[40:41], 0, v3
	v_cndmask_b32_e64 v3, 0, 1, s[16:17]
	s_and_b64 s[16:17], s[28:29], s[34:35]
	s_and_b64 s[6:7], s[6:7], s[26:27]
	v_cmp_eq_u32_e64 s[18:19], 0, v4
	v_cmp_eq_u32_e64 s[22:23], 1, v4
	;; [unrolled: 1-line block ×4, first 2 shown]
	v_cndmask_b32_e64 v4, 0, 1, s[16:17]
	s_and_b64 s[16:17], s[28:29], s[36:37]
	v_cndmask_b32_e64 v36, 0, 1, s[6:7]
	v_cmp_eq_u32_e64 s[6:7], v2, v24
	v_cmp_ne_u32_e64 s[30:31], 0, v8
	v_cndmask_b32_e64 v8, 0, 1, s[16:17]
	s_and_b64 s[16:17], s[28:29], s[38:39]
	v_and_b32_e32 v2, v1, v33
	v_bfe_u32 v1, v1, s15, 2
	v_cmp_ne_u32_e64 s[34:35], 0, v35
	v_cndmask_b32_e64 v35, 0, 1, s[16:17]
	s_and_b64 s[16:17], s[6:7], s[18:19]
	v_cmp_eq_u32_e64 s[38:39], 0, v1
	v_cmp_eq_u32_e64 s[42:43], 1, v1
	;; [unrolled: 1-line block ×4, first 2 shown]
	v_cndmask_b32_e64 v1, 0, 1, s[16:17]
	s_and_b64 s[16:17], s[6:7], s[22:23]
	v_cmp_eq_u32_e64 s[28:29], v2, v24
	v_cndmask_b32_e64 v2, 0, 1, s[16:17]
	s_and_b64 s[16:17], s[6:7], s[24:25]
	s_bcnt1_i32_b64 s52, s[40:41]
	v_cmp_ne_u32_e64 s[40:41], 0, v3
	v_cndmask_b32_e64 v3, 0, 1, s[16:17]
	s_and_b64 s[6:7], s[6:7], s[26:27]
	s_and_b64 s[16:17], s[28:29], s[38:39]
	s_bcnt1_i32_b64 s30, s[30:31]
	v_cmp_ne_u32_e64 s[18:19], 0, v4
	v_cndmask_b32_e64 v4, 0, 1, s[6:7]
	v_cmp_ne_u32_e64 s[6:7], 0, v1
	v_cndmask_b32_e64 v1, 0, 1, s[16:17]
	s_and_b64 s[16:17], s[28:29], s[42:43]
	v_cmp_ne_u32_e64 s[36:37], 0, v36
	s_bcnt1_i32_b64 s31, s[34:35]
	v_cmp_ne_u32_e64 s[22:23], 0, v8
	s_add_i32 s27, s11, s52
	s_bcnt1_i32_b64 s35, s[18:19]
	v_cmp_ne_u32_e64 s[18:19], 0, v2
	v_cndmask_b32_e64 v2, 0, 1, s[16:17]
	s_add_i32 s16, s10, s30
	s_and_b64 s[10:11], s[28:29], s[44:45]
	s_bcnt1_i32_b64 s34, s[36:37]
	v_cmp_ne_u32_e64 s[24:25], 0, v35
	s_bcnt1_i32_b64 s17, s[22:23]
	v_cmp_ne_u32_e64 s[22:23], 0, v3
	v_cndmask_b32_e64 v3, 0, 1, s[10:11]
	s_and_b64 s[10:11], s[28:29], s[46:47]
	s_bcnt1_i32_b64 s26, s[40:41]
	s_add_i32 s5, s5, s31
	s_bcnt1_i32_b64 s30, s[24:25]
	v_cmp_ne_u32_e64 s[24:25], 0, v4
	v_cndmask_b32_e64 v4, 0, 1, s[10:11]
	s_add_i32 s3, s3, s34
	s_bcnt1_i32_b64 s10, s[6:7]
	v_cmp_ne_u32_e64 s[6:7], 0, v1
	s_add_i32 s11, s27, s26
	s_bcnt1_i32_b64 s26, s[18:19]
	v_cmp_ne_u32_e64 s[18:19], 0, v2
	;; [unrolled: 3-line block ×4, first 2 shown]
	s_add_i32 s3, s3, s30
	s_bcnt1_i32_b64 s6, s[6:7]
	s_add_i32 s7, s11, s10
	s_bcnt1_i32_b64 s10, s[18:19]
	;; [unrolled: 2-line block ×4, first 2 shown]
	s_add_i32 s3, s3, s17
	s_add_i32 s11, s7, s6
	;; [unrolled: 1-line block ×5, first 2 shown]
	s_or_b64 s[50:51], vcc, s[50:51]
	v_mov_b32_e32 v1, s11
	v_mov_b32_e32 v2, s10
	;; [unrolled: 1-line block ×4, first 2 shown]
	s_andn2_b64 exec, exec, s[50:51]
	s_cbranch_execnz .LBB91_54
; %bb.55:                               ;   in Loop: Header=BB91_15 Depth=1
	s_or_b64 exec, exec, s[50:51]
.LBB91_56:                              ;   in Loop: Header=BB91_15 Depth=1
	s_or_b64 exec, exec, s[48:49]
	s_mov_b64 s[2:3], exec
	v_readlane_b32 s6, v47, 33
	v_readlane_b32 s7, v47, 34
	s_and_b64 s[6:7], s[2:3], s[6:7]
	s_mov_b64 exec, s[6:7]
	s_cbranch_execz .LBB91_62
; %bb.57:                               ;   in Loop: Header=BB91_15 Depth=1
	global_load_dword v35, v[10:11], off
	s_mov_b64 s[16:17], 0
	v_mov_b32_e32 v8, v29
	v_mov_b32_e32 v13, v23
	s_branch .LBB91_59
.LBB91_58:                              ;   in Loop: Header=BB91_59 Depth=2
	s_or_b64 exec, exec, s[18:19]
	s_and_b64 s[6:7], exec, vcc
	s_waitcnt vmcnt(0)
	v_cmp_lt_i32_e32 vcc, -1, v35
	v_cndmask_b32_e32 v37, -1, v32, vcc
	v_xor_b32_e32 v37, v37, v35
	v_cmp_o_f32_e32 vcc, v35, v35
	v_cndmask_b32_e32 v35, -1, v37, vcc
	v_and_b32_e32 v37, v35, v33
	v_bfe_u32 v35, v35, s15, 2
	s_or_b64 s[16:17], s[6:7], s[16:17]
	v_cmp_eq_u32_e32 vcc, v37, v24
	v_cmp_eq_u32_e64 s[6:7], 0, v35
	s_and_b64 s[6:7], vcc, s[6:7]
	v_cndmask_b32_e64 v37, 0, 1, s[6:7]
	v_cmp_ne_u32_e64 s[6:7], 0, v37
	s_bcnt1_i32_b64 s5, s[6:7]
	v_cmp_eq_u32_e64 s[6:7], 1, v35
	s_and_b64 s[6:7], vcc, s[6:7]
	v_cndmask_b32_e64 v37, 0, 1, s[6:7]
	v_cmp_ne_u32_e64 s[6:7], 0, v37
	v_add_u32_e32 v1, s5, v1
	s_bcnt1_i32_b64 s5, s[6:7]
	v_cmp_eq_u32_e64 s[6:7], 2, v35
	s_and_b64 s[6:7], vcc, s[6:7]
	v_cndmask_b32_e64 v37, 0, 1, s[6:7]
	v_cmp_ne_u32_e64 s[6:7], 0, v37
	v_add_u32_e32 v2, s5, v2
	s_bcnt1_i32_b64 s5, s[6:7]
	v_cmp_eq_u32_e64 s[6:7], 3, v35
	s_and_b64 s[6:7], vcc, s[6:7]
	v_cndmask_b32_e64 v35, 0, 1, s[6:7]
	v_cmp_ne_u32_e32 vcc, 0, v35
	v_add_u32_e32 v3, s5, v3
	s_bcnt1_i32_b64 s5, vcc
	v_add_u32_e32 v4, s5, v4
	v_add_u32_e32 v8, s33, v8
	v_mov_b32_e32 v35, v36
	s_andn2_b64 exec, exec, s[16:17]
	s_cbranch_execz .LBB91_61
.LBB91_59:                              ;   Parent Loop BB91_15 Depth=1
                                        ; =>  This Inner Loop Header: Depth=2
	v_add_u32_e32 v13, s72, v13
	v_cmp_gt_u32_e64 s[6:7], s60, v13
	v_cmp_le_u32_e32 vcc, s60, v13
	v_mov_b32_e32 v36, 0
	s_and_saveexec_b64 s[18:19], s[6:7]
	s_cbranch_execz .LBB91_58
; %bb.60:                               ;   in Loop: Header=BB91_59 Depth=2
	v_lshlrev_b64 v[36:37], 2, v[8:9]
	v_mov_b32_e32 v38, s66
	v_add_co_u32_e64 v36, s[6:7], s64, v36
	v_addc_co_u32_e64 v37, s[6:7], v38, v37, s[6:7]
	global_load_dword v36, v[36:37], off
	s_branch .LBB91_58
.LBB91_61:                              ;   in Loop: Header=BB91_15 Depth=1
	s_or_b64 exec, exec, s[16:17]
.LBB91_62:                              ;   in Loop: Header=BB91_15 Depth=1
	s_or_b64 exec, exec, s[2:3]
	s_branch .LBB91_44
.LBB91_63:                              ;   in Loop: Header=BB91_15 Depth=1
	v_readlane_b32 s2, v47, 30
	s_mul_hi_u32 s2, s4, s2
	s_mul_i32 s2, s2, s8
	s_sub_i32 s2, s4, s2
	s_sub_i32 s3, s2, s8
	s_cmp_ge_u32 s2, s8
	s_cselect_b32 s2, s3, s2
	s_sub_i32 s3, s2, s8
	s_cmp_ge_u32 s2, s8
	s_cselect_b32 s2, s3, s2
	s_sub_i32 s5, s4, s2
	v_cmp_gt_u32_e32 vcc, s5, v18
	v_mov_b32_e32 v1, 0
	v_mov_b32_e32 v2, 0
	;; [unrolled: 1-line block ×4, first 2 shown]
	s_and_saveexec_b64 s[2:3], vcc
	s_cbranch_execz .LBB91_67
; %bb.64:                               ;   in Loop: Header=BB91_15 Depth=1
	s_mov_b32 s10, 0
	s_mov_b64 s[16:17], 0
	v_mov_b32_e32 v8, v30
	s_mov_b32 s11, 0
	s_mov_b32 s62, 0
	;; [unrolled: 1-line block ×3, first 2 shown]
	v_mov_b32_e32 v13, v18
.LBB91_65:                              ;   Parent Loop BB91_15 Depth=1
                                        ; =>  This Inner Loop Header: Depth=2
	ds_read_b128 v[1:4], v8
	v_add_u32_e32 v13, s8, v13
	v_cmp_le_u32_e32 vcc, s5, v13
	v_add_u32_e32 v8, s14, v8
	s_waitcnt lgkmcnt(0)
	v_cmp_lt_i32_e64 s[6:7], -1, v1
	v_cndmask_b32_e64 v35, -1, v32, s[6:7]
	v_cmp_lt_i32_e64 s[6:7], -1, v2
	v_cndmask_b32_e64 v36, -1, v32, s[6:7]
	;; [unrolled: 2-line block ×4, first 2 shown]
	v_xor_b32_e32 v36, v36, v2
	v_cmp_o_f32_e64 s[6:7], v2, v2
	v_xor_b32_e32 v2, v37, v3
	v_cmp_o_f32_e64 s[18:19], v3, v3
	v_xor_b32_e32 v3, v38, v4
	v_cmp_o_f32_e64 s[22:23], v4, v4
	v_xor_b32_e32 v4, v35, v1
	v_cmp_o_f32_e64 s[24:25], v1, v1
	v_cndmask_b32_e64 v1, -1, v4, s[24:25]
	v_cndmask_b32_e64 v4, -1, v36, s[6:7]
	v_and_b32_e32 v35, v1, v33
	v_bfe_u32 v1, v1, s15, 2
	v_cndmask_b32_e64 v2, -1, v2, s[18:19]
	v_and_b32_e32 v36, v4, v33
	v_bfe_u32 v4, v4, s15, 2
	v_cmp_eq_u32_e64 s[6:7], v35, v24
	v_cmp_eq_u32_e64 s[26:27], 0, v1
	v_cndmask_b32_e64 v3, -1, v3, s[22:23]
	v_and_b32_e32 v37, v2, v33
	v_bfe_u32 v2, v2, s15, 2
	v_cmp_eq_u32_e64 s[18:19], v36, v24
	v_cmp_eq_u32_e64 s[28:29], 0, v4
	s_and_b64 s[26:27], s[6:7], s[26:27]
	v_and_b32_e32 v38, v3, v33
	v_bfe_u32 v3, v3, s15, 2
	v_cmp_eq_u32_e64 s[22:23], v37, v24
	v_cmp_eq_u32_e64 s[30:31], 0, v2
	;; [unrolled: 1-line block ×5, first 2 shown]
	v_cndmask_b32_e64 v1, 0, 1, s[26:27]
	s_and_b64 s[26:27], s[18:19], s[28:29]
	v_cmp_eq_u32_e64 s[24:25], v38, v24
	v_cmp_eq_u32_e64 s[34:35], 0, v3
	;; [unrolled: 1-line block ×5, first 2 shown]
	v_cndmask_b32_e64 v2, 0, 1, s[26:27]
	s_and_b64 s[26:27], s[22:23], s[30:31]
	v_cmp_eq_u32_e64 s[42:43], 1, v3
	v_cmp_eq_u32_e64 s[50:51], 2, v3
	;; [unrolled: 1-line block ×3, first 2 shown]
	v_cndmask_b32_e64 v3, 0, 1, s[26:27]
	s_and_b64 s[26:27], s[24:25], s[34:35]
	v_cmp_eq_u32_e64 s[38:39], 1, v4
	v_cmp_eq_u32_e64 s[46:47], 2, v4
	;; [unrolled: 1-line block ×3, first 2 shown]
	v_cndmask_b32_e64 v4, 0, 1, s[26:27]
	s_and_b64 s[26:27], s[6:7], s[36:37]
	v_cndmask_b32_e64 v35, 0, 1, s[26:27]
	s_and_b64 s[26:27], s[18:19], s[38:39]
	;; [unrolled: 2-line block ×5, first 2 shown]
	s_and_b64 s[6:7], s[6:7], s[52:53]
	v_cndmask_b32_e64 v39, 0, 1, s[26:27]
	s_and_b64 s[26:27], s[18:19], s[46:47]
	v_cndmask_b32_e64 v43, 0, 1, s[6:7]
	;; [unrolled: 2-line block ×7, first 2 shown]
	v_cndmask_b32_e64 v46, 0, 1, s[6:7]
	v_cmp_ne_u32_e64 s[6:7], 0, v1
	v_cmp_ne_u32_e64 s[18:19], 0, v2
	;; [unrolled: 1-line block ×11, first 2 shown]
	s_bcnt1_i32_b64 s6, s[6:7]
	s_bcnt1_i32_b64 s7, s[18:19]
	;; [unrolled: 1-line block ×8, first 2 shown]
	v_cmp_ne_u32_e64 s[34:35], 0, v38
	v_cmp_ne_u32_e64 s[40:41], 0, v41
	;; [unrolled: 1-line block ×3, first 2 shown]
	s_bcnt1_i32_b64 s23, s[28:29]
	s_bcnt1_i32_b64 s27, s[38:39]
	;; [unrolled: 1-line block ×3, first 2 shown]
	s_add_i32 s6, s63, s6
	s_add_i32 s22, s62, s22
	;; [unrolled: 1-line block ×4, first 2 shown]
	v_cmp_ne_u32_e64 s[42:43], 0, v42
	v_cmp_ne_u32_e64 s[50:51], 0, v46
	s_bcnt1_i32_b64 s25, s[34:35]
	s_bcnt1_i32_b64 s28, s[40:41]
	;; [unrolled: 1-line block ×3, first 2 shown]
	s_add_i32 s6, s6, s7
	s_add_i32 s7, s22, s23
	;; [unrolled: 1-line block ×4, first 2 shown]
	s_bcnt1_i32_b64 s29, s[42:43]
	s_bcnt1_i32_b64 s35, s[50:51]
	s_add_i32 s6, s6, s18
	s_add_i32 s7, s7, s24
	;; [unrolled: 1-line block ×8, first 2 shown]
	s_or_b64 s[16:17], vcc, s[16:17]
	v_mov_b32_e32 v1, s63
	v_mov_b32_e32 v2, s62
	;; [unrolled: 1-line block ×4, first 2 shown]
	s_andn2_b64 exec, exec, s[16:17]
	s_cbranch_execnz .LBB91_65
; %bb.66:                               ;   in Loop: Header=BB91_15 Depth=1
	s_or_b64 exec, exec, s[16:17]
.LBB91_67:                              ;   in Loop: Header=BB91_15 Depth=1
	s_or_b64 exec, exec, s[2:3]
	v_add_u32_e32 v8, s5, v0
	v_cmp_gt_u32_e32 vcc, s4, v8
	s_and_saveexec_b64 s[2:3], vcc
	s_cbranch_execz .LBB91_71
; %bb.68:                               ;   in Loop: Header=BB91_15 Depth=1
	v_lshlrev_b32_e32 v13, 2, v8
	s_mov_b64 s[16:17], 0
.LBB91_69:                              ;   Parent Loop BB91_15 Depth=1
                                        ; =>  This Inner Loop Header: Depth=2
	ds_read_b32 v35, v13
	v_add_u32_e32 v8, s72, v8
	v_cmp_le_u32_e32 vcc, s4, v8
	v_add_u32_e32 v13, s8, v13
	s_waitcnt lgkmcnt(0)
	v_cmp_lt_i32_e64 s[6:7], -1, v35
	v_cndmask_b32_e64 v36, -1, v32, s[6:7]
	v_xor_b32_e32 v36, v36, v35
	v_cmp_o_f32_e64 s[6:7], v35, v35
	v_cndmask_b32_e64 v35, -1, v36, s[6:7]
	v_and_b32_e32 v36, v35, v33
	v_bfe_u32 v35, v35, s15, 2
	v_cmp_eq_u32_e64 s[6:7], v36, v24
	v_cmp_eq_u32_e64 s[18:19], 0, v35
	;; [unrolled: 1-line block ×3, first 2 shown]
	s_and_b64 s[10:11], s[6:7], s[18:19]
	v_cmp_eq_u32_e64 s[24:25], 2, v35
	v_cmp_eq_u32_e64 s[26:27], 3, v35
	v_cndmask_b32_e64 v35, 0, 1, s[10:11]
	s_and_b64 s[10:11], s[6:7], s[22:23]
	v_cndmask_b32_e64 v36, 0, 1, s[10:11]
	s_and_b64 s[10:11], s[6:7], s[24:25]
	s_and_b64 s[6:7], s[6:7], s[26:27]
	v_cndmask_b32_e64 v37, 0, 1, s[10:11]
	v_cndmask_b32_e64 v38, 0, 1, s[6:7]
	v_cmp_ne_u32_e64 s[6:7], 0, v35
	v_cmp_ne_u32_e64 s[18:19], 0, v36
	;; [unrolled: 1-line block ×4, first 2 shown]
	s_bcnt1_i32_b64 s5, s[6:7]
	s_bcnt1_i32_b64 s6, s[18:19]
	;; [unrolled: 1-line block ×4, first 2 shown]
	v_add_u32_e32 v1, s5, v1
	v_add_u32_e32 v2, s6, v2
	;; [unrolled: 1-line block ×3, first 2 shown]
	s_or_b64 s[16:17], vcc, s[16:17]
	v_add_u32_e32 v4, s10, v4
	s_andn2_b64 exec, exec, s[16:17]
	s_cbranch_execnz .LBB91_69
; %bb.70:                               ;   in Loop: Header=BB91_15 Depth=1
	s_or_b64 exec, exec, s[16:17]
.LBB91_71:                              ;   in Loop: Header=BB91_15 Depth=1
	s_or_b64 exec, exec, s[2:3]
	s_lshl_b32 s4, s73, 6
	s_and_saveexec_b64 s[2:3], s[0:1]
	s_cbranch_execnz .LBB91_45
	s_branch .LBB91_46
.LBB91_72:                              ;   in Loop: Header=BB91_15 Depth=1
	v_mov_b32_e32 v1, 0
	s_mov_b32 s5, 0
.LBB91_73:                              ;   in Loop: Header=BB91_15 Depth=1
	v_readlane_b32 s6, v47, 28
	v_readlane_b32 s7, v47, 29
	s_andn2_b64 vcc, exec, s[6:7]
	s_cbranch_vccnz .LBB91_76
; %bb.74:                               ;   in Loop: Header=BB91_15 Depth=1
	s_lshl_b32 s6, s73, 8
	s_lshl_b32 s5, s5, 4
	s_add_i32 s6, s6, s5
	v_add_u32_e32 v2, s6, v31
	v_readlane_b32 s5, v47, 27
.LBB91_75:                              ;   Parent Loop BB91_15 Depth=1
                                        ; =>  This Inner Loop Header: Depth=2
	ds_read_b32 v3, v2
	s_add_i32 s5, s5, -1
	v_add_u32_e32 v2, 16, v2
	s_cmp_lg_u32 s5, 0
	s_waitcnt lgkmcnt(0)
	v_add_u32_e32 v1, v3, v1
	s_cbranch_scc1 .LBB91_75
.LBB91_76:                              ;   in Loop: Header=BB91_15 Depth=1
	v_add_lshl_u32 v2, s4, v19, 2
	ds_write_b32 v2, v1 offset:3072
.LBB91_77:                              ;   in Loop: Header=BB91_15 Depth=1
	s_or_b64 exec, exec, s[2:3]
	s_lshl_b32 s2, s4, 2
	v_mov_b32_e32 v1, s2
	s_waitcnt lgkmcnt(0)
	s_barrier
	ds_read_b128 v[1:4], v1 offset:3072
	v_readlane_b32 s2, v47, 10
	s_lshl_b32 s10, 3, s15
	v_readlane_b32 s3, v47, 11
	s_not_b32 s11, s10
	s_waitcnt lgkmcnt(0)
	v_readfirstlane_b32 s78, v1
	v_readfirstlane_b32 s4, v2
	;; [unrolled: 1-line block ×4, first 2 shown]
	v_cmp_eq_u32_e64 s[18:19], 1, v34
	s_mov_b64 s[34:35], -1
	s_mov_b64 s[22:23], 0
	s_andn2_b64 vcc, exec, s[2:3]
	s_mov_b64 s[26:27], 0
	s_mov_b64 s[24:25], 0
                                        ; implicit-def: $sgpr28_sgpr29
                                        ; implicit-def: $sgpr30_sgpr31
                                        ; implicit-def: $vgpr36
                                        ; implicit-def: $vgpr3
                                        ; implicit-def: $vgpr35
                                        ; implicit-def: $vgpr4
                                        ; implicit-def: $vgpr2
	s_cbranch_vccnz .LBB91_247
; %bb.78:                               ;   in Loop: Header=BB91_15 Depth=1
	s_cmp_eq_u32 s78, 1
	s_cselect_b64 s[2:3], -1, 0
	s_and_b64 s[2:3], s[2:3], s[18:19]
	s_mov_b64 s[16:17], -1
	v_mov_b32_e32 v35, v24
	v_mov_b32_e32 v4, v33
	;; [unrolled: 1-line block ×3, first 2 shown]
                                        ; implicit-def: $sgpr30_sgpr31
                                        ; implicit-def: $sgpr28_sgpr29
	s_and_saveexec_b64 s[6:7], s[2:3]
	s_cbranch_execz .LBB91_109
; %bb.79:                               ;   in Loop: Header=BB91_15 Depth=1
	ds_read_b32 v1, v9 offset:4096
	s_waitcnt lgkmcnt(0)
	s_barrier
	v_readfirstlane_b32 s40, v1
	s_mov_b64 s[16:17], exec
	v_readlane_b32 s24, v47, 20
	v_readlane_b32 s25, v47, 21
	s_and_b64 s[24:25], s[16:17], s[24:25]
	s_mov_b64 exec, s[24:25]
; %bb.80:                               ;   in Loop: Header=BB91_15 Depth=1
	ds_write_b32 v21, v9
; %bb.81:                               ;   in Loop: Header=BB91_15 Depth=1
	s_or_b64 exec, exec, s[16:17]
	v_and_b32_e32 v35, s11, v24
	v_or_b32_e32 v4, s10, v33
	s_mov_b64 s[28:29], -1
	s_mov_b64 s[30:31], 0
	s_cmp_eq_u32 s40, 0
	s_mov_b64 s[16:17], 0
	s_mov_b64 s[24:25], -1
	s_waitcnt lgkmcnt(0)
	s_barrier
                                        ; implicit-def: $vgpr2
	s_cbranch_scc1 .LBB91_96
; %bb.82:                               ;   in Loop: Header=BB91_15 Depth=1
	v_readlane_b32 s16, v47, 22
	s_add_i32 s16, s40, s16
	v_readlane_b32 s17, v47, 35
	s_mul_hi_u32 s17, s16, s17
	s_mul_i32 s17, s17, s72
	s_sub_i32 s17, s16, s17
	s_sub_i32 s24, s17, s72
	s_cmp_ge_u32 s17, s72
	s_cselect_b32 s17, s24, s17
	s_sub_i32 s24, s17, s72
	s_cmp_ge_u32 s17, s72
	s_cselect_b32 s17, s24, s17
	s_sub_i32 s41, s16, s17
	v_cmp_gt_u32_e32 vcc, s41, v0
	s_mov_b64 s[24:25], 0
	s_mov_b64 s[16:17], 0
                                        ; implicit-def: $vgpr2
	s_and_saveexec_b64 s[26:27], vcc
	s_cbranch_execz .LBB91_95
; %bb.83:                               ;   in Loop: Header=BB91_15 Depth=1
	v_mov_b32_e32 v3, v18
	v_mov_b32_e32 v8, v0
                                        ; implicit-def: $sgpr34_sgpr35
	s_branch .LBB91_87
.LBB91_84:                              ;   in Loop: Header=BB91_87 Depth=2
	s_or_b64 exec, exec, s[36:37]
	s_waitcnt lgkmcnt(0)
	s_barrier
	ds_read_b64 v[1:2], v9 offset:3072
	s_waitcnt lgkmcnt(0)
	s_barrier
	v_cmp_neq_f32_e32 vcc, 0, v1
	s_cbranch_vccnz .LBB91_90
; %bb.85:                               ;   in Loop: Header=BB91_87 Depth=2
	v_add_u32_e32 v8, s72, v8
	v_cmp_le_u32_e32 vcc, s41, v8
	v_add_u32_e32 v3, s8, v3
	s_mov_b64 s[36:37], 0
	s_orn2_b64 s[38:39], vcc, exec
.LBB91_86:                              ;   in Loop: Header=BB91_87 Depth=2
	s_and_b64 s[38:39], exec, s[38:39]
	s_or_b64 s[16:17], s[38:39], s[16:17]
	s_andn2_b64 s[34:35], s[34:35], exec
	s_and_b64 s[36:37], s[36:37], exec
	s_or_b64 s[34:35], s[34:35], s[36:37]
	s_andn2_b64 exec, exec, s[16:17]
	s_cbranch_execz .LBB91_94
.LBB91_87:                              ;   Parent Loop BB91_15 Depth=1
                                        ; =>  This Inner Loop Header: Depth=2
	v_cmp_gt_u32_e32 vcc, s40, v8
	s_and_saveexec_b64 s[36:37], vcc
	s_cbranch_execz .LBB91_84
; %bb.88:                               ;   in Loop: Header=BB91_87 Depth=2
	ds_read_b32 v13, v3
	s_waitcnt lgkmcnt(0)
	v_cmp_lt_i32_e32 vcc, -1, v13
	v_cndmask_b32_e32 v1, -1, v32, vcc
	v_xor_b32_e32 v1, v1, v13
	v_cmp_o_f32_e32 vcc, v13, v13
	v_cndmask_b32_e32 v1, -1, v1, vcc
	v_and_b32_e32 v1, v1, v4
	v_cmp_eq_u32_e32 vcc, v1, v35
	s_and_b64 exec, exec, vcc
	s_cbranch_execz .LBB91_84
; %bb.89:                               ;   in Loop: Header=BB91_87 Depth=2
	ds_write_b64 v9, v[12:13] offset:3072
	s_branch .LBB91_84
.LBB91_90:                              ;   in Loop: Header=BB91_87 Depth=2
	s_mov_b64 s[38:39], -1
                                        ; implicit-def: $vgpr8
                                        ; implicit-def: $vgpr3
	s_mov_b64 s[36:37], -1
	s_branch .LBB91_86
.LBB91_91:                              ;   in Loop: Header=BB91_15 Depth=1
	s_or_b64 exec, exec, s[16:17]
	s_waitcnt lgkmcnt(0)
	s_barrier
	s_mov_b64 s[6:7], exec
	v_readlane_b32 s4, v47, 6
	v_readlane_b32 s5, v47, 7
	s_and_b64 s[4:5], s[6:7], s[4:5]
	s_mov_b64 exec, s[4:5]
	s_cbranch_execz .LBB91_93
; %bb.92:                               ;   in Loop: Header=BB91_15 Depth=1
	ds_read_b32 v1, v9 offset:4104
	s_waitcnt lgkmcnt(0)
	ds_write_b32 v9, v1 offset:4096
.LBB91_93:                              ;   in Loop: Header=BB91_15 Depth=1
	s_or_b64 exec, exec, s[6:7]
	s_waitcnt lgkmcnt(0)
	s_barrier
	s_mov_b64 s[6:7], -1
	s_and_b64 vcc, exec, s[2:3]
	s_cbranch_vccnz .LBB91_31
	s_branch .LBB91_40
.LBB91_94:                              ;   in Loop: Header=BB91_15 Depth=1
	s_or_b64 exec, exec, s[16:17]
	s_and_b64 s[16:17], s[34:35], exec
.LBB91_95:                              ;   in Loop: Header=BB91_15 Depth=1
	s_or_b64 exec, exec, s[26:27]
.LBB91_96:                              ;   in Loop: Header=BB91_15 Depth=1
	s_and_b64 vcc, exec, s[24:25]
	s_cbranch_vccz .LBB91_108
; %bb.97:                               ;   in Loop: Header=BB91_15 Depth=1
                                        ; implicit-def: $vgpr2
	s_mov_b64 s[24:25], exec
	v_readlane_b32 s26, v47, 36
	v_readlane_b32 s27, v47, 37
	s_and_b64 s[26:27], s[24:25], s[26:27]
	s_mov_b64 exec, s[26:27]
	s_cbranch_execz .LBB91_107
; %bb.98:                               ;   in Loop: Header=BB91_15 Depth=1
	s_mov_b64 s[26:27], 0
	v_mov_b32_e32 v8, v7
	v_mov_b32_e32 v3, v0
                                        ; implicit-def: $sgpr28_sgpr29
	s_branch .LBB91_102
.LBB91_99:                              ;   in Loop: Header=BB91_102 Depth=2
	s_or_b64 exec, exec, s[30:31]
	s_waitcnt lgkmcnt(0)
	s_barrier
	ds_read_b64 v[1:2], v9 offset:3072
	s_waitcnt lgkmcnt(0)
	s_barrier
	v_cmp_neq_f32_e32 vcc, 0, v1
	s_cbranch_vccnz .LBB91_105
; %bb.100:                              ;   in Loop: Header=BB91_102 Depth=2
	v_add_u32_e32 v3, s72, v3
	v_cmp_le_u32_e32 vcc, s12, v3
	v_add_u32_e32 v8, s33, v8
	s_mov_b64 s[30:31], 0
	s_orn2_b64 s[34:35], vcc, exec
.LBB91_101:                             ;   in Loop: Header=BB91_102 Depth=2
	s_and_b64 s[34:35], exec, s[34:35]
	s_or_b64 s[26:27], s[34:35], s[26:27]
	s_andn2_b64 s[28:29], s[28:29], exec
	s_and_b64 s[30:31], s[30:31], exec
	s_or_b64 s[28:29], s[28:29], s[30:31]
	s_andn2_b64 exec, exec, s[26:27]
	s_cbranch_execz .LBB91_106
.LBB91_102:                             ;   Parent Loop BB91_15 Depth=1
                                        ; =>  This Inner Loop Header: Depth=2
	v_cmp_gt_u32_e32 vcc, s60, v3
	s_and_saveexec_b64 s[30:31], vcc
	s_cbranch_execz .LBB91_99
; %bb.103:                              ;   in Loop: Header=BB91_102 Depth=2
	v_lshlrev_b64 v[1:2], 2, v[8:9]
	v_mov_b32_e32 v13, s66
	v_add_co_u32_e32 v1, vcc, s64, v1
	v_addc_co_u32_e32 v2, vcc, v13, v2, vcc
	global_load_dword v13, v[1:2], off
	s_waitcnt vmcnt(0)
	v_cmp_lt_i32_e32 vcc, -1, v13
	v_cndmask_b32_e32 v1, -1, v32, vcc
	v_xor_b32_e32 v1, v1, v13
	v_cmp_o_f32_e32 vcc, v13, v13
	v_cndmask_b32_e32 v1, -1, v1, vcc
	v_and_b32_e32 v1, v1, v4
	v_cmp_eq_u32_e32 vcc, v1, v35
	s_and_b64 exec, exec, vcc
	s_cbranch_execz .LBB91_99
; %bb.104:                              ;   in Loop: Header=BB91_102 Depth=2
	ds_write_b64 v9, v[12:13] offset:3072
	s_branch .LBB91_99
.LBB91_105:                             ;   in Loop: Header=BB91_102 Depth=2
	s_mov_b64 s[34:35], -1
                                        ; implicit-def: $vgpr3
	s_mov_b64 s[30:31], -1
	s_branch .LBB91_101
.LBB91_106:                             ;   in Loop: Header=BB91_15 Depth=1
	s_or_b64 exec, exec, s[26:27]
	s_andn2_b64 s[16:17], s[16:17], exec
	s_and_b64 s[26:27], s[28:29], exec
	s_or_b64 s[16:17], s[16:17], s[26:27]
.LBB91_107:                             ;   in Loop: Header=BB91_15 Depth=1
	s_or_b64 exec, exec, s[24:25]
	s_mov_b64 s[28:29], 0
	s_mov_b64 s[30:31], -1
.LBB91_108:                             ;   in Loop: Header=BB91_15 Depth=1
	s_orn2_b64 s[16:17], s[16:17], exec
.LBB91_109:                             ;   in Loop: Header=BB91_15 Depth=1
	s_or_b64 exec, exec, s[6:7]
	s_mov_b64 s[34:35], 0
	s_mov_b64 s[26:27], 0
	;; [unrolled: 1-line block ×3, first 2 shown]
                                        ; implicit-def: $vgpr36
                                        ; implicit-def: $vgpr3
	s_and_saveexec_b64 s[36:37], s[16:17]
	s_cbranch_execz .LBB91_246
; %bb.110:                              ;   in Loop: Header=BB91_15 Depth=1
	s_xor_b64 s[16:17], s[2:3], -1
	s_mov_b64 s[6:7], 0
	v_mov_b32_e32 v36, 1
	v_mov_b32_e32 v3, 1
	s_and_saveexec_b64 s[2:3], s[16:17]
	s_cbranch_execz .LBB91_119
; %bb.111:                              ;   in Loop: Header=BB91_15 Depth=1
	v_cmp_ge_u32_e32 vcc, s78, v34
	s_and_saveexec_b64 s[6:7], vcc
	s_xor_b64 s[6:7], exec, s[6:7]
	s_cbranch_execz .LBB91_116
; %bb.112:                              ;   in Loop: Header=BB91_15 Depth=1
	ds_read_b32 v1, v9 offset:4096
	v_and_b32_e32 v35, s11, v35
	v_or_b32_e32 v4, s10, v4
	s_waitcnt lgkmcnt(0)
	v_cmp_ne_u32_e32 vcc, 0, v1
	s_cbranch_vccnz .LBB91_116
; %bb.113:                              ;   in Loop: Header=BB91_15 Depth=1
	s_mov_b64 s[16:17], exec
	v_readlane_b32 s24, v47, 6
	v_readlane_b32 s25, v47, 7
	s_and_b64 s[24:25], s[16:17], s[24:25]
	s_mov_b64 exec, s[24:25]
; %bb.114:                              ;   in Loop: Header=BB91_15 Depth=1
	v_mov_b32_e32 v1, s78
	ds_write_b32 v9, v1 offset:4100
; %bb.115:                              ;   in Loop: Header=BB91_15 Depth=1
	s_or_b64 exec, exec, s[16:17]
	s_waitcnt lgkmcnt(0)
	s_barrier
.LBB91_116:                             ;   in Loop: Header=BB91_15 Depth=1
	s_or_saveexec_b64 s[6:7], s[6:7]
	s_mov_b64 s[16:17], 0
	v_mov_b32_e32 v3, 8
	v_mov_b32_e32 v36, v34
	s_xor_b64 exec, exec, s[6:7]
; %bb.117:                              ;   in Loop: Header=BB91_15 Depth=1
	s_mov_b64 s[16:17], exec
	v_subrev_u32_e32 v36, s78, v34
	v_mov_b32_e32 v3, 0
; %bb.118:                              ;   in Loop: Header=BB91_15 Depth=1
	s_or_b64 exec, exec, s[6:7]
	s_and_b64 s[6:7], s[16:17], exec
.LBB91_119:                             ;   in Loop: Header=BB91_15 Depth=1
	s_or_b64 exec, exec, s[2:3]
	s_mov_b64 s[2:3], -1
                                        ; implicit-def: $sgpr24_sgpr25
                                        ; implicit-def: $sgpr26_sgpr27
	s_and_saveexec_b64 s[16:17], s[6:7]
	s_xor_b64 s[6:7], exec, s[16:17]
	s_cbranch_execz .LBB91_243
; %bb.120:                              ;   in Loop: Header=BB91_15 Depth=1
	s_cmp_eq_u32 s4, 1
	s_cselect_b64 s[2:3], -1, 0
	v_cmp_eq_u32_e32 vcc, 1, v36
	s_and_b64 s[2:3], s[2:3], vcc
	s_mov_b64 s[40:41], -1
                                        ; implicit-def: $sgpr26_sgpr27
                                        ; implicit-def: $sgpr24_sgpr25
	s_and_saveexec_b64 s[16:17], s[2:3]
	s_cbranch_execz .LBB91_148
; %bb.121:                              ;   in Loop: Header=BB91_15 Depth=1
	ds_read_b32 v1, v9 offset:4096
	s_waitcnt lgkmcnt(0)
	s_barrier
	v_readfirstlane_b32 s50, v1
	s_mov_b64 s[24:25], exec
	v_readlane_b32 s26, v47, 20
	v_readlane_b32 s27, v47, 21
	s_and_b64 s[26:27], s[24:25], s[26:27]
	s_mov_b64 exec, s[26:27]
; %bb.122:                              ;   in Loop: Header=BB91_15 Depth=1
	ds_write_b32 v21, v9
; %bb.123:                              ;   in Loop: Header=BB91_15 Depth=1
	s_or_b64 exec, exec, s[24:25]
	v_and_b32_e32 v1, s11, v35
	v_lshl_or_b32 v35, 1, s15, v1
	v_or_b32_e32 v4, s10, v4
	s_mov_b64 s[24:25], -1
	s_mov_b64 s[26:27], 0
	s_cmp_eq_u32 s50, 0
	s_mov_b64 s[38:39], 0
	s_waitcnt lgkmcnt(0)
	s_barrier
                                        ; implicit-def: $vgpr2
	s_cbranch_scc1 .LBB91_135
; %bb.124:                              ;   in Loop: Header=BB91_15 Depth=1
	v_readlane_b32 s38, v47, 22
	s_add_i32 s38, s50, s38
	v_readlane_b32 s39, v47, 35
	s_mul_hi_u32 s39, s38, s39
	s_mul_i32 s39, s39, s72
	s_sub_i32 s39, s38, s39
	s_sub_i32 s40, s39, s72
	s_cmp_ge_u32 s39, s72
	s_cselect_b32 s39, s40, s39
	s_sub_i32 s40, s39, s72
	s_cmp_ge_u32 s39, s72
	s_cselect_b32 s39, s40, s39
	s_sub_i32 s51, s38, s39
	v_cmp_gt_u32_e32 vcc, s51, v0
	s_mov_b64 s[40:41], 0
	s_mov_b64 s[38:39], 0
                                        ; implicit-def: $vgpr2
	s_and_saveexec_b64 s[42:43], vcc
	s_cbranch_execz .LBB91_134
; %bb.125:                              ;   in Loop: Header=BB91_15 Depth=1
	v_mov_b32_e32 v8, v18
	v_mov_b32_e32 v37, v0
                                        ; implicit-def: $sgpr44_sgpr45
	s_branch .LBB91_129
.LBB91_126:                             ;   in Loop: Header=BB91_129 Depth=2
	s_or_b64 exec, exec, s[46:47]
	s_waitcnt lgkmcnt(0)
	s_barrier
	ds_read_b64 v[1:2], v9 offset:3072
	s_waitcnt lgkmcnt(0)
	s_barrier
	v_cmp_neq_f32_e32 vcc, 0, v1
	s_cbranch_vccnz .LBB91_132
; %bb.127:                              ;   in Loop: Header=BB91_129 Depth=2
	v_add_u32_e32 v37, s72, v37
	v_cmp_le_u32_e32 vcc, s51, v37
	v_add_u32_e32 v8, s8, v8
	s_mov_b64 s[46:47], 0
	s_orn2_b64 s[48:49], vcc, exec
.LBB91_128:                             ;   in Loop: Header=BB91_129 Depth=2
	s_and_b64 s[48:49], exec, s[48:49]
	s_or_b64 s[38:39], s[48:49], s[38:39]
	s_andn2_b64 s[44:45], s[44:45], exec
	s_and_b64 s[46:47], s[46:47], exec
	s_or_b64 s[44:45], s[44:45], s[46:47]
	s_andn2_b64 exec, exec, s[38:39]
	s_cbranch_execz .LBB91_133
.LBB91_129:                             ;   Parent Loop BB91_15 Depth=1
                                        ; =>  This Inner Loop Header: Depth=2
	v_cmp_gt_u32_e32 vcc, s50, v37
	s_and_saveexec_b64 s[46:47], vcc
	s_cbranch_execz .LBB91_126
; %bb.130:                              ;   in Loop: Header=BB91_129 Depth=2
	ds_read_b32 v13, v8
	s_waitcnt lgkmcnt(0)
	v_cmp_lt_i32_e32 vcc, -1, v13
	v_cndmask_b32_e32 v1, -1, v32, vcc
	v_xor_b32_e32 v1, v1, v13
	v_cmp_o_f32_e32 vcc, v13, v13
	v_cndmask_b32_e32 v1, -1, v1, vcc
	v_and_b32_e32 v1, v1, v4
	v_cmp_eq_u32_e32 vcc, v1, v35
	s_and_b64 exec, exec, vcc
	s_cbranch_execz .LBB91_126
; %bb.131:                              ;   in Loop: Header=BB91_129 Depth=2
	ds_write_b64 v9, v[12:13] offset:3072
	s_branch .LBB91_126
.LBB91_132:                             ;   in Loop: Header=BB91_129 Depth=2
	s_mov_b64 s[48:49], -1
                                        ; implicit-def: $vgpr37
                                        ; implicit-def: $vgpr8
	s_mov_b64 s[46:47], -1
	s_branch .LBB91_128
.LBB91_133:                             ;   in Loop: Header=BB91_15 Depth=1
	s_or_b64 exec, exec, s[38:39]
	s_and_b64 s[38:39], s[44:45], exec
.LBB91_134:                             ;   in Loop: Header=BB91_15 Depth=1
	s_or_b64 exec, exec, s[42:43]
.LBB91_135:                             ;   in Loop: Header=BB91_15 Depth=1
	s_and_b64 vcc, exec, s[40:41]
	s_cbranch_vccz .LBB91_147
; %bb.136:                              ;   in Loop: Header=BB91_15 Depth=1
                                        ; implicit-def: $vgpr2
	s_mov_b64 s[24:25], exec
	v_readlane_b32 s26, v47, 36
	v_readlane_b32 s27, v47, 37
	s_and_b64 s[26:27], s[24:25], s[26:27]
	s_mov_b64 exec, s[26:27]
	s_cbranch_execz .LBB91_146
; %bb.137:                              ;   in Loop: Header=BB91_15 Depth=1
	s_mov_b64 s[26:27], 0
	v_mov_b32_e32 v8, v7
	v_mov_b32_e32 v37, v0
                                        ; implicit-def: $sgpr40_sgpr41
	s_branch .LBB91_141
.LBB91_138:                             ;   in Loop: Header=BB91_141 Depth=2
	s_or_b64 exec, exec, s[42:43]
	s_waitcnt lgkmcnt(0)
	s_barrier
	ds_read_b64 v[1:2], v9 offset:3072
	s_waitcnt lgkmcnt(0)
	s_barrier
	v_cmp_eq_f32_e32 vcc, 0, v1
	s_cbranch_vccz .LBB91_144
; %bb.139:                              ;   in Loop: Header=BB91_141 Depth=2
	v_add_u32_e32 v37, s72, v37
	v_cmp_le_u32_e32 vcc, s12, v37
	v_add_u32_e32 v8, s33, v8
	s_mov_b64 s[42:43], 0
	s_orn2_b64 s[44:45], vcc, exec
.LBB91_140:                             ;   in Loop: Header=BB91_141 Depth=2
	s_and_b64 s[44:45], exec, s[44:45]
	s_or_b64 s[26:27], s[44:45], s[26:27]
	s_andn2_b64 s[40:41], s[40:41], exec
	s_and_b64 s[42:43], s[42:43], exec
	s_or_b64 s[40:41], s[40:41], s[42:43]
	s_andn2_b64 exec, exec, s[26:27]
	s_cbranch_execz .LBB91_145
.LBB91_141:                             ;   Parent Loop BB91_15 Depth=1
                                        ; =>  This Inner Loop Header: Depth=2
	v_cmp_gt_u32_e32 vcc, s60, v37
	s_and_saveexec_b64 s[42:43], vcc
	s_cbranch_execz .LBB91_138
; %bb.142:                              ;   in Loop: Header=BB91_141 Depth=2
	v_lshlrev_b64 v[1:2], 2, v[8:9]
	v_mov_b32_e32 v13, s66
	v_add_co_u32_e32 v1, vcc, s64, v1
	v_addc_co_u32_e32 v2, vcc, v13, v2, vcc
	global_load_dword v13, v[1:2], off
	s_waitcnt vmcnt(0)
	v_cmp_lt_i32_e32 vcc, -1, v13
	v_cndmask_b32_e32 v1, -1, v32, vcc
	v_xor_b32_e32 v1, v1, v13
	v_cmp_o_f32_e32 vcc, v13, v13
	v_cndmask_b32_e32 v1, -1, v1, vcc
	v_and_b32_e32 v1, v1, v4
	v_cmp_eq_u32_e32 vcc, v1, v35
	s_and_b64 exec, exec, vcc
	s_cbranch_execz .LBB91_138
; %bb.143:                              ;   in Loop: Header=BB91_141 Depth=2
	ds_write_b64 v9, v[12:13] offset:3072
	s_branch .LBB91_138
.LBB91_144:                             ;   in Loop: Header=BB91_141 Depth=2
	s_mov_b64 s[44:45], -1
                                        ; implicit-def: $vgpr37
	s_mov_b64 s[42:43], -1
	s_branch .LBB91_140
.LBB91_145:                             ;   in Loop: Header=BB91_15 Depth=1
	s_or_b64 exec, exec, s[26:27]
	s_andn2_b64 s[26:27], s[38:39], exec
	s_and_b64 s[38:39], s[40:41], exec
	s_or_b64 s[38:39], s[26:27], s[38:39]
.LBB91_146:                             ;   in Loop: Header=BB91_15 Depth=1
	s_or_b64 exec, exec, s[24:25]
	s_mov_b64 s[24:25], 0
	s_mov_b64 s[26:27], -1
.LBB91_147:                             ;   in Loop: Header=BB91_15 Depth=1
	s_orn2_b64 s[40:41], s[38:39], exec
.LBB91_148:                             ;   in Loop: Header=BB91_15 Depth=1
	s_or_b64 exec, exec, s[16:17]
	s_mov_b64 s[16:17], 0
	s_and_saveexec_b64 s[38:39], s[40:41]
	s_cbranch_execz .LBB91_242
; %bb.149:                              ;   in Loop: Header=BB91_15 Depth=1
	s_xor_b64 s[40:41], s[2:3], -1
	v_mov_b32_e32 v37, 1
	v_mov_b32_e32 v3, 1
	s_and_saveexec_b64 s[2:3], s[40:41]
	s_cbranch_execz .LBB91_158
; %bb.150:                              ;   in Loop: Header=BB91_15 Depth=1
	v_cmp_ge_u32_e32 vcc, s4, v36
	s_and_saveexec_b64 s[16:17], vcc
	s_xor_b64 s[16:17], exec, s[16:17]
	s_cbranch_execz .LBB91_155
; %bb.151:                              ;   in Loop: Header=BB91_15 Depth=1
	ds_read_b32 v1, v9 offset:4096
	v_and_b32_e32 v3, s11, v35
	v_lshl_or_b32 v35, 1, s15, v3
	v_or_b32_e32 v4, s10, v4
	s_waitcnt lgkmcnt(0)
	v_cmp_ne_u32_e32 vcc, 0, v1
	s_cbranch_vccnz .LBB91_155
; %bb.152:                              ;   in Loop: Header=BB91_15 Depth=1
	s_mov_b64 s[40:41], exec
	v_readlane_b32 s42, v47, 6
	v_readlane_b32 s43, v47, 7
	s_and_b64 s[42:43], s[40:41], s[42:43]
	s_mov_b64 exec, s[42:43]
; %bb.153:                              ;   in Loop: Header=BB91_15 Depth=1
	v_mov_b32_e32 v1, s4
	ds_write_b32 v9, v1 offset:4100
; %bb.154:                              ;   in Loop: Header=BB91_15 Depth=1
	s_or_b64 exec, exec, s[40:41]
	s_waitcnt lgkmcnt(0)
	s_barrier
.LBB91_155:                             ;   in Loop: Header=BB91_15 Depth=1
	s_or_saveexec_b64 s[16:17], s[16:17]
	s_mov_b64 s[40:41], 0
	v_mov_b32_e32 v3, 8
	s_xor_b64 exec, exec, s[16:17]
; %bb.156:                              ;   in Loop: Header=BB91_15 Depth=1
	s_mov_b64 s[40:41], exec
	v_subrev_u32_e32 v36, s4, v36
	v_mov_b32_e32 v3, 0
; %bb.157:                              ;   in Loop: Header=BB91_15 Depth=1
	s_or_b64 exec, exec, s[16:17]
	s_and_b64 s[16:17], s[40:41], exec
	v_mov_b32_e32 v37, v36
.LBB91_158:                             ;   in Loop: Header=BB91_15 Depth=1
	s_or_b64 exec, exec, s[2:3]
	s_mov_b64 s[2:3], -1
                                        ; implicit-def: $sgpr42_sgpr43
                                        ; implicit-def: $sgpr44_sgpr45
	s_and_saveexec_b64 s[40:41], s[16:17]
	s_cbranch_execz .LBB91_241
; %bb.159:                              ;   in Loop: Header=BB91_15 Depth=1
	s_cmp_eq_u32 s5, 1
	s_cselect_b64 s[2:3], -1, 0
	v_cmp_eq_u32_e32 vcc, 1, v37
	s_and_b64 s[2:3], s[2:3], vcc
	s_mov_b64 s[48:49], -1
                                        ; implicit-def: $sgpr44_sgpr45
                                        ; implicit-def: $sgpr42_sgpr43
	s_and_saveexec_b64 s[16:17], s[2:3]
	s_cbranch_execz .LBB91_187
; %bb.160:                              ;   in Loop: Header=BB91_15 Depth=1
	ds_read_b32 v1, v9 offset:4096
	s_waitcnt lgkmcnt(0)
	s_barrier
	v_readfirstlane_b32 s58, v1
	s_mov_b64 s[42:43], exec
	v_readlane_b32 s44, v47, 20
	v_readlane_b32 s45, v47, 21
	s_and_b64 s[44:45], s[42:43], s[44:45]
	s_mov_b64 exec, s[44:45]
; %bb.161:                              ;   in Loop: Header=BB91_15 Depth=1
	ds_write_b32 v21, v9
; %bb.162:                              ;   in Loop: Header=BB91_15 Depth=1
	s_or_b64 exec, exec, s[42:43]
	v_and_b32_e32 v1, s11, v35
	v_lshl_or_b32 v35, 2, s15, v1
	v_or_b32_e32 v4, s10, v4
	s_mov_b64 s[42:43], -1
	s_mov_b64 s[44:45], 0
	s_cmp_eq_u32 s58, 0
	s_mov_b64 s[46:47], 0
	s_waitcnt lgkmcnt(0)
	s_barrier
                                        ; implicit-def: $vgpr2
	s_cbranch_scc1 .LBB91_174
; %bb.163:                              ;   in Loop: Header=BB91_15 Depth=1
	v_readlane_b32 s46, v47, 22
	s_add_i32 s46, s58, s46
	v_readlane_b32 s47, v47, 35
	s_mul_hi_u32 s47, s46, s47
	s_mul_i32 s47, s47, s72
	s_sub_i32 s47, s46, s47
	s_sub_i32 s48, s47, s72
	s_cmp_ge_u32 s47, s72
	s_cselect_b32 s47, s48, s47
	s_sub_i32 s48, s47, s72
	s_cmp_ge_u32 s47, s72
	s_cselect_b32 s47, s48, s47
	s_sub_i32 s59, s46, s47
	v_cmp_gt_u32_e32 vcc, s59, v0
	s_mov_b64 s[48:49], 0
	s_mov_b64 s[46:47], 0
                                        ; implicit-def: $vgpr2
	s_and_saveexec_b64 s[50:51], vcc
	s_cbranch_execz .LBB91_173
; %bb.164:                              ;   in Loop: Header=BB91_15 Depth=1
	v_mov_b32_e32 v8, v18
	v_mov_b32_e32 v36, v0
                                        ; implicit-def: $sgpr52_sgpr53
	s_branch .LBB91_168
.LBB91_165:                             ;   in Loop: Header=BB91_168 Depth=2
	s_or_b64 exec, exec, s[54:55]
	s_waitcnt lgkmcnt(0)
	s_barrier
	ds_read_b64 v[1:2], v9 offset:3072
	s_waitcnt lgkmcnt(0)
	s_barrier
	v_cmp_neq_f32_e32 vcc, 0, v1
	s_cbranch_vccnz .LBB91_171
; %bb.166:                              ;   in Loop: Header=BB91_168 Depth=2
	v_add_u32_e32 v36, s72, v36
	v_cmp_le_u32_e32 vcc, s59, v36
	v_add_u32_e32 v8, s8, v8
	s_mov_b64 s[54:55], 0
	s_orn2_b64 s[56:57], vcc, exec
.LBB91_167:                             ;   in Loop: Header=BB91_168 Depth=2
	s_and_b64 s[56:57], exec, s[56:57]
	s_or_b64 s[46:47], s[56:57], s[46:47]
	s_andn2_b64 s[52:53], s[52:53], exec
	s_and_b64 s[54:55], s[54:55], exec
	s_or_b64 s[52:53], s[52:53], s[54:55]
	s_andn2_b64 exec, exec, s[46:47]
	s_cbranch_execz .LBB91_172
.LBB91_168:                             ;   Parent Loop BB91_15 Depth=1
                                        ; =>  This Inner Loop Header: Depth=2
	v_cmp_gt_u32_e32 vcc, s58, v36
	s_and_saveexec_b64 s[54:55], vcc
	s_cbranch_execz .LBB91_165
; %bb.169:                              ;   in Loop: Header=BB91_168 Depth=2
	ds_read_b32 v13, v8
	s_waitcnt lgkmcnt(0)
	v_cmp_lt_i32_e32 vcc, -1, v13
	v_cndmask_b32_e32 v1, -1, v32, vcc
	v_xor_b32_e32 v1, v1, v13
	v_cmp_o_f32_e32 vcc, v13, v13
	v_cndmask_b32_e32 v1, -1, v1, vcc
	v_and_b32_e32 v1, v1, v4
	v_cmp_eq_u32_e32 vcc, v1, v35
	s_and_b64 exec, exec, vcc
	s_cbranch_execz .LBB91_165
; %bb.170:                              ;   in Loop: Header=BB91_168 Depth=2
	ds_write_b64 v9, v[12:13] offset:3072
	s_branch .LBB91_165
.LBB91_171:                             ;   in Loop: Header=BB91_168 Depth=2
	s_mov_b64 s[56:57], -1
                                        ; implicit-def: $vgpr36
                                        ; implicit-def: $vgpr8
	s_mov_b64 s[54:55], -1
	s_branch .LBB91_167
.LBB91_172:                             ;   in Loop: Header=BB91_15 Depth=1
	s_or_b64 exec, exec, s[46:47]
	s_and_b64 s[46:47], s[52:53], exec
.LBB91_173:                             ;   in Loop: Header=BB91_15 Depth=1
	s_or_b64 exec, exec, s[50:51]
.LBB91_174:                             ;   in Loop: Header=BB91_15 Depth=1
	s_and_b64 vcc, exec, s[48:49]
	s_cbranch_vccz .LBB91_186
; %bb.175:                              ;   in Loop: Header=BB91_15 Depth=1
                                        ; implicit-def: $vgpr2
	s_mov_b64 s[42:43], exec
	v_readlane_b32 s44, v47, 36
	v_readlane_b32 s45, v47, 37
	s_and_b64 s[44:45], s[42:43], s[44:45]
	s_mov_b64 exec, s[44:45]
	s_cbranch_execz .LBB91_185
; %bb.176:                              ;   in Loop: Header=BB91_15 Depth=1
	s_mov_b64 s[44:45], 0
	v_mov_b32_e32 v8, v7
	v_mov_b32_e32 v36, v0
                                        ; implicit-def: $sgpr48_sgpr49
	s_branch .LBB91_180
.LBB91_177:                             ;   in Loop: Header=BB91_180 Depth=2
	s_or_b64 exec, exec, s[50:51]
	s_waitcnt lgkmcnt(0)
	s_barrier
	ds_read_b64 v[1:2], v9 offset:3072
	s_waitcnt lgkmcnt(0)
	s_barrier
	v_cmp_eq_f32_e32 vcc, 0, v1
	s_cbranch_vccz .LBB91_183
; %bb.178:                              ;   in Loop: Header=BB91_180 Depth=2
	v_add_u32_e32 v36, s72, v36
	v_cmp_le_u32_e32 vcc, s12, v36
	v_add_u32_e32 v8, s33, v8
	s_mov_b64 s[50:51], 0
	s_orn2_b64 s[52:53], vcc, exec
.LBB91_179:                             ;   in Loop: Header=BB91_180 Depth=2
	s_and_b64 s[52:53], exec, s[52:53]
	s_or_b64 s[44:45], s[52:53], s[44:45]
	s_andn2_b64 s[48:49], s[48:49], exec
	s_and_b64 s[50:51], s[50:51], exec
	s_or_b64 s[48:49], s[48:49], s[50:51]
	s_andn2_b64 exec, exec, s[44:45]
	s_cbranch_execz .LBB91_184
.LBB91_180:                             ;   Parent Loop BB91_15 Depth=1
                                        ; =>  This Inner Loop Header: Depth=2
	v_cmp_gt_u32_e32 vcc, s60, v36
	s_and_saveexec_b64 s[50:51], vcc
	s_cbranch_execz .LBB91_177
; %bb.181:                              ;   in Loop: Header=BB91_180 Depth=2
	v_lshlrev_b64 v[1:2], 2, v[8:9]
	v_mov_b32_e32 v13, s66
	v_add_co_u32_e32 v1, vcc, s64, v1
	v_addc_co_u32_e32 v2, vcc, v13, v2, vcc
	global_load_dword v13, v[1:2], off
	s_waitcnt vmcnt(0)
	v_cmp_lt_i32_e32 vcc, -1, v13
	v_cndmask_b32_e32 v1, -1, v32, vcc
	v_xor_b32_e32 v1, v1, v13
	v_cmp_o_f32_e32 vcc, v13, v13
	v_cndmask_b32_e32 v1, -1, v1, vcc
	v_and_b32_e32 v1, v1, v4
	v_cmp_eq_u32_e32 vcc, v1, v35
	s_and_b64 exec, exec, vcc
	s_cbranch_execz .LBB91_177
; %bb.182:                              ;   in Loop: Header=BB91_180 Depth=2
	ds_write_b64 v9, v[12:13] offset:3072
	s_branch .LBB91_177
.LBB91_183:                             ;   in Loop: Header=BB91_180 Depth=2
	s_mov_b64 s[52:53], -1
                                        ; implicit-def: $vgpr36
	s_mov_b64 s[50:51], -1
	s_branch .LBB91_179
.LBB91_184:                             ;   in Loop: Header=BB91_15 Depth=1
	s_or_b64 exec, exec, s[44:45]
	s_andn2_b64 s[44:45], s[46:47], exec
	s_and_b64 s[46:47], s[48:49], exec
	s_or_b64 s[46:47], s[44:45], s[46:47]
.LBB91_185:                             ;   in Loop: Header=BB91_15 Depth=1
	s_or_b64 exec, exec, s[42:43]
	s_mov_b64 s[42:43], 0
	s_mov_b64 s[44:45], -1
.LBB91_186:                             ;   in Loop: Header=BB91_15 Depth=1
	s_orn2_b64 s[48:49], s[46:47], exec
.LBB91_187:                             ;   in Loop: Header=BB91_15 Depth=1
	s_or_b64 exec, exec, s[16:17]
	s_mov_b64 s[16:17], 0
	s_and_saveexec_b64 s[46:47], s[48:49]
	s_cbranch_execz .LBB91_240
; %bb.188:                              ;   in Loop: Header=BB91_15 Depth=1
	s_xor_b64 s[16:17], s[2:3], -1
	s_mov_b64 s[52:53], 0
	v_mov_b32_e32 v36, 1
	v_mov_b32_e32 v3, 1
	s_and_saveexec_b64 s[2:3], s[16:17]
	s_cbranch_execz .LBB91_197
; %bb.189:                              ;   in Loop: Header=BB91_15 Depth=1
	v_cmp_ge_u32_e32 vcc, s5, v37
	s_and_saveexec_b64 s[16:17], vcc
	s_xor_b64 s[16:17], exec, s[16:17]
	s_cbranch_execz .LBB91_194
; %bb.190:                              ;   in Loop: Header=BB91_15 Depth=1
	ds_read_b32 v1, v9 offset:4096
	v_and_b32_e32 v3, s11, v35
	v_lshl_or_b32 v35, 2, s15, v3
	v_or_b32_e32 v4, s10, v4
	s_waitcnt lgkmcnt(0)
	v_cmp_ne_u32_e32 vcc, 0, v1
	s_cbranch_vccnz .LBB91_194
; %bb.191:                              ;   in Loop: Header=BB91_15 Depth=1
	s_mov_b64 s[48:49], exec
	v_readlane_b32 s50, v47, 6
	v_readlane_b32 s51, v47, 7
	s_and_b64 s[50:51], s[48:49], s[50:51]
	s_mov_b64 exec, s[50:51]
; %bb.192:                              ;   in Loop: Header=BB91_15 Depth=1
	v_mov_b32_e32 v1, s5
	ds_write_b32 v9, v1 offset:4100
; %bb.193:                              ;   in Loop: Header=BB91_15 Depth=1
	s_or_b64 exec, exec, s[48:49]
	s_waitcnt lgkmcnt(0)
	s_barrier
.LBB91_194:                             ;   in Loop: Header=BB91_15 Depth=1
	s_or_saveexec_b64 s[16:17], s[16:17]
	s_mov_b64 s[48:49], 0
	v_mov_b32_e32 v3, 8
	s_xor_b64 exec, exec, s[16:17]
; %bb.195:                              ;   in Loop: Header=BB91_15 Depth=1
	s_mov_b64 s[48:49], exec
	v_subrev_u32_e32 v37, s5, v37
	v_mov_b32_e32 v3, 0
; %bb.196:                              ;   in Loop: Header=BB91_15 Depth=1
	s_or_b64 exec, exec, s[16:17]
	s_and_b64 s[52:53], s[48:49], exec
	v_mov_b32_e32 v36, v37
.LBB91_197:                             ;   in Loop: Header=BB91_15 Depth=1
	s_or_b64 exec, exec, s[2:3]
	s_mov_b64 s[2:3], -1
                                        ; implicit-def: $sgpr50_sgpr51
                                        ; implicit-def: $sgpr56_sgpr57
	s_and_saveexec_b64 s[48:49], s[52:53]
	s_cbranch_execz .LBB91_239
; %bb.198:                              ;   in Loop: Header=BB91_15 Depth=1
	s_cmp_eq_u32 s62, 1
	s_cselect_b64 s[2:3], -1, 0
	v_cmp_eq_u32_e32 vcc, 1, v36
	s_and_b64 s[58:59], s[2:3], vcc
	s_mov_b64 s[2:3], -1
                                        ; implicit-def: $sgpr50_sgpr51
                                        ; implicit-def: $sgpr56_sgpr57
	s_and_saveexec_b64 s[52:53], s[58:59]
	s_cbranch_execz .LBB91_227
; %bb.199:                              ;   in Loop: Header=BB91_15 Depth=1
	ds_read_b32 v1, v9 offset:4096
	s_waitcnt lgkmcnt(0)
	s_barrier
	v_readfirstlane_b32 s63, v1
	s_mov_b64 s[2:3], exec
	v_readlane_b32 s16, v47, 20
	v_readlane_b32 s17, v47, 21
	s_and_b64 s[16:17], s[2:3], s[16:17]
	s_mov_b64 exec, s[16:17]
; %bb.200:                              ;   in Loop: Header=BB91_15 Depth=1
	ds_write_b32 v21, v9
; %bb.201:                              ;   in Loop: Header=BB91_15 Depth=1
	s_or_b64 exec, exec, s[2:3]
	v_or_b32_e32 v35, s10, v35
	v_or_b32_e32 v4, s10, v4
	s_mov_b64 s[50:51], 0
	s_cmp_eq_u32 s63, 0
	s_mov_b64 s[54:55], 0
	s_mov_b64 s[56:57], -1
	s_waitcnt lgkmcnt(0)
	s_barrier
                                        ; implicit-def: $vgpr2
	s_cbranch_scc1 .LBB91_213
; %bb.202:                              ;   in Loop: Header=BB91_15 Depth=1
	v_readlane_b32 s2, v47, 22
	s_add_i32 s2, s63, s2
	v_readlane_b32 s3, v47, 35
	s_mul_hi_u32 s3, s2, s3
	s_mul_i32 s3, s3, s72
	s_sub_i32 s3, s2, s3
	s_sub_i32 s16, s3, s72
	s_cmp_ge_u32 s3, s72
	s_cselect_b32 s3, s16, s3
	s_sub_i32 s16, s3, s72
	s_cmp_ge_u32 s3, s72
	s_cselect_b32 s3, s16, s3
	s_sub_i32 s16, s2, s3
	s_mov_b64 s[56:57], 0
	v_cmp_gt_u32_e32 vcc, s16, v0
                                        ; implicit-def: $vgpr2
	s_mov_b64 s[2:3], exec
	v_writelane_b32 v47, s2, 38
	v_writelane_b32 v47, s3, 39
	s_and_b64 s[2:3], s[2:3], vcc
	s_mov_b64 exec, s[2:3]
	s_cbranch_execz .LBB91_212
; %bb.203:                              ;   in Loop: Header=BB91_15 Depth=1
	v_writelane_b32 v47, s58, 40
	v_mov_b32_e32 v8, v18
	v_mov_b32_e32 v37, v0
	v_writelane_b32 v47, s59, 41
                                        ; implicit-def: $sgpr2_sgpr3
	s_branch .LBB91_207
.LBB91_204:                             ;   in Loop: Header=BB91_207 Depth=2
	s_or_b64 exec, exec, s[58:59]
	s_waitcnt lgkmcnt(0)
	s_barrier
	ds_read_b64 v[1:2], v9 offset:3072
	s_waitcnt lgkmcnt(0)
	s_barrier
	v_cmp_neq_f32_e32 vcc, 0, v1
	s_cbranch_vccnz .LBB91_210
; %bb.205:                              ;   in Loop: Header=BB91_207 Depth=2
	v_add_u32_e32 v37, s72, v37
	v_cmp_le_u32_e32 vcc, s16, v37
	v_add_u32_e32 v8, s8, v8
	s_mov_b64 s[58:59], 0
	s_orn2_b64 vcc, vcc, exec
.LBB91_206:                             ;   in Loop: Header=BB91_207 Depth=2
	s_and_b64 vcc, exec, vcc
	s_or_b64 s[54:55], vcc, s[54:55]
	s_andn2_b64 s[2:3], s[2:3], exec
	s_and_b64 s[58:59], s[58:59], exec
	s_or_b64 s[2:3], s[2:3], s[58:59]
	s_andn2_b64 exec, exec, s[54:55]
	s_cbranch_execz .LBB91_211
.LBB91_207:                             ;   Parent Loop BB91_15 Depth=1
                                        ; =>  This Inner Loop Header: Depth=2
	v_cmp_gt_u32_e32 vcc, s63, v37
	s_and_saveexec_b64 s[58:59], vcc
	s_cbranch_execz .LBB91_204
; %bb.208:                              ;   in Loop: Header=BB91_207 Depth=2
	ds_read_b32 v13, v8
	s_waitcnt lgkmcnt(0)
	v_cmp_lt_i32_e32 vcc, -1, v13
	v_cndmask_b32_e32 v1, -1, v32, vcc
	v_xor_b32_e32 v1, v1, v13
	v_cmp_o_f32_e32 vcc, v13, v13
	v_cndmask_b32_e32 v1, -1, v1, vcc
	v_and_b32_e32 v1, v1, v4
	v_cmp_eq_u32_e32 vcc, v1, v35
	s_and_b64 exec, exec, vcc
	s_cbranch_execz .LBB91_204
; %bb.209:                              ;   in Loop: Header=BB91_207 Depth=2
	ds_write_b64 v9, v[12:13] offset:3072
	s_branch .LBB91_204
.LBB91_210:                             ;   in Loop: Header=BB91_207 Depth=2
	s_mov_b64 vcc, -1
                                        ; implicit-def: $vgpr37
                                        ; implicit-def: $vgpr8
	s_mov_b64 s[58:59], -1
	s_branch .LBB91_206
.LBB91_211:                             ;   in Loop: Header=BB91_15 Depth=1
	s_or_b64 exec, exec, s[54:55]
	v_readlane_b32 s58, v47, 40
	s_and_b64 s[54:55], s[2:3], exec
	v_readlane_b32 s59, v47, 41
.LBB91_212:                             ;   in Loop: Header=BB91_15 Depth=1
	v_readlane_b32 s2, v47, 38
	v_readlane_b32 s3, v47, 39
	s_or_b64 exec, exec, s[2:3]
.LBB91_213:                             ;   in Loop: Header=BB91_15 Depth=1
	s_and_b64 vcc, exec, s[56:57]
	s_cbranch_vccz .LBB91_223
; %bb.214:                              ;   in Loop: Header=BB91_15 Depth=1
                                        ; implicit-def: $vgpr2
	s_mov_b64 s[16:17], exec
	v_readlane_b32 s2, v47, 36
	v_readlane_b32 s3, v47, 37
	s_and_b64 s[2:3], s[16:17], s[2:3]
	s_mov_b64 exec, s[2:3]
	s_cbranch_execz .LBB91_225
; %bb.215:                              ;   in Loop: Header=BB91_15 Depth=1
	v_writelane_b32 v47, s58, 40
	s_mov_b64 s[50:51], 0
	v_mov_b32_e32 v8, v7
	v_mov_b32_e32 v37, v0
	v_writelane_b32 v47, s59, 41
                                        ; implicit-def: $sgpr56_sgpr57
	s_branch .LBB91_219
.LBB91_216:                             ;   in Loop: Header=BB91_219 Depth=2
	s_or_b64 exec, exec, s[2:3]
	s_waitcnt lgkmcnt(0)
	s_barrier
	ds_read_b64 v[1:2], v9 offset:3072
	s_waitcnt lgkmcnt(0)
	s_barrier
	v_cmp_eq_f32_e32 vcc, 0, v1
	s_cbranch_vccz .LBB91_222
; %bb.217:                              ;   in Loop: Header=BB91_219 Depth=2
	v_add_u32_e32 v37, s72, v37
	v_cmp_le_u32_e32 vcc, s12, v37
	v_add_u32_e32 v8, s33, v8
	s_mov_b64 s[2:3], 0
	s_orn2_b64 s[58:59], vcc, exec
.LBB91_218:                             ;   in Loop: Header=BB91_219 Depth=2
	s_and_b64 s[58:59], exec, s[58:59]
	s_or_b64 s[50:51], s[58:59], s[50:51]
	s_andn2_b64 s[56:57], s[56:57], exec
	s_and_b64 s[2:3], s[2:3], exec
	s_or_b64 s[56:57], s[56:57], s[2:3]
	s_andn2_b64 exec, exec, s[50:51]
	s_cbranch_execz .LBB91_224
.LBB91_219:                             ;   Parent Loop BB91_15 Depth=1
                                        ; =>  This Inner Loop Header: Depth=2
	v_cmp_gt_u32_e32 vcc, s60, v37
	s_and_saveexec_b64 s[2:3], vcc
	s_cbranch_execz .LBB91_216
; %bb.220:                              ;   in Loop: Header=BB91_219 Depth=2
	v_lshlrev_b64 v[1:2], 2, v[8:9]
	v_mov_b32_e32 v13, s66
	v_add_co_u32_e32 v1, vcc, s64, v1
	v_addc_co_u32_e32 v2, vcc, v13, v2, vcc
	global_load_dword v13, v[1:2], off
	s_waitcnt vmcnt(0)
	v_cmp_lt_i32_e32 vcc, -1, v13
	v_cndmask_b32_e32 v1, -1, v32, vcc
	v_xor_b32_e32 v1, v1, v13
	v_cmp_o_f32_e32 vcc, v13, v13
	v_cndmask_b32_e32 v1, -1, v1, vcc
	v_and_b32_e32 v1, v1, v4
	v_cmp_eq_u32_e32 vcc, v1, v35
	s_and_b64 exec, exec, vcc
	s_cbranch_execz .LBB91_216
; %bb.221:                              ;   in Loop: Header=BB91_219 Depth=2
	ds_write_b64 v9, v[12:13] offset:3072
	s_branch .LBB91_216
.LBB91_222:                             ;   in Loop: Header=BB91_219 Depth=2
	s_mov_b64 s[58:59], -1
                                        ; implicit-def: $vgpr37
	s_mov_b64 s[2:3], -1
	s_branch .LBB91_218
.LBB91_223:                             ;   in Loop: Header=BB91_15 Depth=1
	s_mov_b64 s[56:57], -1
	s_branch .LBB91_226
.LBB91_224:                             ;   in Loop: Header=BB91_15 Depth=1
	s_or_b64 exec, exec, s[50:51]
	s_andn2_b64 s[2:3], s[54:55], exec
	s_and_b64 s[50:51], s[56:57], exec
	v_readlane_b32 s58, v47, 40
	s_or_b64 s[54:55], s[2:3], s[50:51]
	v_readlane_b32 s59, v47, 41
.LBB91_225:                             ;   in Loop: Header=BB91_15 Depth=1
	s_or_b64 exec, exec, s[16:17]
	s_mov_b64 s[56:57], 0
	s_mov_b64 s[50:51], -1
.LBB91_226:                             ;   in Loop: Header=BB91_15 Depth=1
	s_orn2_b64 s[2:3], s[54:55], exec
.LBB91_227:                             ;   in Loop: Header=BB91_15 Depth=1
	s_or_b64 exec, exec, s[52:53]
	s_mov_b64 s[54:55], 0
	s_and_saveexec_b64 s[52:53], s[2:3]
	s_cbranch_execz .LBB91_238
; %bb.228:                              ;   in Loop: Header=BB91_15 Depth=1
	s_xor_b64 s[16:17], s[58:59], -1
	v_mov_b32_e32 v3, 1
	v_mov_b32_e32 v1, 1
	s_and_saveexec_b64 s[2:3], s[16:17]
	s_cbranch_execz .LBB91_237
; %bb.229:                              ;   in Loop: Header=BB91_15 Depth=1
	s_mov_b64 s[58:59], s[56:57]
	v_cmp_ge_u32_e32 vcc, s62, v36
	s_and_saveexec_b64 s[16:17], vcc
	s_xor_b64 s[54:55], exec, s[16:17]
	s_cbranch_execz .LBB91_234
; %bb.230:                              ;   in Loop: Header=BB91_15 Depth=1
	ds_read_b32 v1, v9 offset:4096
	v_or_b32_e32 v35, s10, v35
	v_or_b32_e32 v4, s10, v4
	s_waitcnt lgkmcnt(0)
	v_cmp_ne_u32_e32 vcc, 0, v1
	s_cbranch_vccnz .LBB91_234
; %bb.231:                              ;   in Loop: Header=BB91_15 Depth=1
	s_mov_b64 s[56:57], exec
	v_readlane_b32 s16, v47, 6
	v_readlane_b32 s17, v47, 7
	s_and_b64 s[16:17], s[56:57], s[16:17]
	s_mov_b64 exec, s[16:17]
; %bb.232:                              ;   in Loop: Header=BB91_15 Depth=1
	v_mov_b32_e32 v1, s62
	ds_write_b32 v9, v1 offset:4100
; %bb.233:                              ;   in Loop: Header=BB91_15 Depth=1
	s_or_b64 exec, exec, s[56:57]
	s_waitcnt lgkmcnt(0)
	s_barrier
.LBB91_234:                             ;   in Loop: Header=BB91_15 Depth=1
	s_andn2_saveexec_b64 s[54:55], s[54:55]
; %bb.235:                              ;   in Loop: Header=BB91_15 Depth=1
	v_subrev_u32_e32 v36, s62, v36
; %bb.236:                              ;   in Loop: Header=BB91_15 Depth=1
	s_or_b64 exec, exec, s[54:55]
	v_mov_b32_e32 v3, 8
	v_mov_b32_e32 v1, v36
	s_mov_b64 s[56:57], s[58:59]
.LBB91_237:                             ;   in Loop: Header=BB91_15 Depth=1
	s_or_b64 exec, exec, s[2:3]
	s_mov_b64 s[54:55], exec
	v_mov_b32_e32 v36, v1
.LBB91_238:                             ;   in Loop: Header=BB91_15 Depth=1
	s_or_b64 exec, exec, s[52:53]
	s_orn2_b64 s[2:3], s[54:55], exec
.LBB91_239:                             ;   in Loop: Header=BB91_15 Depth=1
	s_or_b64 exec, exec, s[48:49]
	s_andn2_b64 s[16:17], s[44:45], exec
	s_and_b64 s[44:45], s[50:51], exec
	s_or_b64 s[44:45], s[16:17], s[44:45]
	s_andn2_b64 s[16:17], s[42:43], exec
	s_and_b64 s[42:43], s[56:57], exec
	s_or_b64 s[42:43], s[16:17], s[42:43]
	s_and_b64 s[16:17], s[2:3], exec
	v_mov_b32_e32 v37, v36
.LBB91_240:                             ;   in Loop: Header=BB91_15 Depth=1
	s_or_b64 exec, exec, s[46:47]
	s_orn2_b64 s[2:3], s[16:17], exec
.LBB91_241:                             ;   in Loop: Header=BB91_15 Depth=1
	s_or_b64 exec, exec, s[40:41]
	s_andn2_b64 s[16:17], s[26:27], exec
	s_and_b64 s[26:27], s[44:45], exec
	s_or_b64 s[26:27], s[16:17], s[26:27]
	s_andn2_b64 s[16:17], s[24:25], exec
	s_and_b64 s[24:25], s[42:43], exec
	s_or_b64 s[24:25], s[16:17], s[24:25]
	s_and_b64 s[16:17], s[2:3], exec
	v_mov_b32_e32 v36, v37
.LBB91_242:                             ;   in Loop: Header=BB91_15 Depth=1
	s_or_b64 exec, exec, s[38:39]
	s_orn2_b64 s[2:3], s[16:17], exec
.LBB91_243:                             ;   in Loop: Header=BB91_15 Depth=1
	s_or_b64 exec, exec, s[6:7]
	s_mov_b64 s[6:7], 0
	s_mov_b64 s[16:17], 0
	s_and_saveexec_b64 s[38:39], s[2:3]
	s_xor_b64 s[2:3], exec, s[38:39]
; %bb.244:                              ;   in Loop: Header=BB91_15 Depth=1
	v_cmp_eq_u32_e32 vcc, 8, v3
	v_cmp_ne_u32_e64 s[6:7], 8, v3
	s_and_b64 s[16:17], s[6:7], exec
	s_and_b64 s[6:7], vcc, exec
; %bb.245:                              ;   in Loop: Header=BB91_15 Depth=1
	s_or_b64 exec, exec, s[2:3]
	s_andn2_b64 s[2:3], s[30:31], exec
	s_and_b64 s[26:27], s[26:27], exec
	s_or_b64 s[30:31], s[2:3], s[26:27]
	s_andn2_b64 s[2:3], s[28:29], exec
	s_and_b64 s[24:25], s[24:25], exec
	s_or_b64 s[28:29], s[2:3], s[24:25]
	s_and_b64 s[24:25], s[16:17], exec
	s_and_b64 s[26:27], s[6:7], exec
.LBB91_246:                             ;   in Loop: Header=BB91_15 Depth=1
	s_or_b64 exec, exec, s[36:37]
.LBB91_247:                             ;   in Loop: Header=BB91_15 Depth=1
	s_and_b64 vcc, exec, s[34:35]
	s_cbranch_vccz .LBB91_261
; %bb.248:                              ;   in Loop: Header=BB91_15 Depth=1
	s_cmp_eq_u32 s62, 1
	s_cselect_b64 s[2:3], -1, 0
	s_and_b64 s[2:3], s[2:3], s[18:19]
	s_mov_b64 s[16:17], -1
                                        ; implicit-def: $sgpr18_sgpr19
                                        ; implicit-def: $sgpr22_sgpr23
	s_and_saveexec_b64 s[6:7], s[2:3]
	s_cbranch_execz .LBB91_277
; %bb.249:                              ;   in Loop: Header=BB91_15 Depth=1
	ds_read_b32 v1, v9 offset:4096
	s_waitcnt lgkmcnt(0)
	s_barrier
	v_readfirstlane_b32 s40, v1
	s_mov_b64 s[16:17], exec
	v_readlane_b32 s18, v47, 20
	v_readlane_b32 s19, v47, 21
	s_and_b64 s[18:19], s[16:17], s[18:19]
	s_mov_b64 exec, s[18:19]
; %bb.250:                              ;   in Loop: Header=BB91_15 Depth=1
	ds_write_b32 v21, v9
; %bb.251:                              ;   in Loop: Header=BB91_15 Depth=1
	s_or_b64 exec, exec, s[16:17]
	v_or_b32_e32 v24, s10, v24
	v_or_b32_e32 v33, s10, v33
	s_mov_b64 s[22:23], -1
	s_mov_b64 s[18:19], 0
	s_cmp_eq_u32 s40, 0
	s_mov_b64 s[16:17], 0
	s_mov_b64 s[28:29], -1
	s_waitcnt lgkmcnt(0)
	s_barrier
                                        ; implicit-def: $vgpr14
	s_cbranch_scc1 .LBB91_264
; %bb.252:                              ;   in Loop: Header=BB91_15 Depth=1
	v_readlane_b32 s16, v47, 22
	s_add_i32 s16, s40, s16
	v_readlane_b32 s17, v47, 35
	s_mul_hi_u32 s17, s16, s17
	s_mul_i32 s17, s17, s72
	s_sub_i32 s17, s16, s17
	s_sub_i32 s28, s17, s72
	s_cmp_ge_u32 s17, s72
	s_cselect_b32 s17, s28, s17
	s_sub_i32 s28, s17, s72
	s_cmp_ge_u32 s17, s72
	s_cselect_b32 s17, s28, s17
	s_sub_i32 s41, s16, s17
	v_cmp_gt_u32_e32 vcc, s41, v0
	s_mov_b64 s[28:29], 0
	s_mov_b64 s[16:17], 0
                                        ; implicit-def: $vgpr14
	s_and_saveexec_b64 s[30:31], vcc
	s_cbranch_execz .LBB91_263
; %bb.253:                              ;   in Loop: Header=BB91_15 Depth=1
	v_mov_b32_e32 v1, v18
	v_mov_b32_e32 v2, v0
                                        ; implicit-def: $sgpr34_sgpr35
	s_branch .LBB91_257
.LBB91_254:                             ;   in Loop: Header=BB91_257 Depth=2
	s_or_b64 exec, exec, s[36:37]
	s_waitcnt lgkmcnt(0)
	s_barrier
	ds_read_b64 v[13:14], v9 offset:3072
	s_waitcnt lgkmcnt(0)
	s_barrier
	v_cmp_neq_f32_e32 vcc, 0, v13
	s_cbranch_vccnz .LBB91_260
; %bb.255:                              ;   in Loop: Header=BB91_257 Depth=2
	v_add_u32_e32 v2, s72, v2
	v_cmp_le_u32_e32 vcc, s41, v2
	v_add_u32_e32 v1, s8, v1
	s_mov_b64 s[36:37], 0
	s_orn2_b64 s[38:39], vcc, exec
.LBB91_256:                             ;   in Loop: Header=BB91_257 Depth=2
	s_and_b64 s[38:39], exec, s[38:39]
	s_or_b64 s[16:17], s[38:39], s[16:17]
	s_andn2_b64 s[34:35], s[34:35], exec
	s_and_b64 s[36:37], s[36:37], exec
	s_or_b64 s[34:35], s[34:35], s[36:37]
	s_andn2_b64 exec, exec, s[16:17]
	s_cbranch_execz .LBB91_262
.LBB91_257:                             ;   Parent Loop BB91_15 Depth=1
                                        ; =>  This Inner Loop Header: Depth=2
	v_cmp_gt_u32_e32 vcc, s40, v2
	s_and_saveexec_b64 s[36:37], vcc
	s_cbranch_execz .LBB91_254
; %bb.258:                              ;   in Loop: Header=BB91_257 Depth=2
	ds_read_b32 v13, v1
	s_waitcnt lgkmcnt(0)
	v_cmp_lt_i32_e32 vcc, -1, v13
	v_cndmask_b32_e32 v3, -1, v32, vcc
	v_xor_b32_e32 v3, v3, v13
	v_cmp_o_f32_e32 vcc, v13, v13
	v_cndmask_b32_e32 v3, -1, v3, vcc
	v_and_b32_e32 v3, v3, v33
	v_cmp_eq_u32_e32 vcc, v3, v24
	s_and_b64 exec, exec, vcc
	s_cbranch_execz .LBB91_254
; %bb.259:                              ;   in Loop: Header=BB91_257 Depth=2
	ds_write_b64 v9, v[12:13] offset:3072
	s_branch .LBB91_254
.LBB91_260:                             ;   in Loop: Header=BB91_257 Depth=2
	s_mov_b64 s[38:39], -1
                                        ; implicit-def: $vgpr2
                                        ; implicit-def: $vgpr1
	s_mov_b64 s[36:37], -1
	s_branch .LBB91_256
.LBB91_261:                             ;   in Loop: Header=BB91_15 Depth=1
	s_mov_b64 s[18:19], 0
	v_mov_b32_e32 v24, v35
	v_mov_b32_e32 v33, v4
	;; [unrolled: 1-line block ×3, first 2 shown]
	s_and_saveexec_b64 s[2:3], s[26:27]
	s_cbranch_execnz .LBB91_414
	s_branch .LBB91_415
.LBB91_262:                             ;   in Loop: Header=BB91_15 Depth=1
	s_or_b64 exec, exec, s[16:17]
	s_and_b64 s[16:17], s[34:35], exec
.LBB91_263:                             ;   in Loop: Header=BB91_15 Depth=1
	s_or_b64 exec, exec, s[30:31]
.LBB91_264:                             ;   in Loop: Header=BB91_15 Depth=1
	s_and_b64 vcc, exec, s[28:29]
	s_cbranch_vccz .LBB91_276
; %bb.265:                              ;   in Loop: Header=BB91_15 Depth=1
                                        ; implicit-def: $vgpr14
	s_mov_b64 s[18:19], exec
	v_readlane_b32 s22, v47, 36
	v_readlane_b32 s23, v47, 37
	s_and_b64 s[22:23], s[18:19], s[22:23]
	s_mov_b64 exec, s[22:23]
	s_cbranch_execz .LBB91_275
; %bb.266:                              ;   in Loop: Header=BB91_15 Depth=1
	s_mov_b64 s[22:23], 0
	v_mov_b32_e32 v8, v7
	v_mov_b32_e32 v1, v0
                                        ; implicit-def: $sgpr28_sgpr29
	s_branch .LBB91_270
.LBB91_267:                             ;   in Loop: Header=BB91_270 Depth=2
	s_or_b64 exec, exec, s[30:31]
	s_waitcnt lgkmcnt(0)
	s_barrier
	ds_read_b64 v[13:14], v9 offset:3072
	s_waitcnt lgkmcnt(0)
	s_barrier
	v_cmp_neq_f32_e32 vcc, 0, v13
	s_cbranch_vccnz .LBB91_273
; %bb.268:                              ;   in Loop: Header=BB91_270 Depth=2
	v_add_u32_e32 v1, s72, v1
	v_cmp_le_u32_e32 vcc, s12, v1
	v_add_u32_e32 v8, s33, v8
	s_mov_b64 s[30:31], 0
	s_orn2_b64 s[34:35], vcc, exec
.LBB91_269:                             ;   in Loop: Header=BB91_270 Depth=2
	s_and_b64 s[34:35], exec, s[34:35]
	s_or_b64 s[22:23], s[34:35], s[22:23]
	s_andn2_b64 s[28:29], s[28:29], exec
	s_and_b64 s[30:31], s[30:31], exec
	s_or_b64 s[28:29], s[28:29], s[30:31]
	s_andn2_b64 exec, exec, s[22:23]
	s_cbranch_execz .LBB91_274
.LBB91_270:                             ;   Parent Loop BB91_15 Depth=1
                                        ; =>  This Inner Loop Header: Depth=2
	v_cmp_gt_u32_e32 vcc, s60, v1
	s_and_saveexec_b64 s[30:31], vcc
	s_cbranch_execz .LBB91_267
; %bb.271:                              ;   in Loop: Header=BB91_270 Depth=2
	v_lshlrev_b64 v[2:3], 2, v[8:9]
	v_mov_b32_e32 v4, s66
	v_add_co_u32_e32 v2, vcc, s64, v2
	v_addc_co_u32_e32 v3, vcc, v4, v3, vcc
	global_load_dword v13, v[2:3], off
	s_waitcnt vmcnt(0)
	v_cmp_lt_i32_e32 vcc, -1, v13
	v_cndmask_b32_e32 v2, -1, v32, vcc
	v_xor_b32_e32 v2, v2, v13
	v_cmp_o_f32_e32 vcc, v13, v13
	v_cndmask_b32_e32 v2, -1, v2, vcc
	v_and_b32_e32 v2, v2, v33
	v_cmp_eq_u32_e32 vcc, v2, v24
	s_and_b64 exec, exec, vcc
	s_cbranch_execz .LBB91_267
; %bb.272:                              ;   in Loop: Header=BB91_270 Depth=2
	ds_write_b64 v9, v[12:13] offset:3072
	s_branch .LBB91_267
.LBB91_273:                             ;   in Loop: Header=BB91_270 Depth=2
	s_mov_b64 s[34:35], -1
                                        ; implicit-def: $vgpr1
	s_mov_b64 s[30:31], -1
	s_branch .LBB91_269
.LBB91_274:                             ;   in Loop: Header=BB91_15 Depth=1
	s_or_b64 exec, exec, s[22:23]
	s_andn2_b64 s[16:17], s[16:17], exec
	s_and_b64 s[22:23], s[28:29], exec
	s_or_b64 s[16:17], s[16:17], s[22:23]
.LBB91_275:                             ;   in Loop: Header=BB91_15 Depth=1
	s_or_b64 exec, exec, s[18:19]
	s_mov_b64 s[22:23], 0
	s_mov_b64 s[18:19], -1
.LBB91_276:                             ;   in Loop: Header=BB91_15 Depth=1
	s_orn2_b64 s[16:17], s[16:17], exec
.LBB91_277:                             ;   in Loop: Header=BB91_15 Depth=1
	s_or_b64 exec, exec, s[6:7]
                                        ; implicit-def: $vgpr36
                                        ; implicit-def: $vgpr3
	s_and_saveexec_b64 s[28:29], s[16:17]
	s_cbranch_execz .LBB91_413
; %bb.278:                              ;   in Loop: Header=BB91_15 Depth=1
	s_xor_b64 s[16:17], s[2:3], -1
	s_mov_b64 s[6:7], 0
	v_mov_b32_e32 v36, 1
	v_mov_b32_e32 v3, 1
	s_and_saveexec_b64 s[2:3], s[16:17]
	s_cbranch_execz .LBB91_287
; %bb.279:                              ;   in Loop: Header=BB91_15 Depth=1
	v_cmp_ge_u32_e32 vcc, s62, v34
	s_and_saveexec_b64 s[6:7], vcc
	s_xor_b64 s[6:7], exec, s[6:7]
	s_cbranch_execz .LBB91_284
; %bb.280:                              ;   in Loop: Header=BB91_15 Depth=1
	ds_read_b32 v1, v9 offset:4096
	v_or_b32_e32 v24, s10, v24
	v_or_b32_e32 v33, s10, v33
	s_waitcnt lgkmcnt(0)
	v_cmp_ne_u32_e32 vcc, 0, v1
	s_cbranch_vccnz .LBB91_284
; %bb.281:                              ;   in Loop: Header=BB91_15 Depth=1
	s_mov_b64 s[16:17], exec
	v_readlane_b32 s30, v47, 6
	v_readlane_b32 s31, v47, 7
	s_and_b64 s[30:31], s[16:17], s[30:31]
	s_mov_b64 exec, s[30:31]
; %bb.282:                              ;   in Loop: Header=BB91_15 Depth=1
	v_mov_b32_e32 v1, s62
	ds_write_b32 v9, v1 offset:4100
; %bb.283:                              ;   in Loop: Header=BB91_15 Depth=1
	s_or_b64 exec, exec, s[16:17]
	s_waitcnt lgkmcnt(0)
	s_barrier
.LBB91_284:                             ;   in Loop: Header=BB91_15 Depth=1
	s_or_saveexec_b64 s[6:7], s[6:7]
	s_mov_b64 s[16:17], 0
	v_mov_b32_e32 v3, 5
	s_xor_b64 exec, exec, s[6:7]
; %bb.285:                              ;   in Loop: Header=BB91_15 Depth=1
	s_mov_b64 s[16:17], exec
	v_subrev_u32_e32 v34, s62, v34
	v_mov_b32_e32 v3, 0
; %bb.286:                              ;   in Loop: Header=BB91_15 Depth=1
	s_or_b64 exec, exec, s[6:7]
	s_and_b64 s[6:7], s[16:17], exec
	v_mov_b32_e32 v36, v34
.LBB91_287:                             ;   in Loop: Header=BB91_15 Depth=1
	s_or_b64 exec, exec, s[2:3]
	s_mov_b64 s[2:3], -1
                                        ; implicit-def: $sgpr30_sgpr31
                                        ; implicit-def: $sgpr34_sgpr35
	s_and_saveexec_b64 s[16:17], s[6:7]
	s_xor_b64 s[6:7], exec, s[16:17]
	s_cbranch_execz .LBB91_410
; %bb.288:                              ;   in Loop: Header=BB91_15 Depth=1
	s_cmp_eq_u32 s5, 1
	s_cselect_b64 s[2:3], -1, 0
	v_cmp_eq_u32_e32 vcc, 1, v36
	s_and_b64 s[2:3], s[2:3], vcc
	s_mov_b64 s[38:39], -1
                                        ; implicit-def: $sgpr34_sgpr35
                                        ; implicit-def: $sgpr30_sgpr31
	s_and_saveexec_b64 s[16:17], s[2:3]
	s_cbranch_execz .LBB91_316
; %bb.289:                              ;   in Loop: Header=BB91_15 Depth=1
	ds_read_b32 v1, v9 offset:4096
	s_waitcnt lgkmcnt(0)
	s_barrier
	v_readfirstlane_b32 s48, v1
	s_mov_b64 s[30:31], exec
	v_readlane_b32 s34, v47, 20
	v_readlane_b32 s35, v47, 21
	s_and_b64 s[34:35], s[30:31], s[34:35]
	s_mov_b64 exec, s[34:35]
; %bb.290:                              ;   in Loop: Header=BB91_15 Depth=1
	ds_write_b32 v21, v9
; %bb.291:                              ;   in Loop: Header=BB91_15 Depth=1
	s_or_b64 exec, exec, s[30:31]
	v_and_b32_e32 v1, s11, v24
	v_lshl_or_b32 v24, 2, s15, v1
	v_or_b32_e32 v33, s10, v33
	s_mov_b64 s[30:31], -1
	s_mov_b64 s[34:35], 0
	s_cmp_eq_u32 s48, 0
	s_mov_b64 s[36:37], 0
	s_waitcnt lgkmcnt(0)
	s_barrier
                                        ; implicit-def: $vgpr14
	s_cbranch_scc1 .LBB91_303
; %bb.292:                              ;   in Loop: Header=BB91_15 Depth=1
	v_readlane_b32 s36, v47, 22
	s_add_i32 s36, s48, s36
	v_readlane_b32 s37, v47, 35
	s_mul_hi_u32 s37, s36, s37
	s_mul_i32 s37, s37, s72
	s_sub_i32 s37, s36, s37
	s_sub_i32 s38, s37, s72
	s_cmp_ge_u32 s37, s72
	s_cselect_b32 s37, s38, s37
	s_sub_i32 s38, s37, s72
	s_cmp_ge_u32 s37, s72
	s_cselect_b32 s37, s38, s37
	s_sub_i32 s49, s36, s37
	v_cmp_gt_u32_e32 vcc, s49, v0
	s_mov_b64 s[38:39], 0
	s_mov_b64 s[36:37], 0
                                        ; implicit-def: $vgpr14
	s_and_saveexec_b64 s[40:41], vcc
	s_cbranch_execz .LBB91_302
; %bb.293:                              ;   in Loop: Header=BB91_15 Depth=1
	v_mov_b32_e32 v1, v18
	v_mov_b32_e32 v2, v0
                                        ; implicit-def: $sgpr42_sgpr43
	s_branch .LBB91_297
.LBB91_294:                             ;   in Loop: Header=BB91_297 Depth=2
	s_or_b64 exec, exec, s[44:45]
	s_waitcnt lgkmcnt(0)
	s_barrier
	ds_read_b64 v[13:14], v9 offset:3072
	s_waitcnt lgkmcnt(0)
	s_barrier
	v_cmp_neq_f32_e32 vcc, 0, v13
	s_cbranch_vccnz .LBB91_300
; %bb.295:                              ;   in Loop: Header=BB91_297 Depth=2
	v_add_u32_e32 v2, s72, v2
	v_cmp_le_u32_e32 vcc, s49, v2
	v_add_u32_e32 v1, s8, v1
	s_mov_b64 s[44:45], 0
	s_orn2_b64 s[46:47], vcc, exec
.LBB91_296:                             ;   in Loop: Header=BB91_297 Depth=2
	s_and_b64 s[46:47], exec, s[46:47]
	s_or_b64 s[36:37], s[46:47], s[36:37]
	s_andn2_b64 s[42:43], s[42:43], exec
	s_and_b64 s[44:45], s[44:45], exec
	s_or_b64 s[42:43], s[42:43], s[44:45]
	s_andn2_b64 exec, exec, s[36:37]
	s_cbranch_execz .LBB91_301
.LBB91_297:                             ;   Parent Loop BB91_15 Depth=1
                                        ; =>  This Inner Loop Header: Depth=2
	v_cmp_gt_u32_e32 vcc, s48, v2
	s_and_saveexec_b64 s[44:45], vcc
	s_cbranch_execz .LBB91_294
; %bb.298:                              ;   in Loop: Header=BB91_297 Depth=2
	ds_read_b32 v13, v1
	s_waitcnt lgkmcnt(0)
	v_cmp_lt_i32_e32 vcc, -1, v13
	v_cndmask_b32_e32 v4, -1, v32, vcc
	v_xor_b32_e32 v4, v4, v13
	v_cmp_o_f32_e32 vcc, v13, v13
	v_cndmask_b32_e32 v4, -1, v4, vcc
	v_and_b32_e32 v4, v4, v33
	v_cmp_eq_u32_e32 vcc, v4, v24
	s_and_b64 exec, exec, vcc
	s_cbranch_execz .LBB91_294
; %bb.299:                              ;   in Loop: Header=BB91_297 Depth=2
	ds_write_b64 v9, v[12:13] offset:3072
	s_branch .LBB91_294
.LBB91_300:                             ;   in Loop: Header=BB91_297 Depth=2
	s_mov_b64 s[46:47], -1
                                        ; implicit-def: $vgpr2
                                        ; implicit-def: $vgpr1
	s_mov_b64 s[44:45], -1
	s_branch .LBB91_296
.LBB91_301:                             ;   in Loop: Header=BB91_15 Depth=1
	s_or_b64 exec, exec, s[36:37]
	s_and_b64 s[36:37], s[42:43], exec
.LBB91_302:                             ;   in Loop: Header=BB91_15 Depth=1
	s_or_b64 exec, exec, s[40:41]
.LBB91_303:                             ;   in Loop: Header=BB91_15 Depth=1
	s_and_b64 vcc, exec, s[38:39]
	s_cbranch_vccz .LBB91_315
; %bb.304:                              ;   in Loop: Header=BB91_15 Depth=1
                                        ; implicit-def: $vgpr14
	s_mov_b64 s[30:31], exec
	v_readlane_b32 s34, v47, 36
	v_readlane_b32 s35, v47, 37
	s_and_b64 s[34:35], s[30:31], s[34:35]
	s_mov_b64 exec, s[34:35]
	s_cbranch_execz .LBB91_314
; %bb.305:                              ;   in Loop: Header=BB91_15 Depth=1
	s_mov_b64 s[34:35], 0
	v_mov_b32_e32 v8, v7
	v_mov_b32_e32 v1, v0
                                        ; implicit-def: $sgpr38_sgpr39
	s_branch .LBB91_309
.LBB91_306:                             ;   in Loop: Header=BB91_309 Depth=2
	s_or_b64 exec, exec, s[40:41]
	s_waitcnt lgkmcnt(0)
	s_barrier
	ds_read_b64 v[13:14], v9 offset:3072
	s_waitcnt lgkmcnt(0)
	s_barrier
	v_cmp_eq_f32_e32 vcc, 0, v13
	s_cbranch_vccz .LBB91_312
; %bb.307:                              ;   in Loop: Header=BB91_309 Depth=2
	v_add_u32_e32 v1, s72, v1
	v_cmp_le_u32_e32 vcc, s12, v1
	v_add_u32_e32 v8, s33, v8
	s_mov_b64 s[40:41], 0
	s_orn2_b64 s[42:43], vcc, exec
.LBB91_308:                             ;   in Loop: Header=BB91_309 Depth=2
	s_and_b64 s[42:43], exec, s[42:43]
	s_or_b64 s[34:35], s[42:43], s[34:35]
	s_andn2_b64 s[38:39], s[38:39], exec
	s_and_b64 s[40:41], s[40:41], exec
	s_or_b64 s[38:39], s[38:39], s[40:41]
	s_andn2_b64 exec, exec, s[34:35]
	s_cbranch_execz .LBB91_313
.LBB91_309:                             ;   Parent Loop BB91_15 Depth=1
                                        ; =>  This Inner Loop Header: Depth=2
	v_cmp_gt_u32_e32 vcc, s60, v1
	s_and_saveexec_b64 s[40:41], vcc
	s_cbranch_execz .LBB91_306
; %bb.310:                              ;   in Loop: Header=BB91_309 Depth=2
	v_lshlrev_b64 v[13:14], 2, v[8:9]
	v_mov_b32_e32 v2, s66
	v_add_co_u32_e32 v13, vcc, s64, v13
	v_addc_co_u32_e32 v14, vcc, v2, v14, vcc
	global_load_dword v13, v[13:14], off
	s_waitcnt vmcnt(0)
	v_cmp_lt_i32_e32 vcc, -1, v13
	v_cndmask_b32_e32 v2, -1, v32, vcc
	v_xor_b32_e32 v2, v2, v13
	v_cmp_o_f32_e32 vcc, v13, v13
	v_cndmask_b32_e32 v2, -1, v2, vcc
	v_and_b32_e32 v2, v2, v33
	v_cmp_eq_u32_e32 vcc, v2, v24
	s_and_b64 exec, exec, vcc
	s_cbranch_execz .LBB91_306
; %bb.311:                              ;   in Loop: Header=BB91_309 Depth=2
	ds_write_b64 v9, v[12:13] offset:3072
	s_branch .LBB91_306
.LBB91_312:                             ;   in Loop: Header=BB91_309 Depth=2
	s_mov_b64 s[42:43], -1
                                        ; implicit-def: $vgpr1
	s_mov_b64 s[40:41], -1
	s_branch .LBB91_308
.LBB91_313:                             ;   in Loop: Header=BB91_15 Depth=1
	s_or_b64 exec, exec, s[34:35]
	s_andn2_b64 s[34:35], s[36:37], exec
	s_and_b64 s[36:37], s[38:39], exec
	s_or_b64 s[36:37], s[34:35], s[36:37]
.LBB91_314:                             ;   in Loop: Header=BB91_15 Depth=1
	s_or_b64 exec, exec, s[30:31]
	s_mov_b64 s[30:31], 0
	s_mov_b64 s[34:35], -1
.LBB91_315:                             ;   in Loop: Header=BB91_15 Depth=1
	s_orn2_b64 s[38:39], s[36:37], exec
.LBB91_316:                             ;   in Loop: Header=BB91_15 Depth=1
	s_or_b64 exec, exec, s[16:17]
	s_mov_b64 s[16:17], 0
	s_and_saveexec_b64 s[36:37], s[38:39]
	s_cbranch_execz .LBB91_409
; %bb.317:                              ;   in Loop: Header=BB91_15 Depth=1
	s_xor_b64 s[38:39], s[2:3], -1
	v_mov_b32_e32 v1, 1
	v_mov_b32_e32 v3, 1
	s_and_saveexec_b64 s[2:3], s[38:39]
	s_cbranch_execz .LBB91_326
; %bb.318:                              ;   in Loop: Header=BB91_15 Depth=1
	v_cmp_ge_u32_e32 vcc, s5, v36
	s_and_saveexec_b64 s[16:17], vcc
	s_xor_b64 s[16:17], exec, s[16:17]
	s_cbranch_execz .LBB91_323
; %bb.319:                              ;   in Loop: Header=BB91_15 Depth=1
	ds_read_b32 v1, v9 offset:4096
	v_and_b32_e32 v2, s11, v24
	v_lshl_or_b32 v24, 2, s15, v2
	v_or_b32_e32 v33, s10, v33
	s_waitcnt lgkmcnt(0)
	v_cmp_ne_u32_e32 vcc, 0, v1
	s_cbranch_vccnz .LBB91_323
; %bb.320:                              ;   in Loop: Header=BB91_15 Depth=1
	s_mov_b64 s[38:39], exec
	v_readlane_b32 s40, v47, 6
	v_readlane_b32 s41, v47, 7
	s_and_b64 s[40:41], s[38:39], s[40:41]
	s_mov_b64 exec, s[40:41]
; %bb.321:                              ;   in Loop: Header=BB91_15 Depth=1
	v_mov_b32_e32 v1, s5
	ds_write_b32 v9, v1 offset:4100
; %bb.322:                              ;   in Loop: Header=BB91_15 Depth=1
	s_or_b64 exec, exec, s[38:39]
	s_waitcnt lgkmcnt(0)
	s_barrier
.LBB91_323:                             ;   in Loop: Header=BB91_15 Depth=1
	s_or_saveexec_b64 s[16:17], s[16:17]
	s_mov_b64 s[38:39], 0
	v_mov_b32_e32 v3, 5
	s_xor_b64 exec, exec, s[16:17]
; %bb.324:                              ;   in Loop: Header=BB91_15 Depth=1
	s_mov_b64 s[38:39], exec
	v_subrev_u32_e32 v36, s5, v36
	v_mov_b32_e32 v3, 0
; %bb.325:                              ;   in Loop: Header=BB91_15 Depth=1
	s_or_b64 exec, exec, s[16:17]
	s_and_b64 s[16:17], s[38:39], exec
	v_mov_b32_e32 v1, v36
.LBB91_326:                             ;   in Loop: Header=BB91_15 Depth=1
	s_or_b64 exec, exec, s[2:3]
	s_mov_b64 s[2:3], -1
                                        ; implicit-def: $sgpr40_sgpr41
                                        ; implicit-def: $sgpr42_sgpr43
	s_and_saveexec_b64 s[38:39], s[16:17]
	s_cbranch_execz .LBB91_408
; %bb.327:                              ;   in Loop: Header=BB91_15 Depth=1
	s_cmp_eq_u32 s4, 1
	s_cselect_b64 s[2:3], -1, 0
	v_cmp_eq_u32_e32 vcc, 1, v1
	s_and_b64 s[2:3], s[2:3], vcc
	s_mov_b64 s[46:47], -1
                                        ; implicit-def: $sgpr42_sgpr43
                                        ; implicit-def: $sgpr40_sgpr41
	s_and_saveexec_b64 s[16:17], s[2:3]
	s_cbranch_execz .LBB91_355
; %bb.328:                              ;   in Loop: Header=BB91_15 Depth=1
	ds_read_b32 v2, v9 offset:4096
	s_waitcnt lgkmcnt(0)
	s_barrier
	v_readfirstlane_b32 s5, v2
	s_mov_b64 s[40:41], exec
	v_readlane_b32 s42, v47, 20
	v_readlane_b32 s43, v47, 21
	s_and_b64 s[42:43], s[40:41], s[42:43]
	s_mov_b64 exec, s[42:43]
; %bb.329:                              ;   in Loop: Header=BB91_15 Depth=1
	ds_write_b32 v21, v9
; %bb.330:                              ;   in Loop: Header=BB91_15 Depth=1
	s_or_b64 exec, exec, s[40:41]
	v_and_b32_e32 v2, s11, v24
	v_lshl_or_b32 v24, 1, s15, v2
	v_or_b32_e32 v33, s10, v33
	s_mov_b64 s[40:41], -1
	s_mov_b64 s[42:43], 0
	s_cmp_eq_u32 s5, 0
	s_mov_b64 s[44:45], 0
	s_waitcnt lgkmcnt(0)
	s_barrier
                                        ; implicit-def: $vgpr14
	s_cbranch_scc1 .LBB91_342
; %bb.331:                              ;   in Loop: Header=BB91_15 Depth=1
	v_readlane_b32 s44, v47, 22
	s_add_i32 s44, s5, s44
	v_readlane_b32 s45, v47, 35
	s_mul_hi_u32 s45, s44, s45
	s_mul_i32 s45, s45, s72
	s_sub_i32 s45, s44, s45
	s_sub_i32 s46, s45, s72
	s_cmp_ge_u32 s45, s72
	s_cselect_b32 s45, s46, s45
	s_sub_i32 s46, s45, s72
	s_cmp_ge_u32 s45, s72
	s_cselect_b32 s45, s46, s45
	s_sub_i32 s56, s44, s45
	v_cmp_gt_u32_e32 vcc, s56, v0
	s_mov_b64 s[46:47], 0
	s_mov_b64 s[44:45], 0
                                        ; implicit-def: $vgpr14
	s_and_saveexec_b64 s[48:49], vcc
	s_cbranch_execz .LBB91_341
; %bb.332:                              ;   in Loop: Header=BB91_15 Depth=1
	v_mov_b32_e32 v2, v18
	v_mov_b32_e32 v4, v0
                                        ; implicit-def: $sgpr50_sgpr51
	s_branch .LBB91_336
.LBB91_333:                             ;   in Loop: Header=BB91_336 Depth=2
	s_or_b64 exec, exec, s[52:53]
	s_waitcnt lgkmcnt(0)
	s_barrier
	ds_read_b64 v[13:14], v9 offset:3072
	s_waitcnt lgkmcnt(0)
	s_barrier
	v_cmp_neq_f32_e32 vcc, 0, v13
	s_cbranch_vccnz .LBB91_339
; %bb.334:                              ;   in Loop: Header=BB91_336 Depth=2
	v_add_u32_e32 v4, s72, v4
	v_cmp_le_u32_e32 vcc, s56, v4
	v_add_u32_e32 v2, s8, v2
	s_mov_b64 s[52:53], 0
	s_orn2_b64 s[54:55], vcc, exec
.LBB91_335:                             ;   in Loop: Header=BB91_336 Depth=2
	s_and_b64 s[54:55], exec, s[54:55]
	s_or_b64 s[44:45], s[54:55], s[44:45]
	s_andn2_b64 s[50:51], s[50:51], exec
	s_and_b64 s[52:53], s[52:53], exec
	s_or_b64 s[50:51], s[50:51], s[52:53]
	s_andn2_b64 exec, exec, s[44:45]
	s_cbranch_execz .LBB91_340
.LBB91_336:                             ;   Parent Loop BB91_15 Depth=1
                                        ; =>  This Inner Loop Header: Depth=2
	v_cmp_gt_u32_e32 vcc, s5, v4
	s_and_saveexec_b64 s[52:53], vcc
	s_cbranch_execz .LBB91_333
; %bb.337:                              ;   in Loop: Header=BB91_336 Depth=2
	ds_read_b32 v13, v2
	s_waitcnt lgkmcnt(0)
	v_cmp_lt_i32_e32 vcc, -1, v13
	v_cndmask_b32_e32 v8, -1, v32, vcc
	v_xor_b32_e32 v8, v8, v13
	v_cmp_o_f32_e32 vcc, v13, v13
	v_cndmask_b32_e32 v8, -1, v8, vcc
	v_and_b32_e32 v8, v8, v33
	v_cmp_eq_u32_e32 vcc, v8, v24
	s_and_b64 exec, exec, vcc
	s_cbranch_execz .LBB91_333
; %bb.338:                              ;   in Loop: Header=BB91_336 Depth=2
	ds_write_b64 v9, v[12:13] offset:3072
	s_branch .LBB91_333
.LBB91_339:                             ;   in Loop: Header=BB91_336 Depth=2
	s_mov_b64 s[54:55], -1
                                        ; implicit-def: $vgpr4
                                        ; implicit-def: $vgpr2
	s_mov_b64 s[52:53], -1
	s_branch .LBB91_335
.LBB91_340:                             ;   in Loop: Header=BB91_15 Depth=1
	s_or_b64 exec, exec, s[44:45]
	s_and_b64 s[44:45], s[50:51], exec
.LBB91_341:                             ;   in Loop: Header=BB91_15 Depth=1
	s_or_b64 exec, exec, s[48:49]
.LBB91_342:                             ;   in Loop: Header=BB91_15 Depth=1
	s_and_b64 vcc, exec, s[46:47]
	s_cbranch_vccz .LBB91_354
; %bb.343:                              ;   in Loop: Header=BB91_15 Depth=1
                                        ; implicit-def: $vgpr14
	s_mov_b64 s[40:41], exec
	v_readlane_b32 s42, v47, 36
	v_readlane_b32 s43, v47, 37
	s_and_b64 s[42:43], s[40:41], s[42:43]
	s_mov_b64 exec, s[42:43]
	s_cbranch_execz .LBB91_353
; %bb.344:                              ;   in Loop: Header=BB91_15 Depth=1
	s_mov_b64 s[42:43], 0
	v_mov_b32_e32 v8, v7
	v_mov_b32_e32 v2, v0
                                        ; implicit-def: $sgpr46_sgpr47
	s_branch .LBB91_348
.LBB91_345:                             ;   in Loop: Header=BB91_348 Depth=2
	s_or_b64 exec, exec, s[48:49]
	s_waitcnt lgkmcnt(0)
	s_barrier
	ds_read_b64 v[13:14], v9 offset:3072
	s_waitcnt lgkmcnt(0)
	s_barrier
	v_cmp_eq_f32_e32 vcc, 0, v13
	s_cbranch_vccz .LBB91_351
; %bb.346:                              ;   in Loop: Header=BB91_348 Depth=2
	v_add_u32_e32 v2, s72, v2
	v_cmp_le_u32_e32 vcc, s12, v2
	v_add_u32_e32 v8, s33, v8
	s_mov_b64 s[48:49], 0
	s_orn2_b64 s[50:51], vcc, exec
.LBB91_347:                             ;   in Loop: Header=BB91_348 Depth=2
	s_and_b64 s[50:51], exec, s[50:51]
	s_or_b64 s[42:43], s[50:51], s[42:43]
	s_andn2_b64 s[46:47], s[46:47], exec
	s_and_b64 s[48:49], s[48:49], exec
	s_or_b64 s[46:47], s[46:47], s[48:49]
	s_andn2_b64 exec, exec, s[42:43]
	s_cbranch_execz .LBB91_352
.LBB91_348:                             ;   Parent Loop BB91_15 Depth=1
                                        ; =>  This Inner Loop Header: Depth=2
	v_cmp_gt_u32_e32 vcc, s60, v2
	s_and_saveexec_b64 s[48:49], vcc
	s_cbranch_execz .LBB91_345
; %bb.349:                              ;   in Loop: Header=BB91_348 Depth=2
	v_lshlrev_b64 v[13:14], 2, v[8:9]
	v_mov_b32_e32 v4, s66
	v_add_co_u32_e32 v13, vcc, s64, v13
	v_addc_co_u32_e32 v14, vcc, v4, v14, vcc
	global_load_dword v13, v[13:14], off
	s_waitcnt vmcnt(0)
	v_cmp_lt_i32_e32 vcc, -1, v13
	v_cndmask_b32_e32 v4, -1, v32, vcc
	v_xor_b32_e32 v4, v4, v13
	v_cmp_o_f32_e32 vcc, v13, v13
	v_cndmask_b32_e32 v4, -1, v4, vcc
	v_and_b32_e32 v4, v4, v33
	v_cmp_eq_u32_e32 vcc, v4, v24
	s_and_b64 exec, exec, vcc
	s_cbranch_execz .LBB91_345
; %bb.350:                              ;   in Loop: Header=BB91_348 Depth=2
	ds_write_b64 v9, v[12:13] offset:3072
	s_branch .LBB91_345
.LBB91_351:                             ;   in Loop: Header=BB91_348 Depth=2
	s_mov_b64 s[50:51], -1
                                        ; implicit-def: $vgpr2
	s_mov_b64 s[48:49], -1
	s_branch .LBB91_347
.LBB91_352:                             ;   in Loop: Header=BB91_15 Depth=1
	s_or_b64 exec, exec, s[42:43]
	s_andn2_b64 s[42:43], s[44:45], exec
	s_and_b64 s[44:45], s[46:47], exec
	s_or_b64 s[44:45], s[42:43], s[44:45]
.LBB91_353:                             ;   in Loop: Header=BB91_15 Depth=1
	s_or_b64 exec, exec, s[40:41]
	s_mov_b64 s[40:41], 0
	s_mov_b64 s[42:43], -1
.LBB91_354:                             ;   in Loop: Header=BB91_15 Depth=1
	s_orn2_b64 s[46:47], s[44:45], exec
.LBB91_355:                             ;   in Loop: Header=BB91_15 Depth=1
	s_or_b64 exec, exec, s[16:17]
	s_mov_b64 s[16:17], 0
	s_and_saveexec_b64 s[44:45], s[46:47]
	s_cbranch_execz .LBB91_407
; %bb.356:                              ;   in Loop: Header=BB91_15 Depth=1
	s_xor_b64 s[16:17], s[2:3], -1
	s_mov_b64 s[50:51], 0
	v_mov_b32_e32 v2, 1
	v_mov_b32_e32 v3, 1
	s_and_saveexec_b64 s[2:3], s[16:17]
	s_cbranch_execz .LBB91_365
; %bb.357:                              ;   in Loop: Header=BB91_15 Depth=1
	v_cmp_ge_u32_e32 vcc, s4, v1
	s_and_saveexec_b64 s[16:17], vcc
	s_xor_b64 s[16:17], exec, s[16:17]
	s_cbranch_execz .LBB91_362
; %bb.358:                              ;   in Loop: Header=BB91_15 Depth=1
	ds_read_b32 v2, v9 offset:4096
	v_and_b32_e32 v3, s11, v24
	v_lshl_or_b32 v24, 1, s15, v3
	v_or_b32_e32 v33, s10, v33
	s_waitcnt lgkmcnt(0)
	v_cmp_ne_u32_e32 vcc, 0, v2
	s_cbranch_vccnz .LBB91_362
; %bb.359:                              ;   in Loop: Header=BB91_15 Depth=1
	s_mov_b64 s[46:47], exec
	v_readlane_b32 s48, v47, 6
	v_readlane_b32 s49, v47, 7
	s_and_b64 s[48:49], s[46:47], s[48:49]
	s_mov_b64 exec, s[48:49]
; %bb.360:                              ;   in Loop: Header=BB91_15 Depth=1
	v_mov_b32_e32 v2, s4
	ds_write_b32 v9, v2 offset:4100
; %bb.361:                              ;   in Loop: Header=BB91_15 Depth=1
	s_or_b64 exec, exec, s[46:47]
	s_waitcnt lgkmcnt(0)
	s_barrier
.LBB91_362:                             ;   in Loop: Header=BB91_15 Depth=1
	s_or_saveexec_b64 s[16:17], s[16:17]
	s_mov_b64 s[46:47], 0
	v_mov_b32_e32 v3, 5
	s_xor_b64 exec, exec, s[16:17]
; %bb.363:                              ;   in Loop: Header=BB91_15 Depth=1
	s_mov_b64 s[46:47], exec
	v_subrev_u32_e32 v1, s4, v1
	v_mov_b32_e32 v3, 0
; %bb.364:                              ;   in Loop: Header=BB91_15 Depth=1
	s_or_b64 exec, exec, s[16:17]
	s_and_b64 s[50:51], s[46:47], exec
	v_mov_b32_e32 v2, v1
.LBB91_365:                             ;   in Loop: Header=BB91_15 Depth=1
	s_or_b64 exec, exec, s[2:3]
	s_mov_b64 s[2:3], -1
                                        ; implicit-def: $sgpr48_sgpr49
                                        ; implicit-def: $sgpr16_sgpr17
	s_and_saveexec_b64 s[46:47], s[50:51]
	s_cbranch_execz .LBB91_406
; %bb.366:                              ;   in Loop: Header=BB91_15 Depth=1
	s_cmp_eq_u32 s78, 1
	s_cselect_b64 s[2:3], -1, 0
	v_cmp_eq_u32_e32 vcc, 1, v2
	s_and_b64 s[58:59], s[2:3], vcc
	s_mov_b64 s[52:53], -1
                                        ; implicit-def: $sgpr48_sgpr49
                                        ; implicit-def: $sgpr16_sgpr17
	s_and_saveexec_b64 s[50:51], s[58:59]
	s_cbranch_execz .LBB91_394
; %bb.367:                              ;   in Loop: Header=BB91_15 Depth=1
	ds_read_b32 v1, v9 offset:4096
	s_waitcnt lgkmcnt(0)
	s_barrier
	v_readfirstlane_b32 s4, v1
	s_mov_b64 s[2:3], exec
	v_readlane_b32 s16, v47, 20
	v_readlane_b32 s17, v47, 21
	s_and_b64 s[16:17], s[2:3], s[16:17]
	s_mov_b64 exec, s[16:17]
; %bb.368:                              ;   in Loop: Header=BB91_15 Depth=1
	ds_write_b32 v21, v9
; %bb.369:                              ;   in Loop: Header=BB91_15 Depth=1
	s_or_b64 exec, exec, s[2:3]
	v_and_b32_e32 v24, s11, v24
	v_or_b32_e32 v33, s10, v33
	s_mov_b64 s[16:17], -1
	s_mov_b64 s[48:49], 0
	s_cmp_eq_u32 s4, 0
	s_mov_b64 s[52:53], 0
	s_mov_b64 s[54:55], -1
	s_waitcnt lgkmcnt(0)
	s_barrier
                                        ; implicit-def: $vgpr14
	s_cbranch_scc1 .LBB91_381
; %bb.370:                              ;   in Loop: Header=BB91_15 Depth=1
	v_readlane_b32 s2, v47, 22
	s_add_i32 s2, s4, s2
	v_readlane_b32 s3, v47, 35
	s_mul_hi_u32 s3, s2, s3
	s_mul_i32 s3, s3, s72
	s_sub_i32 s3, s2, s3
	s_sub_i32 s5, s3, s72
	s_cmp_ge_u32 s3, s72
	s_cselect_b32 s3, s5, s3
	s_sub_i32 s5, s3, s72
	s_cmp_ge_u32 s3, s72
	s_cselect_b32 s3, s5, s3
	s_sub_i32 s5, s2, s3
	v_cmp_gt_u32_e32 vcc, s5, v0
	s_mov_b64 s[54:55], 0
                                        ; implicit-def: $vgpr14
	s_and_saveexec_b64 s[56:57], vcc
	s_cbranch_execz .LBB91_380
; %bb.371:                              ;   in Loop: Header=BB91_15 Depth=1
	v_writelane_b32 v47, s58, 38
	v_mov_b32_e32 v1, v18
	v_mov_b32_e32 v4, v0
	v_writelane_b32 v47, s59, 39
                                        ; implicit-def: $sgpr58_sgpr59
	s_branch .LBB91_375
.LBB91_372:                             ;   in Loop: Header=BB91_375 Depth=2
	s_or_b64 exec, exec, s[2:3]
	s_waitcnt lgkmcnt(0)
	s_barrier
	ds_read_b64 v[13:14], v9 offset:3072
	s_waitcnt lgkmcnt(0)
	s_barrier
	v_cmp_neq_f32_e32 vcc, 0, v13
	s_cbranch_vccnz .LBB91_378
; %bb.373:                              ;   in Loop: Header=BB91_375 Depth=2
	v_add_u32_e32 v4, s72, v4
	v_cmp_le_u32_e32 vcc, s5, v4
	v_add_u32_e32 v1, s8, v1
	s_mov_b64 s[2:3], 0
	s_orn2_b64 vcc, vcc, exec
.LBB91_374:                             ;   in Loop: Header=BB91_375 Depth=2
	s_and_b64 s[62:63], exec, vcc
	s_or_b64 s[52:53], s[62:63], s[52:53]
	s_andn2_b64 s[58:59], s[58:59], exec
	s_and_b64 s[2:3], s[2:3], exec
	s_or_b64 s[58:59], s[58:59], s[2:3]
	s_andn2_b64 exec, exec, s[52:53]
	s_cbranch_execz .LBB91_379
.LBB91_375:                             ;   Parent Loop BB91_15 Depth=1
                                        ; =>  This Inner Loop Header: Depth=2
	v_cmp_gt_u32_e32 vcc, s4, v4
	s_and_saveexec_b64 s[2:3], vcc
	s_cbranch_execz .LBB91_372
; %bb.376:                              ;   in Loop: Header=BB91_375 Depth=2
	ds_read_b32 v13, v1
	s_waitcnt lgkmcnt(0)
	v_cmp_lt_i32_e32 vcc, -1, v13
	v_cndmask_b32_e32 v8, -1, v32, vcc
	v_xor_b32_e32 v8, v8, v13
	v_cmp_o_f32_e32 vcc, v13, v13
	v_cndmask_b32_e32 v8, -1, v8, vcc
	v_and_b32_e32 v8, v8, v33
	v_cmp_eq_u32_e32 vcc, v8, v24
	s_and_b64 exec, exec, vcc
	s_cbranch_execz .LBB91_372
; %bb.377:                              ;   in Loop: Header=BB91_375 Depth=2
	ds_write_b64 v9, v[12:13] offset:3072
	s_branch .LBB91_372
.LBB91_378:                             ;   in Loop: Header=BB91_375 Depth=2
	s_mov_b64 vcc, -1
                                        ; implicit-def: $vgpr4
                                        ; implicit-def: $vgpr1
	s_mov_b64 s[2:3], -1
	s_branch .LBB91_374
.LBB91_379:                             ;   in Loop: Header=BB91_15 Depth=1
	s_or_b64 exec, exec, s[52:53]
	s_and_b64 s[52:53], s[58:59], exec
	v_readlane_b32 s58, v47, 38
	v_readlane_b32 s59, v47, 39
.LBB91_380:                             ;   in Loop: Header=BB91_15 Depth=1
	s_or_b64 exec, exec, s[56:57]
.LBB91_381:                             ;   in Loop: Header=BB91_15 Depth=1
	s_and_b64 vcc, exec, s[54:55]
	s_cbranch_vccz .LBB91_393
; %bb.382:                              ;   in Loop: Header=BB91_15 Depth=1
                                        ; implicit-def: $vgpr14
	s_mov_b64 s[16:17], exec
	v_readlane_b32 s2, v47, 36
	v_readlane_b32 s3, v47, 37
	s_and_b64 s[2:3], s[16:17], s[2:3]
	s_mov_b64 exec, s[2:3]
	s_cbranch_execz .LBB91_392
; %bb.383:                              ;   in Loop: Header=BB91_15 Depth=1
	s_mov_b64 s[48:49], 0
	v_mov_b32_e32 v8, v7
	v_mov_b32_e32 v1, v0
                                        ; implicit-def: $sgpr54_sgpr55
	s_branch .LBB91_387
.LBB91_384:                             ;   in Loop: Header=BB91_387 Depth=2
	s_or_b64 exec, exec, s[56:57]
	s_waitcnt lgkmcnt(0)
	s_barrier
	ds_read_b64 v[13:14], v9 offset:3072
	s_waitcnt lgkmcnt(0)
	s_barrier
	v_cmp_eq_f32_e32 vcc, 0, v13
	s_cbranch_vccz .LBB91_390
; %bb.385:                              ;   in Loop: Header=BB91_387 Depth=2
	v_add_u32_e32 v1, s72, v1
	v_cmp_le_u32_e32 vcc, s12, v1
	v_add_u32_e32 v8, s33, v8
	s_mov_b64 s[2:3], 0
	s_orn2_b64 s[56:57], vcc, exec
.LBB91_386:                             ;   in Loop: Header=BB91_387 Depth=2
	s_and_b64 s[4:5], exec, s[56:57]
	s_or_b64 s[48:49], s[4:5], s[48:49]
	s_andn2_b64 s[4:5], s[54:55], exec
	s_and_b64 s[2:3], s[2:3], exec
	s_or_b64 s[54:55], s[4:5], s[2:3]
	s_andn2_b64 exec, exec, s[48:49]
	s_cbranch_execz .LBB91_391
.LBB91_387:                             ;   Parent Loop BB91_15 Depth=1
                                        ; =>  This Inner Loop Header: Depth=2
	v_cmp_gt_u32_e32 vcc, s60, v1
	s_and_saveexec_b64 s[56:57], vcc
	s_cbranch_execz .LBB91_384
; %bb.388:                              ;   in Loop: Header=BB91_387 Depth=2
	v_lshlrev_b64 v[13:14], 2, v[8:9]
	v_mov_b32_e32 v4, s66
	v_add_co_u32_e32 v13, vcc, s64, v13
	v_addc_co_u32_e32 v14, vcc, v4, v14, vcc
	global_load_dword v13, v[13:14], off
	s_waitcnt vmcnt(0)
	v_cmp_lt_i32_e32 vcc, -1, v13
	v_cndmask_b32_e32 v4, -1, v32, vcc
	v_xor_b32_e32 v4, v4, v13
	v_cmp_o_f32_e32 vcc, v13, v13
	v_cndmask_b32_e32 v4, -1, v4, vcc
	v_and_b32_e32 v4, v4, v33
	v_cmp_eq_u32_e32 vcc, v4, v24
	s_and_b64 exec, exec, vcc
	s_cbranch_execz .LBB91_384
; %bb.389:                              ;   in Loop: Header=BB91_387 Depth=2
	ds_write_b64 v9, v[12:13] offset:3072
	s_branch .LBB91_384
.LBB91_390:                             ;   in Loop: Header=BB91_387 Depth=2
	s_mov_b64 s[56:57], -1
                                        ; implicit-def: $vgpr1
	s_mov_b64 s[2:3], -1
	s_branch .LBB91_386
.LBB91_391:                             ;   in Loop: Header=BB91_15 Depth=1
	s_or_b64 exec, exec, s[48:49]
	s_andn2_b64 s[2:3], s[52:53], exec
	s_and_b64 s[4:5], s[54:55], exec
	s_or_b64 s[52:53], s[2:3], s[4:5]
.LBB91_392:                             ;   in Loop: Header=BB91_15 Depth=1
	s_or_b64 exec, exec, s[16:17]
	s_mov_b64 s[16:17], 0
	s_mov_b64 s[48:49], -1
.LBB91_393:                             ;   in Loop: Header=BB91_15 Depth=1
	s_orn2_b64 s[52:53], s[52:53], exec
.LBB91_394:                             ;   in Loop: Header=BB91_15 Depth=1
	s_or_b64 exec, exec, s[50:51]
	s_mov_b64 s[2:3], 0
	s_and_saveexec_b64 s[50:51], s[52:53]
	s_cbranch_execz .LBB91_405
; %bb.395:                              ;   in Loop: Header=BB91_15 Depth=1
	s_xor_b64 s[4:5], s[58:59], -1
	v_mov_b32_e32 v3, 1
	v_mov_b32_e32 v1, 1
	s_and_saveexec_b64 s[2:3], s[4:5]
	s_cbranch_execz .LBB91_404
; %bb.396:                              ;   in Loop: Header=BB91_15 Depth=1
	v_cmp_ge_u32_e32 vcc, s78, v2
	s_and_saveexec_b64 s[4:5], vcc
	s_xor_b64 s[52:53], exec, s[4:5]
	s_cbranch_execz .LBB91_401
; %bb.397:                              ;   in Loop: Header=BB91_15 Depth=1
	ds_read_b32 v1, v9 offset:4096
	v_and_b32_e32 v24, s11, v24
	v_or_b32_e32 v33, s10, v33
	s_waitcnt lgkmcnt(0)
	v_cmp_ne_u32_e32 vcc, 0, v1
	s_cbranch_vccnz .LBB91_401
; %bb.398:                              ;   in Loop: Header=BB91_15 Depth=1
	s_mov_b64 s[54:55], exec
	v_readlane_b32 s4, v47, 6
	v_readlane_b32 s5, v47, 7
	s_and_b64 s[4:5], s[54:55], s[4:5]
	s_mov_b64 exec, s[4:5]
; %bb.399:                              ;   in Loop: Header=BB91_15 Depth=1
	v_mov_b32_e32 v1, s78
	ds_write_b32 v9, v1 offset:4100
; %bb.400:                              ;   in Loop: Header=BB91_15 Depth=1
	s_or_b64 exec, exec, s[54:55]
	s_waitcnt lgkmcnt(0)
	s_barrier
.LBB91_401:                             ;   in Loop: Header=BB91_15 Depth=1
	s_andn2_saveexec_b64 s[52:53], s[52:53]
; %bb.402:                              ;   in Loop: Header=BB91_15 Depth=1
	v_subrev_u32_e32 v2, s78, v2
; %bb.403:                              ;   in Loop: Header=BB91_15 Depth=1
	s_or_b64 exec, exec, s[52:53]
	v_mov_b32_e32 v3, 5
	v_mov_b32_e32 v1, v2
.LBB91_404:                             ;   in Loop: Header=BB91_15 Depth=1
	s_or_b64 exec, exec, s[2:3]
	s_mov_b64 s[2:3], exec
	v_mov_b32_e32 v2, v1
.LBB91_405:                             ;   in Loop: Header=BB91_15 Depth=1
	s_or_b64 exec, exec, s[50:51]
	s_orn2_b64 s[2:3], s[2:3], exec
.LBB91_406:                             ;   in Loop: Header=BB91_15 Depth=1
	s_or_b64 exec, exec, s[46:47]
	s_andn2_b64 s[4:5], s[42:43], exec
	s_and_b64 s[10:11], s[48:49], exec
	s_or_b64 s[42:43], s[4:5], s[10:11]
	s_andn2_b64 s[4:5], s[40:41], exec
	s_and_b64 s[10:11], s[16:17], exec
	s_or_b64 s[40:41], s[4:5], s[10:11]
	s_and_b64 s[16:17], s[2:3], exec
	v_mov_b32_e32 v1, v2
.LBB91_407:                             ;   in Loop: Header=BB91_15 Depth=1
	s_or_b64 exec, exec, s[44:45]
	s_orn2_b64 s[2:3], s[16:17], exec
.LBB91_408:                             ;   in Loop: Header=BB91_15 Depth=1
	s_or_b64 exec, exec, s[38:39]
	s_andn2_b64 s[4:5], s[34:35], exec
	s_and_b64 s[10:11], s[42:43], exec
	s_or_b64 s[34:35], s[4:5], s[10:11]
	s_andn2_b64 s[4:5], s[30:31], exec
	s_and_b64 s[10:11], s[40:41], exec
	s_or_b64 s[30:31], s[4:5], s[10:11]
	s_and_b64 s[16:17], s[2:3], exec
	v_mov_b32_e32 v36, v1
.LBB91_409:                             ;   in Loop: Header=BB91_15 Depth=1
	s_or_b64 exec, exec, s[36:37]
	s_orn2_b64 s[2:3], s[16:17], exec
.LBB91_410:                             ;   in Loop: Header=BB91_15 Depth=1
	s_or_b64 exec, exec, s[6:7]
	s_mov_b64 s[6:7], s[26:27]
	s_mov_b64 s[16:17], s[24:25]
	s_and_saveexec_b64 s[36:37], s[2:3]
; %bb.411:                              ;   in Loop: Header=BB91_15 Depth=1
	v_cmp_ne_u32_e64 s[6:7], 5, v3
	v_cmp_eq_u32_e32 vcc, 5, v3
	s_andn2_b64 s[2:3], s[24:25], exec
	s_and_b64 s[4:5], s[6:7], exec
	s_or_b64 s[16:17], s[2:3], s[4:5]
	s_andn2_b64 s[2:3], s[26:27], exec
	s_and_b64 s[4:5], vcc, exec
	s_or_b64 s[6:7], s[2:3], s[4:5]
; %bb.412:                              ;   in Loop: Header=BB91_15 Depth=1
	s_or_b64 exec, exec, s[36:37]
	s_andn2_b64 s[2:3], s[18:19], exec
	s_and_b64 s[4:5], s[34:35], exec
	s_or_b64 s[18:19], s[2:3], s[4:5]
	s_andn2_b64 s[2:3], s[22:23], exec
	s_and_b64 s[4:5], s[30:31], exec
	s_or_b64 s[22:23], s[2:3], s[4:5]
	;; [unrolled: 3-line block ×4, first 2 shown]
.LBB91_413:                             ;   in Loop: Header=BB91_15 Depth=1
	s_or_b64 exec, exec, s[28:29]
	s_mov_b64 s[28:29], 0
	s_mov_b64 s[30:31], 0
	s_and_saveexec_b64 s[2:3], s[26:27]
.LBB91_414:                             ;   in Loop: Header=BB91_15 Depth=1
	v_mov_b32_e32 v3, 0
	s_or_b64 s[24:25], s[24:25], exec
.LBB91_415:                             ;   in Loop: Header=BB91_15 Depth=1
	s_or_b64 exec, exec, s[2:3]
	s_andn2_b64 s[2:3], s[82:83], exec
	s_and_b64 s[4:5], s[18:19], exec
	s_or_b64 s[82:83], s[2:3], s[4:5]
	s_andn2_b64 s[2:3], s[80:81], exec
	s_and_b64 s[4:5], s[22:23], exec
	s_or_b64 s[80:81], s[2:3], s[4:5]
	;; [unrolled: 3-line block ×3, first 2 shown]
	s_andn2_b64 s[2:3], s[70:71], exec
	s_and_b64 s[4:5], s[28:29], exec
	s_mov_b64 s[6:7], -1
	s_andn2_b64 s[84:85], s[84:85], exec
	s_or_b64 s[70:71], s[2:3], s[4:5]
	v_mov_b32_e32 v34, v36
	s_and_saveexec_b64 s[2:3], s[24:25]
	s_xor_b64 s[2:3], exec, s[2:3]
	s_cbranch_execz .LBB91_14
; %bb.416:                              ;   in Loop: Header=BB91_15 Depth=1
	v_cmp_eq_u32_e32 vcc, 0, v3
	s_mov_b64 s[16:17], -1
	s_and_saveexec_b64 s[18:19], vcc
	s_cbranch_execz .LBB91_13
; %bb.417:                              ;   in Loop: Header=BB91_15 Depth=1
	s_xor_b32 s73, s73, 1
	s_add_i32 s10, s15, -2
	s_cmp_eq_u32 s15, 0
	s_cselect_b64 s[4:5], -1, 0
	s_xor_b64 s[16:17], exec, -1
	s_orn2_b64 s[6:7], s[4:5], exec
	s_mov_b32 s15, s10
	s_branch .LBB91_13
.LBB91_418:
	s_or_b64 exec, exec, s[86:87]
	s_xor_b64 s[6:7], s[68:69], -1
	s_xor_b64 s[18:19], s[94:95], -1
	;; [unrolled: 1-line block ×5, first 2 shown]
	s_mov_b64 s[12:13], 0
	s_and_saveexec_b64 s[8:9], s[4:5]
	s_xor_b64 s[10:11], exec, s[8:9]
	s_cbranch_execnz .LBB91_423
; %bb.419:
	s_andn2_saveexec_b64 s[0:1], s[10:11]
	s_cbranch_execnz .LBB91_442
.LBB91_420:
	s_or_b64 exec, exec, s[0:1]
	s_and_saveexec_b64 s[0:1], s[12:13]
.LBB91_421:
	; divergent unreachable
.LBB91_422:
	s_endpgm
.LBB91_423:
	s_mov_b64 s[14:15], 0
	s_and_saveexec_b64 s[4:5], s[16:17]
	s_xor_b64 s[12:13], exec, s[4:5]
	s_cbranch_execz .LBB91_440
; %bb.424:
	s_mov_b64 s[16:17], 0
	s_and_saveexec_b64 s[4:5], s[18:19]
	s_xor_b64 s[14:15], exec, s[4:5]
	s_cbranch_execz .LBB91_438
; %bb.425:
	;; [unrolled: 5-line block ×3, first 2 shown]
	s_and_saveexec_b64 s[4:5], s[2:3]
	s_xor_b64 s[2:3], exec, s[4:5]
; %bb.427:
	v_bfrev_b32_e32 v1, 1
	v_cmp_lt_i32_e32 vcc, -1, v24
	v_cndmask_b32_e64 v1, v1, -1, vcc
	v_xor_b32_e32 v14, v1, v24
; %bb.428:
	s_or_b64 exec, exec, s[2:3]
	s_mov_b64 s[2:3], exec
	v_readlane_b32 s4, v47, 6
	v_readlane_b32 s5, v47, 7
	;; [unrolled: 1-line block ×4, first 2 shown]
	s_and_b64 s[4:5], s[2:3], s[4:5]
	v_readlane_b32 s7, v47, 15
	v_readlane_b32 s41, v47, 9
	s_mov_b64 exec, s[4:5]
; %bb.429:
	v_mov_b32_e32 v1, 0
	ds_write_b32 v1, v1 offset:4108
; %bb.430:
	s_or_b64 exec, exec, s[2:3]
	v_mov_b32_e32 v4, 0
	s_waitcnt lgkmcnt(0)
	s_barrier
	s_mov_b64 s[2:3], exec
	v_readlane_b32 s4, v47, 16
	v_readlane_b32 s5, v47, 17
	s_and_b64 s[4:5], s[2:3], s[4:5]
	s_mov_b64 exec, s[4:5]
	s_cbranch_execz .LBB91_432
; %bb.431:
	global_load_dword v4, v[5:6], off
.LBB91_432:
	s_or_b64 exec, exec, s[2:3]
	s_load_dword s3, s[6:7], 0x23c
	v_readlane_b32 s2, v47, 1
	s_mul_i32 s2, s2, s76
	s_add_i32 s30, s60, 63
	s_add_i32 s2, s2, s65
	s_waitcnt lgkmcnt(0)
	s_mul_i32 s3, s3, s77
	s_add_i32 s4, s3, s67
	s_mov_b32 s3, 0
	s_andn2_b32 s30, s30, 63
	s_load_dword s31, s[6:7], 0x2a8
	s_load_dword s34, s[6:7], 0x1c8
	s_lshl_b64 s[6:7], s[2:3], 2
	v_readlane_b32 s8, v47, 2
	v_bfrev_b32_e32 v8, 1
	v_cmp_lt_i32_e32 vcc, -1, v14
	v_readlane_b32 s9, v47, 3
	s_add_u32 s35, s8, s6
	s_mov_b32 s5, s3
	v_cndmask_b32_e32 v1, -1, v8, vcc
	s_addc_u32 s36, s9, s7
	s_lshl_b64 s[2:3], s[4:5], 3
	v_readlane_b32 s4, v47, 4
	v_xor_b32_e32 v1, v1, v14
	v_cmp_o_f32_e32 vcc, v14, v14
	v_readlane_b32 s5, v47, 5
	s_add_u32 s37, s4, s2
	v_cndmask_b32_e32 v7, -1, v1, vcc
	s_addc_u32 s38, s5, s3
	v_cmp_gt_u32_e32 vcc, s30, v0
	s_mov_b64 s[18:19], -1
	s_mov_b64 s[2:3], 0
	s_mov_b64 s[4:5], 0
	s_and_saveexec_b64 s[8:9], vcc
	s_cbranch_execnz .LBB91_443
; %bb.433:
	s_or_b64 exec, exec, s[8:9]
	s_and_saveexec_b64 s[6:7], s[18:19]
	s_cbranch_execnz .LBB91_460
.LBB91_434:
	s_or_b64 exec, exec, s[6:7]
	s_and_saveexec_b64 s[0:1], s[4:5]
	s_xor_b64 s[0:1], exec, s[0:1]
	s_cbranch_execnz .LBB91_483
.LBB91_435:
	s_or_b64 exec, exec, s[0:1]
	s_and_b64 s[18:19], s[2:3], exec
.LBB91_436:
	s_andn2_saveexec_b64 s[0:1], s[16:17]
	s_cbranch_execnz .LBB91_485
.LBB91_437:
	s_or_b64 exec, exec, s[0:1]
	s_and_b64 s[16:17], s[18:19], exec
.LBB91_438:
	s_andn2_saveexec_b64 s[0:1], s[14:15]
	s_cbranch_execnz .LBB91_484
.LBB91_439:
	s_or_b64 exec, exec, s[0:1]
	s_and_b64 s[14:15], s[16:17], exec
.LBB91_440:
	s_andn2_saveexec_b64 s[0:1], s[12:13]
	s_cbranch_execnz .LBB91_479
.LBB91_441:
	s_or_b64 exec, exec, s[0:1]
	s_and_b64 s[12:13], s[14:15], exec
	s_andn2_saveexec_b64 s[0:1], s[10:11]
	s_cbranch_execz .LBB91_420
.LBB91_442:
	s_or_b64 s[12:13], s[12:13], exec
	s_trap 2
	s_or_b64 exec, exec, s[0:1]
	s_and_saveexec_b64 s[0:1], s[12:13]
	s_cbranch_execnz .LBB91_421
	s_branch .LBB91_422
.LBB91_443:
	v_add_u32_e32 v1, s72, v0
	v_readlane_b32 s4, v47, 0
	v_mul_lo_u32 v1, s4, v1
	s_mov_b64 s[18:19], 0
	v_mov_b32_e32 v2, 0
	v_mov_b32_e32 v3, v0
                                        ; implicit-def: $sgpr20_sgpr21
                                        ; implicit-def: $vgpr10
	s_branch .LBB91_445
.LBB91_444:                             ;   in Loop: Header=BB91_445 Depth=1
	s_or_b64 exec, exec, s[24:25]
	s_xor_b64 s[4:5], s[22:23], -1
	s_and_b64 s[6:7], exec, s[6:7]
	s_or_b64 s[18:19], s[6:7], s[18:19]
	s_andn2_b64 s[6:7], s[20:21], exec
	s_and_b64 s[4:5], s[4:5], exec
	s_or_b64 s[20:21], s[6:7], s[4:5]
	s_waitcnt vmcnt(0)
	v_mov_b32_e32 v4, v11
	v_mov_b32_e32 v3, v9
	s_andn2_b64 exec, exec, s[18:19]
	s_cbranch_execz .LBB91_459
.LBB91_445:                             ; =>This Inner Loop Header: Depth=1
	v_add_u32_e32 v9, s72, v3
	v_cmp_gt_u32_e64 s[4:5], s60, v9
	v_mov_b32_e32 v11, 0
	s_and_saveexec_b64 s[6:7], s[4:5]
	s_cbranch_execz .LBB91_447
; %bb.446:                              ;   in Loop: Header=BB91_445 Depth=1
	v_lshlrev_b64 v[11:12], 2, v[1:2]
	v_mov_b32_e32 v13, s66
	v_add_co_u32_e64 v11, s[4:5], s64, v11
	v_addc_co_u32_e64 v12, s[4:5], v13, v12, s[4:5]
	global_load_dword v11, v[11:12], off
.LBB91_447:                             ;   in Loop: Header=BB91_445 Depth=1
	s_or_b64 exec, exec, s[6:7]
	v_cmp_gt_u32_e64 s[4:5], s60, v3
	s_mov_b64 s[22:23], 0
	s_and_saveexec_b64 s[6:7], s[4:5]
	s_cbranch_execz .LBB91_449
; %bb.448:                              ;   in Loop: Header=BB91_445 Depth=1
	s_waitcnt vmcnt(0)
	v_cmp_lt_i32_e64 s[4:5], -1, v4
	v_cndmask_b32_e64 v12, -1, v8, s[4:5]
	v_xor_b32_e32 v12, v12, v4
	v_cmp_o_f32_e64 s[4:5], v4, v4
	v_cndmask_b32_e64 v12, -1, v12, s[4:5]
	v_cmp_gt_u32_e64 s[4:5], v12, v7
	v_cndmask_b32_e64 v13, 0, 1, s[4:5]
	v_cmp_lt_u32_e64 s[4:5], v12, v7
	v_cndmask_b32_e64 v12, 0, 1, s[4:5]
	v_cndmask_b32_e64 v12, v12, v13, s[40:41]
	v_and_b32_e32 v12, 1, v12
	v_cmp_eq_u32_e64 s[4:5], 1, v12
	s_and_b64 s[22:23], s[4:5], exec
.LBB91_449:                             ;   in Loop: Header=BB91_445 Depth=1
	s_or_b64 exec, exec, s[6:7]
	v_cndmask_b32_e64 v12, 0, 1, s[22:23]
	v_cmp_ne_u32_e64 s[4:5], 0, v12
	s_cmp_lg_u64 s[4:5], 0
	s_cselect_b64 s[6:7], -1, 0
	s_and_b64 s[6:7], s[0:1], s[6:7]
	s_and_saveexec_b64 s[24:25], s[6:7]
	s_cbranch_execz .LBB91_453
; %bb.450:                              ;   in Loop: Header=BB91_445 Depth=1
	s_mov_b64 s[28:29], exec
	s_waitcnt lgkmcnt(0)
	v_mbcnt_lo_u32_b32 v10, s28, 0
	v_mbcnt_hi_u32_b32 v10, s29, v10
	s_bcnt1_i32_b64 s39, s[4:5]
	v_cmp_eq_u32_e64 s[6:7], 0, v10
                                        ; implicit-def: $vgpr12
	s_and_saveexec_b64 s[26:27], s[6:7]
; %bb.451:                              ;   in Loop: Header=BB91_445 Depth=1
	s_bcnt1_i32_b64 s6, s[28:29]
	s_mul_i32 s6, s39, s6
	v_mov_b32_e32 v12, s6
	ds_add_rtn_u32 v12, v2, v12 offset:4108
; %bb.452:                              ;   in Loop: Header=BB91_445 Depth=1
	s_or_b64 exec, exec, s[26:27]
	s_waitcnt lgkmcnt(0)
	v_readfirstlane_b32 s6, v12
	v_mov_b32_e32 v12, s6
	v_mad_u32_u24 v10, s39, v10, v12
.LBB91_453:                             ;   in Loop: Header=BB91_445 Depth=1
	s_or_b64 exec, exec, s[24:25]
	s_waitcnt lgkmcnt(0)
	ds_bpermute_b32 v10, v15, v10
	s_mov_b64 s[6:7], -1
	s_mov_b64 s[26:27], -1
	s_and_saveexec_b64 s[24:25], s[22:23]
	s_cbranch_execz .LBB91_457
; %bb.454:                              ;   in Loop: Header=BB91_445 Depth=1
	v_and_b32_e32 v13, s4, v17
	v_and_b32_e32 v12, s5, v16
	v_bcnt_u32_b32 v13, v13, 0
	v_bcnt_u32_b32 v12, v12, v13
	s_waitcnt lgkmcnt(0)
	v_add_u32_e32 v12, v10, v12
	v_cmp_gt_u32_e64 s[4:5], s61, v12
	s_mov_b64 s[22:23], 0
	s_and_saveexec_b64 s[26:27], s[4:5]
	s_cbranch_execz .LBB91_456
; %bb.455:                              ;   in Loop: Header=BB91_445 Depth=1
	v_mul_lo_u32 v13, v12, s34
	v_mov_b32_e32 v14, v2
	v_mul_lo_u32 v12, v12, s31
	v_mov_b32_e32 v18, s36
	v_lshlrev_b64 v[13:14], 2, v[13:14]
	s_mov_b64 s[22:23], exec
	v_add_co_u32_e64 v13, s[4:5], s35, v13
	v_addc_co_u32_e64 v14, s[4:5], v18, v14, s[4:5]
	s_waitcnt vmcnt(0)
	global_store_dword v[13:14], v4, off
	v_mov_b32_e32 v13, v2
	v_lshlrev_b64 v[12:13], 3, v[12:13]
	v_mov_b32_e32 v14, s38
	v_add_co_u32_e64 v12, s[4:5], s37, v12
	v_mov_b32_e32 v4, v2
	v_addc_co_u32_e64 v13, s[4:5], v14, v13, s[4:5]
	global_store_dwordx2 v[12:13], v[3:4], off
.LBB91_456:                             ;   in Loop: Header=BB91_445 Depth=1
	s_or_b64 exec, exec, s[26:27]
	s_orn2_b64 s[26:27], s[22:23], exec
.LBB91_457:                             ;   in Loop: Header=BB91_445 Depth=1
	s_or_b64 exec, exec, s[24:25]
	s_mov_b64 s[22:23], -1
	s_and_saveexec_b64 s[24:25], s[26:27]
	s_cbranch_execz .LBB91_444
; %bb.458:                              ;   in Loop: Header=BB91_445 Depth=1
	v_cmp_le_u32_e64 s[4:5], s30, v9
	v_add_u32_e32 v1, s33, v1
	s_xor_b64 s[22:23], exec, -1
	s_orn2_b64 s[6:7], s[4:5], exec
	s_branch .LBB91_444
.LBB91_459:
	s_or_b64 exec, exec, s[18:19]
	s_mov_b64 s[4:5], exec
	s_orn2_b64 s[18:19], s[20:21], exec
	s_or_b64 exec, exec, s[8:9]
	s_and_saveexec_b64 s[6:7], s[18:19]
	s_cbranch_execz .LBB91_434
.LBB91_460:
	v_mov_b32_e32 v1, 0
	s_waitcnt vmcnt(0) lgkmcnt(0)
	s_barrier
	s_mov_b64 s[2:3], exec
	v_readlane_b32 s8, v47, 16
	v_readlane_b32 s9, v47, 17
	s_and_b64 s[8:9], s[2:3], s[8:9]
	s_mov_b64 exec, s[8:9]
	s_cbranch_execz .LBB91_462
; %bb.461:
	global_load_dword v1, v[5:6], off
.LBB91_462:
	s_or_b64 exec, exec, s[2:3]
	s_mov_b64 s[2:3], 0
	s_and_saveexec_b64 s[8:9], vcc
	s_cbranch_execz .LBB91_482
; %bb.463:
	v_add_u32_e32 v2, s72, v0
	v_readlane_b32 s2, v47, 0
	v_mul_lo_u32 v2, s2, v2
	s_mov_b64 s[18:19], 0
	v_mov_b32_e32 v3, 0
	v_bfrev_b32_e32 v4, 1
                                        ; implicit-def: $sgpr20_sgpr21
                                        ; implicit-def: $vgpr6
	s_branch .LBB91_466
.LBB91_464:                             ;   in Loop: Header=BB91_466 Depth=1
	s_or_b64 exec, exec, s[24:25]
	s_orn2_b64 s[26:27], s[28:29], exec
	s_orn2_b64 s[24:25], s[22:23], exec
.LBB91_465:                             ;   in Loop: Header=BB91_466 Depth=1
	s_or_b64 exec, exec, s[2:3]
	s_xor_b64 s[2:3], s[26:27], -1
	s_and_b64 s[22:23], exec, s[24:25]
	s_or_b64 s[18:19], s[22:23], s[18:19]
	s_andn2_b64 s[20:21], s[20:21], exec
	s_and_b64 s[2:3], s[2:3], exec
	s_or_b64 s[20:21], s[20:21], s[2:3]
	v_mov_b32_e32 v0, v5
	v_mov_b32_e32 v1, v8
	s_andn2_b64 exec, exec, s[18:19]
	s_cbranch_execz .LBB91_480
.LBB91_466:                             ; =>This Inner Loop Header: Depth=1
	v_add_u32_e32 v5, s72, v0
	v_cmp_gt_u32_e32 vcc, s60, v5
	v_mov_b32_e32 v8, 0
	s_and_saveexec_b64 s[2:3], vcc
	s_cbranch_execz .LBB91_468
; %bb.467:                              ;   in Loop: Header=BB91_466 Depth=1
	v_lshlrev_b64 v[8:9], 2, v[2:3]
	v_mov_b32_e32 v10, s66
	v_add_co_u32_e32 v8, vcc, s64, v8
	v_addc_co_u32_e32 v9, vcc, v10, v9, vcc
	global_load_dword v8, v[8:9], off
.LBB91_468:                             ;   in Loop: Header=BB91_466 Depth=1
	s_or_b64 exec, exec, s[2:3]
	s_waitcnt vmcnt(0)
	v_cmp_lt_i32_e64 s[2:3], -1, v1
	v_cndmask_b32_e64 v9, -1, v4, s[2:3]
	v_xor_b32_e32 v9, v9, v1
	v_cmp_o_f32_e64 s[2:3], v1, v1
	v_cndmask_b32_e64 v9, -1, v9, s[2:3]
	v_cmp_gt_u32_e32 vcc, s60, v0
	v_cmp_eq_u32_e64 s[2:3], v9, v7
	s_and_b64 s[22:23], vcc, s[2:3]
	v_cndmask_b32_e64 v9, 0, 1, s[22:23]
	v_cmp_ne_u32_e32 vcc, 0, v9
	s_cmp_lg_u64 vcc, 0
	s_cselect_b64 s[2:3], -1, 0
	s_and_b64 s[2:3], s[0:1], s[2:3]
	s_and_saveexec_b64 s[24:25], s[2:3]
	s_cbranch_execz .LBB91_472
; %bb.469:                              ;   in Loop: Header=BB91_466 Depth=1
	s_mov_b64 s[28:29], exec
	v_mbcnt_lo_u32_b32 v6, s28, 0
	v_mbcnt_hi_u32_b32 v6, s29, v6
	s_bcnt1_i32_b64 s39, vcc
	v_cmp_eq_u32_e64 s[2:3], 0, v6
                                        ; implicit-def: $vgpr9
	s_and_saveexec_b64 s[26:27], s[2:3]
; %bb.470:                              ;   in Loop: Header=BB91_466 Depth=1
	s_bcnt1_i32_b64 s2, s[28:29]
	s_mul_i32 s2, s39, s2
	v_mov_b32_e32 v9, s2
	ds_add_rtn_u32 v9, v3, v9 offset:4108
; %bb.471:                              ;   in Loop: Header=BB91_466 Depth=1
	s_or_b64 exec, exec, s[26:27]
	s_waitcnt lgkmcnt(0)
	v_readfirstlane_b32 s2, v9
	v_mov_b32_e32 v9, s2
	v_mad_u32_u24 v6, s39, v6, v9
.LBB91_472:                             ;   in Loop: Header=BB91_466 Depth=1
	s_or_b64 exec, exec, s[24:25]
	ds_bpermute_b32 v6, v15, v6
	s_cmp_eq_u64 vcc, 0
	s_cselect_b64 s[26:27], -1, 0
	s_mov_b64 s[24:25], -1
	s_waitcnt lgkmcnt(0)
	v_cmp_gt_u32_e64 s[2:3], s61, v6
	s_or_b64 s[28:29], s[26:27], s[2:3]
	s_mov_b64 s[26:27], -1
	s_and_saveexec_b64 s[2:3], s[28:29]
	s_cbranch_execz .LBB91_465
; %bb.473:                              ;   in Loop: Header=BB91_466 Depth=1
	v_and_b32_e32 v10, vcc_lo, v17
	v_and_b32_e32 v9, vcc_hi, v16
	v_bcnt_u32_b32 v10, v10, 0
	v_bcnt_u32_b32 v9, v9, v10
	v_sub_u32_e32 v10, s61, v6
	v_cmp_gt_u32_e32 vcc, v10, v9
	s_and_b64 s[40:41], s[22:23], vcc
	s_mov_b64 s[22:23], -1
	s_mov_b64 s[28:29], -1
	s_and_saveexec_b64 s[24:25], s[40:41]
	s_cbranch_execz .LBB91_477
; %bb.474:                              ;   in Loop: Header=BB91_466 Depth=1
	v_add_u32_e32 v9, v6, v9
	v_cmp_gt_u32_e32 vcc, s61, v9
	s_mov_b64 s[26:27], 0
	s_and_saveexec_b64 s[28:29], vcc
; %bb.475:                              ;   in Loop: Header=BB91_466 Depth=1
	v_mul_lo_u32 v10, v9, s34
	v_mov_b32_e32 v11, v3
	v_mul_lo_u32 v9, v9, s31
	v_mov_b32_e32 v12, s36
	v_lshlrev_b64 v[10:11], 2, v[10:11]
	s_mov_b64 s[26:27], exec
	v_add_co_u32_e32 v10, vcc, s35, v10
	v_addc_co_u32_e32 v11, vcc, v12, v11, vcc
	global_store_dword v[10:11], v1, off
	v_mov_b32_e32 v10, v3
	v_lshlrev_b64 v[9:10], 3, v[9:10]
	v_mov_b32_e32 v11, s38
	v_add_co_u32_e32 v9, vcc, s37, v9
	v_mov_b32_e32 v1, v3
	v_addc_co_u32_e32 v10, vcc, v11, v10, vcc
	global_store_dwordx2 v[9:10], v[0:1], off
; %bb.476:                              ;   in Loop: Header=BB91_466 Depth=1
	s_or_b64 exec, exec, s[28:29]
	s_xor_b64 s[28:29], exec, -1
	s_orn2_b64 s[26:27], s[26:27], exec
.LBB91_477:                             ;   in Loop: Header=BB91_466 Depth=1
	s_or_b64 exec, exec, s[24:25]
	s_and_saveexec_b64 s[24:25], s[26:27]
	s_cbranch_execz .LBB91_464
; %bb.478:                              ;   in Loop: Header=BB91_466 Depth=1
	v_cmp_le_u32_e32 vcc, s30, v5
	v_add_u32_e32 v2, s33, v2
	s_or_b64 s[28:29], s[28:29], exec
	s_orn2_b64 s[22:23], vcc, exec
	s_branch .LBB91_464
.LBB91_479:
	s_or_b64 s[14:15], s[14:15], exec
	s_trap 2
	s_branch .LBB91_441
.LBB91_480:
	s_or_b64 exec, exec, s[18:19]
	s_mov_b64 s[0:1], 0
	s_and_saveexec_b64 s[2:3], s[20:21]
	s_xor_b64 s[2:3], exec, s[2:3]
	s_cbranch_execnz .LBB91_486
.LBB91_481:
	s_or_b64 exec, exec, s[2:3]
	s_and_b64 s[2:3], s[0:1], exec
.LBB91_482:
	s_or_b64 exec, exec, s[8:9]
	s_and_b64 s[2:3], s[2:3], exec
	s_andn2_b64 s[4:5], s[4:5], exec
	s_or_b64 exec, exec, s[6:7]
	s_and_saveexec_b64 s[0:1], s[4:5]
	s_xor_b64 s[0:1], exec, s[0:1]
	s_cbranch_execz .LBB91_435
.LBB91_483:
	s_trap 2
	s_or_b64 s[2:3], s[2:3], exec
	s_branch .LBB91_435
.LBB91_484:
	s_or_b64 s[16:17], s[16:17], exec
	s_trap 2
	s_branch .LBB91_439
.LBB91_485:
	s_trap 2
	s_or_b64 s[18:19], s[18:19], exec
	s_branch .LBB91_437
.LBB91_486:
	s_mov_b64 s[0:1], exec
	s_trap 2
	s_branch .LBB91_481
	.section	.rodata,"a",@progbits
	.p2align	6, 0x0
	.amdhsa_kernel _ZN2at6native6sbtopk10gatherTopKIfjLin1ELb0EEEvNS_4cuda6detail10TensorInfoIKT_T0_EES8_S8_bS8_S8_NS5_IS6_S8_EES8_NS5_IlS8_EES8_PS6_
		.amdhsa_group_segment_fixed_size 4112
		.amdhsa_private_segment_fixed_size 0
		.amdhsa_kernarg_size 952
		.amdhsa_user_sgpr_count 6
		.amdhsa_user_sgpr_private_segment_buffer 1
		.amdhsa_user_sgpr_dispatch_ptr 0
		.amdhsa_user_sgpr_queue_ptr 0
		.amdhsa_user_sgpr_kernarg_segment_ptr 1
		.amdhsa_user_sgpr_dispatch_id 0
		.amdhsa_user_sgpr_flat_scratch_init 0
		.amdhsa_user_sgpr_private_segment_size 0
		.amdhsa_uses_dynamic_stack 0
		.amdhsa_system_sgpr_private_segment_wavefront_offset 0
		.amdhsa_system_sgpr_workgroup_id_x 1
		.amdhsa_system_sgpr_workgroup_id_y 1
		.amdhsa_system_sgpr_workgroup_id_z 1
		.amdhsa_system_sgpr_workgroup_info 0
		.amdhsa_system_vgpr_workitem_id 0
		.amdhsa_next_free_vgpr 48
		.amdhsa_next_free_sgpr 96
		.amdhsa_reserve_vcc 1
		.amdhsa_reserve_flat_scratch 0
		.amdhsa_float_round_mode_32 0
		.amdhsa_float_round_mode_16_64 0
		.amdhsa_float_denorm_mode_32 3
		.amdhsa_float_denorm_mode_16_64 3
		.amdhsa_dx10_clamp 1
		.amdhsa_ieee_mode 1
		.amdhsa_fp16_overflow 0
		.amdhsa_exception_fp_ieee_invalid_op 0
		.amdhsa_exception_fp_denorm_src 0
		.amdhsa_exception_fp_ieee_div_zero 0
		.amdhsa_exception_fp_ieee_overflow 0
		.amdhsa_exception_fp_ieee_underflow 0
		.amdhsa_exception_fp_ieee_inexact 0
		.amdhsa_exception_int_div_zero 0
	.end_amdhsa_kernel
	.section	.text._ZN2at6native6sbtopk10gatherTopKIfjLin1ELb0EEEvNS_4cuda6detail10TensorInfoIKT_T0_EES8_S8_bS8_S8_NS5_IS6_S8_EES8_NS5_IlS8_EES8_PS6_,"axG",@progbits,_ZN2at6native6sbtopk10gatherTopKIfjLin1ELb0EEEvNS_4cuda6detail10TensorInfoIKT_T0_EES8_S8_bS8_S8_NS5_IS6_S8_EES8_NS5_IlS8_EES8_PS6_,comdat
.Lfunc_end91:
	.size	_ZN2at6native6sbtopk10gatherTopKIfjLin1ELb0EEEvNS_4cuda6detail10TensorInfoIKT_T0_EES8_S8_bS8_S8_NS5_IS6_S8_EES8_NS5_IlS8_EES8_PS6_, .Lfunc_end91-_ZN2at6native6sbtopk10gatherTopKIfjLin1ELb0EEEvNS_4cuda6detail10TensorInfoIKT_T0_EES8_S8_bS8_S8_NS5_IS6_S8_EES8_NS5_IlS8_EES8_PS6_
                                        ; -- End function
	.set _ZN2at6native6sbtopk10gatherTopKIfjLin1ELb0EEEvNS_4cuda6detail10TensorInfoIKT_T0_EES8_S8_bS8_S8_NS5_IS6_S8_EES8_NS5_IlS8_EES8_PS6_.num_vgpr, 48
	.set _ZN2at6native6sbtopk10gatherTopKIfjLin1ELb0EEEvNS_4cuda6detail10TensorInfoIKT_T0_EES8_S8_bS8_S8_NS5_IS6_S8_EES8_NS5_IlS8_EES8_PS6_.num_agpr, 0
	.set _ZN2at6native6sbtopk10gatherTopKIfjLin1ELb0EEEvNS_4cuda6detail10TensorInfoIKT_T0_EES8_S8_bS8_S8_NS5_IS6_S8_EES8_NS5_IlS8_EES8_PS6_.numbered_sgpr, 96
	.set _ZN2at6native6sbtopk10gatherTopKIfjLin1ELb0EEEvNS_4cuda6detail10TensorInfoIKT_T0_EES8_S8_bS8_S8_NS5_IS6_S8_EES8_NS5_IlS8_EES8_PS6_.num_named_barrier, 0
	.set _ZN2at6native6sbtopk10gatherTopKIfjLin1ELb0EEEvNS_4cuda6detail10TensorInfoIKT_T0_EES8_S8_bS8_S8_NS5_IS6_S8_EES8_NS5_IlS8_EES8_PS6_.private_seg_size, 0
	.set _ZN2at6native6sbtopk10gatherTopKIfjLin1ELb0EEEvNS_4cuda6detail10TensorInfoIKT_T0_EES8_S8_bS8_S8_NS5_IS6_S8_EES8_NS5_IlS8_EES8_PS6_.uses_vcc, 1
	.set _ZN2at6native6sbtopk10gatherTopKIfjLin1ELb0EEEvNS_4cuda6detail10TensorInfoIKT_T0_EES8_S8_bS8_S8_NS5_IS6_S8_EES8_NS5_IlS8_EES8_PS6_.uses_flat_scratch, 0
	.set _ZN2at6native6sbtopk10gatherTopKIfjLin1ELb0EEEvNS_4cuda6detail10TensorInfoIKT_T0_EES8_S8_bS8_S8_NS5_IS6_S8_EES8_NS5_IlS8_EES8_PS6_.has_dyn_sized_stack, 0
	.set _ZN2at6native6sbtopk10gatherTopKIfjLin1ELb0EEEvNS_4cuda6detail10TensorInfoIKT_T0_EES8_S8_bS8_S8_NS5_IS6_S8_EES8_NS5_IlS8_EES8_PS6_.has_recursion, 0
	.set _ZN2at6native6sbtopk10gatherTopKIfjLin1ELb0EEEvNS_4cuda6detail10TensorInfoIKT_T0_EES8_S8_bS8_S8_NS5_IS6_S8_EES8_NS5_IlS8_EES8_PS6_.has_indirect_call, 0
	.section	.AMDGPU.csdata,"",@progbits
; Kernel info:
; codeLenInByte = 15596
; TotalNumSgprs: 100
; NumVgprs: 48
; ScratchSize: 0
; MemoryBound: 0
; FloatMode: 240
; IeeeMode: 1
; LDSByteSize: 4112 bytes/workgroup (compile time only)
; SGPRBlocks: 12
; VGPRBlocks: 11
; NumSGPRsForWavesPerEU: 100
; NumVGPRsForWavesPerEU: 48
; Occupancy: 5
; WaveLimiterHint : 1
; COMPUTE_PGM_RSRC2:SCRATCH_EN: 0
; COMPUTE_PGM_RSRC2:USER_SGPR: 6
; COMPUTE_PGM_RSRC2:TRAP_HANDLER: 0
; COMPUTE_PGM_RSRC2:TGID_X_EN: 1
; COMPUTE_PGM_RSRC2:TGID_Y_EN: 1
; COMPUTE_PGM_RSRC2:TGID_Z_EN: 1
; COMPUTE_PGM_RSRC2:TIDIG_COMP_CNT: 0
	.section	.text._ZN2at6native6mbtopk23computeBlockDigitCountsIN3c104HalfEjjLi1EEEvNS_4cuda6detail10TensorInfoIKT_T0_EEjPjjSA_iijT1_PSD_Ps,"axG",@progbits,_ZN2at6native6mbtopk23computeBlockDigitCountsIN3c104HalfEjjLi1EEEvNS_4cuda6detail10TensorInfoIKT_T0_EEjPjjSA_iijT1_PSD_Ps,comdat
	.protected	_ZN2at6native6mbtopk23computeBlockDigitCountsIN3c104HalfEjjLi1EEEvNS_4cuda6detail10TensorInfoIKT_T0_EEjPjjSA_iijT1_PSD_Ps ; -- Begin function _ZN2at6native6mbtopk23computeBlockDigitCountsIN3c104HalfEjjLi1EEEvNS_4cuda6detail10TensorInfoIKT_T0_EEjPjjSA_iijT1_PSD_Ps
	.globl	_ZN2at6native6mbtopk23computeBlockDigitCountsIN3c104HalfEjjLi1EEEvNS_4cuda6detail10TensorInfoIKT_T0_EEjPjjSA_iijT1_PSD_Ps
	.p2align	8
	.type	_ZN2at6native6mbtopk23computeBlockDigitCountsIN3c104HalfEjjLi1EEEvNS_4cuda6detail10TensorInfoIKT_T0_EEjPjjSA_iijT1_PSD_Ps,@function
_ZN2at6native6mbtopk23computeBlockDigitCountsIN3c104HalfEjjLi1EEEvNS_4cuda6detail10TensorInfoIKT_T0_EEjPjjSA_iijT1_PSD_Ps: ; @_ZN2at6native6mbtopk23computeBlockDigitCountsIN3c104HalfEjjLi1EEEvNS_4cuda6detail10TensorInfoIKT_T0_EEjPjjSA_iijT1_PSD_Ps
; %bb.0:
	s_load_dwordx2 s[10:11], s[4:5], 0xf8
	s_load_dwordx4 s[12:15], s[4:5], 0xe8
	s_load_dwordx2 s[0:1], s[4:5], 0x110
	s_waitcnt lgkmcnt(0)
	v_cvt_f32_u32_e32 v1, s10
	s_sub_i32 s2, 0, s10
	s_mul_i32 s1, s1, s8
	s_add_i32 s1, s1, s7
	v_rcp_iflag_f32_e32 v1, v1
	s_mul_i32 s16, s1, s0
	s_add_i32 s16, s16, s6
	s_mov_b32 s7, 0
	v_mul_f32_e32 v1, 0x4f7ffffe, v1
	v_cvt_u32_f32_e32 v1, v1
	v_readfirstlane_b32 s0, v1
	s_mul_i32 s2, s2, s0
	s_mul_hi_u32 s1, s0, s2
	s_add_i32 s0, s0, s1
	s_mul_hi_u32 s0, s16, s0
	s_mul_i32 s1, s0, s10
	s_sub_i32 s1, s16, s1
	s_add_i32 s2, s0, 1
	s_sub_i32 s3, s1, s10
	s_cmp_ge_u32 s1, s10
	s_cselect_b32 s0, s2, s0
	s_cselect_b32 s1, s3, s1
	s_add_i32 s2, s0, 1
	s_cmp_ge_u32 s1, s10
	s_cselect_b32 s6, s2, s0
	s_cmp_ge_u32 s6, s12
	s_cbranch_scc1 .LBB92_27
; %bb.1:
	s_load_dwordx4 s[0:3], s[4:5], 0x100
	s_lshl_b64 s[8:9], s[6:7], 2
	s_movk_i32 s7, 0x100
	v_cmp_gt_u32_e32 vcc, s7, v0
	v_lshlrev_b32_e32 v3, 2, v0
	s_waitcnt lgkmcnt(0)
	s_add_u32 s0, s0, s8
	s_addc_u32 s1, s1, s9
	s_and_saveexec_b64 s[8:9], vcc
; %bb.2:
	v_mov_b32_e32 v1, 0
	ds_write_b32 v3, v1
; %bb.3:
	s_or_b64 exec, exec, s[8:9]
	s_load_dword s8, s[4:5], 0xd8
	s_mul_i32 s7, s6, s10
	s_sub_i32 s7, s16, s7
	s_add_i32 s9, s7, 1
	s_mul_i32 s7, s15, s7
	s_lshl_b32 s17, s7, 8
	s_waitcnt lgkmcnt(0)
	s_sub_i32 s7, s8, s17
	s_add_u32 s18, s7, 0xff
	s_addc_u32 s19, 0, 0
	s_lshr_b64 s[18:19], s[18:19], 8
	s_cmp_lt_u32 s9, s10
	s_cselect_b32 s15, s15, s18
	s_cmp_lt_i32 s15, 1
	s_mov_b32 s7, 0
	s_barrier
	s_cbranch_scc1 .LBB92_25
; %bb.4:
	s_load_dword s10, s[4:5], 0x6c
	s_load_dwordx2 s[18:19], s[4:5], 0x0
	s_load_dword s9, s[0:1], 0x0
	s_waitcnt lgkmcnt(0)
	s_mul_i32 s6, s10, s6
	s_lshl_b64 s[0:1], s[6:7], 1
	s_add_u32 s6, s18, s0
	s_addc_u32 s10, s19, s1
	s_and_b32 s12, s14, 0xff
	s_cmp_lt_u32 s15, 4
	s_cbranch_scc1 .LBB92_19
; %bb.5:
	v_add_u32_e32 v1, s17, v0
	v_add_u32_e32 v2, 0x200, v1
	;; [unrolled: 1-line block ×3, first 2 shown]
	v_mul_lo_u32 v6, s13, v2
	v_add_u32_e32 v2, 0x100, v1
	v_mul_lo_u32 v5, s13, v4
	v_mul_lo_u32 v7, s13, v2
	;; [unrolled: 1-line block ×3, first 2 shown]
	s_and_b32 s7, s15, 0x7ffffffc
	s_lshl_b32 s14, s13, 10
	s_mov_b32 s18, 0
	v_mov_b32_e32 v2, 0
	v_mov_b32_e32 v9, 1
	;; [unrolled: 1-line block ×4, first 2 shown]
	s_mov_b32 s19, 0
	s_branch .LBB92_7
.LBB92_6:                               ;   in Loop: Header=BB92_7 Depth=1
	s_or_b64 exec, exec, s[4:5]
	s_add_i32 s19, s19, 4
	s_add_i32 s18, s18, s14
	s_cmp_eq_u32 s7, s19
	v_add_u32_e32 v4, 0x400, v4
	s_cbranch_scc1 .LBB92_19
.LBB92_7:                               ; =>This Inner Loop Header: Depth=1
	v_add_u32_e32 v1, 0xfffffd00, v4
	v_cmp_gt_u32_e64 s[0:1], s8, v1
	s_and_saveexec_b64 s[4:5], s[0:1]
	s_cbranch_execz .LBB92_10
; %bb.8:                                ;   in Loop: Header=BB92_7 Depth=1
	v_add_u32_e32 v1, s18, v8
	v_lshlrev_b64 v[12:13], 1, v[1:2]
	v_mov_b32_e32 v1, s10
	v_add_co_u32_e64 v12, s[0:1], s6, v12
	v_addc_co_u32_e64 v13, s[0:1], v1, v13, s[0:1]
	global_load_ushort v1, v[12:13], off
	s_waitcnt vmcnt(0)
	v_cmp_lt_i16_e64 s[0:1], -1, v1
	v_cndmask_b32_e64 v12, v10, v11, s[0:1]
	v_xor_b32_sdwa v12, v12, v1 dst_sel:DWORD dst_unused:UNUSED_PAD src0_sel:DWORD src1_sel:WORD_0
	v_cmp_o_f16_e64 s[0:1], v1, v1
	v_cndmask_b32_e64 v1, v10, v12, s[0:1]
	v_xor_b32_e32 v12, s9, v1
	v_and_b32_e32 v12, s11, v12
	v_cmp_eq_u32_e64 s[0:1], 0, v12
	s_and_b64 exec, exec, s[0:1]
; %bb.9:                                ;   in Loop: Header=BB92_7 Depth=1
	v_bfe_u32 v1, v1, s12, 8
	v_lshlrev_b32_e32 v1, 2, v1
	ds_add_u32 v1, v9
.LBB92_10:                              ;   in Loop: Header=BB92_7 Depth=1
	s_or_b64 exec, exec, s[4:5]
	v_add_u32_e32 v1, 0xfffffe00, v4
	v_cmp_gt_u32_e64 s[0:1], s8, v1
	s_and_saveexec_b64 s[4:5], s[0:1]
	s_cbranch_execz .LBB92_13
; %bb.11:                               ;   in Loop: Header=BB92_7 Depth=1
	v_add_u32_e32 v1, s18, v7
	v_lshlrev_b64 v[12:13], 1, v[1:2]
	v_mov_b32_e32 v1, s10
	v_add_co_u32_e64 v12, s[0:1], s6, v12
	v_addc_co_u32_e64 v13, s[0:1], v1, v13, s[0:1]
	global_load_ushort v1, v[12:13], off
	s_waitcnt vmcnt(0)
	v_cmp_lt_i16_e64 s[0:1], -1, v1
	v_cndmask_b32_e64 v12, v10, v11, s[0:1]
	v_xor_b32_sdwa v12, v12, v1 dst_sel:DWORD dst_unused:UNUSED_PAD src0_sel:DWORD src1_sel:WORD_0
	v_cmp_o_f16_e64 s[0:1], v1, v1
	v_cndmask_b32_e64 v1, v10, v12, s[0:1]
	v_xor_b32_e32 v12, s9, v1
	v_and_b32_e32 v12, s11, v12
	v_cmp_eq_u32_e64 s[0:1], 0, v12
	s_and_b64 exec, exec, s[0:1]
; %bb.12:                               ;   in Loop: Header=BB92_7 Depth=1
	v_bfe_u32 v1, v1, s12, 8
	v_lshlrev_b32_e32 v1, 2, v1
	ds_add_u32 v1, v9
.LBB92_13:                              ;   in Loop: Header=BB92_7 Depth=1
	s_or_b64 exec, exec, s[4:5]
	v_add_u32_e32 v1, 0xffffff00, v4
	v_cmp_gt_u32_e64 s[0:1], s8, v1
	s_and_saveexec_b64 s[4:5], s[0:1]
	s_cbranch_execz .LBB92_16
; %bb.14:                               ;   in Loop: Header=BB92_7 Depth=1
	v_add_u32_e32 v1, s18, v6
	v_lshlrev_b64 v[12:13], 1, v[1:2]
	v_mov_b32_e32 v1, s10
	v_add_co_u32_e64 v12, s[0:1], s6, v12
	v_addc_co_u32_e64 v13, s[0:1], v1, v13, s[0:1]
	global_load_ushort v1, v[12:13], off
	s_waitcnt vmcnt(0)
	v_cmp_lt_i16_e64 s[0:1], -1, v1
	v_cndmask_b32_e64 v12, v10, v11, s[0:1]
	v_xor_b32_sdwa v12, v12, v1 dst_sel:DWORD dst_unused:UNUSED_PAD src0_sel:DWORD src1_sel:WORD_0
	v_cmp_o_f16_e64 s[0:1], v1, v1
	v_cndmask_b32_e64 v1, v10, v12, s[0:1]
	v_xor_b32_e32 v12, s9, v1
	v_and_b32_e32 v12, s11, v12
	v_cmp_eq_u32_e64 s[0:1], 0, v12
	s_and_b64 exec, exec, s[0:1]
; %bb.15:                               ;   in Loop: Header=BB92_7 Depth=1
	v_bfe_u32 v1, v1, s12, 8
	v_lshlrev_b32_e32 v1, 2, v1
	ds_add_u32 v1, v9
.LBB92_16:                              ;   in Loop: Header=BB92_7 Depth=1
	s_or_b64 exec, exec, s[4:5]
	v_cmp_gt_u32_e64 s[0:1], s8, v4
	s_and_saveexec_b64 s[4:5], s[0:1]
	s_cbranch_execz .LBB92_6
; %bb.17:                               ;   in Loop: Header=BB92_7 Depth=1
	v_add_u32_e32 v1, s18, v5
	v_lshlrev_b64 v[12:13], 1, v[1:2]
	v_mov_b32_e32 v1, s10
	v_add_co_u32_e64 v12, s[0:1], s6, v12
	v_addc_co_u32_e64 v13, s[0:1], v1, v13, s[0:1]
	global_load_ushort v1, v[12:13], off
	s_waitcnt vmcnt(0)
	v_cmp_lt_i16_e64 s[0:1], -1, v1
	v_cndmask_b32_e64 v12, v10, v11, s[0:1]
	v_xor_b32_sdwa v12, v12, v1 dst_sel:DWORD dst_unused:UNUSED_PAD src0_sel:DWORD src1_sel:WORD_0
	v_cmp_o_f16_e64 s[0:1], v1, v1
	v_cndmask_b32_e64 v1, v10, v12, s[0:1]
	v_xor_b32_e32 v12, s9, v1
	v_and_b32_e32 v12, s11, v12
	v_cmp_eq_u32_e64 s[0:1], 0, v12
	s_and_b64 exec, exec, s[0:1]
	s_cbranch_execz .LBB92_6
; %bb.18:                               ;   in Loop: Header=BB92_7 Depth=1
	v_bfe_u32 v1, v1, s12, 8
	v_lshlrev_b32_e32 v1, 2, v1
	ds_add_u32 v1, v9
	s_branch .LBB92_6
.LBB92_19:
	s_and_b32 s14, s15, 3
	s_cmp_eq_u32 s14, 0
	s_cbranch_scc1 .LBB92_25
; %bb.20:
	s_lshl_b32 s0, s7, 8
	s_add_i32 s0, s0, s17
	v_add_u32_e32 v4, s0, v0
	v_mul_lo_u32 v1, s13, v4
	s_lshl_b32 s7, s13, 8
	v_mov_b32_e32 v2, 0
	v_mov_b32_e32 v5, 1
	;; [unrolled: 1-line block ×4, first 2 shown]
	s_branch .LBB92_22
.LBB92_21:                              ;   in Loop: Header=BB92_22 Depth=1
	s_or_b64 exec, exec, s[4:5]
	s_add_i32 s14, s14, -1
	v_add_u32_e32 v1, s7, v1
	s_cmp_lg_u32 s14, 0
	v_add_u32_e32 v4, 0x100, v4
	s_cbranch_scc0 .LBB92_25
.LBB92_22:                              ; =>This Inner Loop Header: Depth=1
	v_cmp_gt_u32_e64 s[0:1], s8, v4
	s_and_saveexec_b64 s[4:5], s[0:1]
	s_cbranch_execz .LBB92_21
; %bb.23:                               ;   in Loop: Header=BB92_22 Depth=1
	v_lshlrev_b64 v[8:9], 1, v[1:2]
	v_mov_b32_e32 v10, s10
	v_add_co_u32_e64 v8, s[0:1], s6, v8
	v_addc_co_u32_e64 v9, s[0:1], v10, v9, s[0:1]
	global_load_ushort v8, v[8:9], off
	s_waitcnt vmcnt(0)
	v_cmp_lt_i16_e64 s[0:1], -1, v8
	v_cndmask_b32_e64 v9, v6, v7, s[0:1]
	v_xor_b32_sdwa v9, v9, v8 dst_sel:DWORD dst_unused:UNUSED_PAD src0_sel:DWORD src1_sel:WORD_0
	v_cmp_o_f16_e64 s[0:1], v8, v8
	v_cndmask_b32_e64 v8, v6, v9, s[0:1]
	v_xor_b32_e32 v9, s9, v8
	v_and_b32_e32 v9, s11, v9
	v_cmp_eq_u32_e64 s[0:1], 0, v9
	s_and_b64 exec, exec, s[0:1]
	s_cbranch_execz .LBB92_21
; %bb.24:                               ;   in Loop: Header=BB92_22 Depth=1
	v_bfe_u32 v8, v8, s12, 8
	v_lshlrev_b32_e32 v8, 2, v8
	ds_add_u32 v8, v5
	s_branch .LBB92_21
.LBB92_25:
	s_waitcnt lgkmcnt(0)
	s_barrier
	s_and_saveexec_b64 s[0:1], vcc
	s_cbranch_execz .LBB92_27
; %bb.26:
	v_lshl_or_b32 v0, s16, 8, v0
	v_mov_b32_e32 v1, 0
	ds_read_b32 v3, v3
	v_lshlrev_b64 v[0:1], 1, v[0:1]
	v_mov_b32_e32 v2, s3
	v_add_co_u32_e32 v0, vcc, s2, v0
	v_addc_co_u32_e32 v1, vcc, v2, v1, vcc
	s_waitcnt lgkmcnt(0)
	global_store_short v[0:1], v3, off
.LBB92_27:
	s_endpgm
	.section	.rodata,"a",@progbits
	.p2align	6, 0x0
	.amdhsa_kernel _ZN2at6native6mbtopk23computeBlockDigitCountsIN3c104HalfEjjLi1EEEvNS_4cuda6detail10TensorInfoIKT_T0_EEjPjjSA_iijT1_PSD_Ps
		.amdhsa_group_segment_fixed_size 1024
		.amdhsa_private_segment_fixed_size 0
		.amdhsa_kernarg_size 528
		.amdhsa_user_sgpr_count 6
		.amdhsa_user_sgpr_private_segment_buffer 1
		.amdhsa_user_sgpr_dispatch_ptr 0
		.amdhsa_user_sgpr_queue_ptr 0
		.amdhsa_user_sgpr_kernarg_segment_ptr 1
		.amdhsa_user_sgpr_dispatch_id 0
		.amdhsa_user_sgpr_flat_scratch_init 0
		.amdhsa_user_sgpr_private_segment_size 0
		.amdhsa_uses_dynamic_stack 0
		.amdhsa_system_sgpr_private_segment_wavefront_offset 0
		.amdhsa_system_sgpr_workgroup_id_x 1
		.amdhsa_system_sgpr_workgroup_id_y 1
		.amdhsa_system_sgpr_workgroup_id_z 1
		.amdhsa_system_sgpr_workgroup_info 0
		.amdhsa_system_vgpr_workitem_id 0
		.amdhsa_next_free_vgpr 14
		.amdhsa_next_free_sgpr 20
		.amdhsa_reserve_vcc 1
		.amdhsa_reserve_flat_scratch 0
		.amdhsa_float_round_mode_32 0
		.amdhsa_float_round_mode_16_64 0
		.amdhsa_float_denorm_mode_32 3
		.amdhsa_float_denorm_mode_16_64 3
		.amdhsa_dx10_clamp 1
		.amdhsa_ieee_mode 1
		.amdhsa_fp16_overflow 0
		.amdhsa_exception_fp_ieee_invalid_op 0
		.amdhsa_exception_fp_denorm_src 0
		.amdhsa_exception_fp_ieee_div_zero 0
		.amdhsa_exception_fp_ieee_overflow 0
		.amdhsa_exception_fp_ieee_underflow 0
		.amdhsa_exception_fp_ieee_inexact 0
		.amdhsa_exception_int_div_zero 0
	.end_amdhsa_kernel
	.section	.text._ZN2at6native6mbtopk23computeBlockDigitCountsIN3c104HalfEjjLi1EEEvNS_4cuda6detail10TensorInfoIKT_T0_EEjPjjSA_iijT1_PSD_Ps,"axG",@progbits,_ZN2at6native6mbtopk23computeBlockDigitCountsIN3c104HalfEjjLi1EEEvNS_4cuda6detail10TensorInfoIKT_T0_EEjPjjSA_iijT1_PSD_Ps,comdat
.Lfunc_end92:
	.size	_ZN2at6native6mbtopk23computeBlockDigitCountsIN3c104HalfEjjLi1EEEvNS_4cuda6detail10TensorInfoIKT_T0_EEjPjjSA_iijT1_PSD_Ps, .Lfunc_end92-_ZN2at6native6mbtopk23computeBlockDigitCountsIN3c104HalfEjjLi1EEEvNS_4cuda6detail10TensorInfoIKT_T0_EEjPjjSA_iijT1_PSD_Ps
                                        ; -- End function
	.set _ZN2at6native6mbtopk23computeBlockDigitCountsIN3c104HalfEjjLi1EEEvNS_4cuda6detail10TensorInfoIKT_T0_EEjPjjSA_iijT1_PSD_Ps.num_vgpr, 14
	.set _ZN2at6native6mbtopk23computeBlockDigitCountsIN3c104HalfEjjLi1EEEvNS_4cuda6detail10TensorInfoIKT_T0_EEjPjjSA_iijT1_PSD_Ps.num_agpr, 0
	.set _ZN2at6native6mbtopk23computeBlockDigitCountsIN3c104HalfEjjLi1EEEvNS_4cuda6detail10TensorInfoIKT_T0_EEjPjjSA_iijT1_PSD_Ps.numbered_sgpr, 20
	.set _ZN2at6native6mbtopk23computeBlockDigitCountsIN3c104HalfEjjLi1EEEvNS_4cuda6detail10TensorInfoIKT_T0_EEjPjjSA_iijT1_PSD_Ps.num_named_barrier, 0
	.set _ZN2at6native6mbtopk23computeBlockDigitCountsIN3c104HalfEjjLi1EEEvNS_4cuda6detail10TensorInfoIKT_T0_EEjPjjSA_iijT1_PSD_Ps.private_seg_size, 0
	.set _ZN2at6native6mbtopk23computeBlockDigitCountsIN3c104HalfEjjLi1EEEvNS_4cuda6detail10TensorInfoIKT_T0_EEjPjjSA_iijT1_PSD_Ps.uses_vcc, 1
	.set _ZN2at6native6mbtopk23computeBlockDigitCountsIN3c104HalfEjjLi1EEEvNS_4cuda6detail10TensorInfoIKT_T0_EEjPjjSA_iijT1_PSD_Ps.uses_flat_scratch, 0
	.set _ZN2at6native6mbtopk23computeBlockDigitCountsIN3c104HalfEjjLi1EEEvNS_4cuda6detail10TensorInfoIKT_T0_EEjPjjSA_iijT1_PSD_Ps.has_dyn_sized_stack, 0
	.set _ZN2at6native6mbtopk23computeBlockDigitCountsIN3c104HalfEjjLi1EEEvNS_4cuda6detail10TensorInfoIKT_T0_EEjPjjSA_iijT1_PSD_Ps.has_recursion, 0
	.set _ZN2at6native6mbtopk23computeBlockDigitCountsIN3c104HalfEjjLi1EEEvNS_4cuda6detail10TensorInfoIKT_T0_EEjPjjSA_iijT1_PSD_Ps.has_indirect_call, 0
	.section	.AMDGPU.csdata,"",@progbits
; Kernel info:
; codeLenInByte = 1380
; TotalNumSgprs: 24
; NumVgprs: 14
; ScratchSize: 0
; MemoryBound: 0
; FloatMode: 240
; IeeeMode: 1
; LDSByteSize: 1024 bytes/workgroup (compile time only)
; SGPRBlocks: 2
; VGPRBlocks: 3
; NumSGPRsForWavesPerEU: 24
; NumVGPRsForWavesPerEU: 14
; Occupancy: 10
; WaveLimiterHint : 1
; COMPUTE_PGM_RSRC2:SCRATCH_EN: 0
; COMPUTE_PGM_RSRC2:USER_SGPR: 6
; COMPUTE_PGM_RSRC2:TRAP_HANDLER: 0
; COMPUTE_PGM_RSRC2:TGID_X_EN: 1
; COMPUTE_PGM_RSRC2:TGID_Y_EN: 1
; COMPUTE_PGM_RSRC2:TGID_Z_EN: 1
; COMPUTE_PGM_RSRC2:TIDIG_COMP_CNT: 0
	.section	.text._ZN2at6native6mbtopk29computeBlockwiseWithinKCountsIjN3c104HalfEEEvPT_PsPjjibS8_PT0_S8_S6_S8_j,"axG",@progbits,_ZN2at6native6mbtopk29computeBlockwiseWithinKCountsIjN3c104HalfEEEvPT_PsPjjibS8_PT0_S8_S6_S8_j,comdat
	.protected	_ZN2at6native6mbtopk29computeBlockwiseWithinKCountsIjN3c104HalfEEEvPT_PsPjjibS8_PT0_S8_S6_S8_j ; -- Begin function _ZN2at6native6mbtopk29computeBlockwiseWithinKCountsIjN3c104HalfEEEvPT_PsPjjibS8_PT0_S8_S6_S8_j
	.globl	_ZN2at6native6mbtopk29computeBlockwiseWithinKCountsIjN3c104HalfEEEvPT_PsPjjibS8_PT0_S8_S6_S8_j
	.p2align	8
	.type	_ZN2at6native6mbtopk29computeBlockwiseWithinKCountsIjN3c104HalfEEEvPT_PsPjjibS8_PT0_S8_S6_S8_j,@function
_ZN2at6native6mbtopk29computeBlockwiseWithinKCountsIjN3c104HalfEEEvPT_PsPjjibS8_PT0_S8_S6_S8_j: ; @_ZN2at6native6mbtopk29computeBlockwiseWithinKCountsIjN3c104HalfEEEvPT_PsPjjibS8_PT0_S8_S6_S8_j
; %bb.0:
	s_load_dwordx4 s[16:19], s[4:5], 0x18
	s_load_dword s2, s[4:5], 0x50
	s_load_dwordx2 s[0:1], s[4:5], 0x58
	s_waitcnt lgkmcnt(0)
	v_cvt_f32_u32_e32 v1, s16
	s_mul_i32 s1, s1, s8
	s_add_i32 s1, s1, s7
	v_rcp_iflag_f32_e32 v1, v1
	s_mul_i32 s0, s1, s0
	s_add_i32 s6, s0, s6
	s_cmp_ge_u32 s6, s2
	v_mul_f32_e32 v1, 0x4f7ffffe, v1
	v_cvt_u32_f32_e32 v1, v1
	v_readfirstlane_b32 s0, v1
	s_cbranch_scc1 .LBB93_40
; %bb.1:
	s_sub_i32 s1, 0, s16
	s_mul_i32 s1, s1, s0
	s_mul_hi_u32 s1, s0, s1
	s_add_i32 s0, s0, s1
	s_mul_hi_u32 s2, s6, s0
	s_mul_i32 s3, s2, s16
	s_sub_i32 s3, s6, s3
	s_add_i32 s8, s2, 1
	s_sub_i32 s9, s3, s16
	s_cmp_ge_u32 s3, s16
	s_load_dwordx4 s[20:23], s[4:5], 0x0
	s_load_dwordx2 s[0:1], s[4:5], 0x10
	s_cselect_b32 s2, s8, s2
	s_cselect_b32 s3, s9, s3
	s_add_i32 s8, s2, 1
	s_mov_b32 s7, 0
	s_cmp_ge_u32 s3, s16
	s_cselect_b32 s28, s8, s2
	s_mov_b32 s29, s7
	s_lshl_b64 s[24:25], s[28:29], 2
	s_waitcnt lgkmcnt(0)
	s_add_u32 s0, s0, s24
	s_movk_i32 s2, 0x100
	s_addc_u32 s1, s1, s25
	v_cmp_gt_u32_e64 s[2:3], s2, v0
	s_and_saveexec_b64 s[8:9], s[2:3]
	s_cbranch_execz .LBB93_8
; %bb.2:
	s_mul_i32 s10, s28, s16
	s_lshl_b32 s10, s10, 8
	s_mov_b32 s11, s7
	s_lshl_b64 s[10:11], s[10:11], 1
	s_add_u32 s10, s22, s10
	s_addc_u32 s11, s23, s11
	v_lshlrev_b32_e32 v1, 1, v0
	v_mov_b32_e32 v2, s11
	v_add_co_u32_e32 v1, vcc, s10, v1
	v_mov_b32_e32 v3, 0
	s_cmp_lt_u32 s16, 4
	v_addc_co_u32_e32 v2, vcc, 0, v2, vcc
	s_cbranch_scc1 .LBB93_41
; %bb.3:
	v_mov_b32_e32 v3, 0
	s_mov_b32 s10, 0
.LBB93_4:                               ; =>This Inner Loop Header: Depth=1
	global_load_sshort v4, v[1:2], off
	global_load_sshort v5, v[1:2], off offset:512
	global_load_sshort v6, v[1:2], off offset:1024
	;; [unrolled: 1-line block ×3, first 2 shown]
	s_mov_b32 s11, s10
	v_add_co_u32_e32 v1, vcc, 0x800, v1
	s_add_i32 s10, s10, 4
	s_add_i32 s11, s11, 7
	v_addc_co_u32_e32 v2, vcc, 0, v2, vcc
	s_cmp_ge_u32 s11, s16
	s_waitcnt vmcnt(2)
	v_add3_u32 v3, v3, v4, v5
	s_waitcnt vmcnt(0)
	v_add3_u32 v3, v3, v6, v7
	s_cbranch_scc0 .LBB93_4
; %bb.5:
	s_cmp_ge_u32 s10, s16
	s_cbranch_scc1 .LBB93_7
.LBB93_6:                               ; =>This Inner Loop Header: Depth=1
	global_load_sshort v4, v[1:2], off
	v_add_co_u32_e32 v1, vcc, 0x200, v1
	s_add_i32 s10, s10, 1
	v_addc_co_u32_e32 v2, vcc, 0, v2, vcc
	s_cmp_lt_u32 s10, s16
	s_waitcnt vmcnt(0)
	v_add_u32_e32 v3, v3, v4
	s_cbranch_scc1 .LBB93_6
.LBB93_7:
	v_lshlrev_b32_e32 v1, 2, v0
	ds_write_b32 v1, v3 offset:1056
.LBB93_8:
	s_or_b64 exec, exec, s[8:9]
	s_load_dword s19, s[0:1], 0x0
	v_mov_b32_e32 v3, 0
	s_waitcnt lgkmcnt(0)
	s_barrier
	s_and_saveexec_b64 s[0:1], s[2:3]
; %bb.9:
	v_lshlrev_b32_e32 v1, 2, v0
	ds_read_b32 v3, v1 offset:1056
; %bb.10:
	s_or_b64 exec, exec, s[0:1]
	v_lshrrev_b32_e32 v1, 3, v0
	v_and_b32_e32 v1, 28, v1
	v_lshl_add_u32 v2, v0, 2, v1
	v_cmp_gt_u32_e64 s[0:1], 64, v0
	v_mbcnt_lo_u32_b32 v1, -1, 0
	s_waitcnt lgkmcnt(0)
	ds_write_b32 v2, v3
	s_waitcnt lgkmcnt(0)
	s_barrier
	s_and_saveexec_b64 s[8:9], s[0:1]
	s_cbranch_execz .LBB93_12
; %bb.11:
	v_lshrrev_b32_e32 v4, 1, v0
	v_and_b32_e32 v4, 0x7c, v4
	v_lshl_add_u32 v8, v0, 4, v4
	ds_read2_b32 v[4:5], v8 offset1:1
	ds_read2_b32 v[6:7], v8 offset0:2 offset1:3
	v_mbcnt_hi_u32_b32 v9, -1, v1
	v_and_b32_e32 v10, 15, v9
	v_cmp_ne_u32_e32 vcc, 0, v10
	s_waitcnt lgkmcnt(1)
	v_add_u32_e32 v5, v5, v4
	s_waitcnt lgkmcnt(0)
	v_add3_u32 v5, v5, v6, v7
	v_bfe_i32 v7, v9, 4, 1
	s_nop 0
	v_mov_b32_dpp v6, v5 row_shr:1 row_mask:0xf bank_mask:0xf
	v_cndmask_b32_e32 v6, 0, v6, vcc
	v_add_u32_e32 v5, v6, v5
	v_cmp_lt_u32_e32 vcc, 1, v10
	; wave barrier
	s_nop 0
	v_mov_b32_dpp v6, v5 row_shr:2 row_mask:0xf bank_mask:0xf
	v_cndmask_b32_e32 v6, 0, v6, vcc
	v_add_u32_e32 v5, v5, v6
	v_cmp_lt_u32_e32 vcc, 3, v10
	s_nop 0
	v_mov_b32_dpp v6, v5 row_shr:4 row_mask:0xf bank_mask:0xf
	v_cndmask_b32_e32 v6, 0, v6, vcc
	v_add_u32_e32 v5, v5, v6
	v_cmp_lt_u32_e32 vcc, 7, v10
	;; [unrolled: 5-line block ×3, first 2 shown]
	s_nop 0
	v_mov_b32_dpp v6, v5 row_bcast:15 row_mask:0xf bank_mask:0xf
	v_and_b32_e32 v6, v7, v6
	v_add_u32_e32 v5, v5, v6
	v_and_b32_e32 v7, 64, v9
	s_nop 0
	v_mov_b32_dpp v6, v5 row_bcast:31 row_mask:0xf bank_mask:0xf
	v_cndmask_b32_e32 v6, 0, v6, vcc
	v_add_u32_e32 v5, v5, v6
	v_add_u32_e32 v6, -1, v9
	v_cmp_lt_i32_e32 vcc, v6, v7
	v_cndmask_b32_e32 v6, v6, v9, vcc
	v_lshlrev_b32_e32 v6, 2, v6
	ds_bpermute_b32 v5, v6, v5
	v_cmp_eq_u32_e32 vcc, 0, v0
	s_waitcnt lgkmcnt(0)
	v_add_u32_e32 v4, v5, v4
	v_cndmask_b32_e32 v5, v4, v3, vcc
	ds_write_b32 v8, v5
	; wave barrier
	ds_read2_b32 v[3:4], v8 offset0:1 offset1:2
	ds_read_b32 v6, v8 offset:12
	s_waitcnt lgkmcnt(1)
	v_add_u32_e32 v3, v3, v5
	v_add_u32_e32 v4, v4, v3
	ds_write2_b32 v8, v3, v4 offset0:1 offset1:2
	s_waitcnt lgkmcnt(1)
	v_add_u32_e32 v3, v6, v4
	ds_write_b32 v8, v3 offset:12
.LBB93_12:
	s_or_b64 exec, exec, s[8:9]
	s_waitcnt lgkmcnt(0)
	s_barrier
	ds_read_b32 v3, v2
	s_waitcnt lgkmcnt(0)
	s_barrier
	s_and_saveexec_b64 s[8:9], s[2:3]
; %bb.13:
	v_lshlrev_b32_e32 v2, 2, v0
	ds_write_b32 v2, v3 offset:1056
; %bb.14:
	s_or_b64 exec, exec, s[8:9]
	s_load_dwordx8 s[8:15], s[4:5], 0x28
	s_load_dwordx2 s[26:27], s[4:5], 0x48
	s_waitcnt lgkmcnt(0)
	s_barrier
	s_and_saveexec_b64 s[4:5], s[2:3]
	s_cbranch_execz .LBB93_23
; %bb.15:
	v_mov_b32_e32 v2, 0
	v_cmp_ne_u32_e32 vcc, 0, v0
	s_and_saveexec_b64 s[2:3], vcc
; %bb.16:
	v_lshlrev_b32_e32 v2, 2, v0
	ds_read_b32 v2, v2 offset:1052
; %bb.17:
	s_or_b64 exec, exec, s[2:3]
	s_waitcnt lgkmcnt(0)
	v_cmp_gt_u32_e32 vcc, s19, v2
	v_cmp_le_u32_e64 s[2:3], s19, v3
	s_and_b64 s[2:3], vcc, s[2:3]
	s_and_b64 exec, exec, s[2:3]
	s_cbranch_execz .LBB93_23
; %bb.18:
	s_add_u32 s2, s20, s24
	s_addc_u32 s3, s21, s25
	v_mov_b32_e32 v4, 0
	global_load_dword v3, v4, s[2:3]
	s_lshl_b32 s3, 0xff, s17
	v_not_b32_e32 v6, s3
	v_lshlrev_b32_e32 v5, s17, v0
	s_mul_i32 s2, s28, s16
	s_cmp_lg_u32 s6, s2
	s_waitcnt vmcnt(0)
	v_and_b32_e32 v3, v3, v6
	v_or_b32_e32 v3, v3, v5
	ds_write_b32 v4, v3 offset:2096
	s_cbranch_scc1 .LBB93_23
; %bb.19:
	s_add_u32 s2, s14, s24
	s_addc_u32 s3, s15, s25
	global_store_dword v4, v3, s[2:3]
	s_cmp_lt_i32 s17, 1
	s_mov_b64 s[2:3], -1
	s_cbranch_scc0 .LBB93_21
; %bb.20:
	v_and_b32_e32 v4, 0x8000, v3
	v_mov_b32_e32 v5, 0x8000
	v_mov_b32_e32 v6, 0xffff
	v_cmp_eq_u32_e32 vcc, 0, v4
	s_lshl_b64 s[2:3], s[28:29], 1
	v_cndmask_b32_e32 v4, v5, v6, vcc
	s_add_u32 s2, s10, s2
	v_xor_b32_e32 v3, v4, v3
	s_addc_u32 s3, s11, s3
	v_mov_b32_e32 v4, 0
	global_store_short v4, v3, s[2:3]
	s_mov_b64 s[2:3], 0
.LBB93_21:
	s_andn2_b64 vcc, exec, s[2:3]
	s_cbranch_vccnz .LBB93_23
; %bb.22:
	s_add_u32 s2, s12, s24
	v_sub_u32_e32 v2, s19, v2
	s_addc_u32 s3, s13, s25
	v_mov_b32_e32 v3, 0
	global_store_dword v3, v2, s[2:3]
.LBB93_23:
	s_or_b64 exec, exec, s[4:5]
	v_mov_b32_e32 v2, 0
	s_waitcnt vmcnt(0) lgkmcnt(0)
	s_barrier
	ds_read_b32 v2, v2 offset:2096
	s_bitcmp0_b32 s18, 0
	s_waitcnt lgkmcnt(0)
	v_lshrrev_b32_e32 v2, s17, v2
	s_cbranch_scc0 .LBB93_25
; %bb.24:
	v_and_b32_e32 v3, 0xc0, v0
	v_cmp_lt_u32_sdwa s[10:11], v3, v2 src0_sel:DWORD src1_sel:BYTE_0
	v_cmp_lt_u32_sdwa s[4:5], v0, v2 src0_sel:DWORD src1_sel:BYTE_0
	s_cbranch_execz .LBB93_26
	s_branch .LBB93_27
.LBB93_25:
                                        ; implicit-def: $sgpr4_sgpr5
                                        ; implicit-def: $sgpr10_sgpr11
.LBB93_26:
	v_or_b32_e32 v3, 63, v0
	v_cmp_gt_u32_sdwa s[2:3], v3, v2 src0_sel:DWORD src1_sel:BYTE_0
	v_cmp_gt_u32_sdwa s[12:13], v0, v2 src0_sel:DWORD src1_sel:BYTE_0
	s_andn2_b64 s[4:5], s[4:5], exec
	s_and_b64 s[12:13], s[12:13], exec
	s_andn2_b64 s[10:11], s[10:11], exec
	s_and_b64 s[2:3], s[2:3], exec
	s_or_b64 s[4:5], s[4:5], s[12:13]
	s_or_b64 s[10:11], s[10:11], s[2:3]
.LBB93_27:
	v_mov_b32_e32 v2, 0
	s_and_saveexec_b64 s[2:3], s[10:11]
	s_cbranch_execz .LBB93_31
; %bb.28:
	v_mov_b32_e32 v2, 0
	s_and_saveexec_b64 s[10:11], s[4:5]
	s_cbranch_execz .LBB93_30
; %bb.29:
	s_lshl_b32 s4, s6, 8
	s_mov_b32 s5, 0
	s_lshl_b64 s[4:5], s[4:5], 1
	s_add_u32 s4, s22, s4
	s_addc_u32 s5, s23, s5
	v_lshlrev_b32_e32 v2, 1, v0
	global_load_sshort v2, v2, s[4:5]
.LBB93_30:
	s_or_b64 exec, exec, s[10:11]
	v_mbcnt_hi_u32_b32 v3, -1, v1
	v_mov_b32_e32 v4, 0x80
	v_lshl_or_b32 v4, v3, 2, v4
	s_waitcnt vmcnt(0)
	ds_bpermute_b32 v4, v4, v2
	v_and_b32_e32 v5, 63, v3
	v_cmp_gt_u32_e32 vcc, 48, v5
	v_cndmask_b32_e64 v6, 0, 16, vcc
	v_cmp_gt_u32_e32 vcc, 56, v5
	s_waitcnt lgkmcnt(0)
	v_add_u32_e32 v2, v4, v2
	v_add_lshl_u32 v4, v6, v3, 2
	ds_bpermute_b32 v4, v4, v2
	v_cndmask_b32_e64 v6, 0, 8, vcc
	v_add_lshl_u32 v6, v6, v3, 2
	v_cmp_gt_u32_e32 vcc, 60, v5
	s_waitcnt lgkmcnt(0)
	v_add_u32_e32 v2, v4, v2
	ds_bpermute_b32 v4, v6, v2
	v_cndmask_b32_e64 v6, 0, 4, vcc
	v_add_lshl_u32 v6, v6, v3, 2
	v_cmp_gt_u32_e32 vcc, 62, v5
	s_waitcnt lgkmcnt(0)
	v_add_u32_e32 v2, v4, v2
	ds_bpermute_b32 v4, v6, v2
	v_cndmask_b32_e64 v6, 0, 2, vcc
	v_add_lshl_u32 v6, v6, v3, 2
	v_cmp_ne_u32_e32 vcc, 63, v5
	v_addc_co_u32_e32 v3, vcc, 0, v3, vcc
	s_waitcnt lgkmcnt(0)
	v_add_u32_e32 v2, v4, v2
	ds_bpermute_b32 v4, v6, v2
	v_lshlrev_b32_e32 v3, 2, v3
	s_waitcnt lgkmcnt(0)
	v_add_u32_e32 v2, v4, v2
	ds_bpermute_b32 v3, v3, v2
	s_waitcnt lgkmcnt(0)
	v_add_u32_e32 v2, v3, v2
.LBB93_31:
	s_or_b64 exec, exec, s[2:3]
	v_and_b32_e32 v3, 63, v0
	v_cmp_eq_u32_e32 vcc, 0, v3
	s_and_saveexec_b64 s[2:3], vcc
; %bb.32:
	v_lshrrev_b32_e32 v3, 4, v0
	v_and_b32_e32 v3, 12, v3
	ds_write_b32 v3, v2 offset:2080
; %bb.33:
	s_or_b64 exec, exec, s[2:3]
	s_waitcnt lgkmcnt(0)
	s_barrier
	s_and_saveexec_b64 s[2:3], s[0:1]
	s_cbranch_execz .LBB93_40
; %bb.34:
	v_cmp_gt_u32_e32 vcc, 4, v0
	v_mov_b32_e32 v2, 0
	s_and_saveexec_b64 s[0:1], vcc
; %bb.35:
	v_lshlrev_b32_e32 v2, 2, v0
	ds_read_b32 v2, v2 offset:2080
; %bb.36:
	s_or_b64 exec, exec, s[0:1]
	v_mbcnt_hi_u32_b32 v1, -1, v1
	v_and_b32_e32 v3, 63, v1
	v_cmp_gt_u32_e32 vcc, 62, v3
	v_cndmask_b32_e64 v4, 0, 2, vcc
	v_add_lshl_u32 v4, v4, v1, 2
	s_waitcnt lgkmcnt(0)
	ds_bpermute_b32 v4, v4, v2
	v_cmp_ne_u32_e32 vcc, 63, v3
	v_addc_co_u32_e32 v3, vcc, 0, v1, vcc
	v_cmp_eq_u32_e32 vcc, 0, v0
	s_waitcnt lgkmcnt(0)
	v_add_u32_e32 v1, v4, v2
	v_lshlrev_b32_e32 v2, 2, v3
	ds_bpermute_b32 v2, v2, v1
	s_and_saveexec_b64 s[0:1], vcc
	s_cbranch_execz .LBB93_38
; %bb.37:
	s_lshl_b64 s[2:3], s[6:7], 2
	s_add_u32 s2, s8, s2
	s_addc_u32 s3, s9, s3
	v_mov_b32_e32 v3, 0
	global_load_dword v4, v3, s[2:3]
	s_waitcnt vmcnt(0) lgkmcnt(0)
	v_add3_u32 v1, v2, v1, v4
	global_store_dword v3, v1, s[2:3]
.LBB93_38:
	s_or_b64 exec, exec, s[0:1]
	v_or_b32_e32 v0, s17, v0
	v_cmp_eq_u32_e32 vcc, 0, v0
	s_and_b64 exec, exec, vcc
	s_cbranch_execz .LBB93_40
; %bb.39:
	v_mov_b32_e32 v0, 0
	ds_read_b32 v1, v0 offset:2096
	s_lshl_b32 s0, s6, 8
	s_mov_b32 s1, 0
	s_lshl_b64 s[0:1], s[0:1], 1
	s_add_u32 s0, s22, s0
	s_waitcnt lgkmcnt(1)
	v_mov_b32_e32 v2, 1
	s_addc_u32 s1, s23, s1
	s_waitcnt lgkmcnt(0)
	v_lshlrev_b32_sdwa v1, v2, v1 dst_sel:DWORD dst_unused:UNUSED_PAD src0_sel:DWORD src1_sel:BYTE_0
	global_load_sshort v1, v1, s[0:1]
	s_lshl_b64 s[0:1], s[6:7], 2
	s_add_u32 s0, s26, s0
	s_addc_u32 s1, s27, s1
	s_waitcnt vmcnt(0)
	global_store_dword v0, v1, s[0:1]
.LBB93_40:
	s_endpgm
.LBB93_41:
	s_mov_b32 s10, s7
	s_cmp_ge_u32 s10, s16
	s_cbranch_scc0 .LBB93_6
	s_branch .LBB93_7
	.section	.rodata,"a",@progbits
	.p2align	6, 0x0
	.amdhsa_kernel _ZN2at6native6mbtopk29computeBlockwiseWithinKCountsIjN3c104HalfEEEvPT_PsPjjibS8_PT0_S8_S6_S8_j
		.amdhsa_group_segment_fixed_size 2100
		.amdhsa_private_segment_fixed_size 0
		.amdhsa_kernarg_size 344
		.amdhsa_user_sgpr_count 6
		.amdhsa_user_sgpr_private_segment_buffer 1
		.amdhsa_user_sgpr_dispatch_ptr 0
		.amdhsa_user_sgpr_queue_ptr 0
		.amdhsa_user_sgpr_kernarg_segment_ptr 1
		.amdhsa_user_sgpr_dispatch_id 0
		.amdhsa_user_sgpr_flat_scratch_init 0
		.amdhsa_user_sgpr_private_segment_size 0
		.amdhsa_uses_dynamic_stack 0
		.amdhsa_system_sgpr_private_segment_wavefront_offset 0
		.amdhsa_system_sgpr_workgroup_id_x 1
		.amdhsa_system_sgpr_workgroup_id_y 1
		.amdhsa_system_sgpr_workgroup_id_z 1
		.amdhsa_system_sgpr_workgroup_info 0
		.amdhsa_system_vgpr_workitem_id 0
		.amdhsa_next_free_vgpr 11
		.amdhsa_next_free_sgpr 30
		.amdhsa_reserve_vcc 1
		.amdhsa_reserve_flat_scratch 0
		.amdhsa_float_round_mode_32 0
		.amdhsa_float_round_mode_16_64 0
		.amdhsa_float_denorm_mode_32 3
		.amdhsa_float_denorm_mode_16_64 3
		.amdhsa_dx10_clamp 1
		.amdhsa_ieee_mode 1
		.amdhsa_fp16_overflow 0
		.amdhsa_exception_fp_ieee_invalid_op 0
		.amdhsa_exception_fp_denorm_src 0
		.amdhsa_exception_fp_ieee_div_zero 0
		.amdhsa_exception_fp_ieee_overflow 0
		.amdhsa_exception_fp_ieee_underflow 0
		.amdhsa_exception_fp_ieee_inexact 0
		.amdhsa_exception_int_div_zero 0
	.end_amdhsa_kernel
	.section	.text._ZN2at6native6mbtopk29computeBlockwiseWithinKCountsIjN3c104HalfEEEvPT_PsPjjibS8_PT0_S8_S6_S8_j,"axG",@progbits,_ZN2at6native6mbtopk29computeBlockwiseWithinKCountsIjN3c104HalfEEEvPT_PsPjjibS8_PT0_S8_S6_S8_j,comdat
.Lfunc_end93:
	.size	_ZN2at6native6mbtopk29computeBlockwiseWithinKCountsIjN3c104HalfEEEvPT_PsPjjibS8_PT0_S8_S6_S8_j, .Lfunc_end93-_ZN2at6native6mbtopk29computeBlockwiseWithinKCountsIjN3c104HalfEEEvPT_PsPjjibS8_PT0_S8_S6_S8_j
                                        ; -- End function
	.set _ZN2at6native6mbtopk29computeBlockwiseWithinKCountsIjN3c104HalfEEEvPT_PsPjjibS8_PT0_S8_S6_S8_j.num_vgpr, 11
	.set _ZN2at6native6mbtopk29computeBlockwiseWithinKCountsIjN3c104HalfEEEvPT_PsPjjibS8_PT0_S8_S6_S8_j.num_agpr, 0
	.set _ZN2at6native6mbtopk29computeBlockwiseWithinKCountsIjN3c104HalfEEEvPT_PsPjjibS8_PT0_S8_S6_S8_j.numbered_sgpr, 30
	.set _ZN2at6native6mbtopk29computeBlockwiseWithinKCountsIjN3c104HalfEEEvPT_PsPjjibS8_PT0_S8_S6_S8_j.num_named_barrier, 0
	.set _ZN2at6native6mbtopk29computeBlockwiseWithinKCountsIjN3c104HalfEEEvPT_PsPjjibS8_PT0_S8_S6_S8_j.private_seg_size, 0
	.set _ZN2at6native6mbtopk29computeBlockwiseWithinKCountsIjN3c104HalfEEEvPT_PsPjjibS8_PT0_S8_S6_S8_j.uses_vcc, 1
	.set _ZN2at6native6mbtopk29computeBlockwiseWithinKCountsIjN3c104HalfEEEvPT_PsPjjibS8_PT0_S8_S6_S8_j.uses_flat_scratch, 0
	.set _ZN2at6native6mbtopk29computeBlockwiseWithinKCountsIjN3c104HalfEEEvPT_PsPjjibS8_PT0_S8_S6_S8_j.has_dyn_sized_stack, 0
	.set _ZN2at6native6mbtopk29computeBlockwiseWithinKCountsIjN3c104HalfEEEvPT_PsPjjibS8_PT0_S8_S6_S8_j.has_recursion, 0
	.set _ZN2at6native6mbtopk29computeBlockwiseWithinKCountsIjN3c104HalfEEEvPT_PsPjjibS8_PT0_S8_S6_S8_j.has_indirect_call, 0
	.section	.AMDGPU.csdata,"",@progbits
; Kernel info:
; codeLenInByte = 1884
; TotalNumSgprs: 34
; NumVgprs: 11
; ScratchSize: 0
; MemoryBound: 0
; FloatMode: 240
; IeeeMode: 1
; LDSByteSize: 2100 bytes/workgroup (compile time only)
; SGPRBlocks: 4
; VGPRBlocks: 2
; NumSGPRsForWavesPerEU: 34
; NumVGPRsForWavesPerEU: 11
; Occupancy: 10
; WaveLimiterHint : 1
; COMPUTE_PGM_RSRC2:SCRATCH_EN: 0
; COMPUTE_PGM_RSRC2:USER_SGPR: 6
; COMPUTE_PGM_RSRC2:TRAP_HANDLER: 0
; COMPUTE_PGM_RSRC2:TGID_X_EN: 1
; COMPUTE_PGM_RSRC2:TGID_Y_EN: 1
; COMPUTE_PGM_RSRC2:TGID_Z_EN: 1
; COMPUTE_PGM_RSRC2:TIDIG_COMP_CNT: 0
	.section	.text._ZN2at6native6mbtopk10gatherTopKIN3c104HalfEjLi1EEEvNS_4cuda6detail10TensorInfoIKT_T0_EESA_SA_bjSA_NS7_IS8_SA_EESA_NS7_IlSA_EESA_jjPS8_PjSF_j,"axG",@progbits,_ZN2at6native6mbtopk10gatherTopKIN3c104HalfEjLi1EEEvNS_4cuda6detail10TensorInfoIKT_T0_EESA_SA_bjSA_NS7_IS8_SA_EESA_NS7_IlSA_EESA_jjPS8_PjSF_j,comdat
	.protected	_ZN2at6native6mbtopk10gatherTopKIN3c104HalfEjLi1EEEvNS_4cuda6detail10TensorInfoIKT_T0_EESA_SA_bjSA_NS7_IS8_SA_EESA_NS7_IlSA_EESA_jjPS8_PjSF_j ; -- Begin function _ZN2at6native6mbtopk10gatherTopKIN3c104HalfEjLi1EEEvNS_4cuda6detail10TensorInfoIKT_T0_EESA_SA_bjSA_NS7_IS8_SA_EESA_NS7_IlSA_EESA_jjPS8_PjSF_j
	.globl	_ZN2at6native6mbtopk10gatherTopKIN3c104HalfEjLi1EEEvNS_4cuda6detail10TensorInfoIKT_T0_EESA_SA_bjSA_NS7_IS8_SA_EESA_NS7_IlSA_EESA_jjPS8_PjSF_j
	.p2align	8
	.type	_ZN2at6native6mbtopk10gatherTopKIN3c104HalfEjLi1EEEvNS_4cuda6detail10TensorInfoIKT_T0_EESA_SA_bjSA_NS7_IS8_SA_EESA_NS7_IlSA_EESA_jjPS8_PjSF_j,@function
_ZN2at6native6mbtopk10gatherTopKIN3c104HalfEjLi1EEEvNS_4cuda6detail10TensorInfoIKT_T0_EESA_SA_bjSA_NS7_IS8_SA_EESA_NS7_IlSA_EESA_jjPS8_PjSF_j: ; @_ZN2at6native6mbtopk10gatherTopKIN3c104HalfEjLi1EEEvNS_4cuda6detail10TensorInfoIKT_T0_EESA_SA_bjSA_NS7_IS8_SA_EESA_NS7_IlSA_EESA_jjPS8_PjSF_j
; %bb.0:
	s_load_dwordx2 s[0:1], s[4:5], 0x2d8
	s_load_dword s2, s[4:5], 0x2d0
	s_waitcnt lgkmcnt(0)
	s_mul_i32 s1, s1, s8
	s_add_i32 s1, s1, s7
	s_mul_i32 s0, s1, s0
	s_add_i32 s0, s0, s6
	s_cmp_ge_u32 s0, s2
	s_cbranch_scc1 .LBB94_40
; %bb.1:
	s_load_dwordx8 s[8:15], s[4:5], 0x2a8
	s_mov_b32 s7, 0
	v_mov_b32_e32 v2, 0
	s_waitcnt lgkmcnt(0)
	v_cvt_f32_u32_e32 v1, s10
	s_sub_i32 s1, 0, s10
	v_rcp_iflag_f32_e32 v1, v1
	v_mul_f32_e32 v1, 0x4f7ffffe, v1
	v_cvt_u32_f32_e32 v1, v1
	v_readfirstlane_b32 s2, v1
	s_mul_i32 s1, s1, s2
	s_mul_hi_u32 s1, s2, s1
	s_add_i32 s2, s2, s1
	s_mul_hi_u32 s1, s0, s2
	s_mul_i32 s2, s1, s10
	s_sub_i32 s2, s0, s2
	s_add_i32 s3, s1, 1
	s_sub_i32 s6, s2, s10
	s_cmp_ge_u32 s2, s10
	s_cselect_b32 s1, s3, s1
	s_cselect_b32 s2, s6, s2
	s_add_i32 s3, s1, 1
	s_cmp_ge_u32 s2, s10
	s_cselect_b32 s6, s3, s1
	s_mul_i32 s16, s6, s10
	s_lshl_b64 s[2:3], s[6:7], 1
	s_sub_i32 s11, s0, s16
	s_add_u32 s0, s12, s2
	s_addc_u32 s1, s13, s3
	global_load_ushort v1, v2, s[0:1]
	s_load_dwordx2 s[20:21], s[4:5], 0x1d0
	s_load_dwordx2 s[22:23], s[4:5], 0xf0
	;; [unrolled: 1-line block ×3, first 2 shown]
	v_cmp_ne_u32_e64 s[0:1], 0, v0
	v_cmp_eq_u32_e64 s[2:3], 0, v0
	s_waitcnt vmcnt(0)
	v_readfirstlane_b32 s33, v1
	s_and_saveexec_b64 s[12:13], s[2:3]
	s_cbranch_execz .LBB94_17
; %bb.2:
	s_load_dwordx2 s[26:27], s[4:5], 0x2c8
	s_mov_b32 s17, s7
	s_lshl_b64 s[28:29], s[16:17], 2
	s_add_u32 s16, s14, s28
	s_addc_u32 s17, s15, s29
	s_waitcnt lgkmcnt(0)
	s_add_u32 s18, s26, s28
	s_addc_u32 s19, s27, s29
	s_cmp_lt_u32 s10, 4
	s_cbranch_scc1 .LBB94_14
; %bb.3:
	s_mov_b32 s34, s7
	s_mov_b32 s35, s7
	s_mov_b32 s36, s7
.LBB94_4:                               ; =>This Inner Loop Header: Depth=1
	s_add_u32 s30, s14, s28
	s_addc_u32 s31, s15, s29
	s_load_dwordx4 s[16:19], s[30:31], 0x0
	s_add_u32 s30, s26, s28
	s_addc_u32 s31, s27, s29
	s_cmp_ge_u32 s36, s11
	s_cbranch_scc0 .LBB94_11
; %bb.5:                                ;   in Loop: Header=BB94_4 Depth=1
	s_add_i32 s37, s36, 1
	s_cmp_ge_u32 s37, s11
	s_cbranch_scc0 .LBB94_12
.LBB94_6:                               ;   in Loop: Header=BB94_4 Depth=1
	s_add_i32 s37, s37, 1
	s_cmp_ge_u32 s37, s11
	s_cbranch_scc0 .LBB94_13
.LBB94_7:                               ;   in Loop: Header=BB94_4 Depth=1
	s_add_i32 s37, s37, 1
	s_cmp_ge_u32 s37, s11
	s_cbranch_scc1 .LBB94_9
.LBB94_8:                               ;   in Loop: Header=BB94_4 Depth=1
	s_load_dword s30, s[30:31], 0xc
	s_waitcnt lgkmcnt(0)
	s_add_i32 s7, s7, s19
	s_add_i32 s34, s30, s34
.LBB94_9:                               ;   in Loop: Header=BB94_4 Depth=1
	s_waitcnt lgkmcnt(0)
	s_add_i32 s16, s16, s35
	s_add_i32 s16, s16, s17
	;; [unrolled: 1-line block ×4, first 2 shown]
	s_add_u32 s14, s14, 16
	s_addc_u32 s15, s15, 0
	s_add_u32 s26, s26, 16
	s_addc_u32 s27, s27, 0
	s_add_i32 s31, s37, 4
	s_add_u32 s18, s26, s28
	s_addc_u32 s19, s27, s29
	s_add_u32 s16, s14, s28
	s_addc_u32 s17, s15, s29
	s_add_i32 s30, s37, 1
	s_cmp_ge_u32 s31, s10
	s_cbranch_scc1 .LBB94_15
; %bb.10:                               ;   in Loop: Header=BB94_4 Depth=1
	s_mov_b32 s36, s30
	s_branch .LBB94_4
.LBB94_11:                              ;   in Loop: Header=BB94_4 Depth=1
	s_load_dword s37, s[30:31], 0x0
	s_waitcnt lgkmcnt(0)
	s_add_i32 s7, s16, s7
	s_add_i32 s34, s37, s34
	s_add_i32 s37, s36, 1
	s_cmp_ge_u32 s37, s11
	s_cbranch_scc1 .LBB94_6
.LBB94_12:                              ;   in Loop: Header=BB94_4 Depth=1
	s_load_dword s38, s[30:31], 0x4
	s_waitcnt lgkmcnt(0)
	s_add_i32 s7, s7, s17
	s_add_i32 s34, s38, s34
	;; [unrolled: 1-line block ×3, first 2 shown]
	s_cmp_ge_u32 s37, s11
	s_cbranch_scc1 .LBB94_7
.LBB94_13:                              ;   in Loop: Header=BB94_4 Depth=1
	s_load_dword s38, s[30:31], 0x8
	s_waitcnt lgkmcnt(0)
	s_add_i32 s7, s7, s18
	s_add_i32 s34, s38, s34
	;; [unrolled: 1-line block ×3, first 2 shown]
	s_cmp_ge_u32 s37, s11
	s_cbranch_scc0 .LBB94_8
	s_branch .LBB94_9
.LBB94_14:
	s_mov_b32 s34, 0
	s_mov_b32 s35, 0
	;; [unrolled: 1-line block ×3, first 2 shown]
	s_cmp_ge_u32 s14, s10
	s_cbranch_scc0 .LBB94_38
	s_branch .LBB94_16
.LBB94_15:
	s_add_i32 s14, s36, 4
	s_cmp_ge_u32 s14, s10
	s_cbranch_scc0 .LBB94_38
.LBB94_16:
	v_mov_b32_e32 v1, s34
	v_mov_b32_e32 v2, s35
	;; [unrolled: 1-line block ×4, first 2 shown]
	ds_write_b96 v4, v[1:3] offset:1056
.LBB94_17:
	s_or_b64 exec, exec, s[12:13]
	s_load_dword s7, s[4:5], 0x23c
	s_load_dword s16, s[4:5], 0x15c
	;; [unrolled: 1-line block ×3, first 2 shown]
	s_load_dwordx4 s[12:15], s[4:5], 0xd8
	s_mul_i32 s18, s9, s11
	s_lshl_b32 s26, s18, 8
	s_waitcnt lgkmcnt(0)
	s_add_i32 s15, s11, 1
	s_mov_b32 s11, 0
	s_sub_i32 s18, s12, s26
	s_add_u32 s18, s18, 0xff
	s_addc_u32 s19, 0, 0
	s_lshr_b64 s[18:19], s[18:19], 8
	s_cmp_lt_u32 s15, s10
	s_cselect_b32 s9, s9, s18
	s_cmp_eq_u32 s9, 0
	s_barrier
	s_cbranch_scc1 .LBB94_40
; %bb.18:
	s_mul_i32 s10, s6, s17
	s_mul_i32 s18, s6, s16
	s_lshl_b64 s[16:17], s[10:11], 1
	s_add_u32 s15, s24, s16
	s_mov_b32 s19, s11
	s_addc_u32 s16, s25, s17
	s_lshl_b64 s[18:19], s[18:19], 1
	s_mul_i32 s6, s6, s7
	s_add_u32 s17, s22, s18
	s_mov_b32 s7, s11
	v_mov_b32_e32 v5, 0
	s_addc_u32 s18, s23, s19
	s_lshl_b64 s[6:7], s[6:7], 3
	ds_read_b96 v[1:3], v5 offset:1056
	s_add_u32 s19, s20, s6
	s_addc_u32 s20, s21, s7
	s_and_b32 s10, 0xffff, s33
	s_sext_i32_i16 s6, s33
	s_cmp_gt_i32 s6, -1
	s_mov_b32 s6, 0x8000
	s_cselect_b32 s11, s6, 0xffff
	v_cmp_o_f16_e64 s[6:7], s33, s33
	s_xor_b32 s10, s11, s10
	s_waitcnt lgkmcnt(0)
	v_add_u32_e32 v2, v1, v2
	v_lshrrev_b32_e32 v1, 3, v0
	s_and_b64 s[6:7], s[6:7], exec
	v_and_b32_e32 v1, 28, v1
	s_cselect_b32 s21, s10, 0xffff
	s_bitcmp1_b32 s14, 0
	s_load_dword s10, s[4:5], 0xe8
	s_load_dword s14, s[4:5], 0x1c8
	v_lshl_add_u32 v6, v0, 2, v1
	v_lshrrev_b32_e32 v1, 1, v0
	v_and_b32_e32 v7, 0x7c, v1
	v_add_u32_e32 v1, -1, v0
	v_lshrrev_b32_e32 v4, 3, v1
	v_cmp_gt_u32_e64 s[4:5], 64, v0
	v_lshlrev_b32_e32 v8, 4, v0
	v_and_b32_e32 v4, 0x1ffffffc, v4
	v_add_u32_e32 v0, s26, v0
	v_lshl_add_u32 v9, v1, 2, v4
	s_waitcnt lgkmcnt(0)
	v_mul_lo_u32 v4, s10, v0
	v_mbcnt_lo_u32_b32 v1, -1, 0
	s_cselect_b64 s[6:7], -1, 0
	s_lshl_b32 s22, s10, 8
	v_mov_b32_e32 v10, 0xffff
	v_mov_b32_e32 v11, 0x8000
	v_mbcnt_hi_u32_b32 v12, -1, v1
                                        ; implicit-def: $vgpr13
	s_branch .LBB94_21
.LBB94_19:                              ;   in Loop: Header=BB94_21 Depth=1
	s_or_b64 exec, exec, s[10:11]
	v_add_u32_e32 v2, v16, v2
.LBB94_20:                              ;   in Loop: Header=BB94_21 Depth=1
	s_add_i32 s9, s9, -1
	v_add_u32_e32 v3, v15, v3
	v_add_u32_e32 v4, s22, v4
	s_cmp_lg_u32 s9, 0
	v_add_u32_e32 v0, 0x100, v0
	s_cbranch_scc0 .LBB94_40
.LBB94_21:                              ; =>This Inner Loop Header: Depth=1
	v_cmp_gt_u32_e32 vcc, s12, v0
	v_mov_b32_e32 v1, 0
	v_mov_b32_e32 v14, 0
	s_and_saveexec_b64 s[10:11], vcc
	s_cbranch_execz .LBB94_23
; %bb.22:                               ;   in Loop: Header=BB94_21 Depth=1
	v_lshlrev_b64 v[13:14], 1, v[4:5]
	v_mov_b32_e32 v1, s16
	v_add_co_u32_e32 v13, vcc, s15, v13
	v_addc_co_u32_e32 v14, vcc, v1, v14, vcc
	global_load_ushort v13, v[13:14], off
	s_waitcnt vmcnt(0)
	v_cmp_lt_i16_e32 vcc, -1, v13
	v_cndmask_b32_e32 v1, v10, v11, vcc
	v_xor_b32_sdwa v1, v1, v13 dst_sel:DWORD dst_unused:UNUSED_PAD src0_sel:DWORD src1_sel:WORD_0
	v_cmp_o_f16_e32 vcc, v13, v13
	v_cndmask_b32_e32 v14, v10, v1, vcc
	v_cmp_lt_u32_e32 vcc, s21, v14
	v_cndmask_b32_e64 v1, 0, 1, vcc
	v_cmp_gt_u32_e32 vcc, s21, v14
	v_cndmask_b32_e64 v15, 0, 1, vcc
	v_cndmask_b32_e64 v1, v15, v1, s[6:7]
	v_cmp_eq_u32_e32 vcc, s21, v14
	v_and_b32_e32 v1, 1, v1
	v_cndmask_b32_e64 v14, 0, 1, vcc
.LBB94_23:                              ;   in Loop: Header=BB94_21 Depth=1
	s_or_b64 exec, exec, s[10:11]
	ds_write_b32 v6, v1
	s_waitcnt vmcnt(0) lgkmcnt(0)
	s_barrier
	s_and_saveexec_b64 s[10:11], s[4:5]
	s_cbranch_execz .LBB94_25
; %bb.24:                               ;   in Loop: Header=BB94_21 Depth=1
	v_add_u32_e32 v19, v7, v8
	ds_read2_b32 v[15:16], v19 offset1:1
	ds_read2_b32 v[17:18], v19 offset0:2 offset1:3
	v_and_b32_e32 v20, 15, v12
	v_cmp_ne_u32_e32 vcc, 0, v20
	s_waitcnt lgkmcnt(1)
	v_add_u32_e32 v16, v16, v15
	s_waitcnt lgkmcnt(0)
	v_add3_u32 v16, v16, v17, v18
	v_bfe_i32 v18, v12, 4, 1
	; wave barrier
	s_nop 0
	v_mov_b32_dpp v17, v16 row_shr:1 row_mask:0xf bank_mask:0xf
	v_cndmask_b32_e32 v17, 0, v17, vcc
	v_add_u32_e32 v16, v17, v16
	v_cmp_lt_u32_e32 vcc, 1, v20
	s_nop 0
	v_mov_b32_dpp v17, v16 row_shr:2 row_mask:0xf bank_mask:0xf
	v_cndmask_b32_e32 v17, 0, v17, vcc
	v_add_u32_e32 v16, v16, v17
	v_cmp_lt_u32_e32 vcc, 3, v20
	;; [unrolled: 5-line block ×4, first 2 shown]
	s_nop 0
	v_mov_b32_dpp v17, v16 row_bcast:15 row_mask:0xf bank_mask:0xf
	v_and_b32_e32 v17, v18, v17
	v_add_u32_e32 v16, v16, v17
	v_and_b32_e32 v18, 64, v12
	s_nop 0
	v_mov_b32_dpp v17, v16 row_bcast:31 row_mask:0xf bank_mask:0xf
	v_cndmask_b32_e32 v17, 0, v17, vcc
	v_add_u32_e32 v16, v16, v17
	v_add_u32_e32 v17, -1, v12
	v_cmp_lt_i32_e32 vcc, v17, v18
	v_cndmask_b32_e32 v17, v17, v12, vcc
	v_lshlrev_b32_e32 v17, 2, v17
	ds_bpermute_b32 v16, v17, v16
	s_waitcnt lgkmcnt(0)
	v_add_u32_e32 v15, v16, v15
	v_cndmask_b32_e64 v17, v15, v1, s[2:3]
	ds_write_b32 v19, v17
	; wave barrier
	ds_read2_b32 v[15:16], v19 offset0:1 offset1:2
	ds_read_b32 v18, v19 offset:12
	s_waitcnt lgkmcnt(1)
	v_add_u32_e32 v15, v15, v17
	v_add_u32_e32 v16, v16, v15
	ds_write2_b32 v19, v15, v16 offset0:1 offset1:2
	s_waitcnt lgkmcnt(1)
	v_add_u32_e32 v15, v18, v16
	ds_write_b32 v19, v15 offset:12
.LBB94_25:                              ;   in Loop: Header=BB94_21 Depth=1
	s_or_b64 exec, exec, s[10:11]
	v_mov_b32_e32 v16, 0
	s_waitcnt lgkmcnt(0)
	s_barrier
	s_and_saveexec_b64 s[10:11], s[0:1]
; %bb.26:                               ;   in Loop: Header=BB94_21 Depth=1
	ds_read_b32 v16, v9
; %bb.27:                               ;   in Loop: Header=BB94_21 Depth=1
	s_or_b64 exec, exec, s[10:11]
	ds_read_b32 v15, v5 offset:1048
	v_cmp_ne_u32_e32 vcc, 0, v1
	s_waitcnt lgkmcnt(0)
	s_barrier
	s_and_saveexec_b64 s[10:11], vcc
	s_cbranch_execz .LBB94_29
; %bb.28:                               ;   in Loop: Header=BB94_21 Depth=1
	v_add_u32_e32 v1, v16, v3
	v_mul_lo_u32 v16, v1, s14
	v_mov_b32_e32 v17, v5
	v_mov_b32_e32 v18, s18
	;; [unrolled: 1-line block ×3, first 2 shown]
	v_lshlrev_b64 v[16:17], 1, v[16:17]
	v_add_co_u32_e32 v16, vcc, s17, v16
	v_addc_co_u32_e32 v17, vcc, v18, v17, vcc
	v_mul_lo_u32 v18, v1, s8
	global_store_short v[16:17], v13, off
	v_mov_b32_e32 v1, v5
	v_lshlrev_b64 v[16:17], 3, v[18:19]
	v_mov_b32_e32 v18, s20
	v_add_co_u32_e32 v16, vcc, s19, v16
	v_addc_co_u32_e32 v17, vcc, v18, v17, vcc
	global_store_dwordx2 v[16:17], v[0:1], off
.LBB94_29:                              ;   in Loop: Header=BB94_21 Depth=1
	s_or_b64 exec, exec, s[10:11]
	v_cmp_le_u32_e32 vcc, s13, v2
	s_cbranch_vccnz .LBB94_20
; %bb.30:                               ;   in Loop: Header=BB94_21 Depth=1
	ds_write_b32 v6, v14
	s_waitcnt vmcnt(0) lgkmcnt(0)
	s_barrier
	s_and_saveexec_b64 s[10:11], s[4:5]
	s_cbranch_execz .LBB94_32
; %bb.31:                               ;   in Loop: Header=BB94_21 Depth=1
	v_add_u32_e32 v1, v7, v8
	ds_read2_b32 v[16:17], v1 offset1:1
	ds_read2_b32 v[18:19], v1 offset0:2 offset1:3
	v_and_b32_e32 v20, 15, v12
	v_cmp_ne_u32_e32 vcc, 0, v20
	s_waitcnt lgkmcnt(1)
	v_add_u32_e32 v17, v17, v16
	s_waitcnt lgkmcnt(0)
	v_add3_u32 v17, v17, v18, v19
	v_bfe_i32 v19, v12, 4, 1
	; wave barrier
	s_nop 0
	v_mov_b32_dpp v18, v17 row_shr:1 row_mask:0xf bank_mask:0xf
	v_cndmask_b32_e32 v18, 0, v18, vcc
	v_add_u32_e32 v17, v18, v17
	v_cmp_lt_u32_e32 vcc, 1, v20
	s_nop 0
	v_mov_b32_dpp v18, v17 row_shr:2 row_mask:0xf bank_mask:0xf
	v_cndmask_b32_e32 v18, 0, v18, vcc
	v_add_u32_e32 v17, v17, v18
	v_cmp_lt_u32_e32 vcc, 3, v20
	;; [unrolled: 5-line block ×4, first 2 shown]
	s_nop 0
	v_mov_b32_dpp v18, v17 row_bcast:15 row_mask:0xf bank_mask:0xf
	v_and_b32_e32 v18, v19, v18
	v_add_u32_e32 v17, v17, v18
	v_and_b32_e32 v19, 64, v12
	s_nop 0
	v_mov_b32_dpp v18, v17 row_bcast:31 row_mask:0xf bank_mask:0xf
	v_cndmask_b32_e32 v18, 0, v18, vcc
	v_add_u32_e32 v17, v17, v18
	v_add_u32_e32 v18, -1, v12
	v_cmp_lt_i32_e32 vcc, v18, v19
	v_cndmask_b32_e32 v18, v18, v12, vcc
	v_lshlrev_b32_e32 v18, 2, v18
	ds_bpermute_b32 v17, v18, v17
	s_waitcnt lgkmcnt(0)
	v_add_u32_e32 v16, v17, v16
	v_cndmask_b32_e64 v18, v16, v14, s[2:3]
	ds_write_b32 v1, v18
	; wave barrier
	ds_read2_b32 v[16:17], v1 offset0:1 offset1:2
	ds_read_b32 v19, v1 offset:12
	s_waitcnt lgkmcnt(1)
	v_add_u32_e32 v16, v16, v18
	v_add_u32_e32 v17, v17, v16
	ds_write2_b32 v1, v16, v17 offset0:1 offset1:2
	s_waitcnt lgkmcnt(1)
	v_add_u32_e32 v16, v19, v17
	ds_write_b32 v1, v16 offset:12
.LBB94_32:                              ;   in Loop: Header=BB94_21 Depth=1
	s_or_b64 exec, exec, s[10:11]
	v_mov_b32_e32 v1, 0
	s_waitcnt lgkmcnt(0)
	s_barrier
	s_and_saveexec_b64 s[10:11], s[0:1]
; %bb.33:                               ;   in Loop: Header=BB94_21 Depth=1
	ds_read_b32 v1, v9
; %bb.34:                               ;   in Loop: Header=BB94_21 Depth=1
	s_or_b64 exec, exec, s[10:11]
	ds_read_b32 v16, v5 offset:1048
	v_cmp_ne_u32_e32 vcc, 0, v14
	s_waitcnt lgkmcnt(0)
	s_barrier
	s_and_saveexec_b64 s[10:11], vcc
	s_cbranch_execz .LBB94_19
; %bb.35:                               ;   in Loop: Header=BB94_21 Depth=1
	v_add_u32_e32 v1, v1, v2
	v_cmp_gt_u32_e32 vcc, s13, v1
	s_and_b64 exec, exec, vcc
	s_cbranch_execz .LBB94_19
; %bb.36:                               ;   in Loop: Header=BB94_21 Depth=1
	v_mul_lo_u32 v17, v1, s14
	v_mov_b32_e32 v18, v5
	v_mul_lo_u32 v19, v1, s8
	v_mov_b32_e32 v14, s18
	v_lshlrev_b64 v[17:18], 1, v[17:18]
	v_mov_b32_e32 v20, v5
	v_add_co_u32_e32 v17, vcc, s17, v17
	v_addc_co_u32_e32 v18, vcc, v14, v18, vcc
	global_store_short v[17:18], v13, off
	v_lshlrev_b64 v[17:18], 3, v[19:20]
	v_mov_b32_e32 v14, s20
	v_add_co_u32_e32 v17, vcc, s19, v17
	v_mov_b32_e32 v1, v5
	v_addc_co_u32_e32 v18, vcc, v14, v18, vcc
	global_store_dwordx2 v[17:18], v[0:1], off
	s_branch .LBB94_19
.LBB94_37:                              ;   in Loop: Header=BB94_38 Depth=1
	s_add_u32 s16, s16, 4
	s_addc_u32 s17, s17, 0
	s_waitcnt lgkmcnt(0)
	s_add_i32 s35, s15, s35
	s_add_u32 s18, s18, 4
	s_addc_u32 s19, s19, 0
	s_add_i32 s14, s14, 1
	s_cmp_lt_u32 s14, s10
	s_cbranch_scc0 .LBB94_16
.LBB94_38:                              ; =>This Inner Loop Header: Depth=1
	s_load_dword s15, s[16:17], 0x0
	s_cmp_ge_u32 s14, s11
	s_cbranch_scc1 .LBB94_37
; %bb.39:                               ;   in Loop: Header=BB94_38 Depth=1
	s_load_dword s26, s[18:19], 0x0
	s_waitcnt lgkmcnt(0)
	s_add_i32 s7, s15, s7
	s_add_i32 s34, s26, s34
	s_branch .LBB94_37
.LBB94_40:
	s_endpgm
	.section	.rodata,"a",@progbits
	.p2align	6, 0x0
	.amdhsa_kernel _ZN2at6native6mbtopk10gatherTopKIN3c104HalfEjLi1EEEvNS_4cuda6detail10TensorInfoIKT_T0_EESA_SA_bjSA_NS7_IS8_SA_EESA_NS7_IlSA_EESA_jjPS8_PjSF_j
		.amdhsa_group_segment_fixed_size 1068
		.amdhsa_private_segment_fixed_size 0
		.amdhsa_kernarg_size 984
		.amdhsa_user_sgpr_count 6
		.amdhsa_user_sgpr_private_segment_buffer 1
		.amdhsa_user_sgpr_dispatch_ptr 0
		.amdhsa_user_sgpr_queue_ptr 0
		.amdhsa_user_sgpr_kernarg_segment_ptr 1
		.amdhsa_user_sgpr_dispatch_id 0
		.amdhsa_user_sgpr_flat_scratch_init 0
		.amdhsa_user_sgpr_private_segment_size 0
		.amdhsa_uses_dynamic_stack 0
		.amdhsa_system_sgpr_private_segment_wavefront_offset 0
		.amdhsa_system_sgpr_workgroup_id_x 1
		.amdhsa_system_sgpr_workgroup_id_y 1
		.amdhsa_system_sgpr_workgroup_id_z 1
		.amdhsa_system_sgpr_workgroup_info 0
		.amdhsa_system_vgpr_workitem_id 0
		.amdhsa_next_free_vgpr 21
		.amdhsa_next_free_sgpr 39
		.amdhsa_reserve_vcc 1
		.amdhsa_reserve_flat_scratch 0
		.amdhsa_float_round_mode_32 0
		.amdhsa_float_round_mode_16_64 0
		.amdhsa_float_denorm_mode_32 3
		.amdhsa_float_denorm_mode_16_64 3
		.amdhsa_dx10_clamp 1
		.amdhsa_ieee_mode 1
		.amdhsa_fp16_overflow 0
		.amdhsa_exception_fp_ieee_invalid_op 0
		.amdhsa_exception_fp_denorm_src 0
		.amdhsa_exception_fp_ieee_div_zero 0
		.amdhsa_exception_fp_ieee_overflow 0
		.amdhsa_exception_fp_ieee_underflow 0
		.amdhsa_exception_fp_ieee_inexact 0
		.amdhsa_exception_int_div_zero 0
	.end_amdhsa_kernel
	.section	.text._ZN2at6native6mbtopk10gatherTopKIN3c104HalfEjLi1EEEvNS_4cuda6detail10TensorInfoIKT_T0_EESA_SA_bjSA_NS7_IS8_SA_EESA_NS7_IlSA_EESA_jjPS8_PjSF_j,"axG",@progbits,_ZN2at6native6mbtopk10gatherTopKIN3c104HalfEjLi1EEEvNS_4cuda6detail10TensorInfoIKT_T0_EESA_SA_bjSA_NS7_IS8_SA_EESA_NS7_IlSA_EESA_jjPS8_PjSF_j,comdat
.Lfunc_end94:
	.size	_ZN2at6native6mbtopk10gatherTopKIN3c104HalfEjLi1EEEvNS_4cuda6detail10TensorInfoIKT_T0_EESA_SA_bjSA_NS7_IS8_SA_EESA_NS7_IlSA_EESA_jjPS8_PjSF_j, .Lfunc_end94-_ZN2at6native6mbtopk10gatherTopKIN3c104HalfEjLi1EEEvNS_4cuda6detail10TensorInfoIKT_T0_EESA_SA_bjSA_NS7_IS8_SA_EESA_NS7_IlSA_EESA_jjPS8_PjSF_j
                                        ; -- End function
	.set _ZN2at6native6mbtopk10gatherTopKIN3c104HalfEjLi1EEEvNS_4cuda6detail10TensorInfoIKT_T0_EESA_SA_bjSA_NS7_IS8_SA_EESA_NS7_IlSA_EESA_jjPS8_PjSF_j.num_vgpr, 21
	.set _ZN2at6native6mbtopk10gatherTopKIN3c104HalfEjLi1EEEvNS_4cuda6detail10TensorInfoIKT_T0_EESA_SA_bjSA_NS7_IS8_SA_EESA_NS7_IlSA_EESA_jjPS8_PjSF_j.num_agpr, 0
	.set _ZN2at6native6mbtopk10gatherTopKIN3c104HalfEjLi1EEEvNS_4cuda6detail10TensorInfoIKT_T0_EESA_SA_bjSA_NS7_IS8_SA_EESA_NS7_IlSA_EESA_jjPS8_PjSF_j.numbered_sgpr, 39
	.set _ZN2at6native6mbtopk10gatherTopKIN3c104HalfEjLi1EEEvNS_4cuda6detail10TensorInfoIKT_T0_EESA_SA_bjSA_NS7_IS8_SA_EESA_NS7_IlSA_EESA_jjPS8_PjSF_j.num_named_barrier, 0
	.set _ZN2at6native6mbtopk10gatherTopKIN3c104HalfEjLi1EEEvNS_4cuda6detail10TensorInfoIKT_T0_EESA_SA_bjSA_NS7_IS8_SA_EESA_NS7_IlSA_EESA_jjPS8_PjSF_j.private_seg_size, 0
	.set _ZN2at6native6mbtopk10gatherTopKIN3c104HalfEjLi1EEEvNS_4cuda6detail10TensorInfoIKT_T0_EESA_SA_bjSA_NS7_IS8_SA_EESA_NS7_IlSA_EESA_jjPS8_PjSF_j.uses_vcc, 1
	.set _ZN2at6native6mbtopk10gatherTopKIN3c104HalfEjLi1EEEvNS_4cuda6detail10TensorInfoIKT_T0_EESA_SA_bjSA_NS7_IS8_SA_EESA_NS7_IlSA_EESA_jjPS8_PjSF_j.uses_flat_scratch, 0
	.set _ZN2at6native6mbtopk10gatherTopKIN3c104HalfEjLi1EEEvNS_4cuda6detail10TensorInfoIKT_T0_EESA_SA_bjSA_NS7_IS8_SA_EESA_NS7_IlSA_EESA_jjPS8_PjSF_j.has_dyn_sized_stack, 0
	.set _ZN2at6native6mbtopk10gatherTopKIN3c104HalfEjLi1EEEvNS_4cuda6detail10TensorInfoIKT_T0_EESA_SA_bjSA_NS7_IS8_SA_EESA_NS7_IlSA_EESA_jjPS8_PjSF_j.has_recursion, 0
	.set _ZN2at6native6mbtopk10gatherTopKIN3c104HalfEjLi1EEEvNS_4cuda6detail10TensorInfoIKT_T0_EESA_SA_bjSA_NS7_IS8_SA_EESA_NS7_IlSA_EESA_jjPS8_PjSF_j.has_indirect_call, 0
	.section	.AMDGPU.csdata,"",@progbits
; Kernel info:
; codeLenInByte = 2192
; TotalNumSgprs: 43
; NumVgprs: 21
; ScratchSize: 0
; MemoryBound: 0
; FloatMode: 240
; IeeeMode: 1
; LDSByteSize: 1068 bytes/workgroup (compile time only)
; SGPRBlocks: 5
; VGPRBlocks: 5
; NumSGPRsForWavesPerEU: 43
; NumVGPRsForWavesPerEU: 21
; Occupancy: 10
; WaveLimiterHint : 1
; COMPUTE_PGM_RSRC2:SCRATCH_EN: 0
; COMPUTE_PGM_RSRC2:USER_SGPR: 6
; COMPUTE_PGM_RSRC2:TRAP_HANDLER: 0
; COMPUTE_PGM_RSRC2:TGID_X_EN: 1
; COMPUTE_PGM_RSRC2:TGID_Y_EN: 1
; COMPUTE_PGM_RSRC2:TGID_Z_EN: 1
; COMPUTE_PGM_RSRC2:TIDIG_COMP_CNT: 0
	.section	.text._ZN2at6native6sbtopk10gatherTopKIN3c104HalfEjLi1ELb0EEEvNS_4cuda6detail10TensorInfoIKT_T0_EESA_SA_bSA_SA_NS7_IS8_SA_EESA_NS7_IlSA_EESA_PS8_,"axG",@progbits,_ZN2at6native6sbtopk10gatherTopKIN3c104HalfEjLi1ELb0EEEvNS_4cuda6detail10TensorInfoIKT_T0_EESA_SA_bSA_SA_NS7_IS8_SA_EESA_NS7_IlSA_EESA_PS8_,comdat
	.protected	_ZN2at6native6sbtopk10gatherTopKIN3c104HalfEjLi1ELb0EEEvNS_4cuda6detail10TensorInfoIKT_T0_EESA_SA_bSA_SA_NS7_IS8_SA_EESA_NS7_IlSA_EESA_PS8_ ; -- Begin function _ZN2at6native6sbtopk10gatherTopKIN3c104HalfEjLi1ELb0EEEvNS_4cuda6detail10TensorInfoIKT_T0_EESA_SA_bSA_SA_NS7_IS8_SA_EESA_NS7_IlSA_EESA_PS8_
	.globl	_ZN2at6native6sbtopk10gatherTopKIN3c104HalfEjLi1ELb0EEEvNS_4cuda6detail10TensorInfoIKT_T0_EESA_SA_bSA_SA_NS7_IS8_SA_EESA_NS7_IlSA_EESA_PS8_
	.p2align	8
	.type	_ZN2at6native6sbtopk10gatherTopKIN3c104HalfEjLi1ELb0EEEvNS_4cuda6detail10TensorInfoIKT_T0_EESA_SA_bSA_SA_NS7_IS8_SA_EESA_NS7_IlSA_EESA_PS8_,@function
_ZN2at6native6sbtopk10gatherTopKIN3c104HalfEjLi1ELb0EEEvNS_4cuda6detail10TensorInfoIKT_T0_EESA_SA_bSA_SA_NS7_IS8_SA_EESA_NS7_IlSA_EESA_PS8_: ; @_ZN2at6native6sbtopk10gatherTopKIN3c104HalfEjLi1ELb0EEEvNS_4cuda6detail10TensorInfoIKT_T0_EESA_SA_bSA_SA_NS7_IS8_SA_EESA_NS7_IlSA_EESA_PS8_
; %bb.0:
	s_load_dwordx2 s[14:15], s[4:5], 0x2b8
	s_load_dwordx4 s[36:39], s[4:5], 0xd8
	s_add_u32 s12, s4, 0x2b8
	s_addc_u32 s13, s5, 0
	s_waitcnt lgkmcnt(0)
	s_mul_i32 s0, s15, s8
	s_add_i32 s0, s0, s7
	s_mul_i32 s0, s0, s14
	s_add_i32 s10, s0, s6
	s_cmp_ge_u32 s10, s39
	s_cbranch_scc1 .LBB95_427
; %bb.1:
	s_load_dwordx2 s[0:1], s[4:5], 0x1d0
	s_load_dword s7, s[4:5], 0x6c
                                        ; implicit-def: $vgpr52 : SGPR spill to VGPR lane
	s_mov_b32 s45, 0
	s_waitcnt lgkmcnt(0)
	v_writelane_b32 v52, s0, 0
	v_writelane_b32 v52, s1, 1
	s_load_dword s48, s[4:5], 0xe8
	s_load_dwordx2 s[0:1], s[4:5], 0xf0
	s_waitcnt lgkmcnt(0)
	v_writelane_b32 v52, s0, 2
	v_writelane_b32 v52, s1, 3
	;; [unrolled: 1-line block ×3, first 2 shown]
	s_load_dwordx2 s[0:1], s[4:5], 0x0
	v_writelane_b32 v52, s5, 5
	v_cmp_eq_u32_e64 s[4:5], 0, v0
	v_writelane_b32 v52, s4, 6
	v_writelane_b32 v52, s5, 7
	s_and_saveexec_b64 s[2:3], s[4:5]
; %bb.2:
	v_mov_b32_e32 v1, 0
	v_mov_b32_e32 v2, s36
	;; [unrolled: 1-line block ×3, first 2 shown]
	ds_write_b96 v1, v[1:3] offset:4096
; %bb.3:
	s_or_b64 exec, exec, s[2:3]
	s_mul_i32 s44, s7, s10
	s_lshl_b64 s[2:3], s[44:45], 1
	s_waitcnt lgkmcnt(0)
	s_add_u32 s33, s0, s2
	s_addc_u32 s44, s1, s3
	s_barrier
	s_load_dword s0, s[12:13], 0xc
	s_bitcmp1_b32 s38, 0
	v_writelane_b32 v52, s10, 8
	s_cselect_b64 s[2:3], -1, 0
	v_writelane_b32 v52, s2, 9
	v_writelane_b32 v52, s3, 10
	s_xor_b64 s[2:3], s[2:3], -1
	v_mbcnt_lo_u32_b32 v1, -1, 0
	v_writelane_b32 v52, s2, 11
	v_mbcnt_hi_u32_b32 v24, -1, v1
	v_writelane_b32 v52, s3, 12
	s_waitcnt lgkmcnt(0)
	s_and_b32 s8, s0, 0xffff
	v_cmp_gt_u32_e32 vcc, 64, v0
	v_cmp_gt_i32_e64 s[2:3], 4, v24
	s_lshl_b32 s49, s8, 2
	s_bfe_u32 s4, s0, 0xa0006
	s_and_b64 s[2:3], vcc, s[2:3]
	v_writelane_b32 v52, s2, 13
	s_cmpk_gt_u32 s36, 0x600
	v_writelane_b32 v52, s3, 14
	s_cselect_b64 s[2:3], -1, 0
	v_mul_lo_u32 v7, s48, v0
	v_writelane_b32 v52, s2, 15
	v_writelane_b32 v52, s3, 16
	v_cmp_gt_u32_e64 s[2:3], s36, v0
	v_mov_b32_e32 v9, 0
	v_writelane_b32 v52, s2, 17
	s_cmp_gt_u32 s8, 63
	v_mov_b32_e32 v8, v9
	v_writelane_b32 v52, s3, 18
	s_cselect_b64 s[2:3], -1, 0
	v_lshlrev_b64 v[1:2], 1, v[7:8]
	v_writelane_b32 v52, s2, 19
	v_writelane_b32 v52, s3, 20
	v_cmp_gt_u32_e64 s[2:3], 2, v0
	v_mov_b32_e32 v3, s44
	v_add_co_u32_e32 v5, vcc, s33, v1
	v_writelane_b32 v52, s2, 21
	v_addc_co_u32_e32 v6, vcc, v3, v2, vcc
	v_writelane_b32 v52, s3, 22
	s_add_i32 s2, s8, -1
	v_lshlrev_b64 v[2:3], v24, -1
	v_writelane_b32 v52, s2, 23
	s_add_i32 s2, s2, s36
	v_not_b32_e32 v22, v2
	v_lshrrev_b32_e32 v2, 2, v0
	s_cmp_lt_u32 s6, s14
	v_and_b32_e32 v2, 0xf0, v2
	s_cselect_b32 s3, 12, 18
	v_or_b32_e32 v27, 0xc00, v2
	s_add_u32 s6, s12, s3
	v_add_u32_e32 v2, 2, v0
	s_addc_u32 s7, s13, 0
	v_max_u32_e32 v2, s36, v2
	v_writelane_b32 v52, s6, 24
	v_xad_u32 v2, v0, -1, v2
	v_not_b32_e32 v21, v3
	v_writelane_b32 v52, s7, 25
	v_add_u32_e32 v3, -2, v2
	v_cmp_lt_u32_e64 s[6:7], 31, v2
	v_lshrrev_b32_e32 v4, 1, v3
	v_writelane_b32 v52, s6, 26
	v_add_u32_e32 v4, 1, v4
	v_writelane_b32 v52, s7, 27
	v_cmp_lt_u32_e64 s[6:7], 13, v3
	v_and_b32_e32 v12, 7, v4
	v_writelane_b32 v52, s6, 28
	v_writelane_b32 v52, s7, 29
	v_cmp_ne_u32_e64 s[6:7], 0, v12
	v_and_b32_e32 v28, -2, v2
	v_writelane_b32 v52, s6, 30
	v_writelane_b32 v52, s7, 31
	v_cmp_ne_u32_e64 s[6:7], v2, v28
	v_cvt_f32_u32_e32 v2, s49
	v_writelane_b32 v52, s6, 32
	s_add_i32 s3, s4, -1
	v_writelane_b32 v52, s7, 33
	v_rcp_iflag_f32_e32 v2, v2
	s_bfe_u32 s6, s8, 0x30006
	s_and_b32 s3, s3, 0xffff
	s_cmp_gt_u32 s3, 6
	s_cselect_b64 s[10:11], -1, 0
	v_mul_f32_e32 v2, 0x4f7ffffe, v2
	v_writelane_b32 v52, s10, 34
	s_and_b32 s4, s4, 0x3f8
	v_cvt_u32_f32_e32 v2, v2
	v_writelane_b32 v52, s11, 35
	s_cmp_lg_u32 s6, 0
	v_writelane_b32 v52, s6, 36
	s_cselect_b64 s[6:7], -1, 0
	v_writelane_b32 v52, s6, 37
	v_writelane_b32 v52, s7, 38
	s_sub_i32 s3, 0, s49
	v_readfirstlane_b32 s6, v2
	s_mul_i32 s3, s3, s6
	s_mul_hi_u32 s3, s6, s3
	s_add_i32 s3, s6, s3
	v_writelane_b32 v52, s3, 39
	s_mul_hi_u32 s3, s36, s3
	s_mul_i32 s3, s3, s49
	v_cvt_f32_u32_e32 v2, s8
	s_sub_i32 s3, s36, s3
	s_sub_i32 s6, s3, s49
	s_cmp_ge_u32 s3, s49
	v_and_b32_e32 v30, -8, v4
	s_cselect_b32 s3, s6, s3
	v_rcp_iflag_f32_e32 v4, v2
	s_sub_i32 s6, s3, s49
	s_cmp_ge_u32 s3, s49
	s_cselect_b32 s3, s6, s3
	v_lshlrev_b32_e32 v23, 2, v0
	s_sub_i32 s51, s36, s3
	v_mul_f32_e32 v4, 0x4f7ffffe, v4
	v_cmp_gt_u32_e64 s[6:7], s51, v23
	v_cvt_u32_f32_e32 v4, v4
	v_add_u32_e32 v31, s51, v0
	v_writelane_b32 v52, s6, 40
	v_writelane_b32 v52, s7, 41
	v_cmp_gt_u32_e64 s[6:7], s36, v31
	v_writelane_b32 v52, s6, 42
	v_writelane_b32 v52, s7, 43
	s_sub_i32 s6, 0, s8
	v_readfirstlane_b32 s7, v4
	s_mul_i32 s6, s6, s7
	v_mul_lo_u32 v8, v31, s48
	s_mul_hi_u32 s6, s7, s6
	s_add_i32 s6, s7, s6
	v_writelane_b32 v52, s6, 44
	s_mul_hi_u32 s6, s2, s6
	s_mul_i32 s6, s6, s8
	v_lshlrev_b64 v[2:3], 1, v[8:9]
	s_sub_i32 s6, s2, s6
	s_sub_i32 s7, s6, s8
	v_add_co_u32_e32 v10, vcc, s33, v2
	s_cmp_ge_u32 s6, s8
	v_mul_lo_u32 v2, s48, v23
	s_cselect_b32 s6, s7, s6
	s_sub_i32 s7, s6, s8
	s_cmp_ge_u32 s6, s8
	s_cselect_b32 s6, s7, s6
	v_add_u32_e32 v33, s48, v2
	v_or_b32_e32 v2, 2, v23
	s_sub_i32 s20, s2, s6
	v_mul_lo_u32 v34, s48, v2
	v_or_b32_e32 v2, 3, v23
	s_add_i32 s2, s8, s36
	v_mul_lo_u32 v35, s48, v2
	v_add_u32_e32 v2, s2, v0
	v_subrev_u32_e32 v2, s3, v2
	v_mul_lo_u32 v36, s48, v2
	v_lshlrev_b32_e32 v25, 1, v0
	v_lshlrev_b32_e32 v1, 2, v24
	v_mov_b32_e32 v8, s44
	v_cmp_gt_u32_e64 s[6:7], s20, v0
	s_mul_i32 s9, s48, s8
	v_cmp_eq_u32_e64 s[0:1], 0, v24
	v_add_u32_e32 v26, 0xc00, v25
	v_and_b32_e32 v20, 0x100, v1
	v_add_u32_e32 v29, v0, v28
	s_mov_b32 s5, s48
	v_addc_co_u32_e32 v11, vcc, v8, v3, vcc
	v_writelane_b32 v52, s6, 45
	v_lshlrev_b32_e32 v32, 2, v12
	s_lshl_b32 s21, s9, 2
	s_lshl_b32 s22, s8, 3
	;; [unrolled: 1-line block ×3, first 2 shown]
	v_or_b32_e32 v38, 0xc00, v1
	s_mov_b32 s11, 14
	s_mov_b64 s[58:59], 0
	s_movk_i32 s10, 0x3c00
	v_lshlrev_b32_e32 v39, 2, v7
	v_lshlrev_b32_e32 v40, 3, v0
	v_mov_b32_e32 v47, s37
	v_mov_b32_e32 v41, 0xffff
	;; [unrolled: 1-line block ×3, first 2 shown]
	v_mov_b32_e32 v43, -1
	v_mov_b32_e32 v44, 0x5040100
	v_mov_b32_e32 v46, 0
	;; [unrolled: 1-line block ×4, first 2 shown]
	v_writelane_b32 v52, s7, 46
                                        ; implicit-def: $sgpr60_sgpr61
                                        ; implicit-def: $sgpr62_sgpr63
                                        ; implicit-def: $sgpr64_sgpr65
                                        ; implicit-def: $sgpr68_sgpr69
                                        ; implicit-def: $sgpr66_sgpr67
                                        ; implicit-def: $sgpr70_sgpr71
                                        ; implicit-def: $sgpr72_sgpr73
                                        ; implicit-def: $sgpr74_sgpr75
                                        ; implicit-def: $sgpr76_sgpr77
                                        ; implicit-def: $sgpr78_sgpr79
	s_branch .LBB95_6
.LBB95_4:                               ;   in Loop: Header=BB95_6 Depth=1
	s_or_b64 exec, exec, s[14:15]
	s_andn2_b64 s[14:15], s[78:79], exec
	s_and_b64 s[12:13], s[12:13], exec
	s_or_b64 s[78:79], s[14:15], s[12:13]
	s_andn2_b64 s[76:77], s[76:77], exec
	s_andn2_b64 s[74:75], s[74:75], exec
	;; [unrolled: 1-line block ×4, first 2 shown]
	s_orn2_b64 s[6:7], s[6:7], exec
	v_mov_b32_e32 v47, v4
.LBB95_5:                               ;   in Loop: Header=BB95_6 Depth=1
	s_or_b64 exec, exec, s[2:3]
	s_and_b64 s[2:3], exec, s[6:7]
	s_or_b64 s[58:59], s[2:3], s[58:59]
	s_andn2_b64 s[2:3], s[66:67], exec
	s_and_b64 s[6:7], s[78:79], exec
	s_or_b64 s[66:67], s[2:3], s[6:7]
	s_andn2_b64 s[2:3], s[68:69], exec
	s_and_b64 s[6:7], s[76:77], exec
	;; [unrolled: 3-line block ×5, first 2 shown]
	s_or_b64 s[60:61], s[2:3], s[6:7]
	s_andn2_b64 exec, exec, s[58:59]
	s_cbranch_execz .LBB95_423
.LBB95_6:                               ; =>This Loop Header: Depth=1
                                        ;     Child Loop BB95_11 Depth 2
                                        ;     Child Loop BB95_32 Depth 2
	;; [unrolled: 1-line block ×26, first 2 shown]
	ds_read_b64 v[1:2], v9 offset:4096
	s_waitcnt lgkmcnt(0)
	v_readfirstlane_b32 s18, v1
	s_cmp_lg_u32 s18, 0
	s_cbranch_scc1 .LBB95_51
; %bb.7:                                ;   in Loop: Header=BB95_6 Depth=1
	v_readlane_b32 s2, v52, 15
	v_readlane_b32 s3, v52, 16
	s_and_b64 vcc, exec, s[2:3]
	s_cbranch_vccz .LBB95_19
; %bb.8:                                ;   in Loop: Header=BB95_6 Depth=1
	s_movk_i32 s6, 0x601
	v_cmp_gt_u32_e32 vcc, s6, v2
	s_mov_b64 s[2:3], 0
	s_mov_b64 s[6:7], 0
	s_cbranch_vccz .LBB95_20
; %bb.9:                                ;   in Loop: Header=BB95_6 Depth=1
	v_readlane_b32 s6, v52, 24
	v_readlane_b32 s7, v52, 25
	s_nop 4
	global_load_ushort v1, v9, s[6:7]
	global_load_ushort v4, v[5:6], off
	s_mov_b64 s[12:13], 0
	v_mov_b32_e32 v3, v0
	s_waitcnt vmcnt(1)
	v_add_u32_e32 v2, v0, v1
	v_mul_lo_u32 v8, s48, v2
	v_mul_lo_u32 v2, s48, v1
	s_branch .LBB95_11
.LBB95_10:                              ;   in Loop: Header=BB95_11 Depth=2
	s_or_b64 exec, exec, s[6:7]
	v_add_u32_e32 v8, v8, v2
	v_mov_b32_e32 v4, v12
	s_andn2_b64 exec, exec, s[12:13]
	s_cbranch_execz .LBB95_26
.LBB95_11:                              ;   Parent Loop BB95_6 Depth=1
                                        ; =>  This Inner Loop Header: Depth=2
	v_add_u32_e32 v3, v3, v1
	v_cmp_gt_u32_e64 s[6:7], s36, v3
	v_cmp_le_u32_e32 vcc, s36, v3
	s_waitcnt lgkmcnt(0)
	v_mov_b32_e32 v13, 0
	v_mov_b32_e32 v12, 0
	s_and_saveexec_b64 s[14:15], s[6:7]
	s_cbranch_execz .LBB95_13
; %bb.12:                               ;   in Loop: Header=BB95_11 Depth=2
	v_lshlrev_b64 v[14:15], 1, v[8:9]
	v_mov_b32_e32 v12, s44
	v_add_co_u32_e64 v14, s[6:7], s33, v14
	v_addc_co_u32_e64 v15, s[6:7], v12, v15, s[6:7]
	global_load_ushort v12, v[14:15], off
.LBB95_13:                              ;   in Loop: Header=BB95_11 Depth=2
	s_or_b64 exec, exec, s[14:15]
	s_waitcnt vmcnt(0)
	v_cmp_lt_i16_e64 s[6:7], -1, v4
	v_cndmask_b32_e64 v14, v41, v42, s[6:7]
	v_xor_b32_sdwa v14, v14, v4 dst_sel:DWORD dst_unused:UNUSED_PAD src0_sel:DWORD src1_sel:WORD_0
	v_cmp_o_f16_e64 s[6:7], v4, v4
	v_cndmask_b32_e64 v14, v41, v14, s[6:7]
	v_and_b32_e32 v14, v14, v45
	v_cmp_eq_u32_e64 s[26:27], v14, v37
	s_cmp_lg_u64 s[26:27], 0
	s_cselect_b64 s[6:7], -1, 0
	s_and_b64 s[6:7], s[0:1], s[6:7]
	s_and_saveexec_b64 s[14:15], s[6:7]
	s_cbranch_execz .LBB95_17
; %bb.14:                               ;   in Loop: Header=BB95_11 Depth=2
	s_mov_b64 s[18:19], exec
	v_mbcnt_lo_u32_b32 v13, s18, 0
	v_mbcnt_hi_u32_b32 v13, s19, v13
	s_bcnt1_i32_b64 s24, s[26:27]
	v_cmp_eq_u32_e64 s[6:7], 0, v13
                                        ; implicit-def: $vgpr14
	s_and_saveexec_b64 s[16:17], s[6:7]
; %bb.15:                               ;   in Loop: Header=BB95_11 Depth=2
	s_bcnt1_i32_b64 s6, s[18:19]
	s_mul_i32 s6, s24, s6
	v_mov_b32_e32 v14, s6
	ds_add_rtn_u32 v14, v9, v14 offset:4104
; %bb.16:                               ;   in Loop: Header=BB95_11 Depth=2
	s_or_b64 exec, exec, s[16:17]
	s_waitcnt lgkmcnt(0)
	v_readfirstlane_b32 s6, v14
	v_mov_b32_e32 v14, s6
	v_mad_u32_u24 v13, s24, v13, v14
.LBB95_17:                              ;   in Loop: Header=BB95_11 Depth=2
	s_or_b64 exec, exec, s[14:15]
	ds_bpermute_b32 v13, v20, v13
	s_and_b64 s[6:7], exec, vcc
	s_or_b64 s[12:13], s[6:7], s[12:13]
	s_and_saveexec_b64 s[6:7], s[26:27]
	s_cbranch_execz .LBB95_10
; %bb.18:                               ;   in Loop: Header=BB95_11 Depth=2
	v_and_b32_e32 v15, s26, v22
	v_and_b32_e32 v14, s27, v21
	v_bcnt_u32_b32 v15, v15, 0
	v_bcnt_u32_b32 v14, v14, v15
	v_lshlrev_b32_e32 v14, 1, v14
	s_waitcnt lgkmcnt(0)
	v_lshl_add_u32 v13, v13, 1, v14
	ds_write_b16 v13, v4
	s_branch .LBB95_10
.LBB95_19:                              ;   in Loop: Header=BB95_6 Depth=1
	s_mov_b64 s[2:3], -1
	s_mov_b64 s[6:7], 0
.LBB95_20:                              ;   in Loop: Header=BB95_6 Depth=1
	s_and_b64 vcc, exec, s[2:3]
	s_cbranch_vccz .LBB95_49
.LBB95_21:                              ;   in Loop: Header=BB95_6 Depth=1
	s_mov_b64 s[26:27], exec
	v_readlane_b32 s2, v52, 17
	v_readlane_b32 s3, v52, 18
	s_and_b64 s[2:3], s[26:27], s[2:3]
	s_mov_b64 exec, s[2:3]
	s_cbranch_execz .LBB95_46
; %bb.22:                               ;   in Loop: Header=BB95_6 Depth=1
	v_readlane_b32 s2, v52, 24
	v_readlane_b32 s3, v52, 25
	s_nop 4
	global_load_ushort v1, v9, s[2:3]
	global_load_ushort v16, v[5:6], off
	s_waitcnt vmcnt(1)
	v_add_u32_e32 v12, v0, v1
	v_readfirstlane_b32 s14, v1
	v_cmp_gt_u32_e32 vcc, s36, v12
	v_mov_b32_e32 v1, v0
	s_and_saveexec_b64 s[30:31], vcc
	s_cbranch_execz .LBB95_45
; %bb.23:                               ;   in Loop: Header=BB95_6 Depth=1
	s_mov_b64 s[6:7], 0
	s_mul_i32 s15, s48, s14
                                        ; implicit-def: $vgpr1
                                        ; implicit-def: $vgpr3
                                        ; implicit-def: $vgpr2
	s_mov_b64 s[2:3], exec
	v_readlane_b32 s12, v52, 26
	v_readlane_b32 s13, v52, 27
	s_and_b64 s[12:13], s[2:3], s[12:13]
	s_xor_b64 s[34:35], s[12:13], s[2:3]
	s_mov_b64 exec, s[12:13]
	s_cbranch_execnz .LBB95_29
; %bb.24:                               ;   in Loop: Header=BB95_6 Depth=1
	s_andn2_saveexec_b64 s[2:3], s[34:35]
	s_cbranch_execnz .LBB95_40
.LBB95_25:                              ;   in Loop: Header=BB95_6 Depth=1
	s_or_b64 exec, exec, s[2:3]
	s_and_saveexec_b64 s[2:3], s[6:7]
	s_cbranch_execnz .LBB95_41
	s_branch .LBB95_44
.LBB95_26:                              ;   in Loop: Header=BB95_6 Depth=1
	s_or_b64 exec, exec, s[12:13]
	s_waitcnt lgkmcnt(0)
	s_barrier
	s_mov_b64 s[6:7], exec
	v_readlane_b32 s12, v52, 6
	v_readlane_b32 s13, v52, 7
	s_and_b64 s[12:13], s[6:7], s[12:13]
	s_mov_b64 exec, s[12:13]
	s_cbranch_execz .LBB95_28
; %bb.27:                               ;   in Loop: Header=BB95_6 Depth=1
	ds_read_b32 v1, v9 offset:4104
	s_waitcnt lgkmcnt(0)
	ds_write_b32 v9, v1 offset:4096
.LBB95_28:                              ;   in Loop: Header=BB95_6 Depth=1
	s_or_b64 exec, exec, s[6:7]
	s_waitcnt lgkmcnt(0)
	s_barrier
	s_mov_b64 s[6:7], -1
	s_and_b64 vcc, exec, s[2:3]
	s_cbranch_vccnz .LBB95_21
	s_branch .LBB95_49
.LBB95_29:                              ;   in Loop: Header=BB95_6 Depth=1
	v_cvt_f32_u32_e32 v1, s14
	s_sub_i32 s3, 0, s14
	v_add_u32_e32 v2, s14, v12
	v_max_u32_e32 v2, s36, v2
	v_rcp_iflag_f32_e32 v1, v1
	s_lshl_b32 s2, s14, 1
	v_sub_u32_e32 v2, v2, v0
	v_cmp_ne_u32_e32 vcc, s2, v2
	v_mul_f32_e32 v1, 0x4f7ffffe, v1
	v_cvt_u32_f32_e32 v1, v1
	v_cndmask_b32_e64 v8, 0, 1, vcc
	v_or_b32_e32 v8, s2, v8
	v_sub_u32_e32 v2, v2, v8
	v_mul_lo_u32 v3, s3, v1
	s_not_b32 s6, s15
	s_ashr_i32 s16, s6, 31
	s_abs_i32 s12, s15
	v_mul_hi_u32 v3, v1, v3
	v_mul_lo_u32 v4, s48, v12
	s_cmp_eq_u32 s14, 1
	s_mov_b64 s[2:3], -1
	v_add_u32_e32 v1, v1, v3
	v_mul_hi_u32 v3, v2, v1
	v_xor_b32_e32 v4, s16, v4
                                        ; implicit-def: $vgpr1
	v_mul_lo_u32 v8, v3, s14
	v_add_u32_e32 v13, 1, v3
	v_sub_u32_e32 v2, v2, v8
	v_subrev_u32_e32 v8, s14, v2
	v_cmp_le_u32_e64 s[6:7], s14, v2
	v_cndmask_b32_e64 v3, v3, v13, s[6:7]
	v_cndmask_b32_e64 v2, v2, v8, s[6:7]
	v_add_u32_e32 v8, 1, v3
	v_cmp_le_u32_e64 s[6:7], s14, v2
	v_cndmask_b32_e64 v2, v3, v8, s[6:7]
	v_addc_co_u32_e32 v2, vcc, 0, v2, vcc
	v_mul_hi_u32 v3, s12, v2
	v_mul_lo_u32 v2, s12, v2
	s_cselect_b64 s[12:13], -1, 0
	v_cmp_eq_u32_e32 vcc, 0, v3
	v_cmp_le_u32_e64 s[6:7], v2, v4
	s_and_b64 s[12:13], vcc, s[12:13]
	s_and_b64 s[12:13], s[12:13], s[6:7]
	v_mov_b32_e32 v3, v0
	s_and_saveexec_b64 s[6:7], s[12:13]
	s_cbranch_execz .LBB95_39
; %bb.30:                               ;   in Loop: Header=BB95_6 Depth=1
	v_add_u32_e32 v13, 1, v12
	v_mov_b32_e32 v15, v13
	s_waitcnt vmcnt(0)
	v_lshlrev_b32_e32 v17, 16, v16
	v_mov_b32_e32 v1, 0
	v_mov_b32_e32 v14, v12
                                        ; implicit-def: $vgpr16
	s_mov_b64 s[80:81], exec
	v_readlane_b32 s2, v52, 28
	v_readlane_b32 s3, v52, 29
	s_and_b64 s[2:3], s[80:81], s[2:3]
	s_mov_b64 exec, s[2:3]
	s_cbranch_execz .LBB95_34
; %bb.31:                               ;   in Loop: Header=BB95_6 Depth=1
	v_mov_b32_e32 v15, v13
	s_mov_b32 s2, 0
	s_mov_b64 s[82:83], 0
	v_mov_b32_e32 v48, v30
	v_mov_b32_e32 v49, v25
	;; [unrolled: 1-line block ×3, first 2 shown]
	s_mov_b32 s3, 0x5040100
.LBB95_32:                              ;   Parent Loop BB95_6 Depth=1
                                        ; =>  This Inner Loop Header: Depth=2
	v_mul_lo_u32 v8, v14, s48
	v_mul_lo_u32 v1, v15, s5
	v_mov_b32_e32 v13, s44
	v_add_u32_e32 v48, -8, v48
	v_lshlrev_b64 v[2:3], 1, v[8:9]
	s_add_i32 s2, s2, 16
	v_add_co_u32_e32 v18, vcc, s33, v2
	v_mov_b32_e32 v2, v9
	v_lshlrev_b64 v[1:2], 1, v[1:2]
	v_addc_co_u32_e32 v19, vcc, v13, v3, vcc
	v_add_co_u32_e32 v1, vcc, s33, v1
	v_addc_co_u32_e32 v2, vcc, v13, v2, vcc
	global_load_ushort v3, v[18:19], off
	s_nop 0
	global_load_ushort v18, v[1:2], off
	v_add_u32_e32 v2, 2, v15
	v_mul_lo_u32 v2, v2, s5
	s_waitcnt vmcnt(1)
	v_alignbit_b32 v1, v3, v17, 16
	v_add_u32_e32 v3, 2, v14
	v_mul_lo_u32 v8, v3, s48
	v_lshlrev_b64 v[3:4], 1, v[8:9]
	v_add_co_u32_e32 v16, vcc, s33, v3
	v_mov_b32_e32 v3, v9
	v_lshlrev_b64 v[2:3], 1, v[2:3]
	v_addc_co_u32_e32 v17, vcc, v13, v4, vcc
	v_add_co_u32_e32 v2, vcc, s33, v2
	v_addc_co_u32_e32 v3, vcc, v13, v3, vcc
	global_load_ushort v4, v[16:17], off
	global_load_ushort v19, v[2:3], off
	v_add_u32_e32 v3, 4, v15
	v_mul_lo_u32 v3, v3, s5
	s_waitcnt vmcnt(1)
	v_perm_b32 v2, v4, v18, s3
	v_add_u32_e32 v4, 4, v14
	v_mul_lo_u32 v8, v4, s48
	v_mov_b32_e32 v4, v9
	v_lshlrev_b64 v[3:4], 1, v[3:4]
	v_lshlrev_b64 v[16:17], 1, v[8:9]
	v_add_co_u32_e32 v16, vcc, s33, v16
	v_addc_co_u32_e32 v17, vcc, v13, v17, vcc
	v_add_co_u32_e32 v3, vcc, s33, v3
	v_addc_co_u32_e32 v4, vcc, v13, v4, vcc
	global_load_ushort v8, v[16:17], off
	s_nop 0
	global_load_ushort v4, v[3:4], off
	v_add_u32_e32 v16, 6, v15
	v_mul_lo_u32 v16, v16, s5
	s_waitcnt vmcnt(1)
	v_perm_b32 v3, v8, v19, s3
	v_add_u32_e32 v8, 6, v14
	v_mul_lo_u32 v8, v8, s48
	v_lshlrev_b64 v[17:18], 1, v[8:9]
	v_add_co_u32_e32 v50, vcc, s33, v17
	v_mov_b32_e32 v17, v9
	v_lshlrev_b64 v[16:17], 1, v[16:17]
	v_addc_co_u32_e32 v51, vcc, v13, v18, vcc
	v_add_co_u32_e32 v16, vcc, s33, v16
	v_addc_co_u32_e32 v17, vcc, v13, v17, vcc
	global_load_ushort v8, v[50:51], off
	global_load_ushort v18, v[16:17], off
	s_waitcnt vmcnt(1)
	v_perm_b32 v4, v8, v4, s3
	ds_write_b128 v49, v[1:4]
	v_add_u32_e32 v2, 8, v14
	v_mul_lo_u32 v8, v2, s48
	v_add_u32_e32 v1, 8, v15
	v_mul_lo_u32 v1, v1, s5
	v_lshlrev_b64 v[2:3], 1, v[8:9]
	v_add_co_u32_e32 v16, vcc, s33, v2
	v_mov_b32_e32 v2, v9
	v_lshlrev_b64 v[1:2], 1, v[1:2]
	v_addc_co_u32_e32 v17, vcc, v13, v3, vcc
	v_add_co_u32_e32 v1, vcc, s33, v1
	v_addc_co_u32_e32 v2, vcc, v13, v2, vcc
	global_load_ushort v3, v[16:17], off
	global_load_ushort v19, v[1:2], off
	v_add_u32_e32 v2, 10, v15
	v_mul_lo_u32 v2, v2, s5
	s_waitcnt vmcnt(1)
	v_perm_b32 v1, v3, v18, s3
	v_add_u32_e32 v3, 10, v14
	v_mul_lo_u32 v8, v3, s48
	v_lshlrev_b64 v[3:4], 1, v[8:9]
	v_add_co_u32_e32 v16, vcc, s33, v3
	v_mov_b32_e32 v3, v9
	v_lshlrev_b64 v[2:3], 1, v[2:3]
	v_addc_co_u32_e32 v17, vcc, v13, v4, vcc
	v_add_co_u32_e32 v2, vcc, s33, v2
	v_addc_co_u32_e32 v3, vcc, v13, v3, vcc
	global_load_ushort v4, v[16:17], off
	global_load_ushort v18, v[2:3], off
	v_add_u32_e32 v3, 12, v15
	v_mul_lo_u32 v3, v3, s5
	s_waitcnt vmcnt(1)
	v_perm_b32 v2, v4, v19, s3
	v_add_u32_e32 v4, 12, v14
	v_mul_lo_u32 v8, v4, s48
	v_mov_b32_e32 v4, v9
	v_lshlrev_b64 v[3:4], 1, v[3:4]
	v_mov_b32_e32 v19, v9
	v_lshlrev_b64 v[16:17], 1, v[8:9]
	v_add_co_u32_e32 v16, vcc, s33, v16
	v_addc_co_u32_e32 v17, vcc, v13, v17, vcc
	v_add_co_u32_e32 v3, vcc, s33, v3
	v_addc_co_u32_e32 v4, vcc, v13, v4, vcc
	global_load_ushort v8, v[16:17], off
	s_nop 0
	global_load_ushort v4, v[3:4], off
	v_add_u32_e32 v16, 14, v15
	v_add_u32_e32 v15, 16, v15
	s_waitcnt vmcnt(1)
	v_perm_b32 v3, v8, v18, s3
	v_add_u32_e32 v8, 14, v14
	v_mul_lo_u32 v8, v8, s48
	v_mul_lo_u32 v18, v16, s5
	v_add_u32_e32 v14, 16, v14
	v_lshlrev_b64 v[16:17], 1, v[8:9]
	v_lshlrev_b64 v[18:19], 1, v[18:19]
	v_add_co_u32_e32 v16, vcc, s33, v16
	v_addc_co_u32_e32 v17, vcc, v13, v17, vcc
	v_add_co_u32_e32 v18, vcc, s33, v18
	v_addc_co_u32_e32 v19, vcc, v13, v19, vcc
	global_load_ushort v8, v[16:17], off
	s_nop 0
	global_load_ushort v16, v[18:19], off
	v_cmp_eq_u32_e32 vcc, 0, v48
	s_or_b64 s[82:83], vcc, s[82:83]
	s_waitcnt vmcnt(1)
	v_perm_b32 v4, v8, v4, s3
	s_waitcnt vmcnt(0)
	v_perm_b32 v17, v16, v8, s3
	ds_write_b128 v49, v[1:4] offset:16
	v_add_u32_e32 v49, 32, v49
	v_mov_b32_e32 v1, s2
	s_andn2_b64 exec, exec, s[82:83]
	s_cbranch_execnz .LBB95_32
; %bb.33:                               ;   in Loop: Header=BB95_6 Depth=1
	s_or_b64 exec, exec, s[82:83]
.LBB95_34:                              ;   in Loop: Header=BB95_6 Depth=1
	s_or_b64 exec, exec, s[80:81]
	s_mov_b64 s[2:3], exec
	v_readlane_b32 s12, v52, 30
	v_readlane_b32 s13, v52, 31
	s_and_b64 s[12:13], s[2:3], s[12:13]
	s_mov_b64 exec, s[12:13]
	s_cbranch_execz .LBB95_38
; %bb.35:                               ;   in Loop: Header=BB95_6 Depth=1
	v_lshl_add_u32 v1, v1, 1, v25
	s_mov_b64 s[12:13], 0
	v_mov_b32_e32 v2, v32
	s_mov_b32 s16, 0x5040100
.LBB95_36:                              ;   Parent Loop BB95_6 Depth=1
                                        ; =>  This Inner Loop Header: Depth=2
	v_mul_lo_u32 v8, v14, s48
	v_mul_lo_u32 v3, v15, s5
	v_mov_b32_e32 v4, v9
	v_mov_b32_e32 v13, s44
	v_lshlrev_b64 v[18:19], 1, v[8:9]
	v_lshlrev_b64 v[3:4], 1, v[3:4]
	v_add_co_u32_e32 v18, vcc, s33, v18
	v_addc_co_u32_e32 v19, vcc, v13, v19, vcc
	v_add_co_u32_e32 v3, vcc, s33, v3
	v_addc_co_u32_e32 v4, vcc, v13, v4, vcc
	global_load_ushort v8, v[18:19], off
	global_load_ushort v16, v[3:4], off
	v_add_u32_e32 v2, -4, v2
	v_cmp_eq_u32_e32 vcc, 0, v2
	v_add_u32_e32 v15, 2, v15
	v_add_u32_e32 v14, 2, v14
	s_or_b64 s[12:13], vcc, s[12:13]
	s_waitcnt vmcnt(1)
	v_alignbit_b32 v4, v8, v17, 16
	s_waitcnt vmcnt(0)
	v_perm_b32 v3, v16, v8, s16
	ds_write_b32 v1, v4
	v_add_u32_e32 v1, 4, v1
	v_mov_b32_e32 v17, v3
	s_andn2_b64 exec, exec, s[12:13]
	s_cbranch_execnz .LBB95_36
; %bb.37:                               ;   in Loop: Header=BB95_6 Depth=1
	s_or_b64 exec, exec, s[12:13]
.LBB95_38:                              ;   in Loop: Header=BB95_6 Depth=1
	s_or_b64 exec, exec, s[2:3]
	v_readlane_b32 s2, v52, 32
	v_add_u32_e32 v12, v12, v28
	v_readlane_b32 s3, v52, 33
	v_add_u32_e32 v1, -1, v12
	s_orn2_b64 s[2:3], s[2:3], exec
	v_mov_b32_e32 v3, v29
.LBB95_39:                              ;   in Loop: Header=BB95_6 Depth=1
	s_or_b64 exec, exec, s[6:7]
	v_mov_b32_e32 v2, s15
	s_and_b64 s[6:7], s[2:3], exec
	s_andn2_saveexec_b64 s[2:3], s[34:35]
	s_cbranch_execz .LBB95_25
.LBB95_40:                              ;   in Loop: Header=BB95_6 Depth=1
	v_mov_b32_e32 v2, s15
	s_or_b64 s[6:7], s[6:7], exec
	v_mov_b32_e32 v3, v0
	s_or_b64 exec, exec, s[2:3]
	s_and_saveexec_b64 s[2:3], s[6:7]
	s_cbranch_execz .LBB95_44
.LBB95_41:                              ;   in Loop: Header=BB95_6 Depth=1
	v_mul_lo_u32 v8, s48, v12
	s_sub_i32 s12, 0, s14
	s_mov_b64 s[6:7], 0
.LBB95_42:                              ;   Parent Loop BB95_6 Depth=1
                                        ; =>  This Inner Loop Header: Depth=2
	v_mov_b32_e32 v4, v12
	v_lshlrev_b64 v[12:13], 1, v[8:9]
	v_mov_b32_e32 v14, s44
	v_add_co_u32_e32 v12, vcc, s33, v12
	v_addc_co_u32_e32 v13, vcc, v14, v13, vcc
	s_waitcnt vmcnt(0)
	v_mov_b32_e32 v1, v16
	global_load_ushort v16, v[12:13], off
	v_add_u32_e32 v12, s14, v4
	v_lshlrev_b32_e32 v3, 1, v3
	v_cmp_le_u32_e32 vcc, s36, v12
	ds_write_b16 v3, v1
	v_add_u32_e32 v8, v8, v2
	s_or_b64 s[6:7], vcc, s[6:7]
	v_mov_b32_e32 v3, v4
	s_andn2_b64 exec, exec, s[6:7]
	s_cbranch_execnz .LBB95_42
; %bb.43:                               ;   in Loop: Header=BB95_6 Depth=1
	s_or_b64 exec, exec, s[6:7]
	v_add_u32_e32 v1, s12, v12
.LBB95_44:                              ;   in Loop: Header=BB95_6 Depth=1
	s_or_b64 exec, exec, s[2:3]
.LBB95_45:                              ;   in Loop: Header=BB95_6 Depth=1
	s_or_b64 exec, exec, s[30:31]
	v_lshlrev_b32_e32 v1, 1, v1
	s_waitcnt vmcnt(0)
	ds_write_b16 v1, v16
.LBB95_46:                              ;   in Loop: Header=BB95_6 Depth=1
	s_or_b64 exec, exec, s[26:27]
	s_waitcnt lgkmcnt(0)
	s_barrier
	s_mov_b64 s[2:3], exec
	v_readlane_b32 s6, v52, 6
	v_readlane_b32 s7, v52, 7
	s_and_b64 s[6:7], s[2:3], s[6:7]
	s_mov_b64 exec, s[6:7]
; %bb.47:                               ;   in Loop: Header=BB95_6 Depth=1
	v_mov_b32_e32 v1, s36
	ds_write_b32 v9, v1 offset:4096
; %bb.48:                               ;   in Loop: Header=BB95_6 Depth=1
	s_or_b64 exec, exec, s[2:3]
	s_mov_b64 s[6:7], -1
	s_waitcnt lgkmcnt(0)
	s_barrier
.LBB95_49:                              ;   in Loop: Header=BB95_6 Depth=1
	s_mov_b32 s18, 0
	s_and_b64 vcc, exec, s[6:7]
	s_cbranch_vccz .LBB95_51
; %bb.50:                               ;   in Loop: Header=BB95_6 Depth=1
	ds_read_b32 v1, v9 offset:4096
	s_waitcnt lgkmcnt(0)
	v_readfirstlane_b32 s18, v1
.LBB95_51:                              ;   in Loop: Header=BB95_6 Depth=1
	s_cmp_lt_i32 s18, 1
	s_mov_b64 s[2:3], -1
                                        ; implicit-def: $vgpr1
	s_cbranch_scc1 .LBB95_61
; %bb.52:                               ;   in Loop: Header=BB95_6 Depth=1
	s_and_b64 vcc, exec, s[2:3]
	s_cbranch_vccnz .LBB95_72
.LBB95_53:                              ;   in Loop: Header=BB95_6 Depth=1
	s_lshl_b32 s6, s45, 6
	s_and_saveexec_b64 s[2:3], s[0:1]
.LBB95_54:                              ;   in Loop: Header=BB95_6 Depth=1
	v_lshl_add_u32 v8, s6, 2, v27
	ds_write_b128 v8, v[1:4]
.LBB95_55:                              ;   in Loop: Header=BB95_6 Depth=1
	s_or_b64 exec, exec, s[2:3]
	s_waitcnt lgkmcnt(0)
	s_barrier
	s_mov_b64 s[2:3], exec
	v_readlane_b32 s12, v52, 13
	v_readlane_b32 s13, v52, 14
	s_and_b64 s[12:13], s[2:3], s[12:13]
	s_mov_b64 exec, s[12:13]
	s_cbranch_execz .LBB95_86
; %bb.56:                               ;   in Loop: Header=BB95_6 Depth=1
	v_readlane_b32 s12, v52, 19
	v_readlane_b32 s13, v52, 20
	s_andn2_b64 vcc, exec, s[12:13]
	v_mov_b32_e32 v1, 0
	s_cbranch_vccnz .LBB95_85
; %bb.57:                               ;   in Loop: Header=BB95_6 Depth=1
	v_readlane_b32 s12, v52, 34
	v_readlane_b32 s13, v52, 35
	s_andn2_b64 vcc, exec, s[12:13]
	s_cbranch_vccnz .LBB95_81
; %bb.58:                               ;   in Loop: Header=BB95_6 Depth=1
	v_lshl_add_u32 v2, s45, 8, v38
	s_mov_b32 s7, 0
	v_mov_b32_e32 v1, 0
.LBB95_59:                              ;   Parent Loop BB95_6 Depth=1
                                        ; =>  This Inner Loop Header: Depth=2
	ds_read2_b32 v[3:4], v2 offset1:4
	ds_read2_b32 v[12:13], v2 offset0:8 offset1:12
	ds_read2_b32 v[14:15], v2 offset0:16 offset1:20
	;; [unrolled: 1-line block ×3, first 2 shown]
	s_add_i32 s7, s7, 8
	s_waitcnt lgkmcnt(3)
	v_add3_u32 v1, v3, v1, v4
	s_waitcnt lgkmcnt(2)
	v_add3_u32 v1, v12, v1, v13
	;; [unrolled: 2-line block ×3, first 2 shown]
	v_add_u32_e32 v2, 0x80, v2
	s_cmp_eq_u32 s4, s7
	s_waitcnt lgkmcnt(0)
	v_add3_u32 v1, v16, v1, v17
	s_cbranch_scc0 .LBB95_59
; %bb.60:                               ;   in Loop: Header=BB95_6 Depth=1
	s_mov_b32 s7, s4
	s_branch .LBB95_82
.LBB95_61:                              ;   in Loop: Header=BB95_6 Depth=1
	v_mov_b32_e32 v1, 0
	v_mov_b32_e32 v2, 0
	;; [unrolled: 1-line block ×4, first 2 shown]
	s_mov_b64 s[80:81], exec
	v_readlane_b32 s2, v52, 40
	v_readlane_b32 s3, v52, 41
	s_and_b64 s[2:3], s[80:81], s[2:3]
	s_mov_b64 exec, s[2:3]
	s_cbranch_execz .LBB95_65
; %bb.62:                               ;   in Loop: Header=BB95_6 Depth=1
	s_mov_b32 s2, 0
	s_mov_b64 s[82:83], 0
	s_mov_b32 s3, 0
	s_mov_b32 s12, 0
	;; [unrolled: 1-line block ×4, first 2 shown]
	v_mov_b32_e32 v12, v23
.LBB95_63:                              ;   Parent Loop BB95_6 Depth=1
                                        ; =>  This Inner Loop Header: Depth=2
	v_add_u32_e32 v8, s2, v39
	v_lshlrev_b64 v[1:2], 1, v[8:9]
	v_mov_b32_e32 v3, s44
	v_add_co_u32_e32 v1, vcc, s33, v1
	v_addc_co_u32_e32 v2, vcc, v3, v2, vcc
	v_add_u32_e32 v8, s2, v33
	global_load_ushort v4, v[1:2], off
	v_lshlrev_b64 v[1:2], 1, v[8:9]
	v_add_u32_e32 v8, s2, v34
	v_add_co_u32_e32 v1, vcc, s33, v1
	v_addc_co_u32_e32 v2, vcc, v3, v2, vcc
	global_load_ushort v13, v[1:2], off
	v_lshlrev_b64 v[1:2], 1, v[8:9]
	v_add_u32_e32 v8, s2, v35
	v_add_co_u32_e32 v1, vcc, s33, v1
	v_addc_co_u32_e32 v2, vcc, v3, v2, vcc
	;; [unrolled: 5-line block ×3, first 2 shown]
	global_load_ushort v1, v[1:2], off
	s_add_i32 s2, s2, s21
	s_waitcnt vmcnt(3)
	v_cmp_lt_i16_e32 vcc, -1, v4
	v_cndmask_b32_e32 v2, v41, v42, vcc
	v_cmp_o_f16_e32 vcc, v4, v4
	v_xor_b32_sdwa v2, v2, v4 dst_sel:DWORD dst_unused:UNUSED_PAD src0_sel:DWORD src1_sel:WORD_0
	v_cndmask_b32_e32 v2, v41, v2, vcc
	s_waitcnt vmcnt(2)
	v_cmp_lt_i16_e32 vcc, -1, v13
	v_cndmask_b32_e32 v3, v41, v42, vcc
	v_cmp_o_f16_e32 vcc, v13, v13
	v_xor_b32_sdwa v3, v3, v13 dst_sel:DWORD dst_unused:UNUSED_PAD src0_sel:DWORD src1_sel:WORD_0
	v_cndmask_b32_e32 v3, v41, v3, vcc
	;; [unrolled: 6-line block ×3, first 2 shown]
	s_waitcnt vmcnt(0)
	v_cmp_lt_i16_e32 vcc, -1, v1
	v_cndmask_b32_e32 v8, v41, v42, vcc
	v_cmp_o_f16_e32 vcc, v1, v1
	v_xor_b32_sdwa v1, v8, v1 dst_sel:DWORD dst_unused:UNUSED_PAD src0_sel:DWORD src1_sel:WORD_0
	v_and_b32_e32 v8, v2, v45
	v_bfe_u32 v2, v2, s11, 2
	v_cndmask_b32_e32 v1, v41, v1, vcc
	v_cmp_eq_u32_e32 vcc, v8, v37
	v_and_b32_e32 v8, v3, v45
	v_bfe_u32 v3, v3, s11, 2
	v_cmp_eq_u32_e64 s[34:35], 0, v2
	v_cmp_eq_u32_e64 s[6:7], v8, v37
	v_and_b32_e32 v8, v4, v45
	v_bfe_u32 v4, v4, s11, 2
	s_and_b64 s[16:17], vcc, s[34:35]
	v_cmp_eq_u32_e64 s[34:35], 0, v3
	v_cmp_eq_u32_e64 s[26:27], v8, v37
	v_and_b32_e32 v8, v1, v45
	v_bfe_u32 v1, v1, s11, 2
	s_and_b64 s[24:25], s[6:7], s[34:35]
	v_cmp_eq_u32_e64 s[34:35], 0, v4
	v_cmp_eq_u32_e64 s[30:31], v8, v37
	s_and_b64 s[28:29], s[26:27], s[34:35]
	v_cmp_eq_u32_e64 s[34:35], 0, v1
	v_cndmask_b32_e64 v8, 0, 1, s[16:17]
	s_and_b64 s[38:39], s[30:31], s[34:35]
	v_cmp_ne_u32_e64 s[34:35], 0, v8
	v_cndmask_b32_e64 v8, 0, 1, s[24:25]
	s_bcnt1_i32_b64 s15, s[34:35]
	v_cmp_ne_u32_e64 s[34:35], 0, v8
	v_cndmask_b32_e64 v8, 0, 1, s[28:29]
	s_bcnt1_i32_b64 s16, s[34:35]
	;; [unrolled: 3-line block ×3, first 2 shown]
	v_cmp_ne_u32_e64 s[34:35], 0, v8
	s_add_i32 s14, s14, s15
	s_bcnt1_i32_b64 s19, s[34:35]
	s_add_i32 s14, s14, s16
	v_cmp_eq_u32_e64 s[34:35], 1, v2
	s_add_i32 s14, s14, s17
	s_and_b64 s[16:17], vcc, s[34:35]
	v_cmp_eq_u32_e64 s[34:35], 1, v3
	s_and_b64 s[24:25], s[6:7], s[34:35]
	v_cmp_eq_u32_e64 s[34:35], 1, v4
	s_and_b64 s[28:29], s[26:27], s[34:35]
	v_cmp_eq_u32_e64 s[34:35], 1, v1
	v_cndmask_b32_e64 v8, 0, 1, s[16:17]
	s_and_b64 s[38:39], s[30:31], s[34:35]
	v_cmp_ne_u32_e64 s[34:35], 0, v8
	v_cndmask_b32_e64 v8, 0, 1, s[24:25]
	s_bcnt1_i32_b64 s15, s[34:35]
	v_cmp_ne_u32_e64 s[34:35], 0, v8
	v_cndmask_b32_e64 v8, 0, 1, s[28:29]
	s_bcnt1_i32_b64 s16, s[34:35]
	;; [unrolled: 3-line block ×3, first 2 shown]
	v_cmp_ne_u32_e64 s[34:35], 0, v8
	s_add_i32 s13, s13, s15
	s_add_i32 s14, s14, s19
	s_bcnt1_i32_b64 s19, s[34:35]
	s_add_i32 s13, s13, s16
	v_cmp_eq_u32_e64 s[34:35], 2, v2
	s_add_i32 s13, s13, s17
	s_and_b64 s[16:17], vcc, s[34:35]
	v_cmp_eq_u32_e64 s[34:35], 2, v3
	s_and_b64 s[24:25], s[6:7], s[34:35]
	v_cmp_eq_u32_e64 s[34:35], 2, v4
	s_and_b64 s[28:29], s[26:27], s[34:35]
	v_cmp_eq_u32_e64 s[34:35], 2, v1
	v_cndmask_b32_e64 v8, 0, 1, s[16:17]
	s_and_b64 s[38:39], s[30:31], s[34:35]
	v_cmp_ne_u32_e64 s[34:35], 0, v8
	v_cndmask_b32_e64 v8, 0, 1, s[24:25]
	s_bcnt1_i32_b64 s15, s[34:35]
	v_cmp_ne_u32_e64 s[34:35], 0, v8
	v_cndmask_b32_e64 v8, 0, 1, s[28:29]
	s_bcnt1_i32_b64 s16, s[34:35]
	;; [unrolled: 3-line block ×3, first 2 shown]
	v_cmp_ne_u32_e64 s[34:35], 0, v8
	s_add_i32 s12, s12, s15
	s_add_i32 s13, s13, s19
	s_bcnt1_i32_b64 s19, s[34:35]
	s_add_i32 s12, s12, s16
	v_cmp_eq_u32_e64 s[34:35], 3, v2
	s_add_i32 s12, s12, s17
	s_and_b64 s[16:17], vcc, s[34:35]
	v_cmp_eq_u32_e32 vcc, 3, v3
	s_and_b64 s[6:7], s[6:7], vcc
	v_cmp_eq_u32_e32 vcc, 3, v4
	s_and_b64 s[24:25], s[26:27], vcc
	v_cmp_eq_u32_e32 vcc, 3, v1
	v_cndmask_b32_e64 v1, 0, 1, s[16:17]
	s_and_b64 s[26:27], s[30:31], vcc
	v_cmp_ne_u32_e32 vcc, 0, v1
	v_cndmask_b32_e64 v1, 0, 1, s[6:7]
	s_bcnt1_i32_b64 s15, vcc
	v_cmp_ne_u32_e32 vcc, 0, v1
	v_cndmask_b32_e64 v1, 0, 1, s[24:25]
	s_bcnt1_i32_b64 s6, vcc
	v_cmp_ne_u32_e32 vcc, 0, v1
	v_cndmask_b32_e64 v1, 0, 1, s[26:27]
	s_add_i32 s3, s3, s15
	s_bcnt1_i32_b64 s7, vcc
	v_cmp_ne_u32_e32 vcc, 0, v1
	s_add_i32 s3, s3, s6
	s_bcnt1_i32_b64 s16, vcc
	s_add_i32 s3, s3, s7
	s_add_i32 s12, s12, s19
	;; [unrolled: 1-line block ×3, first 2 shown]
	v_cmp_le_u32_e32 vcc, s51, v12
	s_or_b64 s[82:83], vcc, s[82:83]
	v_mov_b32_e32 v1, s14
	v_mov_b32_e32 v2, s13
	;; [unrolled: 1-line block ×4, first 2 shown]
	s_andn2_b64 exec, exec, s[82:83]
	s_cbranch_execnz .LBB95_63
; %bb.64:                               ;   in Loop: Header=BB95_6 Depth=1
	s_or_b64 exec, exec, s[82:83]
.LBB95_65:                              ;   in Loop: Header=BB95_6 Depth=1
	s_or_b64 exec, exec, s[80:81]
	s_mov_b64 s[2:3], exec
	v_readlane_b32 s6, v52, 42
	v_readlane_b32 s7, v52, 43
	s_and_b64 s[6:7], s[2:3], s[6:7]
	s_mov_b64 exec, s[6:7]
	s_cbranch_execz .LBB95_71
; %bb.66:                               ;   in Loop: Header=BB95_6 Depth=1
	global_load_ushort v13, v[10:11], off
	s_mov_b64 s[12:13], 0
	v_mov_b32_e32 v8, v36
	v_mov_b32_e32 v12, v31
	s_branch .LBB95_68
.LBB95_67:                              ;   in Loop: Header=BB95_68 Depth=2
	s_or_b64 exec, exec, s[14:15]
	s_and_b64 s[6:7], exec, vcc
	s_waitcnt vmcnt(0)
	v_cmp_lt_i16_e32 vcc, -1, v13
	v_cndmask_b32_e32 v15, v41, v42, vcc
	v_xor_b32_sdwa v15, v15, v13 dst_sel:DWORD dst_unused:UNUSED_PAD src0_sel:DWORD src1_sel:WORD_0
	v_cmp_o_f16_e32 vcc, v13, v13
	v_cndmask_b32_e32 v13, v41, v15, vcc
	v_and_b32_e32 v15, v13, v45
	v_bfe_u32 v13, v13, s11, 2
	s_or_b64 s[12:13], s[6:7], s[12:13]
	v_cmp_eq_u32_e32 vcc, v15, v37
	v_cmp_eq_u32_e64 s[6:7], 0, v13
	s_and_b64 s[6:7], vcc, s[6:7]
	v_cndmask_b32_e64 v15, 0, 1, s[6:7]
	v_cmp_ne_u32_e64 s[6:7], 0, v15
	s_bcnt1_i32_b64 s6, s[6:7]
	v_add_u32_e32 v1, s6, v1
	v_cmp_eq_u32_e64 s[6:7], 1, v13
	s_and_b64 s[6:7], vcc, s[6:7]
	v_cndmask_b32_e64 v15, 0, 1, s[6:7]
	v_cmp_ne_u32_e64 s[6:7], 0, v15
	s_bcnt1_i32_b64 s6, s[6:7]
	v_add_u32_e32 v2, s6, v2
	;; [unrolled: 6-line block ×3, first 2 shown]
	v_cmp_eq_u32_e64 s[6:7], 3, v13
	s_and_b64 s[6:7], vcc, s[6:7]
	v_cndmask_b32_e64 v13, 0, 1, s[6:7]
	v_cmp_ne_u32_e32 vcc, 0, v13
	s_bcnt1_i32_b64 s6, vcc
	v_add_u32_e32 v4, s6, v4
	v_add_u32_e32 v8, s9, v8
	v_mov_b32_e32 v13, v14
	s_andn2_b64 exec, exec, s[12:13]
	s_cbranch_execz .LBB95_70
.LBB95_68:                              ;   Parent Loop BB95_6 Depth=1
                                        ; =>  This Inner Loop Header: Depth=2
	v_add_u32_e32 v12, s8, v12
	v_cmp_gt_u32_e64 s[6:7], s36, v12
	v_cmp_le_u32_e32 vcc, s36, v12
	v_mov_b32_e32 v14, 0
	s_and_saveexec_b64 s[14:15], s[6:7]
	s_cbranch_execz .LBB95_67
; %bb.69:                               ;   in Loop: Header=BB95_68 Depth=2
	v_lshlrev_b64 v[14:15], 1, v[8:9]
	v_mov_b32_e32 v16, s44
	v_add_co_u32_e64 v14, s[6:7], s33, v14
	v_addc_co_u32_e64 v15, s[6:7], v16, v15, s[6:7]
	global_load_ushort v14, v[14:15], off
	s_branch .LBB95_67
.LBB95_70:                              ;   in Loop: Header=BB95_6 Depth=1
	s_or_b64 exec, exec, s[12:13]
.LBB95_71:                              ;   in Loop: Header=BB95_6 Depth=1
	s_or_b64 exec, exec, s[2:3]
	s_branch .LBB95_53
.LBB95_72:                              ;   in Loop: Header=BB95_6 Depth=1
	v_readlane_b32 s2, v52, 39
	s_mul_hi_u32 s2, s18, s2
	s_mul_i32 s2, s2, s49
	s_sub_i32 s2, s18, s2
	s_sub_i32 s3, s2, s49
	s_cmp_ge_u32 s2, s49
	s_cselect_b32 s2, s3, s2
	s_sub_i32 s3, s2, s49
	s_cmp_ge_u32 s2, s49
	s_cselect_b32 s2, s3, s2
	s_sub_i32 s2, s18, s2
	v_cmp_gt_u32_e32 vcc, s2, v23
	v_mov_b32_e32 v1, 0
	v_mov_b32_e32 v2, 0
	;; [unrolled: 1-line block ×4, first 2 shown]
	s_and_saveexec_b64 s[80:81], vcc
	s_cbranch_execz .LBB95_76
; %bb.73:                               ;   in Loop: Header=BB95_6 Depth=1
	s_mov_b32 s3, 0
	s_mov_b64 s[82:83], 0
	v_mov_b32_e32 v8, v40
	s_mov_b32 s12, 0
	s_mov_b32 s13, 0
	;; [unrolled: 1-line block ×3, first 2 shown]
	v_mov_b32_e32 v12, v23
.LBB95_74:                              ;   Parent Loop BB95_6 Depth=1
                                        ; =>  This Inner Loop Header: Depth=2
	ds_read_b64 v[1:2], v8
	v_add_u32_e32 v12, s49, v12
	v_add_u32_e32 v8, s22, v8
	s_waitcnt lgkmcnt(0)
	v_cmp_lt_i16_e32 vcc, -1, v1
	v_cndmask_b32_e32 v3, v41, v42, vcc
	v_cmp_o_f16_e32 vcc, v1, v1
	v_xor_b32_sdwa v3, v3, v1 dst_sel:DWORD dst_unused:UNUSED_PAD src0_sel:DWORD src1_sel:WORD_0
	v_cndmask_b32_e32 v3, v41, v3, vcc
	v_cmp_gt_i16_sdwa vcc, v1, v43 src0_sel:WORD_1 src1_sel:DWORD
	v_cndmask_b32_e32 v4, v41, v42, vcc
	v_cmp_o_f16_sdwa vcc, v1, v1 src0_sel:WORD_1 src1_sel:WORD_1
	v_xor_b32_sdwa v1, v4, v1 dst_sel:DWORD dst_unused:UNUSED_PAD src0_sel:DWORD src1_sel:WORD_1
	v_cndmask_b32_e32 v1, v41, v1, vcc
	v_cmp_lt_i16_e32 vcc, -1, v2
	v_cndmask_b32_e32 v4, v41, v42, vcc
	v_cmp_o_f16_e32 vcc, v2, v2
	v_xor_b32_sdwa v4, v4, v2 dst_sel:DWORD dst_unused:UNUSED_PAD src0_sel:DWORD src1_sel:WORD_0
	v_cndmask_b32_e32 v4, v41, v4, vcc
	v_cmp_gt_i16_sdwa vcc, v2, v43 src0_sel:WORD_1 src1_sel:DWORD
	v_cndmask_b32_e32 v13, v41, v42, vcc
	v_cmp_o_f16_sdwa vcc, v2, v2 src0_sel:WORD_1 src1_sel:WORD_1
	v_xor_b32_sdwa v2, v13, v2 dst_sel:DWORD dst_unused:UNUSED_PAD src0_sel:DWORD src1_sel:WORD_1
	v_and_b32_e32 v13, v3, v45
	v_bfe_u32 v3, v3, s11, 2
	v_cndmask_b32_e32 v2, v41, v2, vcc
	v_cmp_eq_u32_e32 vcc, v13, v37
	v_and_b32_e32 v13, v1, v45
	v_bfe_u32 v1, v1, s11, 2
	v_cmp_eq_u32_e64 s[34:35], 0, v3
	v_cmp_eq_u32_e64 s[6:7], v13, v37
	v_and_b32_e32 v13, v4, v45
	v_bfe_u32 v4, v4, s11, 2
	s_and_b64 s[16:17], vcc, s[34:35]
	v_cmp_eq_u32_e64 s[34:35], 0, v1
	v_cmp_eq_u32_e64 s[26:27], v13, v37
	v_and_b32_e32 v13, v2, v45
	v_bfe_u32 v2, v2, s11, 2
	s_and_b64 s[24:25], s[6:7], s[34:35]
	v_cmp_eq_u32_e64 s[34:35], 0, v4
	v_cmp_eq_u32_e64 s[30:31], v13, v37
	s_and_b64 s[28:29], s[26:27], s[34:35]
	v_cmp_eq_u32_e64 s[34:35], 0, v2
	v_cndmask_b32_e64 v13, 0, 1, s[16:17]
	s_and_b64 s[38:39], s[30:31], s[34:35]
	v_cmp_ne_u32_e64 s[34:35], 0, v13
	v_cndmask_b32_e64 v13, 0, 1, s[24:25]
	s_bcnt1_i32_b64 s15, s[34:35]
	v_cmp_ne_u32_e64 s[34:35], 0, v13
	v_cndmask_b32_e64 v13, 0, 1, s[28:29]
	s_bcnt1_i32_b64 s16, s[34:35]
	;; [unrolled: 3-line block ×3, first 2 shown]
	v_cmp_ne_u32_e64 s[34:35], 0, v13
	s_add_i32 s14, s14, s15
	s_bcnt1_i32_b64 s19, s[34:35]
	s_add_i32 s14, s14, s16
	v_cmp_eq_u32_e64 s[34:35], 1, v3
	s_add_i32 s14, s14, s17
	s_and_b64 s[16:17], vcc, s[34:35]
	v_cmp_eq_u32_e64 s[34:35], 1, v1
	s_and_b64 s[24:25], s[6:7], s[34:35]
	v_cmp_eq_u32_e64 s[34:35], 1, v4
	s_and_b64 s[28:29], s[26:27], s[34:35]
	v_cmp_eq_u32_e64 s[34:35], 1, v2
	v_cndmask_b32_e64 v13, 0, 1, s[16:17]
	s_and_b64 s[38:39], s[30:31], s[34:35]
	v_cmp_ne_u32_e64 s[34:35], 0, v13
	v_cndmask_b32_e64 v13, 0, 1, s[24:25]
	s_bcnt1_i32_b64 s15, s[34:35]
	v_cmp_ne_u32_e64 s[34:35], 0, v13
	v_cndmask_b32_e64 v13, 0, 1, s[28:29]
	s_bcnt1_i32_b64 s16, s[34:35]
	v_cmp_ne_u32_e64 s[34:35], 0, v13
	v_cndmask_b32_e64 v13, 0, 1, s[38:39]
	s_bcnt1_i32_b64 s17, s[34:35]
	v_cmp_ne_u32_e64 s[34:35], 0, v13
	s_add_i32 s13, s13, s15
	s_add_i32 s14, s14, s19
	s_bcnt1_i32_b64 s19, s[34:35]
	s_add_i32 s13, s13, s16
	v_cmp_eq_u32_e64 s[34:35], 2, v3
	s_add_i32 s13, s13, s17
	s_and_b64 s[16:17], vcc, s[34:35]
	v_cmp_eq_u32_e64 s[34:35], 2, v1
	s_and_b64 s[24:25], s[6:7], s[34:35]
	v_cmp_eq_u32_e64 s[34:35], 2, v4
	s_and_b64 s[28:29], s[26:27], s[34:35]
	v_cmp_eq_u32_e64 s[34:35], 2, v2
	v_cndmask_b32_e64 v13, 0, 1, s[16:17]
	s_and_b64 s[38:39], s[30:31], s[34:35]
	v_cmp_ne_u32_e64 s[34:35], 0, v13
	v_cndmask_b32_e64 v13, 0, 1, s[24:25]
	s_bcnt1_i32_b64 s15, s[34:35]
	v_cmp_ne_u32_e64 s[34:35], 0, v13
	v_cndmask_b32_e64 v13, 0, 1, s[28:29]
	s_bcnt1_i32_b64 s16, s[34:35]
	v_cmp_ne_u32_e64 s[34:35], 0, v13
	v_cndmask_b32_e64 v13, 0, 1, s[38:39]
	s_bcnt1_i32_b64 s17, s[34:35]
	v_cmp_ne_u32_e64 s[34:35], 0, v13
	s_add_i32 s12, s12, s15
	s_add_i32 s13, s13, s19
	s_bcnt1_i32_b64 s19, s[34:35]
	s_add_i32 s12, s12, s16
	v_cmp_eq_u32_e64 s[34:35], 3, v3
	s_add_i32 s12, s12, s17
	s_and_b64 s[16:17], vcc, s[34:35]
	v_cmp_eq_u32_e32 vcc, 3, v1
	s_and_b64 s[6:7], s[6:7], vcc
	v_cmp_eq_u32_e32 vcc, 3, v4
	s_and_b64 s[24:25], s[26:27], vcc
	v_cmp_eq_u32_e32 vcc, 3, v2
	v_cndmask_b32_e64 v1, 0, 1, s[16:17]
	s_and_b64 s[26:27], s[30:31], vcc
	v_cmp_ne_u32_e32 vcc, 0, v1
	v_cndmask_b32_e64 v1, 0, 1, s[6:7]
	s_bcnt1_i32_b64 s15, vcc
	v_cmp_ne_u32_e32 vcc, 0, v1
	v_cndmask_b32_e64 v1, 0, 1, s[24:25]
	s_bcnt1_i32_b64 s6, vcc
	v_cmp_ne_u32_e32 vcc, 0, v1
	v_cndmask_b32_e64 v1, 0, 1, s[26:27]
	s_add_i32 s3, s3, s15
	s_bcnt1_i32_b64 s7, vcc
	v_cmp_ne_u32_e32 vcc, 0, v1
	s_add_i32 s3, s3, s6
	s_bcnt1_i32_b64 s16, vcc
	s_add_i32 s3, s3, s7
	s_add_i32 s12, s12, s19
	s_add_i32 s3, s3, s16
	v_cmp_le_u32_e32 vcc, s2, v12
	s_or_b64 s[82:83], vcc, s[82:83]
	v_mov_b32_e32 v1, s14
	v_mov_b32_e32 v2, s13
	;; [unrolled: 1-line block ×4, first 2 shown]
	s_andn2_b64 exec, exec, s[82:83]
	s_cbranch_execnz .LBB95_74
; %bb.75:                               ;   in Loop: Header=BB95_6 Depth=1
	s_or_b64 exec, exec, s[82:83]
.LBB95_76:                              ;   in Loop: Header=BB95_6 Depth=1
	s_or_b64 exec, exec, s[80:81]
	v_add_u32_e32 v8, s2, v0
	v_cmp_gt_u32_e32 vcc, s18, v8
	s_and_saveexec_b64 s[14:15], vcc
	s_cbranch_execz .LBB95_80
; %bb.77:                               ;   in Loop: Header=BB95_6 Depth=1
	v_lshlrev_b32_e32 v12, 1, v8
	s_mov_b64 s[16:17], 0
.LBB95_78:                              ;   Parent Loop BB95_6 Depth=1
                                        ; =>  This Inner Loop Header: Depth=2
	ds_read_u16 v13, v12
	v_add_u32_e32 v8, s8, v8
	v_add_u32_e32 v12, s23, v12
	s_waitcnt lgkmcnt(0)
	v_cmp_lt_i16_e32 vcc, -1, v13
	v_cndmask_b32_e32 v14, v41, v42, vcc
	v_cmp_o_f16_e32 vcc, v13, v13
	v_xor_b32_sdwa v13, v14, v13 dst_sel:DWORD dst_unused:UNUSED_PAD src0_sel:DWORD src1_sel:WORD_0
	v_cndmask_b32_e32 v13, v41, v13, vcc
	v_and_b32_e32 v14, v13, v45
	v_bfe_u32 v13, v13, s11, 2
	v_cmp_eq_u32_e32 vcc, v14, v37
	v_cmp_eq_u32_e64 s[6:7], 0, v13
	s_and_b64 s[2:3], vcc, s[6:7]
	v_cndmask_b32_e64 v14, 0, 1, s[2:3]
	v_cmp_ne_u32_e64 s[6:7], 0, v14
	s_bcnt1_i32_b64 s2, s[6:7]
	v_cmp_eq_u32_e64 s[6:7], 1, v13
	v_add_u32_e32 v1, s2, v1
	s_and_b64 s[2:3], vcc, s[6:7]
	v_cndmask_b32_e64 v14, 0, 1, s[2:3]
	v_cmp_ne_u32_e64 s[6:7], 0, v14
	s_bcnt1_i32_b64 s2, s[6:7]
	v_cmp_eq_u32_e64 s[6:7], 2, v13
	v_add_u32_e32 v2, s2, v2
	;; [unrolled: 6-line block ×3, first 2 shown]
	s_and_b64 s[2:3], vcc, s[6:7]
	v_cndmask_b32_e64 v13, 0, 1, s[2:3]
	v_cmp_ne_u32_e32 vcc, 0, v13
	s_bcnt1_i32_b64 s2, vcc
	v_cmp_le_u32_e32 vcc, s18, v8
	v_add_u32_e32 v4, s2, v4
	s_or_b64 s[16:17], vcc, s[16:17]
	s_andn2_b64 exec, exec, s[16:17]
	s_cbranch_execnz .LBB95_78
; %bb.79:                               ;   in Loop: Header=BB95_6 Depth=1
	s_or_b64 exec, exec, s[16:17]
.LBB95_80:                              ;   in Loop: Header=BB95_6 Depth=1
	s_or_b64 exec, exec, s[14:15]
	s_lshl_b32 s6, s45, 6
	s_and_saveexec_b64 s[2:3], s[0:1]
	s_cbranch_execnz .LBB95_54
	s_branch .LBB95_55
.LBB95_81:                              ;   in Loop: Header=BB95_6 Depth=1
	v_mov_b32_e32 v1, 0
	s_mov_b32 s7, 0
.LBB95_82:                              ;   in Loop: Header=BB95_6 Depth=1
	v_readlane_b32 s12, v52, 37
	v_readlane_b32 s13, v52, 38
	s_andn2_b64 vcc, exec, s[12:13]
	s_cbranch_vccnz .LBB95_85
; %bb.83:                               ;   in Loop: Header=BB95_6 Depth=1
	s_lshl_b32 s12, s45, 8
	s_lshl_b32 s7, s7, 4
	s_add_i32 s12, s12, s7
	v_add_u32_e32 v2, s12, v38
	v_readlane_b32 s7, v52, 36
.LBB95_84:                              ;   Parent Loop BB95_6 Depth=1
                                        ; =>  This Inner Loop Header: Depth=2
	ds_read_b32 v3, v2
	s_add_i32 s7, s7, -1
	v_add_u32_e32 v2, 16, v2
	s_cmp_lg_u32 s7, 0
	s_waitcnt lgkmcnt(0)
	v_add_u32_e32 v1, v3, v1
	s_cbranch_scc1 .LBB95_84
.LBB95_85:                              ;   in Loop: Header=BB95_6 Depth=1
	v_add_lshl_u32 v2, s6, v24, 2
	ds_write_b32 v2, v1 offset:3072
.LBB95_86:                              ;   in Loop: Header=BB95_6 Depth=1
	s_or_b64 exec, exec, s[2:3]
	s_lshl_b32 s2, s6, 2
	v_mov_b32_e32 v1, s2
	s_waitcnt lgkmcnt(0)
	s_barrier
	ds_read_b128 v[1:4], v1 offset:3072
	v_readlane_b32 s2, v52, 11
	s_lshl_b32 s38, 3, s11
	v_readlane_b32 s3, v52, 12
	s_not_b32 s39, s38
	s_waitcnt lgkmcnt(0)
	v_readfirstlane_b32 s50, v1
	v_readfirstlane_b32 s46, v2
	v_readfirstlane_b32 s47, v3
	v_readfirstlane_b32 s94, v4
	v_cmp_eq_u32_e64 s[26:27], 1, v47
	s_mov_b64 s[86:87], -1
	s_mov_b64 s[30:31], 0
	s_andn2_b64 vcc, exec, s[2:3]
	s_mov_b64 s[80:81], 0
	s_mov_b64 s[34:35], 0
                                        ; implicit-def: $sgpr82_sgpr83
                                        ; implicit-def: $sgpr84_sgpr85
                                        ; implicit-def: $vgpr4
                                        ; implicit-def: $vgpr1
                                        ; implicit-def: $vgpr3
                                        ; implicit-def: $vgpr2
                                        ; implicit-def: $vgpr8
	s_cbranch_vccnz .LBB95_252
; %bb.87:                               ;   in Loop: Header=BB95_6 Depth=1
	s_cmp_eq_u32 s50, 1
	s_cselect_b64 s[2:3], -1, 0
	s_and_b64 s[6:7], s[2:3], s[26:27]
	s_mov_b64 s[2:3], -1
	v_mov_b32_e32 v3, v37
	v_mov_b32_e32 v2, v45
	;; [unrolled: 1-line block ×3, first 2 shown]
                                        ; implicit-def: $sgpr84_sgpr85
                                        ; implicit-def: $sgpr82_sgpr83
	s_and_saveexec_b64 s[14:15], s[6:7]
	s_cbranch_execz .LBB95_115
; %bb.88:                               ;   in Loop: Header=BB95_6 Depth=1
	ds_read_b32 v1, v9 offset:4096
	s_waitcnt lgkmcnt(0)
	s_barrier
	v_readfirstlane_b32 s34, v1
	s_mov_b64 s[2:3], exec
	v_readlane_b32 s12, v52, 21
	v_readlane_b32 s13, v52, 22
	s_and_b64 s[12:13], s[2:3], s[12:13]
	s_mov_b64 exec, s[12:13]
; %bb.89:                               ;   in Loop: Header=BB95_6 Depth=1
	ds_write_b16 v26, v9
; %bb.90:                               ;   in Loop: Header=BB95_6 Depth=1
	s_or_b64 exec, exec, s[2:3]
	v_and_b32_e32 v3, s39, v37
	v_or_b32_e32 v2, s38, v45
	s_mov_b64 s[82:83], -1
	s_mov_b64 s[84:85], 0
	s_cmp_eq_u32 s34, 0
	s_mov_b64 s[2:3], 0
	s_mov_b64 s[12:13], -1
	s_waitcnt lgkmcnt(0)
	s_barrier
                                        ; implicit-def: $vgpr8
	s_cbranch_scc1 .LBB95_102
; %bb.91:                               ;   in Loop: Header=BB95_6 Depth=1
	v_readlane_b32 s2, v52, 23
	s_add_i32 s2, s34, s2
	v_readlane_b32 s3, v52, 44
	s_mul_hi_u32 s3, s2, s3
	s_mul_i32 s3, s3, s8
	s_sub_i32 s3, s2, s3
	s_sub_i32 s12, s3, s8
	s_cmp_ge_u32 s3, s8
	s_cselect_b32 s3, s12, s3
	s_sub_i32 s12, s3, s8
	s_cmp_ge_u32 s3, s8
	s_cselect_b32 s3, s12, s3
	s_sub_i32 s35, s2, s3
	v_cmp_gt_u32_e32 vcc, s35, v0
	s_mov_b64 s[12:13], 0
	s_mov_b64 s[2:3], 0
                                        ; implicit-def: $vgpr8
	s_and_saveexec_b64 s[16:17], vcc
	s_cbranch_execz .LBB95_101
; %bb.92:                               ;   in Loop: Header=BB95_6 Depth=1
	v_mov_b32_e32 v1, v25
	v_mov_b32_e32 v4, v0
                                        ; implicit-def: $sgpr18_sgpr19
	s_branch .LBB95_96
.LBB95_93:                              ;   in Loop: Header=BB95_96 Depth=2
	s_or_b64 exec, exec, s[24:25]
	s_waitcnt lgkmcnt(0)
	s_barrier
	ds_read_b32 v8, v9 offset:3072
	s_waitcnt lgkmcnt(0)
	s_barrier
	v_cmp_neq_f16_e32 vcc, 0, v8
	s_cbranch_vccnz .LBB95_99
; %bb.94:                               ;   in Loop: Header=BB95_96 Depth=2
	v_add_u32_e32 v4, s8, v4
	v_cmp_le_u32_e32 vcc, s35, v4
	v_add_u32_e32 v1, s23, v1
	s_mov_b64 s[24:25], 0
	s_orn2_b64 s[28:29], vcc, exec
.LBB95_95:                              ;   in Loop: Header=BB95_96 Depth=2
	s_and_b64 s[28:29], exec, s[28:29]
	s_or_b64 s[2:3], s[28:29], s[2:3]
	s_andn2_b64 s[18:19], s[18:19], exec
	s_and_b64 s[24:25], s[24:25], exec
	s_or_b64 s[18:19], s[18:19], s[24:25]
	s_andn2_b64 exec, exec, s[2:3]
	s_cbranch_execz .LBB95_100
.LBB95_96:                              ;   Parent Loop BB95_6 Depth=1
                                        ; =>  This Inner Loop Header: Depth=2
	v_cmp_gt_u32_e32 vcc, s34, v4
	s_and_saveexec_b64 s[24:25], vcc
	s_cbranch_execz .LBB95_93
; %bb.97:                               ;   in Loop: Header=BB95_96 Depth=2
	ds_read_u16 v8, v1
	s_waitcnt lgkmcnt(0)
	v_cmp_lt_i16_e32 vcc, -1, v8
	v_cndmask_b32_e32 v12, v41, v42, vcc
	v_xor_b32_sdwa v12, v12, v8 dst_sel:DWORD dst_unused:UNUSED_PAD src0_sel:DWORD src1_sel:WORD_0
	v_cmp_o_f16_e32 vcc, v8, v8
	v_cndmask_b32_e32 v12, v41, v12, vcc
	v_and_b32_e32 v12, v12, v2
	v_cmp_eq_u32_e32 vcc, v12, v3
	s_and_b64 exec, exec, vcc
	s_cbranch_execz .LBB95_93
; %bb.98:                               ;   in Loop: Header=BB95_96 Depth=2
	v_perm_b32 v8, v8, s10, v44
	ds_write_b32 v9, v8 offset:3072
	s_branch .LBB95_93
.LBB95_99:                              ;   in Loop: Header=BB95_96 Depth=2
	s_mov_b64 s[28:29], -1
                                        ; implicit-def: $vgpr4
                                        ; implicit-def: $vgpr1
	s_mov_b64 s[24:25], -1
	s_branch .LBB95_95
.LBB95_100:                             ;   in Loop: Header=BB95_6 Depth=1
	s_or_b64 exec, exec, s[2:3]
	v_lshrrev_b32_e32 v8, 16, v8
	s_and_b64 s[2:3], s[18:19], exec
.LBB95_101:                             ;   in Loop: Header=BB95_6 Depth=1
	s_or_b64 exec, exec, s[16:17]
.LBB95_102:                             ;   in Loop: Header=BB95_6 Depth=1
	s_and_b64 vcc, exec, s[12:13]
	s_cbranch_vccz .LBB95_114
; %bb.103:                              ;   in Loop: Header=BB95_6 Depth=1
                                        ; implicit-def: $vgpr8
	s_mov_b64 s[12:13], exec
	v_readlane_b32 s16, v52, 45
	v_readlane_b32 s17, v52, 46
	s_and_b64 s[16:17], s[12:13], s[16:17]
	s_mov_b64 exec, s[16:17]
	s_cbranch_execz .LBB95_113
; %bb.104:                              ;   in Loop: Header=BB95_6 Depth=1
	s_mov_b64 s[16:17], 0
	v_mov_b32_e32 v8, v7
	v_mov_b32_e32 v1, v0
                                        ; implicit-def: $sgpr18_sgpr19
	s_branch .LBB95_108
.LBB95_105:                             ;   in Loop: Header=BB95_108 Depth=2
	s_or_b64 exec, exec, s[28:29]
	s_waitcnt lgkmcnt(0)
	s_barrier
	ds_read_b32 v4, v9 offset:3072
	s_waitcnt lgkmcnt(0)
	s_barrier
	v_cmp_neq_f16_e32 vcc, 0, v4
	s_cbranch_vccnz .LBB95_111
; %bb.106:                              ;   in Loop: Header=BB95_108 Depth=2
	v_add_u32_e32 v1, s8, v1
	v_cmp_le_u32_e32 vcc, s20, v1
	v_add_u32_e32 v8, s9, v8
	s_mov_b64 s[24:25], 0
	s_orn2_b64 s[28:29], vcc, exec
.LBB95_107:                             ;   in Loop: Header=BB95_108 Depth=2
	s_and_b64 s[28:29], exec, s[28:29]
	s_or_b64 s[16:17], s[28:29], s[16:17]
	s_andn2_b64 s[18:19], s[18:19], exec
	s_and_b64 s[24:25], s[24:25], exec
	s_or_b64 s[18:19], s[18:19], s[24:25]
	s_andn2_b64 exec, exec, s[16:17]
	s_cbranch_execz .LBB95_112
.LBB95_108:                             ;   Parent Loop BB95_6 Depth=1
                                        ; =>  This Inner Loop Header: Depth=2
	v_cmp_gt_u32_e32 vcc, s36, v1
	s_and_saveexec_b64 s[28:29], vcc
	s_cbranch_execz .LBB95_105
; %bb.109:                              ;   in Loop: Header=BB95_108 Depth=2
	v_lshlrev_b64 v[12:13], 1, v[8:9]
	v_mov_b32_e32 v4, s44
	v_add_co_u32_e32 v12, vcc, s33, v12
	v_addc_co_u32_e32 v13, vcc, v4, v13, vcc
	global_load_ushort v4, v[12:13], off
	s_waitcnt vmcnt(0)
	v_cmp_lt_i16_e32 vcc, -1, v4
	v_cndmask_b32_e32 v12, v41, v42, vcc
	v_xor_b32_sdwa v12, v12, v4 dst_sel:DWORD dst_unused:UNUSED_PAD src0_sel:DWORD src1_sel:WORD_0
	v_cmp_o_f16_e32 vcc, v4, v4
	v_cndmask_b32_e32 v12, v41, v12, vcc
	v_and_b32_e32 v12, v12, v2
	v_cmp_eq_u32_e32 vcc, v12, v3
	s_and_b64 exec, exec, vcc
	s_cbranch_execz .LBB95_105
; %bb.110:                              ;   in Loop: Header=BB95_108 Depth=2
	v_perm_b32 v4, v4, s10, v44
	ds_write_b32 v9, v4 offset:3072
	s_branch .LBB95_105
.LBB95_111:                             ;   in Loop: Header=BB95_108 Depth=2
	s_mov_b64 s[28:29], -1
                                        ; implicit-def: $vgpr1
	s_mov_b64 s[24:25], -1
	s_branch .LBB95_107
.LBB95_112:                             ;   in Loop: Header=BB95_6 Depth=1
	s_or_b64 exec, exec, s[16:17]
	s_andn2_b64 s[2:3], s[2:3], exec
	s_and_b64 s[16:17], s[18:19], exec
	v_lshrrev_b32_e32 v8, 16, v4
	s_or_b64 s[2:3], s[2:3], s[16:17]
.LBB95_113:                             ;   in Loop: Header=BB95_6 Depth=1
	s_or_b64 exec, exec, s[12:13]
	s_mov_b64 s[82:83], 0
	s_mov_b64 s[84:85], -1
.LBB95_114:                             ;   in Loop: Header=BB95_6 Depth=1
	s_orn2_b64 s[2:3], s[2:3], exec
.LBB95_115:                             ;   in Loop: Header=BB95_6 Depth=1
	s_or_b64 exec, exec, s[14:15]
	s_mov_b64 s[86:87], 0
	s_mov_b64 s[80:81], 0
	s_mov_b64 s[34:35], 0
                                        ; implicit-def: $vgpr4
                                        ; implicit-def: $vgpr1
	s_and_saveexec_b64 s[88:89], s[2:3]
	s_cbranch_execz .LBB95_251
; %bb.116:                              ;   in Loop: Header=BB95_6 Depth=1
	s_xor_b64 s[12:13], s[6:7], -1
	s_mov_b64 s[6:7], 0
	v_mov_b32_e32 v4, 1
	v_mov_b32_e32 v1, 1
	s_and_saveexec_b64 s[2:3], s[12:13]
	s_cbranch_execz .LBB95_125
; %bb.117:                              ;   in Loop: Header=BB95_6 Depth=1
	v_cmp_ge_u32_e32 vcc, s50, v47
	s_and_saveexec_b64 s[6:7], vcc
	s_xor_b64 s[6:7], exec, s[6:7]
	s_cbranch_execz .LBB95_122
; %bb.118:                              ;   in Loop: Header=BB95_6 Depth=1
	ds_read_b32 v1, v9 offset:4096
	v_and_b32_e32 v3, s39, v3
	v_or_b32_e32 v2, s38, v2
	s_waitcnt lgkmcnt(0)
	v_cmp_ne_u32_e32 vcc, 0, v1
	s_cbranch_vccnz .LBB95_122
; %bb.119:                              ;   in Loop: Header=BB95_6 Depth=1
	s_mov_b64 s[12:13], exec
	v_readlane_b32 s14, v52, 6
	v_readlane_b32 s15, v52, 7
	s_and_b64 s[14:15], s[12:13], s[14:15]
	s_mov_b64 exec, s[14:15]
; %bb.120:                              ;   in Loop: Header=BB95_6 Depth=1
	v_mov_b32_e32 v1, s50
	ds_write_b32 v9, v1 offset:4100
; %bb.121:                              ;   in Loop: Header=BB95_6 Depth=1
	s_or_b64 exec, exec, s[12:13]
	s_waitcnt lgkmcnt(0)
	s_barrier
.LBB95_122:                             ;   in Loop: Header=BB95_6 Depth=1
	s_or_saveexec_b64 s[6:7], s[6:7]
	s_mov_b64 s[12:13], 0
	v_mov_b32_e32 v1, 8
	v_mov_b32_e32 v4, v47
	s_xor_b64 exec, exec, s[6:7]
; %bb.123:                              ;   in Loop: Header=BB95_6 Depth=1
	s_mov_b64 s[12:13], exec
	v_subrev_u32_e32 v4, s50, v47
	v_mov_b32_e32 v1, 0
; %bb.124:                              ;   in Loop: Header=BB95_6 Depth=1
	s_or_b64 exec, exec, s[6:7]
	s_and_b64 s[6:7], s[12:13], exec
.LBB95_125:                             ;   in Loop: Header=BB95_6 Depth=1
	s_or_b64 exec, exec, s[2:3]
	s_mov_b64 s[2:3], -1
                                        ; implicit-def: $sgpr34_sgpr35
                                        ; implicit-def: $sgpr80_sgpr81
	s_and_saveexec_b64 s[12:13], s[6:7]
	s_xor_b64 s[6:7], exec, s[12:13]
	s_cbranch_execz .LBB95_248
; %bb.126:                              ;   in Loop: Header=BB95_6 Depth=1
	s_cmp_eq_u32 s46, 1
	s_cselect_b64 s[2:3], -1, 0
	v_cmp_eq_u32_e32 vcc, 1, v4
	s_and_b64 s[14:15], s[2:3], vcc
	s_mov_b64 s[2:3], -1
                                        ; implicit-def: $sgpr80_sgpr81
                                        ; implicit-def: $sgpr34_sgpr35
	s_and_saveexec_b64 s[16:17], s[14:15]
	s_cbranch_execz .LBB95_154
; %bb.127:                              ;   in Loop: Header=BB95_6 Depth=1
	ds_read_b32 v8, v9 offset:4096
	s_waitcnt lgkmcnt(0)
	s_barrier
	v_readfirstlane_b32 s42, v8
	s_mov_b64 s[2:3], exec
	v_readlane_b32 s12, v52, 21
	v_readlane_b32 s13, v52, 22
	s_and_b64 s[12:13], s[2:3], s[12:13]
	s_mov_b64 exec, s[12:13]
; %bb.128:                              ;   in Loop: Header=BB95_6 Depth=1
	ds_write_b16 v26, v9
; %bb.129:                              ;   in Loop: Header=BB95_6 Depth=1
	s_or_b64 exec, exec, s[2:3]
	v_and_b32_e32 v3, s39, v3
	v_lshl_or_b32 v3, 1, s11, v3
	v_or_b32_e32 v2, s38, v2
	s_mov_b64 s[34:35], -1
	s_mov_b64 s[80:81], 0
	s_cmp_eq_u32 s42, 0
	s_mov_b64 s[12:13], 0
	s_mov_b64 s[2:3], -1
	s_waitcnt lgkmcnt(0)
	s_barrier
                                        ; implicit-def: $vgpr8
	s_cbranch_scc1 .LBB95_141
; %bb.130:                              ;   in Loop: Header=BB95_6 Depth=1
	v_readlane_b32 s2, v52, 23
	s_add_i32 s2, s42, s2
	v_readlane_b32 s3, v52, 44
	s_mul_hi_u32 s3, s2, s3
	s_mul_i32 s3, s3, s8
	s_sub_i32 s3, s2, s3
	s_sub_i32 s12, s3, s8
	s_cmp_ge_u32 s3, s8
	s_cselect_b32 s3, s12, s3
	s_sub_i32 s12, s3, s8
	s_cmp_ge_u32 s3, s8
	s_cselect_b32 s3, s12, s3
	s_sub_i32 s43, s2, s3
	v_cmp_gt_u32_e32 vcc, s43, v0
	s_mov_b64 s[2:3], 0
	s_mov_b64 s[12:13], 0
                                        ; implicit-def: $vgpr8
	s_and_saveexec_b64 s[18:19], vcc
	s_cbranch_execz .LBB95_140
; %bb.131:                              ;   in Loop: Header=BB95_6 Depth=1
	v_mov_b32_e32 v8, v25
	v_mov_b32_e32 v12, v0
                                        ; implicit-def: $sgpr28_sgpr29
	s_branch .LBB95_135
.LBB95_132:                             ;   in Loop: Header=BB95_135 Depth=2
	s_or_b64 exec, exec, s[40:41]
	s_waitcnt lgkmcnt(0)
	s_barrier
	ds_read_b32 v13, v9 offset:3072
	s_waitcnt lgkmcnt(0)
	s_barrier
	v_cmp_neq_f16_e32 vcc, 0, v13
	s_cbranch_vccnz .LBB95_138
; %bb.133:                              ;   in Loop: Header=BB95_135 Depth=2
	v_add_u32_e32 v12, s8, v12
	v_cmp_le_u32_e32 vcc, s43, v12
	v_add_u32_e32 v8, s23, v8
	s_mov_b64 s[24:25], 0
	s_orn2_b64 s[40:41], vcc, exec
.LBB95_134:                             ;   in Loop: Header=BB95_135 Depth=2
	s_and_b64 s[40:41], exec, s[40:41]
	s_or_b64 s[12:13], s[40:41], s[12:13]
	s_andn2_b64 s[28:29], s[28:29], exec
	s_and_b64 s[24:25], s[24:25], exec
	s_or_b64 s[28:29], s[28:29], s[24:25]
	s_andn2_b64 exec, exec, s[12:13]
	s_cbranch_execz .LBB95_139
.LBB95_135:                             ;   Parent Loop BB95_6 Depth=1
                                        ; =>  This Inner Loop Header: Depth=2
	v_cmp_gt_u32_e32 vcc, s42, v12
	s_and_saveexec_b64 s[40:41], vcc
	s_cbranch_execz .LBB95_132
; %bb.136:                              ;   in Loop: Header=BB95_135 Depth=2
	ds_read_u16 v13, v8
	s_waitcnt lgkmcnt(0)
	v_cmp_lt_i16_e32 vcc, -1, v13
	v_cndmask_b32_e32 v14, v41, v42, vcc
	v_xor_b32_sdwa v14, v14, v13 dst_sel:DWORD dst_unused:UNUSED_PAD src0_sel:DWORD src1_sel:WORD_0
	v_cmp_o_f16_e32 vcc, v13, v13
	v_cndmask_b32_e32 v14, v41, v14, vcc
	v_and_b32_e32 v14, v14, v2
	v_cmp_eq_u32_e32 vcc, v14, v3
	s_and_b64 exec, exec, vcc
	s_cbranch_execz .LBB95_132
; %bb.137:                              ;   in Loop: Header=BB95_135 Depth=2
	v_perm_b32 v13, v13, s10, v44
	ds_write_b32 v9, v13 offset:3072
	s_branch .LBB95_132
.LBB95_138:                             ;   in Loop: Header=BB95_135 Depth=2
	s_mov_b64 s[40:41], -1
                                        ; implicit-def: $vgpr12
                                        ; implicit-def: $vgpr8
	s_mov_b64 s[24:25], -1
	s_branch .LBB95_134
.LBB95_139:                             ;   in Loop: Header=BB95_6 Depth=1
	s_or_b64 exec, exec, s[12:13]
	v_lshrrev_b32_e32 v8, 16, v13
	s_and_b64 s[12:13], s[28:29], exec
.LBB95_140:                             ;   in Loop: Header=BB95_6 Depth=1
	s_or_b64 exec, exec, s[18:19]
.LBB95_141:                             ;   in Loop: Header=BB95_6 Depth=1
	s_and_b64 vcc, exec, s[2:3]
	s_cbranch_vccz .LBB95_153
; %bb.142:                              ;   in Loop: Header=BB95_6 Depth=1
                                        ; implicit-def: $vgpr8
	s_mov_b64 s[2:3], exec
	v_readlane_b32 s18, v52, 45
	v_readlane_b32 s19, v52, 46
	s_and_b64 s[18:19], s[2:3], s[18:19]
	s_mov_b64 exec, s[18:19]
	s_cbranch_execz .LBB95_152
; %bb.143:                              ;   in Loop: Header=BB95_6 Depth=1
	s_mov_b64 s[18:19], 0
	v_mov_b32_e32 v8, v7
	v_mov_b32_e32 v12, v0
                                        ; implicit-def: $sgpr28_sgpr29
	s_branch .LBB95_147
.LBB95_144:                             ;   in Loop: Header=BB95_147 Depth=2
	s_or_b64 exec, exec, s[34:35]
	s_waitcnt lgkmcnt(0)
	s_barrier
	ds_read_b32 v13, v9 offset:3072
	s_waitcnt lgkmcnt(0)
	s_barrier
	v_cmp_eq_f16_e32 vcc, 0, v13
	s_cbranch_vccz .LBB95_150
; %bb.145:                              ;   in Loop: Header=BB95_147 Depth=2
	v_add_u32_e32 v12, s8, v12
	v_cmp_le_u32_e32 vcc, s20, v12
	v_add_u32_e32 v8, s9, v8
	s_mov_b64 s[24:25], 0
	s_orn2_b64 s[34:35], vcc, exec
.LBB95_146:                             ;   in Loop: Header=BB95_147 Depth=2
	s_and_b64 s[34:35], exec, s[34:35]
	s_or_b64 s[18:19], s[34:35], s[18:19]
	s_andn2_b64 s[28:29], s[28:29], exec
	s_and_b64 s[24:25], s[24:25], exec
	s_or_b64 s[28:29], s[28:29], s[24:25]
	s_andn2_b64 exec, exec, s[18:19]
	s_cbranch_execz .LBB95_151
.LBB95_147:                             ;   Parent Loop BB95_6 Depth=1
                                        ; =>  This Inner Loop Header: Depth=2
	v_cmp_gt_u32_e32 vcc, s36, v12
	s_and_saveexec_b64 s[34:35], vcc
	s_cbranch_execz .LBB95_144
; %bb.148:                              ;   in Loop: Header=BB95_147 Depth=2
	v_lshlrev_b64 v[13:14], 1, v[8:9]
	v_mov_b32_e32 v15, s44
	v_add_co_u32_e32 v13, vcc, s33, v13
	v_addc_co_u32_e32 v14, vcc, v15, v14, vcc
	global_load_ushort v13, v[13:14], off
	s_waitcnt vmcnt(0)
	v_cmp_lt_i16_e32 vcc, -1, v13
	v_cndmask_b32_e32 v14, v41, v42, vcc
	v_xor_b32_sdwa v14, v14, v13 dst_sel:DWORD dst_unused:UNUSED_PAD src0_sel:DWORD src1_sel:WORD_0
	v_cmp_o_f16_e32 vcc, v13, v13
	v_cndmask_b32_e32 v14, v41, v14, vcc
	v_and_b32_e32 v14, v14, v2
	v_cmp_eq_u32_e32 vcc, v14, v3
	s_and_b64 exec, exec, vcc
	s_cbranch_execz .LBB95_144
; %bb.149:                              ;   in Loop: Header=BB95_147 Depth=2
	v_perm_b32 v13, v13, s10, v44
	ds_write_b32 v9, v13 offset:3072
	s_branch .LBB95_144
.LBB95_150:                             ;   in Loop: Header=BB95_147 Depth=2
	s_mov_b64 s[34:35], -1
                                        ; implicit-def: $vgpr12
	s_mov_b64 s[24:25], -1
	s_branch .LBB95_146
.LBB95_151:                             ;   in Loop: Header=BB95_6 Depth=1
	s_or_b64 exec, exec, s[18:19]
	s_andn2_b64 s[12:13], s[12:13], exec
	s_and_b64 s[18:19], s[28:29], exec
	v_lshrrev_b32_e32 v8, 16, v13
	s_or_b64 s[12:13], s[12:13], s[18:19]
.LBB95_152:                             ;   in Loop: Header=BB95_6 Depth=1
	s_or_b64 exec, exec, s[2:3]
	s_mov_b64 s[34:35], 0
	s_mov_b64 s[80:81], -1
.LBB95_153:                             ;   in Loop: Header=BB95_6 Depth=1
	s_orn2_b64 s[2:3], s[12:13], exec
.LBB95_154:                             ;   in Loop: Header=BB95_6 Depth=1
	s_or_b64 exec, exec, s[16:17]
	s_mov_b64 s[12:13], 0
	s_and_saveexec_b64 s[90:91], s[2:3]
	s_cbranch_execz .LBB95_247
; %bb.155:                              ;   in Loop: Header=BB95_6 Depth=1
	s_xor_b64 s[14:15], s[14:15], -1
	v_mov_b32_e32 v12, 1
	v_mov_b32_e32 v1, 1
	s_and_saveexec_b64 s[2:3], s[14:15]
	s_cbranch_execz .LBB95_164
; %bb.156:                              ;   in Loop: Header=BB95_6 Depth=1
	v_cmp_ge_u32_e32 vcc, s46, v4
	s_and_saveexec_b64 s[12:13], vcc
	s_xor_b64 s[12:13], exec, s[12:13]
	s_cbranch_execz .LBB95_161
; %bb.157:                              ;   in Loop: Header=BB95_6 Depth=1
	v_and_b32_e32 v1, s39, v3
	v_lshl_or_b32 v3, 1, s11, v1
	ds_read_b32 v1, v9 offset:4096
	v_or_b32_e32 v2, s38, v2
	s_waitcnt lgkmcnt(0)
	v_cmp_ne_u32_e32 vcc, 0, v1
	s_cbranch_vccnz .LBB95_161
; %bb.158:                              ;   in Loop: Header=BB95_6 Depth=1
	s_mov_b64 s[14:15], exec
	v_readlane_b32 s16, v52, 6
	v_readlane_b32 s17, v52, 7
	s_and_b64 s[16:17], s[14:15], s[16:17]
	s_mov_b64 exec, s[16:17]
; %bb.159:                              ;   in Loop: Header=BB95_6 Depth=1
	v_mov_b32_e32 v1, s46
	ds_write_b32 v9, v1 offset:4100
; %bb.160:                              ;   in Loop: Header=BB95_6 Depth=1
	s_or_b64 exec, exec, s[14:15]
	s_waitcnt lgkmcnt(0)
	s_barrier
.LBB95_161:                             ;   in Loop: Header=BB95_6 Depth=1
	s_or_saveexec_b64 s[12:13], s[12:13]
	s_mov_b64 s[14:15], 0
	v_mov_b32_e32 v1, 8
	s_xor_b64 exec, exec, s[12:13]
; %bb.162:                              ;   in Loop: Header=BB95_6 Depth=1
	s_mov_b64 s[14:15], exec
	v_subrev_u32_e32 v4, s46, v4
	v_mov_b32_e32 v1, 0
; %bb.163:                              ;   in Loop: Header=BB95_6 Depth=1
	s_or_b64 exec, exec, s[12:13]
	s_and_b64 s[12:13], s[14:15], exec
	v_mov_b32_e32 v12, v4
.LBB95_164:                             ;   in Loop: Header=BB95_6 Depth=1
	s_or_b64 exec, exec, s[2:3]
	s_mov_b64 s[2:3], -1
                                        ; implicit-def: $sgpr14_sgpr15
                                        ; kill: killed $sgpr14_sgpr15
                                        ; implicit-def: $sgpr40_sgpr41
	s_and_saveexec_b64 s[92:93], s[12:13]
	s_cbranch_execz .LBB95_246
; %bb.165:                              ;   in Loop: Header=BB95_6 Depth=1
	s_cmp_eq_u32 s47, 1
	s_cselect_b64 s[2:3], -1, 0
	v_cmp_eq_u32_e32 vcc, 1, v12
	s_and_b64 s[14:15], s[2:3], vcc
	s_mov_b64 s[2:3], -1
                                        ; implicit-def: $sgpr40_sgpr41
                                        ; implicit-def: $sgpr12_sgpr13
                                        ; kill: killed $sgpr12_sgpr13
	s_and_saveexec_b64 s[16:17], s[14:15]
	s_cbranch_execz .LBB95_193
; %bb.166:                              ;   in Loop: Header=BB95_6 Depth=1
	ds_read_b32 v4, v9 offset:4096
	s_waitcnt lgkmcnt(0)
	s_barrier
	v_readfirstlane_b32 s52, v4
	s_mov_b64 s[2:3], exec
	v_readlane_b32 s12, v52, 21
	v_readlane_b32 s13, v52, 22
	s_and_b64 s[12:13], s[2:3], s[12:13]
	s_mov_b64 exec, s[12:13]
; %bb.167:                              ;   in Loop: Header=BB95_6 Depth=1
	ds_write_b16 v26, v9
; %bb.168:                              ;   in Loop: Header=BB95_6 Depth=1
	s_or_b64 exec, exec, s[2:3]
	s_mov_b64 s[2:3], -1
	v_and_b32_e32 v3, s39, v3
	v_writelane_b32 v52, s2, 47
	v_lshl_or_b32 v3, 2, s11, v3
	v_or_b32_e32 v2, s38, v2
	v_writelane_b32 v52, s3, 48
	s_mov_b64 s[40:41], 0
	s_cmp_eq_u32 s52, 0
	s_mov_b64 s[12:13], 0
	s_mov_b64 s[2:3], -1
	s_waitcnt lgkmcnt(0)
	s_barrier
                                        ; implicit-def: $vgpr8
	s_cbranch_scc1 .LBB95_180
; %bb.169:                              ;   in Loop: Header=BB95_6 Depth=1
	v_readlane_b32 s2, v52, 23
	s_add_i32 s2, s52, s2
	v_readlane_b32 s3, v52, 44
	s_mul_hi_u32 s3, s2, s3
	s_mul_i32 s3, s3, s8
	s_sub_i32 s3, s2, s3
	s_sub_i32 s12, s3, s8
	s_cmp_ge_u32 s3, s8
	s_cselect_b32 s3, s12, s3
	s_sub_i32 s12, s3, s8
	s_cmp_ge_u32 s3, s8
	s_cselect_b32 s3, s12, s3
	s_sub_i32 s53, s2, s3
	v_cmp_gt_u32_e32 vcc, s53, v0
	s_mov_b64 s[2:3], 0
	s_mov_b64 s[12:13], 0
                                        ; implicit-def: $vgpr8
	s_and_saveexec_b64 s[18:19], vcc
	s_cbranch_execz .LBB95_179
; %bb.170:                              ;   in Loop: Header=BB95_6 Depth=1
	v_mov_b32_e32 v4, v25
	v_mov_b32_e32 v8, v0
                                        ; implicit-def: $sgpr28_sgpr29
	s_branch .LBB95_174
.LBB95_171:                             ;   in Loop: Header=BB95_174 Depth=2
	s_or_b64 exec, exec, s[42:43]
	s_waitcnt lgkmcnt(0)
	s_barrier
	ds_read_b32 v13, v9 offset:3072
	s_waitcnt lgkmcnt(0)
	s_barrier
	v_cmp_neq_f16_e32 vcc, 0, v13
	s_cbranch_vccnz .LBB95_177
; %bb.172:                              ;   in Loop: Header=BB95_174 Depth=2
	v_add_u32_e32 v8, s8, v8
	v_cmp_le_u32_e32 vcc, s53, v8
	v_add_u32_e32 v4, s23, v4
	s_mov_b64 s[24:25], 0
	s_orn2_b64 s[42:43], vcc, exec
.LBB95_173:                             ;   in Loop: Header=BB95_174 Depth=2
	s_and_b64 s[42:43], exec, s[42:43]
	s_or_b64 s[12:13], s[42:43], s[12:13]
	s_andn2_b64 s[28:29], s[28:29], exec
	s_and_b64 s[24:25], s[24:25], exec
	s_or_b64 s[28:29], s[28:29], s[24:25]
	s_andn2_b64 exec, exec, s[12:13]
	s_cbranch_execz .LBB95_178
.LBB95_174:                             ;   Parent Loop BB95_6 Depth=1
                                        ; =>  This Inner Loop Header: Depth=2
	v_cmp_gt_u32_e32 vcc, s52, v8
	s_and_saveexec_b64 s[42:43], vcc
	s_cbranch_execz .LBB95_171
; %bb.175:                              ;   in Loop: Header=BB95_174 Depth=2
	ds_read_u16 v13, v4
	s_waitcnt lgkmcnt(0)
	v_cmp_lt_i16_e32 vcc, -1, v13
	v_cndmask_b32_e32 v14, v41, v42, vcc
	v_xor_b32_sdwa v14, v14, v13 dst_sel:DWORD dst_unused:UNUSED_PAD src0_sel:DWORD src1_sel:WORD_0
	v_cmp_o_f16_e32 vcc, v13, v13
	v_cndmask_b32_e32 v14, v41, v14, vcc
	v_and_b32_e32 v14, v14, v2
	v_cmp_eq_u32_e32 vcc, v14, v3
	s_and_b64 exec, exec, vcc
	s_cbranch_execz .LBB95_171
; %bb.176:                              ;   in Loop: Header=BB95_174 Depth=2
	v_perm_b32 v13, v13, s10, v44
	ds_write_b32 v9, v13 offset:3072
	s_branch .LBB95_171
.LBB95_177:                             ;   in Loop: Header=BB95_174 Depth=2
	s_mov_b64 s[42:43], -1
                                        ; implicit-def: $vgpr8
                                        ; implicit-def: $vgpr4
	s_mov_b64 s[24:25], -1
	s_branch .LBB95_173
.LBB95_178:                             ;   in Loop: Header=BB95_6 Depth=1
	s_or_b64 exec, exec, s[12:13]
	v_lshrrev_b32_e32 v8, 16, v13
	s_and_b64 s[12:13], s[28:29], exec
.LBB95_179:                             ;   in Loop: Header=BB95_6 Depth=1
	s_or_b64 exec, exec, s[18:19]
.LBB95_180:                             ;   in Loop: Header=BB95_6 Depth=1
	s_and_b64 vcc, exec, s[2:3]
	s_cbranch_vccz .LBB95_192
; %bb.181:                              ;   in Loop: Header=BB95_6 Depth=1
                                        ; implicit-def: $vgpr8
	s_mov_b64 s[2:3], exec
	v_readlane_b32 s18, v52, 45
	v_readlane_b32 s19, v52, 46
	s_and_b64 s[18:19], s[2:3], s[18:19]
	s_mov_b64 exec, s[18:19]
	s_cbranch_execz .LBB95_191
; %bb.182:                              ;   in Loop: Header=BB95_6 Depth=1
	s_mov_b64 s[18:19], 0
	v_mov_b32_e32 v8, v7
	v_mov_b32_e32 v4, v0
                                        ; implicit-def: $sgpr28_sgpr29
	s_branch .LBB95_186
.LBB95_183:                             ;   in Loop: Header=BB95_186 Depth=2
	s_or_b64 exec, exec, s[40:41]
	s_waitcnt lgkmcnt(0)
	s_barrier
	ds_read_b32 v13, v9 offset:3072
	s_waitcnt lgkmcnt(0)
	s_barrier
	v_cmp_eq_f16_e32 vcc, 0, v13
	s_cbranch_vccz .LBB95_189
; %bb.184:                              ;   in Loop: Header=BB95_186 Depth=2
	v_add_u32_e32 v4, s8, v4
	v_cmp_le_u32_e32 vcc, s20, v4
	v_add_u32_e32 v8, s9, v8
	s_mov_b64 s[24:25], 0
	s_orn2_b64 s[40:41], vcc, exec
.LBB95_185:                             ;   in Loop: Header=BB95_186 Depth=2
	s_and_b64 s[40:41], exec, s[40:41]
	s_or_b64 s[18:19], s[40:41], s[18:19]
	s_andn2_b64 s[28:29], s[28:29], exec
	s_and_b64 s[24:25], s[24:25], exec
	s_or_b64 s[28:29], s[28:29], s[24:25]
	s_andn2_b64 exec, exec, s[18:19]
	s_cbranch_execz .LBB95_190
.LBB95_186:                             ;   Parent Loop BB95_6 Depth=1
                                        ; =>  This Inner Loop Header: Depth=2
	v_cmp_gt_u32_e32 vcc, s36, v4
	s_and_saveexec_b64 s[40:41], vcc
	s_cbranch_execz .LBB95_183
; %bb.187:                              ;   in Loop: Header=BB95_186 Depth=2
	v_lshlrev_b64 v[13:14], 1, v[8:9]
	v_mov_b32_e32 v15, s44
	v_add_co_u32_e32 v13, vcc, s33, v13
	v_addc_co_u32_e32 v14, vcc, v15, v14, vcc
	global_load_ushort v13, v[13:14], off
	s_waitcnt vmcnt(0)
	v_cmp_lt_i16_e32 vcc, -1, v13
	v_cndmask_b32_e32 v14, v41, v42, vcc
	v_xor_b32_sdwa v14, v14, v13 dst_sel:DWORD dst_unused:UNUSED_PAD src0_sel:DWORD src1_sel:WORD_0
	v_cmp_o_f16_e32 vcc, v13, v13
	v_cndmask_b32_e32 v14, v41, v14, vcc
	v_and_b32_e32 v14, v14, v2
	v_cmp_eq_u32_e32 vcc, v14, v3
	s_and_b64 exec, exec, vcc
	s_cbranch_execz .LBB95_183
; %bb.188:                              ;   in Loop: Header=BB95_186 Depth=2
	v_perm_b32 v13, v13, s10, v44
	ds_write_b32 v9, v13 offset:3072
	s_branch .LBB95_183
.LBB95_189:                             ;   in Loop: Header=BB95_186 Depth=2
	s_mov_b64 s[40:41], -1
                                        ; implicit-def: $vgpr4
	s_mov_b64 s[24:25], -1
	s_branch .LBB95_185
.LBB95_190:                             ;   in Loop: Header=BB95_6 Depth=1
	s_or_b64 exec, exec, s[18:19]
	s_andn2_b64 s[12:13], s[12:13], exec
	s_and_b64 s[18:19], s[28:29], exec
	v_lshrrev_b32_e32 v8, 16, v13
	s_or_b64 s[12:13], s[12:13], s[18:19]
.LBB95_191:                             ;   in Loop: Header=BB95_6 Depth=1
	s_or_b64 exec, exec, s[2:3]
	s_mov_b64 s[2:3], 0
	v_writelane_b32 v52, s2, 47
	v_writelane_b32 v52, s3, 48
	s_mov_b64 s[40:41], -1
.LBB95_192:                             ;   in Loop: Header=BB95_6 Depth=1
	s_orn2_b64 s[2:3], s[12:13], exec
.LBB95_193:                             ;   in Loop: Header=BB95_6 Depth=1
	s_or_b64 exec, exec, s[16:17]
	s_mov_b64 s[12:13], 0
	s_and_saveexec_b64 s[42:43], s[2:3]
	s_cbranch_execz .LBB95_245
; %bb.194:                              ;   in Loop: Header=BB95_6 Depth=1
	s_xor_b64 s[14:15], s[14:15], -1
	v_mov_b32_e32 v4, 1
	v_mov_b32_e32 v1, 1
	s_and_saveexec_b64 s[2:3], s[14:15]
	s_cbranch_execz .LBB95_203
; %bb.195:                              ;   in Loop: Header=BB95_6 Depth=1
	v_cmp_ge_u32_e32 vcc, s47, v12
	s_and_saveexec_b64 s[12:13], vcc
	s_xor_b64 s[12:13], exec, s[12:13]
	s_cbranch_execz .LBB95_200
; %bb.196:                              ;   in Loop: Header=BB95_6 Depth=1
	v_and_b32_e32 v1, s39, v3
	v_lshl_or_b32 v3, 2, s11, v1
	ds_read_b32 v1, v9 offset:4096
	v_or_b32_e32 v2, s38, v2
	s_waitcnt lgkmcnt(0)
	v_cmp_ne_u32_e32 vcc, 0, v1
	s_cbranch_vccnz .LBB95_200
; %bb.197:                              ;   in Loop: Header=BB95_6 Depth=1
	s_mov_b64 s[14:15], exec
	v_readlane_b32 s16, v52, 6
	v_readlane_b32 s17, v52, 7
	s_and_b64 s[16:17], s[14:15], s[16:17]
	s_mov_b64 exec, s[16:17]
; %bb.198:                              ;   in Loop: Header=BB95_6 Depth=1
	v_mov_b32_e32 v1, s47
	ds_write_b32 v9, v1 offset:4100
; %bb.199:                              ;   in Loop: Header=BB95_6 Depth=1
	s_or_b64 exec, exec, s[14:15]
	s_waitcnt lgkmcnt(0)
	s_barrier
.LBB95_200:                             ;   in Loop: Header=BB95_6 Depth=1
	s_or_saveexec_b64 s[12:13], s[12:13]
	s_mov_b64 s[14:15], 0
	v_mov_b32_e32 v1, 8
	s_xor_b64 exec, exec, s[12:13]
; %bb.201:                              ;   in Loop: Header=BB95_6 Depth=1
	s_mov_b64 s[14:15], exec
	v_subrev_u32_e32 v12, s47, v12
	v_mov_b32_e32 v1, 0
; %bb.202:                              ;   in Loop: Header=BB95_6 Depth=1
	s_or_b64 exec, exec, s[12:13]
	s_and_b64 s[12:13], s[14:15], exec
	v_mov_b32_e32 v4, v12
.LBB95_203:                             ;   in Loop: Header=BB95_6 Depth=1
	s_or_b64 exec, exec, s[2:3]
	s_mov_b64 s[2:3], -1
                                        ; implicit-def: $sgpr28_sgpr29
                                        ; implicit-def: $sgpr18_sgpr19
	s_and_saveexec_b64 s[14:15], s[12:13]
	s_cbranch_execz .LBB95_244
; %bb.204:                              ;   in Loop: Header=BB95_6 Depth=1
	s_cmp_eq_u32 s94, 1
	s_cselect_b64 s[2:3], -1, 0
	v_cmp_eq_u32_e32 vcc, 1, v4
	s_mov_b64 s[52:53], -1
	s_and_b64 s[2:3], s[2:3], vcc
                                        ; implicit-def: $sgpr28_sgpr29
                                        ; implicit-def: $sgpr18_sgpr19
	s_mov_b64 s[12:13], exec
	v_writelane_b32 v52, s2, 49
	v_writelane_b32 v52, s3, 50
	s_and_b64 s[2:3], s[12:13], s[2:3]
	s_mov_b64 exec, s[2:3]
	s_cbranch_execz .LBB95_232
; %bb.205:                              ;   in Loop: Header=BB95_6 Depth=1
	ds_read_b32 v8, v9 offset:4096
	s_waitcnt lgkmcnt(0)
	s_barrier
	v_readfirstlane_b32 s95, v8
	s_mov_b64 s[2:3], exec
	v_readlane_b32 s16, v52, 21
	v_readlane_b32 s17, v52, 22
	s_and_b64 s[16:17], s[2:3], s[16:17]
	s_mov_b64 exec, s[16:17]
; %bb.206:                              ;   in Loop: Header=BB95_6 Depth=1
	ds_write_b16 v26, v9
; %bb.207:                              ;   in Loop: Header=BB95_6 Depth=1
	s_or_b64 exec, exec, s[2:3]
	v_or_b32_e32 v3, s38, v3
	v_or_b32_e32 v2, s38, v2
	s_mov_b64 s[18:19], -1
	s_mov_b64 s[28:29], 0
	s_cmp_eq_u32 s95, 0
	s_mov_b64 s[2:3], 0
	s_waitcnt lgkmcnt(0)
	s_barrier
                                        ; implicit-def: $vgpr8
	s_cbranch_scc1 .LBB95_219
; %bb.208:                              ;   in Loop: Header=BB95_6 Depth=1
	v_readlane_b32 s2, v52, 23
	s_add_i32 s2, s95, s2
	v_readlane_b32 s3, v52, 44
	s_mul_hi_u32 s3, s2, s3
	s_mul_i32 s3, s3, s8
	s_sub_i32 s3, s2, s3
	s_sub_i32 s16, s3, s8
	s_cmp_ge_u32 s3, s8
	s_cselect_b32 s3, s16, s3
	s_sub_i32 s16, s3, s8
	s_cmp_ge_u32 s3, s8
	s_cselect_b32 s3, s16, s3
	s_sub_i32 s16, s2, s3
	v_cmp_gt_u32_e32 vcc, s16, v0
	s_mov_b64 s[52:53], 0
	s_mov_b64 s[2:3], 0
                                        ; implicit-def: $vgpr8
	s_and_saveexec_b64 s[54:55], vcc
	s_cbranch_execz .LBB95_218
; %bb.209:                              ;   in Loop: Header=BB95_6 Depth=1
	v_mov_b32_e32 v8, v25
	v_mov_b32_e32 v12, v0
                                        ; implicit-def: $sgpr56_sgpr57
	s_branch .LBB95_213
.LBB95_210:                             ;   in Loop: Header=BB95_213 Depth=2
	s_or_b64 exec, exec, s[24:25]
	s_waitcnt lgkmcnt(0)
	s_barrier
	ds_read_b32 v13, v9 offset:3072
	s_waitcnt lgkmcnt(0)
	s_barrier
	v_cmp_neq_f16_e32 vcc, 0, v13
	s_cbranch_vccnz .LBB95_216
; %bb.211:                              ;   in Loop: Header=BB95_213 Depth=2
	v_add_u32_e32 v12, s8, v12
	v_cmp_le_u32_e32 vcc, s16, v12
	v_add_u32_e32 v8, s23, v8
	s_mov_b64 s[24:25], 0
	s_orn2_b64 vcc, vcc, exec
.LBB95_212:                             ;   in Loop: Header=BB95_213 Depth=2
	s_and_b64 vcc, exec, vcc
	s_or_b64 s[2:3], vcc, s[2:3]
	s_andn2_b64 s[56:57], s[56:57], exec
	s_and_b64 s[24:25], s[24:25], exec
	s_or_b64 s[56:57], s[56:57], s[24:25]
	s_andn2_b64 exec, exec, s[2:3]
	s_cbranch_execz .LBB95_217
.LBB95_213:                             ;   Parent Loop BB95_6 Depth=1
                                        ; =>  This Inner Loop Header: Depth=2
	v_cmp_gt_u32_e32 vcc, s95, v12
	s_and_saveexec_b64 s[24:25], vcc
	s_cbranch_execz .LBB95_210
; %bb.214:                              ;   in Loop: Header=BB95_213 Depth=2
	ds_read_u16 v13, v8
	s_waitcnt lgkmcnt(0)
	v_cmp_lt_i16_e32 vcc, -1, v13
	v_cndmask_b32_e32 v14, v41, v42, vcc
	v_xor_b32_sdwa v14, v14, v13 dst_sel:DWORD dst_unused:UNUSED_PAD src0_sel:DWORD src1_sel:WORD_0
	v_cmp_o_f16_e32 vcc, v13, v13
	v_cndmask_b32_e32 v14, v41, v14, vcc
	v_and_b32_e32 v14, v14, v2
	v_cmp_eq_u32_e32 vcc, v14, v3
	s_and_b64 exec, exec, vcc
	s_cbranch_execz .LBB95_210
; %bb.215:                              ;   in Loop: Header=BB95_213 Depth=2
	v_perm_b32 v13, v13, s10, v44
	ds_write_b32 v9, v13 offset:3072
	s_branch .LBB95_210
.LBB95_216:                             ;   in Loop: Header=BB95_213 Depth=2
	s_mov_b64 vcc, -1
                                        ; implicit-def: $vgpr12
                                        ; implicit-def: $vgpr8
	s_mov_b64 s[24:25], -1
	s_branch .LBB95_212
.LBB95_217:                             ;   in Loop: Header=BB95_6 Depth=1
	s_or_b64 exec, exec, s[2:3]
	v_lshrrev_b32_e32 v8, 16, v13
	s_and_b64 s[2:3], s[56:57], exec
.LBB95_218:                             ;   in Loop: Header=BB95_6 Depth=1
	s_or_b64 exec, exec, s[54:55]
.LBB95_219:                             ;   in Loop: Header=BB95_6 Depth=1
	s_and_b64 vcc, exec, s[52:53]
	s_cbranch_vccz .LBB95_231
; %bb.220:                              ;   in Loop: Header=BB95_6 Depth=1
                                        ; implicit-def: $vgpr8
	s_mov_b64 s[18:19], exec
	v_readlane_b32 s16, v52, 45
	v_readlane_b32 s17, v52, 46
	s_and_b64 s[16:17], s[18:19], s[16:17]
	s_mov_b64 exec, s[16:17]
	s_cbranch_execz .LBB95_230
; %bb.221:                              ;   in Loop: Header=BB95_6 Depth=1
	s_mov_b64 s[28:29], 0
	v_mov_b32_e32 v8, v7
	v_mov_b32_e32 v12, v0
                                        ; implicit-def: $sgpr52_sgpr53
	s_branch .LBB95_225
.LBB95_222:                             ;   in Loop: Header=BB95_225 Depth=2
	s_or_b64 exec, exec, s[54:55]
	s_waitcnt lgkmcnt(0)
	s_barrier
	ds_read_b32 v13, v9 offset:3072
	s_waitcnt lgkmcnt(0)
	s_barrier
	v_cmp_eq_f16_e32 vcc, 0, v13
	s_cbranch_vccz .LBB95_228
; %bb.223:                              ;   in Loop: Header=BB95_225 Depth=2
	v_add_u32_e32 v12, s8, v12
	v_cmp_le_u32_e32 vcc, s20, v12
	v_add_u32_e32 v8, s9, v8
	s_mov_b64 s[24:25], 0
	s_orn2_b64 s[54:55], vcc, exec
.LBB95_224:                             ;   in Loop: Header=BB95_225 Depth=2
	s_and_b64 s[16:17], exec, s[54:55]
	s_or_b64 s[28:29], s[16:17], s[28:29]
	s_andn2_b64 s[16:17], s[52:53], exec
	s_and_b64 s[24:25], s[24:25], exec
	s_or_b64 s[52:53], s[16:17], s[24:25]
	s_andn2_b64 exec, exec, s[28:29]
	s_cbranch_execz .LBB95_229
.LBB95_225:                             ;   Parent Loop BB95_6 Depth=1
                                        ; =>  This Inner Loop Header: Depth=2
	v_cmp_gt_u32_e32 vcc, s36, v12
	s_and_saveexec_b64 s[54:55], vcc
	s_cbranch_execz .LBB95_222
; %bb.226:                              ;   in Loop: Header=BB95_225 Depth=2
	v_lshlrev_b64 v[13:14], 1, v[8:9]
	v_mov_b32_e32 v15, s44
	v_add_co_u32_e32 v13, vcc, s33, v13
	v_addc_co_u32_e32 v14, vcc, v15, v14, vcc
	global_load_ushort v13, v[13:14], off
	s_waitcnt vmcnt(0)
	v_cmp_lt_i16_e32 vcc, -1, v13
	v_cndmask_b32_e32 v14, v41, v42, vcc
	v_xor_b32_sdwa v14, v14, v13 dst_sel:DWORD dst_unused:UNUSED_PAD src0_sel:DWORD src1_sel:WORD_0
	v_cmp_o_f16_e32 vcc, v13, v13
	v_cndmask_b32_e32 v14, v41, v14, vcc
	v_and_b32_e32 v14, v14, v2
	v_cmp_eq_u32_e32 vcc, v14, v3
	s_and_b64 exec, exec, vcc
	s_cbranch_execz .LBB95_222
; %bb.227:                              ;   in Loop: Header=BB95_225 Depth=2
	v_perm_b32 v13, v13, s10, v44
	ds_write_b32 v9, v13 offset:3072
	s_branch .LBB95_222
.LBB95_228:                             ;   in Loop: Header=BB95_225 Depth=2
	s_mov_b64 s[54:55], -1
                                        ; implicit-def: $vgpr12
	s_mov_b64 s[24:25], -1
	s_branch .LBB95_224
.LBB95_229:                             ;   in Loop: Header=BB95_6 Depth=1
	s_or_b64 exec, exec, s[28:29]
	s_andn2_b64 s[2:3], s[2:3], exec
	s_and_b64 s[16:17], s[52:53], exec
	v_lshrrev_b32_e32 v8, 16, v13
	s_or_b64 s[2:3], s[2:3], s[16:17]
.LBB95_230:                             ;   in Loop: Header=BB95_6 Depth=1
	s_or_b64 exec, exec, s[18:19]
	s_mov_b64 s[18:19], 0
	s_mov_b64 s[28:29], -1
.LBB95_231:                             ;   in Loop: Header=BB95_6 Depth=1
	s_orn2_b64 s[52:53], s[2:3], exec
.LBB95_232:                             ;   in Loop: Header=BB95_6 Depth=1
	s_or_b64 exec, exec, s[12:13]
	s_mov_b64 s[12:13], 0
	s_and_saveexec_b64 s[2:3], s[52:53]
	s_cbranch_execz .LBB95_243
; %bb.233:                              ;   in Loop: Header=BB95_6 Depth=1
	v_readlane_b32 s12, v52, 49
	v_readlane_b32 s13, v52, 50
	s_xor_b64 s[16:17], s[12:13], -1
	v_mov_b32_e32 v1, 1
	v_mov_b32_e32 v12, 1
	s_and_saveexec_b64 s[12:13], s[16:17]
	s_cbranch_execz .LBB95_242
; %bb.234:                              ;   in Loop: Header=BB95_6 Depth=1
	v_cmp_ge_u32_e32 vcc, s94, v4
	s_and_saveexec_b64 s[16:17], vcc
	s_xor_b64 s[16:17], exec, s[16:17]
	s_cbranch_execz .LBB95_239
; %bb.235:                              ;   in Loop: Header=BB95_6 Depth=1
	ds_read_b32 v1, v9 offset:4096
	v_or_b32_e32 v3, s38, v3
	v_or_b32_e32 v2, s38, v2
	s_waitcnt lgkmcnt(0)
	v_cmp_ne_u32_e32 vcc, 0, v1
	s_cbranch_vccnz .LBB95_239
; %bb.236:                              ;   in Loop: Header=BB95_6 Depth=1
	s_mov_b64 s[24:25], exec
	v_readlane_b32 s52, v52, 6
	v_readlane_b32 s53, v52, 7
	s_and_b64 s[52:53], s[24:25], s[52:53]
	s_mov_b64 exec, s[52:53]
; %bb.237:                              ;   in Loop: Header=BB95_6 Depth=1
	v_mov_b32_e32 v1, s94
	ds_write_b32 v9, v1 offset:4100
; %bb.238:                              ;   in Loop: Header=BB95_6 Depth=1
	s_or_b64 exec, exec, s[24:25]
	s_waitcnt lgkmcnt(0)
	s_barrier
.LBB95_239:                             ;   in Loop: Header=BB95_6 Depth=1
	s_andn2_saveexec_b64 s[16:17], s[16:17]
; %bb.240:                              ;   in Loop: Header=BB95_6 Depth=1
	v_subrev_u32_e32 v4, s94, v4
; %bb.241:                              ;   in Loop: Header=BB95_6 Depth=1
	s_or_b64 exec, exec, s[16:17]
	v_mov_b32_e32 v1, 8
	v_mov_b32_e32 v12, v4
.LBB95_242:                             ;   in Loop: Header=BB95_6 Depth=1
	s_or_b64 exec, exec, s[12:13]
	s_mov_b64 s[12:13], exec
	v_mov_b32_e32 v4, v12
.LBB95_243:                             ;   in Loop: Header=BB95_6 Depth=1
	s_or_b64 exec, exec, s[2:3]
	s_orn2_b64 s[2:3], s[12:13], exec
.LBB95_244:                             ;   in Loop: Header=BB95_6 Depth=1
	s_or_b64 exec, exec, s[14:15]
	s_andn2_b64 s[12:13], s[40:41], exec
	s_and_b64 s[14:15], s[28:29], exec
	s_or_b64 s[40:41], s[12:13], s[14:15]
	v_readlane_b32 s12, v52, 47
	v_readlane_b32 s13, v52, 48
	s_andn2_b64 s[12:13], s[12:13], exec
	s_and_b64 s[14:15], s[18:19], exec
	s_or_b64 s[12:13], s[12:13], s[14:15]
	v_writelane_b32 v52, s12, 47
	v_writelane_b32 v52, s13, 48
	s_and_b64 s[12:13], s[2:3], exec
	v_mov_b32_e32 v12, v4
.LBB95_245:                             ;   in Loop: Header=BB95_6 Depth=1
	s_or_b64 exec, exec, s[42:43]
	s_orn2_b64 s[2:3], s[12:13], exec
.LBB95_246:                             ;   in Loop: Header=BB95_6 Depth=1
	s_or_b64 exec, exec, s[92:93]
	s_andn2_b64 s[12:13], s[80:81], exec
	s_and_b64 s[14:15], s[40:41], exec
	s_or_b64 s[80:81], s[12:13], s[14:15]
	v_readlane_b32 s14, v52, 47
	v_readlane_b32 s15, v52, 48
	s_andn2_b64 s[12:13], s[34:35], exec
	s_and_b64 s[14:15], s[14:15], exec
	s_or_b64 s[34:35], s[12:13], s[14:15]
	s_and_b64 s[12:13], s[2:3], exec
	v_mov_b32_e32 v4, v12
.LBB95_247:                             ;   in Loop: Header=BB95_6 Depth=1
	s_or_b64 exec, exec, s[90:91]
	s_orn2_b64 s[2:3], s[12:13], exec
.LBB95_248:                             ;   in Loop: Header=BB95_6 Depth=1
	s_or_b64 exec, exec, s[6:7]
	s_mov_b64 s[6:7], 0
	s_mov_b64 s[12:13], 0
	s_and_saveexec_b64 s[14:15], s[2:3]
	s_xor_b64 s[2:3], exec, s[14:15]
; %bb.249:                              ;   in Loop: Header=BB95_6 Depth=1
	v_cmp_eq_u32_e32 vcc, 8, v1
	v_cmp_ne_u32_e64 s[6:7], 8, v1
	s_and_b64 s[12:13], s[6:7], exec
	s_and_b64 s[6:7], vcc, exec
; %bb.250:                              ;   in Loop: Header=BB95_6 Depth=1
	s_or_b64 exec, exec, s[2:3]
	s_andn2_b64 s[2:3], s[84:85], exec
	s_and_b64 s[14:15], s[80:81], exec
	s_or_b64 s[84:85], s[2:3], s[14:15]
	s_andn2_b64 s[2:3], s[82:83], exec
	s_and_b64 s[14:15], s[34:35], exec
	s_or_b64 s[82:83], s[2:3], s[14:15]
	s_and_b64 s[34:35], s[12:13], exec
	s_and_b64 s[80:81], s[6:7], exec
.LBB95_251:                             ;   in Loop: Header=BB95_6 Depth=1
	s_or_b64 exec, exec, s[88:89]
.LBB95_252:                             ;   in Loop: Header=BB95_6 Depth=1
	s_and_b64 vcc, exec, s[86:87]
	s_cbranch_vccz .LBB95_266
; %bb.253:                              ;   in Loop: Header=BB95_6 Depth=1
	s_cmp_eq_u32 s94, 1
	s_cselect_b64 s[2:3], -1, 0
	s_and_b64 s[6:7], s[2:3], s[26:27]
	s_mov_b64 s[2:3], -1
                                        ; implicit-def: $sgpr26_sgpr27
                                        ; implicit-def: $sgpr30_sgpr31
	s_and_saveexec_b64 s[14:15], s[6:7]
	s_cbranch_execz .LBB95_282
; %bb.254:                              ;   in Loop: Header=BB95_6 Depth=1
	ds_read_b32 v1, v9 offset:4096
	s_waitcnt lgkmcnt(0)
	s_barrier
	v_readfirstlane_b32 s40, v1
	s_mov_b64 s[2:3], exec
	v_readlane_b32 s12, v52, 21
	v_readlane_b32 s13, v52, 22
	s_and_b64 s[12:13], s[2:3], s[12:13]
	s_mov_b64 exec, s[12:13]
; %bb.255:                              ;   in Loop: Header=BB95_6 Depth=1
	ds_write_b16 v26, v9
; %bb.256:                              ;   in Loop: Header=BB95_6 Depth=1
	s_or_b64 exec, exec, s[2:3]
	v_or_b32_e32 v37, s38, v37
	v_or_b32_e32 v45, s38, v45
	s_mov_b64 s[30:31], -1
	s_mov_b64 s[26:27], 0
	s_cmp_eq_u32 s40, 0
	s_mov_b64 s[12:13], 0
	s_mov_b64 s[2:3], -1
	s_waitcnt lgkmcnt(0)
	s_barrier
                                        ; implicit-def: $vgpr46
	s_cbranch_scc1 .LBB95_269
; %bb.257:                              ;   in Loop: Header=BB95_6 Depth=1
	v_readlane_b32 s2, v52, 23
	s_add_i32 s2, s40, s2
	v_readlane_b32 s3, v52, 44
	s_mul_hi_u32 s3, s2, s3
	s_mul_i32 s3, s3, s8
	s_sub_i32 s3, s2, s3
	s_sub_i32 s12, s3, s8
	s_cmp_ge_u32 s3, s8
	s_cselect_b32 s3, s12, s3
	s_sub_i32 s12, s3, s8
	s_cmp_ge_u32 s3, s8
	s_cselect_b32 s3, s12, s3
	s_sub_i32 s41, s2, s3
	v_cmp_gt_u32_e32 vcc, s41, v0
	s_mov_b64 s[2:3], 0
	s_mov_b64 s[12:13], 0
                                        ; implicit-def: $vgpr46
	s_and_saveexec_b64 s[16:17], vcc
	s_cbranch_execz .LBB95_268
; %bb.258:                              ;   in Loop: Header=BB95_6 Depth=1
	v_mov_b32_e32 v1, v25
	v_mov_b32_e32 v2, v0
                                        ; implicit-def: $sgpr18_sgpr19
	s_branch .LBB95_262
.LBB95_259:                             ;   in Loop: Header=BB95_262 Depth=2
	s_or_b64 exec, exec, s[28:29]
	s_waitcnt lgkmcnt(0)
	s_barrier
	ds_read_b32 v3, v9 offset:3072
	s_waitcnt lgkmcnt(0)
	s_barrier
	v_cmp_neq_f16_e32 vcc, 0, v3
	s_cbranch_vccnz .LBB95_265
; %bb.260:                              ;   in Loop: Header=BB95_262 Depth=2
	v_add_u32_e32 v2, s8, v2
	v_cmp_le_u32_e32 vcc, s41, v2
	v_add_u32_e32 v1, s23, v1
	s_mov_b64 s[24:25], 0
	s_orn2_b64 s[28:29], vcc, exec
.LBB95_261:                             ;   in Loop: Header=BB95_262 Depth=2
	s_and_b64 s[28:29], exec, s[28:29]
	s_or_b64 s[12:13], s[28:29], s[12:13]
	s_andn2_b64 s[18:19], s[18:19], exec
	s_and_b64 s[24:25], s[24:25], exec
	s_or_b64 s[18:19], s[18:19], s[24:25]
	s_andn2_b64 exec, exec, s[12:13]
	s_cbranch_execz .LBB95_267
.LBB95_262:                             ;   Parent Loop BB95_6 Depth=1
                                        ; =>  This Inner Loop Header: Depth=2
	v_cmp_gt_u32_e32 vcc, s40, v2
	s_and_saveexec_b64 s[28:29], vcc
	s_cbranch_execz .LBB95_259
; %bb.263:                              ;   in Loop: Header=BB95_262 Depth=2
	ds_read_u16 v3, v1
	s_waitcnt lgkmcnt(0)
	v_cmp_lt_i16_e32 vcc, -1, v3
	v_cndmask_b32_e32 v4, v41, v42, vcc
	v_xor_b32_sdwa v4, v4, v3 dst_sel:DWORD dst_unused:UNUSED_PAD src0_sel:DWORD src1_sel:WORD_0
	v_cmp_o_f16_e32 vcc, v3, v3
	v_cndmask_b32_e32 v4, v41, v4, vcc
	v_and_b32_e32 v4, v4, v45
	v_cmp_eq_u32_e32 vcc, v4, v37
	s_and_b64 exec, exec, vcc
	s_cbranch_execz .LBB95_259
; %bb.264:                              ;   in Loop: Header=BB95_262 Depth=2
	v_perm_b32 v3, v3, s10, v44
	ds_write_b32 v9, v3 offset:3072
	s_branch .LBB95_259
.LBB95_265:                             ;   in Loop: Header=BB95_262 Depth=2
	s_mov_b64 s[28:29], -1
                                        ; implicit-def: $vgpr2
                                        ; implicit-def: $vgpr1
	s_mov_b64 s[24:25], -1
	s_branch .LBB95_261
.LBB95_266:                             ;   in Loop: Header=BB95_6 Depth=1
	s_mov_b64 s[26:27], 0
	v_mov_b32_e32 v37, v3
	v_mov_b32_e32 v45, v2
	;; [unrolled: 1-line block ×3, first 2 shown]
	s_and_saveexec_b64 s[2:3], s[80:81]
	s_cbranch_execnz .LBB95_419
	s_branch .LBB95_420
.LBB95_267:                             ;   in Loop: Header=BB95_6 Depth=1
	s_or_b64 exec, exec, s[12:13]
	v_lshrrev_b32_e32 v46, 16, v3
	s_and_b64 s[12:13], s[18:19], exec
.LBB95_268:                             ;   in Loop: Header=BB95_6 Depth=1
	s_or_b64 exec, exec, s[16:17]
.LBB95_269:                             ;   in Loop: Header=BB95_6 Depth=1
	s_and_b64 vcc, exec, s[2:3]
	s_cbranch_vccz .LBB95_281
; %bb.270:                              ;   in Loop: Header=BB95_6 Depth=1
                                        ; implicit-def: $vgpr46
	s_mov_b64 s[2:3], exec
	v_readlane_b32 s16, v52, 45
	v_readlane_b32 s17, v52, 46
	s_and_b64 s[16:17], s[2:3], s[16:17]
	s_mov_b64 exec, s[16:17]
	s_cbranch_execz .LBB95_280
; %bb.271:                              ;   in Loop: Header=BB95_6 Depth=1
	s_mov_b64 s[16:17], 0
	v_mov_b32_e32 v8, v7
	v_mov_b32_e32 v1, v0
                                        ; implicit-def: $sgpr18_sgpr19
	s_branch .LBB95_275
.LBB95_272:                             ;   in Loop: Header=BB95_275 Depth=2
	s_or_b64 exec, exec, s[26:27]
	s_waitcnt lgkmcnt(0)
	s_barrier
	ds_read_b32 v2, v9 offset:3072
	s_waitcnt lgkmcnt(0)
	s_barrier
	v_cmp_neq_f16_e32 vcc, 0, v2
	s_cbranch_vccnz .LBB95_278
; %bb.273:                              ;   in Loop: Header=BB95_275 Depth=2
	v_add_u32_e32 v1, s8, v1
	v_cmp_le_u32_e32 vcc, s20, v1
	v_add_u32_e32 v8, s9, v8
	s_mov_b64 s[24:25], 0
	s_orn2_b64 s[26:27], vcc, exec
.LBB95_274:                             ;   in Loop: Header=BB95_275 Depth=2
	s_and_b64 s[26:27], exec, s[26:27]
	s_or_b64 s[16:17], s[26:27], s[16:17]
	s_andn2_b64 s[18:19], s[18:19], exec
	s_and_b64 s[24:25], s[24:25], exec
	s_or_b64 s[18:19], s[18:19], s[24:25]
	s_andn2_b64 exec, exec, s[16:17]
	s_cbranch_execz .LBB95_279
.LBB95_275:                             ;   Parent Loop BB95_6 Depth=1
                                        ; =>  This Inner Loop Header: Depth=2
	v_cmp_gt_u32_e32 vcc, s36, v1
	s_and_saveexec_b64 s[26:27], vcc
	s_cbranch_execz .LBB95_272
; %bb.276:                              ;   in Loop: Header=BB95_275 Depth=2
	v_lshlrev_b64 v[2:3], 1, v[8:9]
	v_mov_b32_e32 v4, s44
	v_add_co_u32_e32 v2, vcc, s33, v2
	v_addc_co_u32_e32 v3, vcc, v4, v3, vcc
	global_load_ushort v2, v[2:3], off
	s_waitcnt vmcnt(0)
	v_cmp_lt_i16_e32 vcc, -1, v2
	v_cndmask_b32_e32 v3, v41, v42, vcc
	v_xor_b32_sdwa v3, v3, v2 dst_sel:DWORD dst_unused:UNUSED_PAD src0_sel:DWORD src1_sel:WORD_0
	v_cmp_o_f16_e32 vcc, v2, v2
	v_cndmask_b32_e32 v3, v41, v3, vcc
	v_and_b32_e32 v3, v3, v45
	v_cmp_eq_u32_e32 vcc, v3, v37
	s_and_b64 exec, exec, vcc
	s_cbranch_execz .LBB95_272
; %bb.277:                              ;   in Loop: Header=BB95_275 Depth=2
	v_perm_b32 v2, v2, s10, v44
	ds_write_b32 v9, v2 offset:3072
	s_branch .LBB95_272
.LBB95_278:                             ;   in Loop: Header=BB95_275 Depth=2
	s_mov_b64 s[26:27], -1
                                        ; implicit-def: $vgpr1
	s_mov_b64 s[24:25], -1
	s_branch .LBB95_274
.LBB95_279:                             ;   in Loop: Header=BB95_6 Depth=1
	s_or_b64 exec, exec, s[16:17]
	s_andn2_b64 s[12:13], s[12:13], exec
	s_and_b64 s[16:17], s[18:19], exec
	v_lshrrev_b32_e32 v46, 16, v2
	s_or_b64 s[12:13], s[12:13], s[16:17]
.LBB95_280:                             ;   in Loop: Header=BB95_6 Depth=1
	s_or_b64 exec, exec, s[2:3]
	s_mov_b64 s[30:31], 0
	s_mov_b64 s[26:27], -1
.LBB95_281:                             ;   in Loop: Header=BB95_6 Depth=1
	s_orn2_b64 s[2:3], s[12:13], exec
.LBB95_282:                             ;   in Loop: Header=BB95_6 Depth=1
	s_or_b64 exec, exec, s[14:15]
                                        ; implicit-def: $vgpr4
                                        ; implicit-def: $vgpr1
	s_and_saveexec_b64 s[82:83], s[2:3]
	s_cbranch_execz .LBB95_418
; %bb.283:                              ;   in Loop: Header=BB95_6 Depth=1
	s_xor_b64 s[12:13], s[6:7], -1
	s_mov_b64 s[6:7], 0
	v_mov_b32_e32 v4, 1
	v_mov_b32_e32 v1, 1
	s_and_saveexec_b64 s[2:3], s[12:13]
	s_cbranch_execz .LBB95_292
; %bb.284:                              ;   in Loop: Header=BB95_6 Depth=1
	v_cmp_ge_u32_e32 vcc, s94, v47
	s_and_saveexec_b64 s[6:7], vcc
	s_xor_b64 s[6:7], exec, s[6:7]
	s_cbranch_execz .LBB95_289
; %bb.285:                              ;   in Loop: Header=BB95_6 Depth=1
	ds_read_b32 v1, v9 offset:4096
	v_or_b32_e32 v37, s38, v37
	v_or_b32_e32 v45, s38, v45
	s_waitcnt lgkmcnt(0)
	v_cmp_ne_u32_e32 vcc, 0, v1
	s_cbranch_vccnz .LBB95_289
; %bb.286:                              ;   in Loop: Header=BB95_6 Depth=1
	s_mov_b64 s[12:13], exec
	v_readlane_b32 s14, v52, 6
	v_readlane_b32 s15, v52, 7
	s_and_b64 s[14:15], s[12:13], s[14:15]
	s_mov_b64 exec, s[14:15]
; %bb.287:                              ;   in Loop: Header=BB95_6 Depth=1
	v_mov_b32_e32 v1, s94
	ds_write_b32 v9, v1 offset:4100
; %bb.288:                              ;   in Loop: Header=BB95_6 Depth=1
	s_or_b64 exec, exec, s[12:13]
	s_waitcnt lgkmcnt(0)
	s_barrier
.LBB95_289:                             ;   in Loop: Header=BB95_6 Depth=1
	s_or_saveexec_b64 s[6:7], s[6:7]
	s_mov_b64 s[12:13], 0
	v_mov_b32_e32 v1, 5
	s_xor_b64 exec, exec, s[6:7]
; %bb.290:                              ;   in Loop: Header=BB95_6 Depth=1
	v_subrev_u32_e32 v47, s94, v47
	v_mov_b32_e32 v1, 0
	s_mov_b64 s[12:13], exec
; %bb.291:                              ;   in Loop: Header=BB95_6 Depth=1
	s_or_b64 exec, exec, s[6:7]
	s_and_b64 s[6:7], s[12:13], exec
	v_mov_b32_e32 v4, v47
.LBB95_292:                             ;   in Loop: Header=BB95_6 Depth=1
	s_or_b64 exec, exec, s[2:3]
	s_mov_b64 s[2:3], -1
                                        ; implicit-def: $sgpr84_sgpr85
                                        ; implicit-def: $sgpr86_sgpr87
	s_and_saveexec_b64 s[12:13], s[6:7]
	s_xor_b64 s[6:7], exec, s[12:13]
	s_cbranch_execz .LBB95_415
; %bb.293:                              ;   in Loop: Header=BB95_6 Depth=1
	s_cmp_eq_u32 s47, 1
	s_cselect_b64 s[2:3], -1, 0
	v_cmp_eq_u32_e32 vcc, 1, v4
	s_and_b64 s[14:15], s[2:3], vcc
	s_mov_b64 s[2:3], -1
                                        ; implicit-def: $sgpr86_sgpr87
                                        ; implicit-def: $sgpr84_sgpr85
	s_and_saveexec_b64 s[16:17], s[14:15]
	s_cbranch_execz .LBB95_321
; %bb.294:                              ;   in Loop: Header=BB95_6 Depth=1
	ds_read_b32 v2, v9 offset:4096
	s_waitcnt lgkmcnt(0)
	s_barrier
	v_readfirstlane_b32 s42, v2
	s_mov_b64 s[2:3], exec
	v_readlane_b32 s12, v52, 21
	v_readlane_b32 s13, v52, 22
	s_and_b64 s[12:13], s[2:3], s[12:13]
	s_mov_b64 exec, s[12:13]
; %bb.295:                              ;   in Loop: Header=BB95_6 Depth=1
	ds_write_b16 v26, v9
; %bb.296:                              ;   in Loop: Header=BB95_6 Depth=1
	s_or_b64 exec, exec, s[2:3]
	v_and_b32_e32 v2, s39, v37
	v_lshl_or_b32 v37, 2, s11, v2
	v_or_b32_e32 v45, s38, v45
	s_mov_b64 s[84:85], -1
	s_mov_b64 s[86:87], 0
	s_cmp_eq_u32 s42, 0
	s_mov_b64 s[12:13], 0
	s_mov_b64 s[2:3], -1
	s_waitcnt lgkmcnt(0)
	s_barrier
                                        ; implicit-def: $vgpr46
	s_cbranch_scc1 .LBB95_308
; %bb.297:                              ;   in Loop: Header=BB95_6 Depth=1
	v_readlane_b32 s2, v52, 23
	s_add_i32 s2, s42, s2
	v_readlane_b32 s3, v52, 44
	s_mul_hi_u32 s3, s2, s3
	s_mul_i32 s3, s3, s8
	s_sub_i32 s3, s2, s3
	s_sub_i32 s12, s3, s8
	s_cmp_ge_u32 s3, s8
	s_cselect_b32 s3, s12, s3
	s_sub_i32 s12, s3, s8
	s_cmp_ge_u32 s3, s8
	s_cselect_b32 s3, s12, s3
	s_sub_i32 s43, s2, s3
	v_cmp_gt_u32_e32 vcc, s43, v0
	s_mov_b64 s[2:3], 0
	s_mov_b64 s[12:13], 0
                                        ; implicit-def: $vgpr46
	s_and_saveexec_b64 s[18:19], vcc
	s_cbranch_execz .LBB95_307
; %bb.298:                              ;   in Loop: Header=BB95_6 Depth=1
	v_mov_b32_e32 v2, v25
	v_mov_b32_e32 v3, v0
                                        ; implicit-def: $sgpr28_sgpr29
	s_branch .LBB95_302
.LBB95_299:                             ;   in Loop: Header=BB95_302 Depth=2
	s_or_b64 exec, exec, s[40:41]
	s_waitcnt lgkmcnt(0)
	s_barrier
	ds_read_b32 v8, v9 offset:3072
	s_waitcnt lgkmcnt(0)
	s_barrier
	v_cmp_neq_f16_e32 vcc, 0, v8
	s_cbranch_vccnz .LBB95_305
; %bb.300:                              ;   in Loop: Header=BB95_302 Depth=2
	v_add_u32_e32 v3, s8, v3
	v_cmp_le_u32_e32 vcc, s43, v3
	v_add_u32_e32 v2, s23, v2
	s_mov_b64 s[24:25], 0
	s_orn2_b64 s[40:41], vcc, exec
.LBB95_301:                             ;   in Loop: Header=BB95_302 Depth=2
	s_and_b64 s[40:41], exec, s[40:41]
	s_or_b64 s[12:13], s[40:41], s[12:13]
	s_andn2_b64 s[28:29], s[28:29], exec
	s_and_b64 s[24:25], s[24:25], exec
	s_or_b64 s[28:29], s[28:29], s[24:25]
	s_andn2_b64 exec, exec, s[12:13]
	s_cbranch_execz .LBB95_306
.LBB95_302:                             ;   Parent Loop BB95_6 Depth=1
                                        ; =>  This Inner Loop Header: Depth=2
	v_cmp_gt_u32_e32 vcc, s42, v3
	s_and_saveexec_b64 s[40:41], vcc
	s_cbranch_execz .LBB95_299
; %bb.303:                              ;   in Loop: Header=BB95_302 Depth=2
	ds_read_u16 v8, v2
	s_waitcnt lgkmcnt(0)
	v_cmp_lt_i16_e32 vcc, -1, v8
	v_cndmask_b32_e32 v12, v41, v42, vcc
	v_xor_b32_sdwa v12, v12, v8 dst_sel:DWORD dst_unused:UNUSED_PAD src0_sel:DWORD src1_sel:WORD_0
	v_cmp_o_f16_e32 vcc, v8, v8
	v_cndmask_b32_e32 v12, v41, v12, vcc
	v_and_b32_e32 v12, v12, v45
	v_cmp_eq_u32_e32 vcc, v12, v37
	s_and_b64 exec, exec, vcc
	s_cbranch_execz .LBB95_299
; %bb.304:                              ;   in Loop: Header=BB95_302 Depth=2
	v_perm_b32 v8, v8, s10, v44
	ds_write_b32 v9, v8 offset:3072
	s_branch .LBB95_299
.LBB95_305:                             ;   in Loop: Header=BB95_302 Depth=2
	s_mov_b64 s[40:41], -1
                                        ; implicit-def: $vgpr3
                                        ; implicit-def: $vgpr2
	s_mov_b64 s[24:25], -1
	s_branch .LBB95_301
.LBB95_306:                             ;   in Loop: Header=BB95_6 Depth=1
	s_or_b64 exec, exec, s[12:13]
	v_lshrrev_b32_e32 v46, 16, v8
	s_and_b64 s[12:13], s[28:29], exec
.LBB95_307:                             ;   in Loop: Header=BB95_6 Depth=1
	s_or_b64 exec, exec, s[18:19]
.LBB95_308:                             ;   in Loop: Header=BB95_6 Depth=1
	s_and_b64 vcc, exec, s[2:3]
	s_cbranch_vccz .LBB95_320
; %bb.309:                              ;   in Loop: Header=BB95_6 Depth=1
                                        ; implicit-def: $vgpr46
	s_mov_b64 s[2:3], exec
	v_readlane_b32 s18, v52, 45
	v_readlane_b32 s19, v52, 46
	s_and_b64 s[18:19], s[2:3], s[18:19]
	s_mov_b64 exec, s[18:19]
	s_cbranch_execz .LBB95_319
; %bb.310:                              ;   in Loop: Header=BB95_6 Depth=1
	s_mov_b64 s[18:19], 0
	v_mov_b32_e32 v8, v7
	v_mov_b32_e32 v2, v0
                                        ; implicit-def: $sgpr28_sgpr29
	s_branch .LBB95_314
.LBB95_311:                             ;   in Loop: Header=BB95_314 Depth=2
	s_or_b64 exec, exec, s[40:41]
	s_waitcnt lgkmcnt(0)
	s_barrier
	ds_read_b32 v3, v9 offset:3072
	s_waitcnt lgkmcnt(0)
	s_barrier
	v_cmp_eq_f16_e32 vcc, 0, v3
	s_cbranch_vccz .LBB95_317
; %bb.312:                              ;   in Loop: Header=BB95_314 Depth=2
	v_add_u32_e32 v2, s8, v2
	v_cmp_le_u32_e32 vcc, s20, v2
	v_add_u32_e32 v8, s9, v8
	s_mov_b64 s[24:25], 0
	s_orn2_b64 s[40:41], vcc, exec
.LBB95_313:                             ;   in Loop: Header=BB95_314 Depth=2
	s_and_b64 s[40:41], exec, s[40:41]
	s_or_b64 s[18:19], s[40:41], s[18:19]
	s_andn2_b64 s[28:29], s[28:29], exec
	s_and_b64 s[24:25], s[24:25], exec
	s_or_b64 s[28:29], s[28:29], s[24:25]
	s_andn2_b64 exec, exec, s[18:19]
	s_cbranch_execz .LBB95_318
.LBB95_314:                             ;   Parent Loop BB95_6 Depth=1
                                        ; =>  This Inner Loop Header: Depth=2
	v_cmp_gt_u32_e32 vcc, s36, v2
	s_and_saveexec_b64 s[40:41], vcc
	s_cbranch_execz .LBB95_311
; %bb.315:                              ;   in Loop: Header=BB95_314 Depth=2
	v_lshlrev_b64 v[12:13], 1, v[8:9]
	v_mov_b32_e32 v3, s44
	v_add_co_u32_e32 v12, vcc, s33, v12
	v_addc_co_u32_e32 v13, vcc, v3, v13, vcc
	global_load_ushort v3, v[12:13], off
	s_waitcnt vmcnt(0)
	v_cmp_lt_i16_e32 vcc, -1, v3
	v_cndmask_b32_e32 v12, v41, v42, vcc
	v_xor_b32_sdwa v12, v12, v3 dst_sel:DWORD dst_unused:UNUSED_PAD src0_sel:DWORD src1_sel:WORD_0
	v_cmp_o_f16_e32 vcc, v3, v3
	v_cndmask_b32_e32 v12, v41, v12, vcc
	v_and_b32_e32 v12, v12, v45
	v_cmp_eq_u32_e32 vcc, v12, v37
	s_and_b64 exec, exec, vcc
	s_cbranch_execz .LBB95_311
; %bb.316:                              ;   in Loop: Header=BB95_314 Depth=2
	v_perm_b32 v3, v3, s10, v44
	ds_write_b32 v9, v3 offset:3072
	s_branch .LBB95_311
.LBB95_317:                             ;   in Loop: Header=BB95_314 Depth=2
	s_mov_b64 s[40:41], -1
                                        ; implicit-def: $vgpr2
	s_mov_b64 s[24:25], -1
	s_branch .LBB95_313
.LBB95_318:                             ;   in Loop: Header=BB95_6 Depth=1
	s_or_b64 exec, exec, s[18:19]
	s_andn2_b64 s[12:13], s[12:13], exec
	s_and_b64 s[18:19], s[28:29], exec
	v_lshrrev_b32_e32 v46, 16, v3
	s_or_b64 s[12:13], s[12:13], s[18:19]
.LBB95_319:                             ;   in Loop: Header=BB95_6 Depth=1
	s_or_b64 exec, exec, s[2:3]
	s_mov_b64 s[84:85], 0
	s_mov_b64 s[86:87], -1
.LBB95_320:                             ;   in Loop: Header=BB95_6 Depth=1
	s_orn2_b64 s[2:3], s[12:13], exec
.LBB95_321:                             ;   in Loop: Header=BB95_6 Depth=1
	s_or_b64 exec, exec, s[16:17]
	s_mov_b64 s[12:13], 0
	s_and_saveexec_b64 s[88:89], s[2:3]
	s_cbranch_execz .LBB95_414
; %bb.322:                              ;   in Loop: Header=BB95_6 Depth=1
	s_xor_b64 s[14:15], s[14:15], -1
	v_mov_b32_e32 v2, 1
	v_mov_b32_e32 v1, 1
	s_and_saveexec_b64 s[2:3], s[14:15]
	s_cbranch_execz .LBB95_331
; %bb.323:                              ;   in Loop: Header=BB95_6 Depth=1
	v_cmp_ge_u32_e32 vcc, s47, v4
	s_and_saveexec_b64 s[12:13], vcc
	s_xor_b64 s[12:13], exec, s[12:13]
	s_cbranch_execz .LBB95_328
; %bb.324:                              ;   in Loop: Header=BB95_6 Depth=1
	v_and_b32_e32 v1, s39, v37
	v_lshl_or_b32 v37, 2, s11, v1
	ds_read_b32 v1, v9 offset:4096
	v_or_b32_e32 v45, s38, v45
	s_waitcnt lgkmcnt(0)
	v_cmp_ne_u32_e32 vcc, 0, v1
	s_cbranch_vccnz .LBB95_328
; %bb.325:                              ;   in Loop: Header=BB95_6 Depth=1
	s_mov_b64 s[14:15], exec
	v_readlane_b32 s16, v52, 6
	v_readlane_b32 s17, v52, 7
	s_and_b64 s[16:17], s[14:15], s[16:17]
	s_mov_b64 exec, s[16:17]
; %bb.326:                              ;   in Loop: Header=BB95_6 Depth=1
	v_mov_b32_e32 v1, s47
	ds_write_b32 v9, v1 offset:4100
; %bb.327:                              ;   in Loop: Header=BB95_6 Depth=1
	s_or_b64 exec, exec, s[14:15]
	s_waitcnt lgkmcnt(0)
	s_barrier
.LBB95_328:                             ;   in Loop: Header=BB95_6 Depth=1
	s_or_saveexec_b64 s[12:13], s[12:13]
	s_mov_b64 s[14:15], 0
	v_mov_b32_e32 v1, 5
	s_xor_b64 exec, exec, s[12:13]
; %bb.329:                              ;   in Loop: Header=BB95_6 Depth=1
	v_subrev_u32_e32 v4, s47, v4
	v_mov_b32_e32 v1, 0
	s_mov_b64 s[14:15], exec
; %bb.330:                              ;   in Loop: Header=BB95_6 Depth=1
	s_or_b64 exec, exec, s[12:13]
	s_and_b64 s[12:13], s[14:15], exec
	v_mov_b32_e32 v2, v4
.LBB95_331:                             ;   in Loop: Header=BB95_6 Depth=1
	s_or_b64 exec, exec, s[2:3]
	s_mov_b64 s[2:3], -1
                                        ; implicit-def: $sgpr92_sgpr93
                                        ; implicit-def: $sgpr94_sgpr95
	s_and_saveexec_b64 s[90:91], s[12:13]
	s_cbranch_execz .LBB95_413
; %bb.332:                              ;   in Loop: Header=BB95_6 Depth=1
	s_cmp_eq_u32 s46, 1
	s_cselect_b64 s[2:3], -1, 0
	v_cmp_eq_u32_e32 vcc, 1, v2
	s_and_b64 s[14:15], s[2:3], vcc
	s_mov_b64 s[2:3], -1
                                        ; implicit-def: $sgpr94_sgpr95
                                        ; implicit-def: $sgpr92_sgpr93
	s_and_saveexec_b64 s[16:17], s[14:15]
	s_cbranch_execz .LBB95_360
; %bb.333:                              ;   in Loop: Header=BB95_6 Depth=1
	ds_read_b32 v3, v9 offset:4096
	s_waitcnt lgkmcnt(0)
	s_barrier
	v_readfirstlane_b32 s42, v3
	s_mov_b64 s[2:3], exec
	v_readlane_b32 s12, v52, 21
	v_readlane_b32 s13, v52, 22
	s_and_b64 s[12:13], s[2:3], s[12:13]
	s_mov_b64 exec, s[12:13]
; %bb.334:                              ;   in Loop: Header=BB95_6 Depth=1
	ds_write_b16 v26, v9
; %bb.335:                              ;   in Loop: Header=BB95_6 Depth=1
	s_or_b64 exec, exec, s[2:3]
	v_and_b32_e32 v3, s39, v37
	v_lshl_or_b32 v37, 1, s11, v3
	v_or_b32_e32 v45, s38, v45
	s_mov_b64 s[92:93], -1
	s_mov_b64 s[94:95], 0
	s_cmp_eq_u32 s42, 0
	s_mov_b64 s[12:13], 0
	s_mov_b64 s[2:3], -1
	s_waitcnt lgkmcnt(0)
	s_barrier
                                        ; implicit-def: $vgpr46
	s_cbranch_scc1 .LBB95_347
; %bb.336:                              ;   in Loop: Header=BB95_6 Depth=1
	v_readlane_b32 s2, v52, 23
	s_add_i32 s2, s42, s2
	v_readlane_b32 s3, v52, 44
	s_mul_hi_u32 s3, s2, s3
	s_mul_i32 s3, s3, s8
	s_sub_i32 s3, s2, s3
	s_sub_i32 s12, s3, s8
	s_cmp_ge_u32 s3, s8
	s_cselect_b32 s3, s12, s3
	s_sub_i32 s12, s3, s8
	s_cmp_ge_u32 s3, s8
	s_cselect_b32 s3, s12, s3
	s_sub_i32 s43, s2, s3
	v_cmp_gt_u32_e32 vcc, s43, v0
	s_mov_b64 s[2:3], 0
	s_mov_b64 s[12:13], 0
                                        ; implicit-def: $vgpr46
	s_and_saveexec_b64 s[18:19], vcc
	s_cbranch_execz .LBB95_346
; %bb.337:                              ;   in Loop: Header=BB95_6 Depth=1
	v_mov_b32_e32 v3, v25
	v_mov_b32_e32 v4, v0
                                        ; implicit-def: $sgpr28_sgpr29
	s_branch .LBB95_341
.LBB95_338:                             ;   in Loop: Header=BB95_341 Depth=2
	s_or_b64 exec, exec, s[40:41]
	s_waitcnt lgkmcnt(0)
	s_barrier
	ds_read_b32 v8, v9 offset:3072
	s_waitcnt lgkmcnt(0)
	s_barrier
	v_cmp_neq_f16_e32 vcc, 0, v8
	s_cbranch_vccnz .LBB95_344
; %bb.339:                              ;   in Loop: Header=BB95_341 Depth=2
	v_add_u32_e32 v4, s8, v4
	v_cmp_le_u32_e32 vcc, s43, v4
	v_add_u32_e32 v3, s23, v3
	s_mov_b64 s[24:25], 0
	s_orn2_b64 s[40:41], vcc, exec
.LBB95_340:                             ;   in Loop: Header=BB95_341 Depth=2
	s_and_b64 s[40:41], exec, s[40:41]
	s_or_b64 s[12:13], s[40:41], s[12:13]
	s_andn2_b64 s[28:29], s[28:29], exec
	s_and_b64 s[24:25], s[24:25], exec
	s_or_b64 s[28:29], s[28:29], s[24:25]
	s_andn2_b64 exec, exec, s[12:13]
	s_cbranch_execz .LBB95_345
.LBB95_341:                             ;   Parent Loop BB95_6 Depth=1
                                        ; =>  This Inner Loop Header: Depth=2
	v_cmp_gt_u32_e32 vcc, s42, v4
	s_and_saveexec_b64 s[40:41], vcc
	s_cbranch_execz .LBB95_338
; %bb.342:                              ;   in Loop: Header=BB95_341 Depth=2
	ds_read_u16 v8, v3
	s_waitcnt lgkmcnt(0)
	v_cmp_lt_i16_e32 vcc, -1, v8
	v_cndmask_b32_e32 v12, v41, v42, vcc
	v_xor_b32_sdwa v12, v12, v8 dst_sel:DWORD dst_unused:UNUSED_PAD src0_sel:DWORD src1_sel:WORD_0
	v_cmp_o_f16_e32 vcc, v8, v8
	v_cndmask_b32_e32 v12, v41, v12, vcc
	v_and_b32_e32 v12, v12, v45
	v_cmp_eq_u32_e32 vcc, v12, v37
	s_and_b64 exec, exec, vcc
	s_cbranch_execz .LBB95_338
; %bb.343:                              ;   in Loop: Header=BB95_341 Depth=2
	v_perm_b32 v8, v8, s10, v44
	ds_write_b32 v9, v8 offset:3072
	s_branch .LBB95_338
.LBB95_344:                             ;   in Loop: Header=BB95_341 Depth=2
	s_mov_b64 s[40:41], -1
                                        ; implicit-def: $vgpr4
                                        ; implicit-def: $vgpr3
	s_mov_b64 s[24:25], -1
	s_branch .LBB95_340
.LBB95_345:                             ;   in Loop: Header=BB95_6 Depth=1
	s_or_b64 exec, exec, s[12:13]
	v_lshrrev_b32_e32 v46, 16, v8
	s_and_b64 s[12:13], s[28:29], exec
.LBB95_346:                             ;   in Loop: Header=BB95_6 Depth=1
	s_or_b64 exec, exec, s[18:19]
.LBB95_347:                             ;   in Loop: Header=BB95_6 Depth=1
	s_and_b64 vcc, exec, s[2:3]
	s_cbranch_vccz .LBB95_359
; %bb.348:                              ;   in Loop: Header=BB95_6 Depth=1
                                        ; implicit-def: $vgpr46
	s_mov_b64 s[2:3], exec
	v_readlane_b32 s18, v52, 45
	v_readlane_b32 s19, v52, 46
	s_and_b64 s[18:19], s[2:3], s[18:19]
	s_mov_b64 exec, s[18:19]
	s_cbranch_execz .LBB95_358
; %bb.349:                              ;   in Loop: Header=BB95_6 Depth=1
	s_mov_b64 s[18:19], 0
	v_mov_b32_e32 v8, v7
	v_mov_b32_e32 v3, v0
                                        ; implicit-def: $sgpr28_sgpr29
	s_branch .LBB95_353
.LBB95_350:                             ;   in Loop: Header=BB95_353 Depth=2
	s_or_b64 exec, exec, s[40:41]
	s_waitcnt lgkmcnt(0)
	s_barrier
	ds_read_b32 v4, v9 offset:3072
	s_waitcnt lgkmcnt(0)
	s_barrier
	v_cmp_eq_f16_e32 vcc, 0, v4
	s_cbranch_vccz .LBB95_356
; %bb.351:                              ;   in Loop: Header=BB95_353 Depth=2
	v_add_u32_e32 v3, s8, v3
	v_cmp_le_u32_e32 vcc, s20, v3
	v_add_u32_e32 v8, s9, v8
	s_mov_b64 s[24:25], 0
	s_orn2_b64 s[40:41], vcc, exec
.LBB95_352:                             ;   in Loop: Header=BB95_353 Depth=2
	s_and_b64 s[40:41], exec, s[40:41]
	s_or_b64 s[18:19], s[40:41], s[18:19]
	s_andn2_b64 s[28:29], s[28:29], exec
	s_and_b64 s[24:25], s[24:25], exec
	s_or_b64 s[28:29], s[28:29], s[24:25]
	s_andn2_b64 exec, exec, s[18:19]
	s_cbranch_execz .LBB95_357
.LBB95_353:                             ;   Parent Loop BB95_6 Depth=1
                                        ; =>  This Inner Loop Header: Depth=2
	v_cmp_gt_u32_e32 vcc, s36, v3
	s_and_saveexec_b64 s[40:41], vcc
	s_cbranch_execz .LBB95_350
; %bb.354:                              ;   in Loop: Header=BB95_353 Depth=2
	v_lshlrev_b64 v[12:13], 1, v[8:9]
	v_mov_b32_e32 v4, s44
	v_add_co_u32_e32 v12, vcc, s33, v12
	v_addc_co_u32_e32 v13, vcc, v4, v13, vcc
	global_load_ushort v4, v[12:13], off
	s_waitcnt vmcnt(0)
	v_cmp_lt_i16_e32 vcc, -1, v4
	v_cndmask_b32_e32 v12, v41, v42, vcc
	v_xor_b32_sdwa v12, v12, v4 dst_sel:DWORD dst_unused:UNUSED_PAD src0_sel:DWORD src1_sel:WORD_0
	v_cmp_o_f16_e32 vcc, v4, v4
	v_cndmask_b32_e32 v12, v41, v12, vcc
	v_and_b32_e32 v12, v12, v45
	v_cmp_eq_u32_e32 vcc, v12, v37
	s_and_b64 exec, exec, vcc
	s_cbranch_execz .LBB95_350
; %bb.355:                              ;   in Loop: Header=BB95_353 Depth=2
	v_perm_b32 v4, v4, s10, v44
	ds_write_b32 v9, v4 offset:3072
	s_branch .LBB95_350
.LBB95_356:                             ;   in Loop: Header=BB95_353 Depth=2
	s_mov_b64 s[40:41], -1
                                        ; implicit-def: $vgpr3
	s_mov_b64 s[24:25], -1
	s_branch .LBB95_352
.LBB95_357:                             ;   in Loop: Header=BB95_6 Depth=1
	s_or_b64 exec, exec, s[18:19]
	s_andn2_b64 s[12:13], s[12:13], exec
	s_and_b64 s[18:19], s[28:29], exec
	v_lshrrev_b32_e32 v46, 16, v4
	s_or_b64 s[12:13], s[12:13], s[18:19]
.LBB95_358:                             ;   in Loop: Header=BB95_6 Depth=1
	s_or_b64 exec, exec, s[2:3]
	s_mov_b64 s[92:93], 0
	s_mov_b64 s[94:95], -1
.LBB95_359:                             ;   in Loop: Header=BB95_6 Depth=1
	s_orn2_b64 s[2:3], s[12:13], exec
.LBB95_360:                             ;   in Loop: Header=BB95_6 Depth=1
	s_or_b64 exec, exec, s[16:17]
	s_mov_b64 s[12:13], 0
	s_and_saveexec_b64 s[40:41], s[2:3]
	s_cbranch_execz .LBB95_412
; %bb.361:                              ;   in Loop: Header=BB95_6 Depth=1
	s_xor_b64 s[14:15], s[14:15], -1
	v_mov_b32_e32 v3, 1
	v_mov_b32_e32 v1, 1
	s_and_saveexec_b64 s[2:3], s[14:15]
	s_cbranch_execz .LBB95_370
; %bb.362:                              ;   in Loop: Header=BB95_6 Depth=1
	v_cmp_ge_u32_e32 vcc, s46, v2
	s_and_saveexec_b64 s[12:13], vcc
	s_xor_b64 s[12:13], exec, s[12:13]
	s_cbranch_execz .LBB95_367
; %bb.363:                              ;   in Loop: Header=BB95_6 Depth=1
	v_and_b32_e32 v1, s39, v37
	v_lshl_or_b32 v37, 1, s11, v1
	ds_read_b32 v1, v9 offset:4096
	v_or_b32_e32 v45, s38, v45
	s_waitcnt lgkmcnt(0)
	v_cmp_ne_u32_e32 vcc, 0, v1
	s_cbranch_vccnz .LBB95_367
; %bb.364:                              ;   in Loop: Header=BB95_6 Depth=1
	s_mov_b64 s[14:15], exec
	v_readlane_b32 s16, v52, 6
	v_readlane_b32 s17, v52, 7
	s_and_b64 s[16:17], s[14:15], s[16:17]
	s_mov_b64 exec, s[16:17]
; %bb.365:                              ;   in Loop: Header=BB95_6 Depth=1
	v_mov_b32_e32 v1, s46
	ds_write_b32 v9, v1 offset:4100
; %bb.366:                              ;   in Loop: Header=BB95_6 Depth=1
	s_or_b64 exec, exec, s[14:15]
	s_waitcnt lgkmcnt(0)
	s_barrier
.LBB95_367:                             ;   in Loop: Header=BB95_6 Depth=1
	s_or_saveexec_b64 s[12:13], s[12:13]
	s_mov_b64 s[14:15], 0
	v_mov_b32_e32 v1, 5
	s_xor_b64 exec, exec, s[12:13]
; %bb.368:                              ;   in Loop: Header=BB95_6 Depth=1
	v_subrev_u32_e32 v2, s46, v2
	v_mov_b32_e32 v1, 0
	s_mov_b64 s[14:15], exec
; %bb.369:                              ;   in Loop: Header=BB95_6 Depth=1
	s_or_b64 exec, exec, s[12:13]
	s_and_b64 s[12:13], s[14:15], exec
	v_mov_b32_e32 v3, v2
.LBB95_370:                             ;   in Loop: Header=BB95_6 Depth=1
	s_or_b64 exec, exec, s[2:3]
	s_mov_b64 s[2:3], -1
                                        ; implicit-def: $sgpr16_sgpr17
                                        ; implicit-def: $sgpr14_sgpr15
	s_and_saveexec_b64 s[42:43], s[12:13]
	s_cbranch_execz .LBB95_411
; %bb.371:                              ;   in Loop: Header=BB95_6 Depth=1
	s_cmp_eq_u32 s50, 1
	s_cselect_b64 s[2:3], -1, 0
	v_cmp_eq_u32_e32 vcc, 1, v3
	s_and_b64 s[18:19], s[2:3], vcc
	s_mov_b64 s[12:13], -1
                                        ; implicit-def: $sgpr16_sgpr17
                                        ; implicit-def: $sgpr14_sgpr15
	s_and_saveexec_b64 s[28:29], s[18:19]
	s_cbranch_execz .LBB95_399
; %bb.372:                              ;   in Loop: Header=BB95_6 Depth=1
	ds_read_b32 v2, v9 offset:4096
	s_waitcnt lgkmcnt(0)
	s_barrier
	v_readfirstlane_b32 s46, v2
	s_mov_b64 s[2:3], exec
	v_readlane_b32 s12, v52, 21
	v_readlane_b32 s13, v52, 22
	s_and_b64 s[12:13], s[2:3], s[12:13]
	s_mov_b64 exec, s[12:13]
; %bb.373:                              ;   in Loop: Header=BB95_6 Depth=1
	ds_write_b16 v26, v9
; %bb.374:                              ;   in Loop: Header=BB95_6 Depth=1
	s_or_b64 exec, exec, s[2:3]
	v_and_b32_e32 v37, s39, v37
	v_or_b32_e32 v45, s38, v45
	s_mov_b64 s[14:15], -1
	s_mov_b64 s[16:17], 0
	s_cmp_eq_u32 s46, 0
	s_mov_b64 s[12:13], 0
	s_mov_b64 s[2:3], -1
	s_waitcnt lgkmcnt(0)
	s_barrier
                                        ; implicit-def: $vgpr46
	s_cbranch_scc1 .LBB95_386
; %bb.375:                              ;   in Loop: Header=BB95_6 Depth=1
	v_readlane_b32 s2, v52, 23
	s_add_i32 s2, s46, s2
	v_readlane_b32 s3, v52, 44
	s_mul_hi_u32 s3, s2, s3
	s_mul_i32 s3, s3, s8
	s_sub_i32 s3, s2, s3
	s_sub_i32 s12, s3, s8
	s_cmp_ge_u32 s3, s8
	s_cselect_b32 s3, s12, s3
	s_sub_i32 s12, s3, s8
	s_cmp_ge_u32 s3, s8
	s_cselect_b32 s3, s12, s3
	s_sub_i32 s47, s2, s3
	v_cmp_gt_u32_e32 vcc, s47, v0
	s_mov_b64 s[2:3], 0
	s_mov_b64 s[12:13], 0
                                        ; implicit-def: $vgpr46
	s_and_saveexec_b64 s[52:53], vcc
	s_cbranch_execz .LBB95_385
; %bb.376:                              ;   in Loop: Header=BB95_6 Depth=1
	v_mov_b32_e32 v2, v25
	v_mov_b32_e32 v4, v0
                                        ; implicit-def: $sgpr54_sgpr55
	s_branch .LBB95_380
.LBB95_377:                             ;   in Loop: Header=BB95_380 Depth=2
	s_or_b64 exec, exec, s[56:57]
	s_waitcnt lgkmcnt(0)
	s_barrier
	ds_read_b32 v8, v9 offset:3072
	s_waitcnt lgkmcnt(0)
	s_barrier
	v_cmp_neq_f16_e32 vcc, 0, v8
	s_cbranch_vccnz .LBB95_383
; %bb.378:                              ;   in Loop: Header=BB95_380 Depth=2
	v_add_u32_e32 v4, s8, v4
	v_cmp_le_u32_e32 vcc, s47, v4
	v_add_u32_e32 v2, s23, v2
	s_mov_b64 s[24:25], 0
	s_orn2_b64 s[56:57], vcc, exec
.LBB95_379:                             ;   in Loop: Header=BB95_380 Depth=2
	s_and_b64 s[56:57], exec, s[56:57]
	s_or_b64 s[12:13], s[56:57], s[12:13]
	s_andn2_b64 s[54:55], s[54:55], exec
	s_and_b64 s[24:25], s[24:25], exec
	s_or_b64 s[54:55], s[54:55], s[24:25]
	s_andn2_b64 exec, exec, s[12:13]
	s_cbranch_execz .LBB95_384
.LBB95_380:                             ;   Parent Loop BB95_6 Depth=1
                                        ; =>  This Inner Loop Header: Depth=2
	v_cmp_gt_u32_e32 vcc, s46, v4
	s_and_saveexec_b64 s[56:57], vcc
	s_cbranch_execz .LBB95_377
; %bb.381:                              ;   in Loop: Header=BB95_380 Depth=2
	ds_read_u16 v8, v2
	s_waitcnt lgkmcnt(0)
	v_cmp_lt_i16_e32 vcc, -1, v8
	v_cndmask_b32_e32 v12, v41, v42, vcc
	v_xor_b32_sdwa v12, v12, v8 dst_sel:DWORD dst_unused:UNUSED_PAD src0_sel:DWORD src1_sel:WORD_0
	v_cmp_o_f16_e32 vcc, v8, v8
	v_cndmask_b32_e32 v12, v41, v12, vcc
	v_and_b32_e32 v12, v12, v45
	v_cmp_eq_u32_e32 vcc, v12, v37
	s_and_b64 exec, exec, vcc
	s_cbranch_execz .LBB95_377
; %bb.382:                              ;   in Loop: Header=BB95_380 Depth=2
	v_perm_b32 v8, v8, s10, v44
	ds_write_b32 v9, v8 offset:3072
	s_branch .LBB95_377
.LBB95_383:                             ;   in Loop: Header=BB95_380 Depth=2
	s_mov_b64 s[56:57], -1
                                        ; implicit-def: $vgpr4
                                        ; implicit-def: $vgpr2
	s_mov_b64 s[24:25], -1
	s_branch .LBB95_379
.LBB95_384:                             ;   in Loop: Header=BB95_6 Depth=1
	s_or_b64 exec, exec, s[12:13]
	v_lshrrev_b32_e32 v46, 16, v8
	s_and_b64 s[12:13], s[54:55], exec
.LBB95_385:                             ;   in Loop: Header=BB95_6 Depth=1
	s_or_b64 exec, exec, s[52:53]
.LBB95_386:                             ;   in Loop: Header=BB95_6 Depth=1
	s_and_b64 vcc, exec, s[2:3]
	s_cbranch_vccz .LBB95_398
; %bb.387:                              ;   in Loop: Header=BB95_6 Depth=1
                                        ; implicit-def: $vgpr46
	s_mov_b64 s[2:3], exec
	v_readlane_b32 s14, v52, 45
	v_readlane_b32 s15, v52, 46
	s_and_b64 s[14:15], s[2:3], s[14:15]
	s_mov_b64 exec, s[14:15]
	s_cbranch_execz .LBB95_397
; %bb.388:                              ;   in Loop: Header=BB95_6 Depth=1
	s_mov_b64 s[14:15], 0
	v_mov_b32_e32 v8, v7
	v_mov_b32_e32 v2, v0
                                        ; implicit-def: $sgpr16_sgpr17
	s_branch .LBB95_392
.LBB95_389:                             ;   in Loop: Header=BB95_392 Depth=2
	s_or_b64 exec, exec, s[52:53]
	s_waitcnt lgkmcnt(0)
	s_barrier
	ds_read_b32 v4, v9 offset:3072
	s_waitcnt lgkmcnt(0)
	s_barrier
	v_cmp_eq_f16_e32 vcc, 0, v4
	s_cbranch_vccz .LBB95_395
; %bb.390:                              ;   in Loop: Header=BB95_392 Depth=2
	v_add_u32_e32 v2, s8, v2
	v_cmp_le_u32_e32 vcc, s20, v2
	v_add_u32_e32 v8, s9, v8
	s_mov_b64 s[24:25], 0
	s_orn2_b64 s[52:53], vcc, exec
.LBB95_391:                             ;   in Loop: Header=BB95_392 Depth=2
	s_and_b64 s[46:47], exec, s[52:53]
	s_or_b64 s[14:15], s[46:47], s[14:15]
	s_andn2_b64 s[16:17], s[16:17], exec
	s_and_b64 s[24:25], s[24:25], exec
	s_or_b64 s[16:17], s[16:17], s[24:25]
	s_andn2_b64 exec, exec, s[14:15]
	s_cbranch_execz .LBB95_396
.LBB95_392:                             ;   Parent Loop BB95_6 Depth=1
                                        ; =>  This Inner Loop Header: Depth=2
	v_cmp_gt_u32_e32 vcc, s36, v2
	s_and_saveexec_b64 s[52:53], vcc
	s_cbranch_execz .LBB95_389
; %bb.393:                              ;   in Loop: Header=BB95_392 Depth=2
	v_lshlrev_b64 v[12:13], 1, v[8:9]
	v_mov_b32_e32 v4, s44
	v_add_co_u32_e32 v12, vcc, s33, v12
	v_addc_co_u32_e32 v13, vcc, v4, v13, vcc
	global_load_ushort v4, v[12:13], off
	s_waitcnt vmcnt(0)
	v_cmp_lt_i16_e32 vcc, -1, v4
	v_cndmask_b32_e32 v12, v41, v42, vcc
	v_xor_b32_sdwa v12, v12, v4 dst_sel:DWORD dst_unused:UNUSED_PAD src0_sel:DWORD src1_sel:WORD_0
	v_cmp_o_f16_e32 vcc, v4, v4
	v_cndmask_b32_e32 v12, v41, v12, vcc
	v_and_b32_e32 v12, v12, v45
	v_cmp_eq_u32_e32 vcc, v12, v37
	s_and_b64 exec, exec, vcc
	s_cbranch_execz .LBB95_389
; %bb.394:                              ;   in Loop: Header=BB95_392 Depth=2
	v_perm_b32 v4, v4, s10, v44
	ds_write_b32 v9, v4 offset:3072
	s_branch .LBB95_389
.LBB95_395:                             ;   in Loop: Header=BB95_392 Depth=2
	s_mov_b64 s[52:53], -1
                                        ; implicit-def: $vgpr2
	s_mov_b64 s[24:25], -1
	s_branch .LBB95_391
.LBB95_396:                             ;   in Loop: Header=BB95_6 Depth=1
	s_or_b64 exec, exec, s[14:15]
	s_andn2_b64 s[12:13], s[12:13], exec
	s_and_b64 s[14:15], s[16:17], exec
	v_lshrrev_b32_e32 v46, 16, v4
	s_or_b64 s[12:13], s[12:13], s[14:15]
.LBB95_397:                             ;   in Loop: Header=BB95_6 Depth=1
	s_or_b64 exec, exec, s[2:3]
	s_mov_b64 s[14:15], 0
	s_mov_b64 s[16:17], -1
.LBB95_398:                             ;   in Loop: Header=BB95_6 Depth=1
	s_orn2_b64 s[12:13], s[12:13], exec
.LBB95_399:                             ;   in Loop: Header=BB95_6 Depth=1
	s_or_b64 exec, exec, s[28:29]
	s_mov_b64 s[24:25], 0
	s_and_saveexec_b64 s[2:3], s[12:13]
	s_cbranch_execz .LBB95_410
; %bb.400:                              ;   in Loop: Header=BB95_6 Depth=1
	s_xor_b64 s[18:19], s[18:19], -1
	v_mov_b32_e32 v1, 1
	v_mov_b32_e32 v2, 1
	s_and_saveexec_b64 s[12:13], s[18:19]
	s_cbranch_execz .LBB95_409
; %bb.401:                              ;   in Loop: Header=BB95_6 Depth=1
	v_cmp_ge_u32_e32 vcc, s50, v3
	s_and_saveexec_b64 s[18:19], vcc
	s_xor_b64 s[18:19], exec, s[18:19]
	s_cbranch_execz .LBB95_406
; %bb.402:                              ;   in Loop: Header=BB95_6 Depth=1
	ds_read_b32 v1, v9 offset:4096
	v_and_b32_e32 v37, s39, v37
	v_or_b32_e32 v45, s38, v45
	s_waitcnt lgkmcnt(0)
	v_cmp_ne_u32_e32 vcc, 0, v1
	s_cbranch_vccnz .LBB95_406
; %bb.403:                              ;   in Loop: Header=BB95_6 Depth=1
	s_mov_b64 s[24:25], exec
	v_readlane_b32 s28, v52, 6
	v_readlane_b32 s29, v52, 7
	s_and_b64 s[28:29], s[24:25], s[28:29]
	s_mov_b64 exec, s[28:29]
; %bb.404:                              ;   in Loop: Header=BB95_6 Depth=1
	v_mov_b32_e32 v1, s50
	ds_write_b32 v9, v1 offset:4100
; %bb.405:                              ;   in Loop: Header=BB95_6 Depth=1
	s_or_b64 exec, exec, s[24:25]
	s_waitcnt lgkmcnt(0)
	s_barrier
.LBB95_406:                             ;   in Loop: Header=BB95_6 Depth=1
	s_andn2_saveexec_b64 s[18:19], s[18:19]
; %bb.407:                              ;   in Loop: Header=BB95_6 Depth=1
	v_subrev_u32_e32 v3, s50, v3
; %bb.408:                              ;   in Loop: Header=BB95_6 Depth=1
	s_or_b64 exec, exec, s[18:19]
	v_mov_b32_e32 v1, 5
	v_mov_b32_e32 v2, v3
.LBB95_409:                             ;   in Loop: Header=BB95_6 Depth=1
	s_or_b64 exec, exec, s[12:13]
	s_mov_b64 s[24:25], exec
	v_mov_b32_e32 v3, v2
.LBB95_410:                             ;   in Loop: Header=BB95_6 Depth=1
	s_or_b64 exec, exec, s[2:3]
	s_orn2_b64 s[2:3], s[24:25], exec
.LBB95_411:                             ;   in Loop: Header=BB95_6 Depth=1
	s_or_b64 exec, exec, s[42:43]
	s_andn2_b64 s[12:13], s[94:95], exec
	s_and_b64 s[16:17], s[16:17], exec
	s_or_b64 s[94:95], s[12:13], s[16:17]
	s_andn2_b64 s[12:13], s[92:93], exec
	s_and_b64 s[14:15], s[14:15], exec
	s_or_b64 s[92:93], s[12:13], s[14:15]
	s_and_b64 s[12:13], s[2:3], exec
	v_mov_b32_e32 v2, v3
.LBB95_412:                             ;   in Loop: Header=BB95_6 Depth=1
	s_or_b64 exec, exec, s[40:41]
	s_orn2_b64 s[2:3], s[12:13], exec
.LBB95_413:                             ;   in Loop: Header=BB95_6 Depth=1
	s_or_b64 exec, exec, s[90:91]
	s_andn2_b64 s[12:13], s[86:87], exec
	s_and_b64 s[14:15], s[94:95], exec
	s_or_b64 s[86:87], s[12:13], s[14:15]
	s_andn2_b64 s[12:13], s[84:85], exec
	s_and_b64 s[14:15], s[92:93], exec
	s_or_b64 s[84:85], s[12:13], s[14:15]
	s_and_b64 s[12:13], s[2:3], exec
	v_mov_b32_e32 v4, v2
.LBB95_414:                             ;   in Loop: Header=BB95_6 Depth=1
	s_or_b64 exec, exec, s[88:89]
	s_orn2_b64 s[2:3], s[12:13], exec
.LBB95_415:                             ;   in Loop: Header=BB95_6 Depth=1
	s_or_b64 exec, exec, s[6:7]
	s_mov_b64 s[6:7], s[80:81]
	s_mov_b64 s[12:13], s[34:35]
	s_and_saveexec_b64 s[14:15], s[2:3]
; %bb.416:                              ;   in Loop: Header=BB95_6 Depth=1
	v_cmp_ne_u32_e64 s[6:7], 5, v1
	v_cmp_eq_u32_e32 vcc, 5, v1
	s_andn2_b64 s[2:3], s[34:35], exec
	s_and_b64 s[6:7], s[6:7], exec
	s_or_b64 s[12:13], s[2:3], s[6:7]
	s_andn2_b64 s[2:3], s[80:81], exec
	s_and_b64 s[6:7], vcc, exec
	s_or_b64 s[6:7], s[2:3], s[6:7]
; %bb.417:                              ;   in Loop: Header=BB95_6 Depth=1
	s_or_b64 exec, exec, s[14:15]
	s_andn2_b64 s[2:3], s[26:27], exec
	s_and_b64 s[14:15], s[86:87], exec
	s_or_b64 s[26:27], s[2:3], s[14:15]
	s_andn2_b64 s[2:3], s[30:31], exec
	s_and_b64 s[14:15], s[84:85], exec
	s_or_b64 s[30:31], s[2:3], s[14:15]
	;; [unrolled: 3-line block ×4, first 2 shown]
.LBB95_418:                             ;   in Loop: Header=BB95_6 Depth=1
	s_or_b64 exec, exec, s[82:83]
	s_mov_b64 s[82:83], 0
	s_mov_b64 s[84:85], 0
	s_and_saveexec_b64 s[2:3], s[80:81]
.LBB95_419:                             ;   in Loop: Header=BB95_6 Depth=1
	v_mov_b32_e32 v1, 0
	s_or_b64 s[34:35], s[34:35], exec
.LBB95_420:                             ;   in Loop: Header=BB95_6 Depth=1
	s_or_b64 exec, exec, s[2:3]
	s_andn2_b64 s[2:3], s[76:77], exec
	s_and_b64 s[12:13], s[26:27], exec
	s_or_b64 s[76:77], s[2:3], s[12:13]
	s_andn2_b64 s[2:3], s[74:75], exec
	s_and_b64 s[12:13], s[30:31], exec
	s_or_b64 s[74:75], s[2:3], s[12:13]
	;; [unrolled: 3-line block ×3, first 2 shown]
	s_andn2_b64 s[2:3], s[70:71], exec
	s_and_b64 s[12:13], s[82:83], exec
	s_mov_b64 s[6:7], -1
	s_andn2_b64 s[78:79], s[78:79], exec
	s_or_b64 s[70:71], s[2:3], s[12:13]
	v_mov_b32_e32 v47, v4
	s_and_saveexec_b64 s[2:3], s[34:35]
	s_xor_b64 s[2:3], exec, s[2:3]
	s_cbranch_execz .LBB95_5
; %bb.421:                              ;   in Loop: Header=BB95_6 Depth=1
	v_cmp_eq_u32_e32 vcc, 0, v1
	s_mov_b64 s[12:13], -1
	s_and_saveexec_b64 s[14:15], vcc
	s_cbranch_execz .LBB95_4
; %bb.422:                              ;   in Loop: Header=BB95_6 Depth=1
	s_xor_b32 s45, s45, 1
	s_add_i32 s16, s11, -2
	s_cmp_eq_u32 s11, 0
	s_cselect_b64 s[6:7], -1, 0
	s_xor_b64 s[12:13], exec, -1
	s_orn2_b64 s[6:7], s[6:7], exec
	s_mov_b32 s11, s16
	s_branch .LBB95_4
.LBB95_423:
	s_or_b64 exec, exec, s[58:59]
	s_xor_b64 s[6:7], s[68:69], -1
	s_xor_b64 s[18:19], s[64:65], -1
	;; [unrolled: 1-line block ×5, first 2 shown]
	s_mov_b64 s[12:13], 0
	s_and_saveexec_b64 s[10:11], s[4:5]
	s_xor_b64 s[10:11], exec, s[10:11]
	s_cbranch_execnz .LBB95_428
; %bb.424:
	s_andn2_saveexec_b64 s[0:1], s[10:11]
	s_cbranch_execnz .LBB95_447
.LBB95_425:
	s_or_b64 exec, exec, s[0:1]
	s_and_saveexec_b64 s[0:1], s[12:13]
.LBB95_426:
	; divergent unreachable
.LBB95_427:
	s_endpgm
.LBB95_428:
	s_mov_b64 s[14:15], 0
	s_and_saveexec_b64 s[4:5], s[16:17]
	s_xor_b64 s[12:13], exec, s[4:5]
	s_cbranch_execz .LBB95_445
; %bb.429:
	s_mov_b64 s[16:17], 0
	s_and_saveexec_b64 s[4:5], s[18:19]
	s_xor_b64 s[14:15], exec, s[4:5]
	s_cbranch_execz .LBB95_443
; %bb.430:
	;; [unrolled: 5-line block ×3, first 2 shown]
	s_and_saveexec_b64 s[4:5], s[2:3]
	s_xor_b64 s[2:3], exec, s[4:5]
; %bb.432:
	v_and_b32_e32 v1, 0x8000, v37
	v_mov_b32_e32 v2, 0x8000
	v_mov_b32_e32 v3, 0xffff
	v_cmp_eq_u32_e32 vcc, 0, v1
	v_cndmask_b32_e32 v1, v2, v3, vcc
	v_xor_b32_e32 v46, v1, v37
; %bb.433:
	s_or_b64 exec, exec, s[2:3]
	s_mov_b64 s[2:3], exec
	v_readlane_b32 s4, v52, 6
	v_readlane_b32 s5, v52, 7
	;; [unrolled: 1-line block ×3, first 2 shown]
	s_and_b64 s[4:5], s[2:3], s[4:5]
	v_readlane_b32 s47, v52, 10
	s_mov_b64 exec, s[4:5]
; %bb.434:
	v_mov_b32_e32 v1, 0
	ds_write_b32 v1, v1 offset:4108
; %bb.435:
	s_or_b64 exec, exec, s[2:3]
	v_mov_b32_e32 v4, 0
	s_waitcnt lgkmcnt(0)
	s_barrier
	s_mov_b64 s[2:3], exec
	v_readlane_b32 s4, v52, 17
	v_readlane_b32 s5, v52, 18
	s_and_b64 s[4:5], s[2:3], s[4:5]
	s_mov_b64 exec, s[4:5]
	s_cbranch_execz .LBB95_437
; %bb.436:
	global_load_ushort v4, v[5:6], off
.LBB95_437:
	s_or_b64 exec, exec, s[2:3]
	v_readlane_b32 s4, v52, 4
	v_readlane_b32 s5, v52, 5
	s_load_dword s2, s[4:5], 0x15c
	s_load_dword s3, s[4:5], 0x23c
	;; [unrolled: 1-line block ×4, first 2 shown]
	v_readlane_b32 s4, v52, 8
	s_add_i32 s34, s36, 63
	s_waitcnt lgkmcnt(0)
	s_mul_i32 s2, s2, s4
	s_mul_i32 s4, s3, s4
	s_mov_b32 s3, 0
	s_andn2_b32 s34, s34, 63
	s_lshl_b64 s[6:7], s[2:3], 1
	v_readlane_b32 s18, v52, 2
	v_mov_b32_e32 v8, 0xffff
	v_mov_b32_e32 v9, 0x8000
	v_cmp_lt_i16_e32 vcc, -1, v46
	v_readlane_b32 s19, v52, 3
	s_add_u32 s39, s18, s6
	s_mov_b32 s5, s3
	v_cndmask_b32_e32 v1, v8, v9, vcc
	s_addc_u32 s40, s19, s7
	s_lshl_b64 s[2:3], s[4:5], 3
	v_readlane_b32 s4, v52, 0
	v_xor_b32_sdwa v1, v1, v46 dst_sel:DWORD dst_unused:UNUSED_PAD src0_sel:DWORD src1_sel:WORD_0
	v_cmp_o_f16_e32 vcc, v46, v46
	v_readlane_b32 s5, v52, 1
	s_add_u32 s41, s4, s2
	v_cndmask_b32_e32 v7, v8, v1, vcc
	s_addc_u32 s42, s5, s3
	v_cmp_gt_u32_e32 vcc, s34, v0
	s_mov_b64 s[2:3], -1
	s_mov_b64 s[30:31], 0
	s_mov_b64 s[4:5], 0
	s_and_saveexec_b64 s[18:19], vcc
	s_cbranch_execnz .LBB95_448
; %bb.438:
	s_or_b64 exec, exec, s[18:19]
	s_and_saveexec_b64 s[6:7], s[2:3]
	s_cbranch_execnz .LBB95_465
.LBB95_439:
	s_or_b64 exec, exec, s[6:7]
	s_and_saveexec_b64 s[0:1], s[4:5]
	s_xor_b64 s[0:1], exec, s[0:1]
	s_cbranch_execnz .LBB95_488
.LBB95_440:
	s_or_b64 exec, exec, s[0:1]
	s_and_b64 s[18:19], s[30:31], exec
.LBB95_441:
	s_andn2_saveexec_b64 s[0:1], s[16:17]
	s_cbranch_execnz .LBB95_490
.LBB95_442:
	s_or_b64 exec, exec, s[0:1]
	s_and_b64 s[16:17], s[18:19], exec
.LBB95_443:
	s_andn2_saveexec_b64 s[0:1], s[14:15]
	s_cbranch_execnz .LBB95_489
.LBB95_444:
	s_or_b64 exec, exec, s[0:1]
	s_and_b64 s[14:15], s[16:17], exec
.LBB95_445:
	s_andn2_saveexec_b64 s[0:1], s[12:13]
	s_cbranch_execnz .LBB95_484
.LBB95_446:
	s_or_b64 exec, exec, s[0:1]
	s_and_b64 s[12:13], s[14:15], exec
	s_andn2_saveexec_b64 s[0:1], s[10:11]
	s_cbranch_execz .LBB95_425
.LBB95_447:
	s_or_b64 s[12:13], s[12:13], exec
	s_trap 2
	s_or_b64 exec, exec, s[0:1]
	s_and_saveexec_b64 s[0:1], s[12:13]
	s_cbranch_execnz .LBB95_426
	s_branch .LBB95_427
.LBB95_448:
	v_add_u32_e32 v1, s8, v0
	v_mul_lo_u32 v1, s48, v1
	s_mov_b64 s[20:21], 0
	v_mov_b32_e32 v2, 0
	v_mov_b32_e32 v3, v0
                                        ; implicit-def: $sgpr22_sgpr23
                                        ; implicit-def: $vgpr11
	s_branch .LBB95_450
.LBB95_449:                             ;   in Loop: Header=BB95_450 Depth=1
	s_or_b64 exec, exec, s[24:25]
	s_xor_b64 s[4:5], s[6:7], -1
	s_and_b64 s[2:3], exec, s[2:3]
	s_or_b64 s[20:21], s[2:3], s[20:21]
	s_andn2_b64 s[2:3], s[22:23], exec
	s_and_b64 s[4:5], s[4:5], exec
	s_or_b64 s[22:23], s[2:3], s[4:5]
	v_mov_b32_e32 v3, v10
	s_waitcnt vmcnt(0)
	v_mov_b32_e32 v4, v12
	s_andn2_b64 exec, exec, s[20:21]
	s_cbranch_execz .LBB95_464
.LBB95_450:                             ; =>This Inner Loop Header: Depth=1
	v_add_u32_e32 v10, s8, v3
	v_cmp_gt_u32_e64 s[4:5], s36, v10
	v_mov_b32_e32 v12, 0
	s_and_saveexec_b64 s[2:3], s[4:5]
	s_cbranch_execz .LBB95_452
; %bb.451:                              ;   in Loop: Header=BB95_450 Depth=1
	v_lshlrev_b64 v[12:13], 1, v[1:2]
	v_mov_b32_e32 v14, s44
	v_add_co_u32_e64 v12, s[4:5], s33, v12
	v_addc_co_u32_e64 v13, s[4:5], v14, v13, s[4:5]
	global_load_ushort v12, v[12:13], off
.LBB95_452:                             ;   in Loop: Header=BB95_450 Depth=1
	s_or_b64 exec, exec, s[2:3]
	v_cmp_gt_u32_e64 s[4:5], s36, v3
	s_mov_b64 s[24:25], 0
	s_and_saveexec_b64 s[2:3], s[4:5]
	s_cbranch_execz .LBB95_454
; %bb.453:                              ;   in Loop: Header=BB95_450 Depth=1
	s_waitcnt vmcnt(0)
	v_cmp_lt_i16_e64 s[4:5], -1, v4
	v_cndmask_b32_e64 v13, v8, v9, s[4:5]
	v_xor_b32_sdwa v13, v13, v4 dst_sel:DWORD dst_unused:UNUSED_PAD src0_sel:DWORD src1_sel:WORD_0
	v_cmp_o_f16_e64 s[4:5], v4, v4
	v_cndmask_b32_e64 v13, v8, v13, s[4:5]
	v_cmp_gt_u32_e64 s[4:5], v13, v7
	v_cndmask_b32_e64 v14, 0, 1, s[4:5]
	v_cmp_lt_u32_e64 s[4:5], v13, v7
	v_cndmask_b32_e64 v13, 0, 1, s[4:5]
	v_cndmask_b32_e64 v13, v13, v14, s[46:47]
	v_and_b32_e32 v13, 1, v13
	v_cmp_eq_u32_e64 s[4:5], 1, v13
	s_and_b64 s[24:25], s[4:5], exec
.LBB95_454:                             ;   in Loop: Header=BB95_450 Depth=1
	s_or_b64 exec, exec, s[2:3]
	v_cndmask_b32_e64 v13, 0, 1, s[24:25]
	v_cmp_ne_u32_e64 s[4:5], 0, v13
	s_cmp_lg_u64 s[4:5], 0
	s_cselect_b64 s[2:3], -1, 0
	s_and_b64 s[6:7], s[0:1], s[2:3]
	s_and_saveexec_b64 s[2:3], s[6:7]
	s_cbranch_execz .LBB95_458
; %bb.455:                              ;   in Loop: Header=BB95_450 Depth=1
	s_mov_b64 s[28:29], exec
	s_waitcnt lgkmcnt(0)
	v_mbcnt_lo_u32_b32 v11, s28, 0
	v_mbcnt_hi_u32_b32 v11, s29, v11
	s_bcnt1_i32_b64 s43, s[4:5]
	v_cmp_eq_u32_e64 s[6:7], 0, v11
                                        ; implicit-def: $vgpr13
	s_and_saveexec_b64 s[26:27], s[6:7]
; %bb.456:                              ;   in Loop: Header=BB95_450 Depth=1
	s_bcnt1_i32_b64 s6, s[28:29]
	s_mul_i32 s6, s43, s6
	v_mov_b32_e32 v13, s6
	ds_add_rtn_u32 v13, v2, v13 offset:4108
; %bb.457:                              ;   in Loop: Header=BB95_450 Depth=1
	s_or_b64 exec, exec, s[26:27]
	s_waitcnt lgkmcnt(0)
	v_readfirstlane_b32 s6, v13
	v_mov_b32_e32 v13, s6
	v_mad_u32_u24 v11, s43, v11, v13
.LBB95_458:                             ;   in Loop: Header=BB95_450 Depth=1
	s_or_b64 exec, exec, s[2:3]
	s_waitcnt lgkmcnt(0)
	ds_bpermute_b32 v11, v20, v11
	s_mov_b64 s[2:3], -1
	s_mov_b64 s[26:27], -1
	s_and_saveexec_b64 s[6:7], s[24:25]
	s_cbranch_execz .LBB95_462
; %bb.459:                              ;   in Loop: Header=BB95_450 Depth=1
	v_and_b32_e32 v14, s4, v22
	v_and_b32_e32 v13, s5, v21
	v_bcnt_u32_b32 v14, v14, 0
	v_bcnt_u32_b32 v13, v13, v14
	s_waitcnt lgkmcnt(0)
	v_add_u32_e32 v13, v11, v13
	v_cmp_gt_u32_e64 s[4:5], s37, v13
	s_mov_b64 s[24:25], 0
	s_and_saveexec_b64 s[26:27], s[4:5]
	s_cbranch_execz .LBB95_461
; %bb.460:                              ;   in Loop: Header=BB95_450 Depth=1
	v_mul_lo_u32 v14, v13, s38
	v_mov_b32_e32 v15, v2
	v_mul_lo_u32 v13, v13, s35
	v_mov_b32_e32 v16, s40
	v_lshlrev_b64 v[14:15], 1, v[14:15]
	s_mov_b64 s[24:25], exec
	v_add_co_u32_e64 v14, s[4:5], s39, v14
	v_addc_co_u32_e64 v15, s[4:5], v16, v15, s[4:5]
	s_waitcnt vmcnt(0)
	global_store_short v[14:15], v4, off
	v_mov_b32_e32 v14, v2
	v_lshlrev_b64 v[13:14], 3, v[13:14]
	v_mov_b32_e32 v15, s42
	v_add_co_u32_e64 v13, s[4:5], s41, v13
	v_mov_b32_e32 v4, v2
	v_addc_co_u32_e64 v14, s[4:5], v15, v14, s[4:5]
	global_store_dwordx2 v[13:14], v[3:4], off
.LBB95_461:                             ;   in Loop: Header=BB95_450 Depth=1
	s_or_b64 exec, exec, s[26:27]
	s_orn2_b64 s[26:27], s[24:25], exec
.LBB95_462:                             ;   in Loop: Header=BB95_450 Depth=1
	s_or_b64 exec, exec, s[6:7]
	s_mov_b64 s[6:7], -1
	s_and_saveexec_b64 s[24:25], s[26:27]
	s_cbranch_execz .LBB95_449
; %bb.463:                              ;   in Loop: Header=BB95_450 Depth=1
	v_cmp_le_u32_e64 s[4:5], s34, v10
	v_add_u32_e32 v1, s9, v1
	s_xor_b64 s[6:7], exec, -1
	s_orn2_b64 s[2:3], s[4:5], exec
	s_branch .LBB95_449
.LBB95_464:
	s_or_b64 exec, exec, s[20:21]
	s_mov_b64 s[4:5], exec
	s_orn2_b64 s[2:3], s[22:23], exec
	s_or_b64 exec, exec, s[18:19]
	s_and_saveexec_b64 s[6:7], s[2:3]
	s_cbranch_execz .LBB95_439
.LBB95_465:
	v_mov_b32_e32 v1, 0
	s_waitcnt vmcnt(0) lgkmcnt(0)
	s_barrier
	s_mov_b64 s[2:3], exec
	v_readlane_b32 s18, v52, 17
	v_readlane_b32 s19, v52, 18
	s_and_b64 s[18:19], s[2:3], s[18:19]
	s_mov_b64 exec, s[18:19]
	s_cbranch_execz .LBB95_467
; %bb.466:
	global_load_ushort v1, v[5:6], off
.LBB95_467:
	s_or_b64 exec, exec, s[2:3]
	s_mov_b64 s[2:3], 0
	s_and_saveexec_b64 s[30:31], vcc
	s_cbranch_execz .LBB95_487
; %bb.468:
	v_add_u32_e32 v2, s8, v0
	v_mul_lo_u32 v2, s48, v2
	s_mov_b64 s[18:19], 0
	v_mov_b32_e32 v3, 0
	v_mov_b32_e32 v4, 0xffff
	;; [unrolled: 1-line block ×3, first 2 shown]
                                        ; implicit-def: $sgpr20_sgpr21
                                        ; implicit-def: $vgpr8
	s_branch .LBB95_471
.LBB95_469:                             ;   in Loop: Header=BB95_471 Depth=1
	s_or_b64 exec, exec, s[24:25]
	s_orn2_b64 s[26:27], s[28:29], exec
	s_orn2_b64 s[24:25], s[22:23], exec
.LBB95_470:                             ;   in Loop: Header=BB95_471 Depth=1
	s_or_b64 exec, exec, s[2:3]
	s_xor_b64 s[2:3], s[26:27], -1
	s_and_b64 s[22:23], exec, s[24:25]
	s_or_b64 s[18:19], s[22:23], s[18:19]
	s_andn2_b64 s[20:21], s[20:21], exec
	s_and_b64 s[2:3], s[2:3], exec
	s_or_b64 s[20:21], s[20:21], s[2:3]
	v_mov_b32_e32 v0, v6
	v_mov_b32_e32 v1, v9
	s_andn2_b64 exec, exec, s[18:19]
	s_cbranch_execz .LBB95_485
.LBB95_471:                             ; =>This Inner Loop Header: Depth=1
	v_add_u32_e32 v6, s8, v0
	v_cmp_gt_u32_e32 vcc, s36, v6
	v_mov_b32_e32 v9, 0
	s_and_saveexec_b64 s[2:3], vcc
	s_cbranch_execz .LBB95_473
; %bb.472:                              ;   in Loop: Header=BB95_471 Depth=1
	v_lshlrev_b64 v[9:10], 1, v[2:3]
	v_mov_b32_e32 v11, s44
	v_add_co_u32_e32 v9, vcc, s33, v9
	v_addc_co_u32_e32 v10, vcc, v11, v10, vcc
	global_load_ushort v9, v[9:10], off
.LBB95_473:                             ;   in Loop: Header=BB95_471 Depth=1
	s_or_b64 exec, exec, s[2:3]
	s_waitcnt vmcnt(0)
	v_cmp_lt_i16_e64 s[2:3], -1, v1
	v_cndmask_b32_e64 v10, v4, v5, s[2:3]
	v_xor_b32_sdwa v10, v10, v1 dst_sel:DWORD dst_unused:UNUSED_PAD src0_sel:DWORD src1_sel:WORD_0
	v_cmp_o_f16_e64 s[2:3], v1, v1
	v_cndmask_b32_e64 v10, v4, v10, s[2:3]
	v_cmp_gt_u32_e32 vcc, s36, v0
	v_cmp_eq_u32_e64 s[2:3], v10, v7
	s_and_b64 s[22:23], vcc, s[2:3]
	v_cndmask_b32_e64 v10, 0, 1, s[22:23]
	v_cmp_ne_u32_e32 vcc, 0, v10
	s_cmp_lg_u64 vcc, 0
	s_cselect_b64 s[2:3], -1, 0
	s_and_b64 s[2:3], s[0:1], s[2:3]
	s_and_saveexec_b64 s[24:25], s[2:3]
	s_cbranch_execz .LBB95_477
; %bb.474:                              ;   in Loop: Header=BB95_471 Depth=1
	s_mov_b64 s[28:29], exec
	v_mbcnt_lo_u32_b32 v8, s28, 0
	v_mbcnt_hi_u32_b32 v8, s29, v8
	s_bcnt1_i32_b64 s43, vcc
	v_cmp_eq_u32_e64 s[2:3], 0, v8
                                        ; implicit-def: $vgpr10
	s_and_saveexec_b64 s[26:27], s[2:3]
; %bb.475:                              ;   in Loop: Header=BB95_471 Depth=1
	s_bcnt1_i32_b64 s2, s[28:29]
	s_mul_i32 s2, s43, s2
	v_mov_b32_e32 v10, s2
	ds_add_rtn_u32 v10, v3, v10 offset:4108
; %bb.476:                              ;   in Loop: Header=BB95_471 Depth=1
	s_or_b64 exec, exec, s[26:27]
	s_waitcnt lgkmcnt(0)
	v_readfirstlane_b32 s2, v10
	v_mov_b32_e32 v10, s2
	v_mad_u32_u24 v8, s43, v8, v10
.LBB95_477:                             ;   in Loop: Header=BB95_471 Depth=1
	s_or_b64 exec, exec, s[24:25]
	ds_bpermute_b32 v8, v20, v8
	s_cmp_eq_u64 vcc, 0
	s_cselect_b64 s[26:27], -1, 0
	s_mov_b64 s[24:25], -1
	s_waitcnt lgkmcnt(0)
	v_cmp_gt_u32_e64 s[2:3], s37, v8
	s_or_b64 s[28:29], s[26:27], s[2:3]
	s_mov_b64 s[26:27], -1
	s_and_saveexec_b64 s[2:3], s[28:29]
	s_cbranch_execz .LBB95_470
; %bb.478:                              ;   in Loop: Header=BB95_471 Depth=1
	v_and_b32_e32 v11, vcc_lo, v22
	v_and_b32_e32 v10, vcc_hi, v21
	v_bcnt_u32_b32 v11, v11, 0
	v_bcnt_u32_b32 v10, v10, v11
	v_sub_u32_e32 v11, s37, v8
	v_cmp_gt_u32_e32 vcc, v11, v10
	s_and_b64 s[46:47], s[22:23], vcc
	s_mov_b64 s[22:23], -1
	s_mov_b64 s[28:29], -1
	s_and_saveexec_b64 s[24:25], s[46:47]
	s_cbranch_execz .LBB95_482
; %bb.479:                              ;   in Loop: Header=BB95_471 Depth=1
	v_add_u32_e32 v10, v8, v10
	v_cmp_gt_u32_e32 vcc, s37, v10
	s_mov_b64 s[26:27], 0
	s_and_saveexec_b64 s[28:29], vcc
; %bb.480:                              ;   in Loop: Header=BB95_471 Depth=1
	v_mul_lo_u32 v11, v10, s38
	v_mov_b32_e32 v12, v3
	v_mul_lo_u32 v10, v10, s35
	v_mov_b32_e32 v13, s40
	v_lshlrev_b64 v[11:12], 1, v[11:12]
	s_mov_b64 s[26:27], exec
	v_add_co_u32_e32 v11, vcc, s39, v11
	v_addc_co_u32_e32 v12, vcc, v13, v12, vcc
	global_store_short v[11:12], v1, off
	v_mov_b32_e32 v11, v3
	v_lshlrev_b64 v[10:11], 3, v[10:11]
	v_mov_b32_e32 v12, s42
	v_add_co_u32_e32 v10, vcc, s41, v10
	v_mov_b32_e32 v1, v3
	v_addc_co_u32_e32 v11, vcc, v12, v11, vcc
	global_store_dwordx2 v[10:11], v[0:1], off
; %bb.481:                              ;   in Loop: Header=BB95_471 Depth=1
	s_or_b64 exec, exec, s[28:29]
	s_xor_b64 s[28:29], exec, -1
	s_orn2_b64 s[26:27], s[26:27], exec
.LBB95_482:                             ;   in Loop: Header=BB95_471 Depth=1
	s_or_b64 exec, exec, s[24:25]
	s_and_saveexec_b64 s[24:25], s[26:27]
	s_cbranch_execz .LBB95_469
; %bb.483:                              ;   in Loop: Header=BB95_471 Depth=1
	v_cmp_le_u32_e32 vcc, s34, v6
	v_add_u32_e32 v2, s9, v2
	s_or_b64 s[28:29], s[28:29], exec
	s_orn2_b64 s[22:23], vcc, exec
	s_branch .LBB95_469
.LBB95_484:
	s_or_b64 s[14:15], s[14:15], exec
	s_trap 2
	s_branch .LBB95_446
.LBB95_485:
	s_or_b64 exec, exec, s[18:19]
	s_mov_b64 s[0:1], 0
	s_and_saveexec_b64 s[2:3], s[20:21]
	s_xor_b64 s[2:3], exec, s[2:3]
	s_cbranch_execnz .LBB95_491
.LBB95_486:
	s_or_b64 exec, exec, s[2:3]
	s_and_b64 s[2:3], s[0:1], exec
.LBB95_487:
	s_or_b64 exec, exec, s[30:31]
	s_and_b64 s[30:31], s[2:3], exec
	s_andn2_b64 s[4:5], s[4:5], exec
	s_or_b64 exec, exec, s[6:7]
	s_and_saveexec_b64 s[0:1], s[4:5]
	s_xor_b64 s[0:1], exec, s[0:1]
	s_cbranch_execz .LBB95_440
.LBB95_488:
	s_trap 2
	s_or_b64 s[30:31], s[30:31], exec
	s_branch .LBB95_440
.LBB95_489:
	s_or_b64 s[16:17], s[16:17], exec
	s_trap 2
	s_branch .LBB95_444
.LBB95_490:
	s_trap 2
	s_or_b64 s[18:19], s[18:19], exec
	s_branch .LBB95_442
.LBB95_491:
	s_mov_b64 s[0:1], exec
	s_trap 2
	s_branch .LBB95_486
	.section	.rodata,"a",@progbits
	.p2align	6, 0x0
	.amdhsa_kernel _ZN2at6native6sbtopk10gatherTopKIN3c104HalfEjLi1ELb0EEEvNS_4cuda6detail10TensorInfoIKT_T0_EESA_SA_bSA_SA_NS7_IS8_SA_EESA_NS7_IlSA_EESA_PS8_
		.amdhsa_group_segment_fixed_size 4112
		.amdhsa_private_segment_fixed_size 0
		.amdhsa_kernarg_size 952
		.amdhsa_user_sgpr_count 6
		.amdhsa_user_sgpr_private_segment_buffer 1
		.amdhsa_user_sgpr_dispatch_ptr 0
		.amdhsa_user_sgpr_queue_ptr 0
		.amdhsa_user_sgpr_kernarg_segment_ptr 1
		.amdhsa_user_sgpr_dispatch_id 0
		.amdhsa_user_sgpr_flat_scratch_init 0
		.amdhsa_user_sgpr_private_segment_size 0
		.amdhsa_uses_dynamic_stack 0
		.amdhsa_system_sgpr_private_segment_wavefront_offset 0
		.amdhsa_system_sgpr_workgroup_id_x 1
		.amdhsa_system_sgpr_workgroup_id_y 1
		.amdhsa_system_sgpr_workgroup_id_z 1
		.amdhsa_system_sgpr_workgroup_info 0
		.amdhsa_system_vgpr_workitem_id 0
		.amdhsa_next_free_vgpr 53
		.amdhsa_next_free_sgpr 96
		.amdhsa_reserve_vcc 1
		.amdhsa_reserve_flat_scratch 0
		.amdhsa_float_round_mode_32 0
		.amdhsa_float_round_mode_16_64 0
		.amdhsa_float_denorm_mode_32 3
		.amdhsa_float_denorm_mode_16_64 3
		.amdhsa_dx10_clamp 1
		.amdhsa_ieee_mode 1
		.amdhsa_fp16_overflow 0
		.amdhsa_exception_fp_ieee_invalid_op 0
		.amdhsa_exception_fp_denorm_src 0
		.amdhsa_exception_fp_ieee_div_zero 0
		.amdhsa_exception_fp_ieee_overflow 0
		.amdhsa_exception_fp_ieee_underflow 0
		.amdhsa_exception_fp_ieee_inexact 0
		.amdhsa_exception_int_div_zero 0
	.end_amdhsa_kernel
	.section	.text._ZN2at6native6sbtopk10gatherTopKIN3c104HalfEjLi1ELb0EEEvNS_4cuda6detail10TensorInfoIKT_T0_EESA_SA_bSA_SA_NS7_IS8_SA_EESA_NS7_IlSA_EESA_PS8_,"axG",@progbits,_ZN2at6native6sbtopk10gatherTopKIN3c104HalfEjLi1ELb0EEEvNS_4cuda6detail10TensorInfoIKT_T0_EESA_SA_bSA_SA_NS7_IS8_SA_EESA_NS7_IlSA_EESA_PS8_,comdat
.Lfunc_end95:
	.size	_ZN2at6native6sbtopk10gatherTopKIN3c104HalfEjLi1ELb0EEEvNS_4cuda6detail10TensorInfoIKT_T0_EESA_SA_bSA_SA_NS7_IS8_SA_EESA_NS7_IlSA_EESA_PS8_, .Lfunc_end95-_ZN2at6native6sbtopk10gatherTopKIN3c104HalfEjLi1ELb0EEEvNS_4cuda6detail10TensorInfoIKT_T0_EESA_SA_bSA_SA_NS7_IS8_SA_EESA_NS7_IlSA_EESA_PS8_
                                        ; -- End function
	.set _ZN2at6native6sbtopk10gatherTopKIN3c104HalfEjLi1ELb0EEEvNS_4cuda6detail10TensorInfoIKT_T0_EESA_SA_bSA_SA_NS7_IS8_SA_EESA_NS7_IlSA_EESA_PS8_.num_vgpr, 53
	.set _ZN2at6native6sbtopk10gatherTopKIN3c104HalfEjLi1ELb0EEEvNS_4cuda6detail10TensorInfoIKT_T0_EESA_SA_bSA_SA_NS7_IS8_SA_EESA_NS7_IlSA_EESA_PS8_.num_agpr, 0
	.set _ZN2at6native6sbtopk10gatherTopKIN3c104HalfEjLi1ELb0EEEvNS_4cuda6detail10TensorInfoIKT_T0_EESA_SA_bSA_SA_NS7_IS8_SA_EESA_NS7_IlSA_EESA_PS8_.numbered_sgpr, 96
	.set _ZN2at6native6sbtopk10gatherTopKIN3c104HalfEjLi1ELb0EEEvNS_4cuda6detail10TensorInfoIKT_T0_EESA_SA_bSA_SA_NS7_IS8_SA_EESA_NS7_IlSA_EESA_PS8_.num_named_barrier, 0
	.set _ZN2at6native6sbtopk10gatherTopKIN3c104HalfEjLi1ELb0EEEvNS_4cuda6detail10TensorInfoIKT_T0_EESA_SA_bSA_SA_NS7_IS8_SA_EESA_NS7_IlSA_EESA_PS8_.private_seg_size, 0
	.set _ZN2at6native6sbtopk10gatherTopKIN3c104HalfEjLi1ELb0EEEvNS_4cuda6detail10TensorInfoIKT_T0_EESA_SA_bSA_SA_NS7_IS8_SA_EESA_NS7_IlSA_EESA_PS8_.uses_vcc, 1
	.set _ZN2at6native6sbtopk10gatherTopKIN3c104HalfEjLi1ELb0EEEvNS_4cuda6detail10TensorInfoIKT_T0_EESA_SA_bSA_SA_NS7_IS8_SA_EESA_NS7_IlSA_EESA_PS8_.uses_flat_scratch, 0
	.set _ZN2at6native6sbtopk10gatherTopKIN3c104HalfEjLi1ELb0EEEvNS_4cuda6detail10TensorInfoIKT_T0_EESA_SA_bSA_SA_NS7_IS8_SA_EESA_NS7_IlSA_EESA_PS8_.has_dyn_sized_stack, 0
	.set _ZN2at6native6sbtopk10gatherTopKIN3c104HalfEjLi1ELb0EEEvNS_4cuda6detail10TensorInfoIKT_T0_EESA_SA_bSA_SA_NS7_IS8_SA_EESA_NS7_IlSA_EESA_PS8_.has_recursion, 0
	.set _ZN2at6native6sbtopk10gatherTopKIN3c104HalfEjLi1ELb0EEEvNS_4cuda6detail10TensorInfoIKT_T0_EESA_SA_bSA_SA_NS7_IS8_SA_EESA_NS7_IlSA_EESA_PS8_.has_indirect_call, 0
	.section	.AMDGPU.csdata,"",@progbits
; Kernel info:
; codeLenInByte = 16604
; TotalNumSgprs: 100
; NumVgprs: 53
; ScratchSize: 0
; MemoryBound: 0
; FloatMode: 240
; IeeeMode: 1
; LDSByteSize: 4112 bytes/workgroup (compile time only)
; SGPRBlocks: 12
; VGPRBlocks: 13
; NumSGPRsForWavesPerEU: 100
; NumVGPRsForWavesPerEU: 53
; Occupancy: 4
; WaveLimiterHint : 1
; COMPUTE_PGM_RSRC2:SCRATCH_EN: 0
; COMPUTE_PGM_RSRC2:USER_SGPR: 6
; COMPUTE_PGM_RSRC2:TRAP_HANDLER: 0
; COMPUTE_PGM_RSRC2:TGID_X_EN: 1
; COMPUTE_PGM_RSRC2:TGID_Y_EN: 1
; COMPUTE_PGM_RSRC2:TGID_Z_EN: 1
; COMPUTE_PGM_RSRC2:TIDIG_COMP_CNT: 0
	.section	.text._ZN2at6native6mbtopk23computeBlockDigitCountsIN3c104HalfEjjLi2EEEvNS_4cuda6detail10TensorInfoIKT_T0_EEjPjjSA_iijT1_PSD_Ps,"axG",@progbits,_ZN2at6native6mbtopk23computeBlockDigitCountsIN3c104HalfEjjLi2EEEvNS_4cuda6detail10TensorInfoIKT_T0_EEjPjjSA_iijT1_PSD_Ps,comdat
	.protected	_ZN2at6native6mbtopk23computeBlockDigitCountsIN3c104HalfEjjLi2EEEvNS_4cuda6detail10TensorInfoIKT_T0_EEjPjjSA_iijT1_PSD_Ps ; -- Begin function _ZN2at6native6mbtopk23computeBlockDigitCountsIN3c104HalfEjjLi2EEEvNS_4cuda6detail10TensorInfoIKT_T0_EEjPjjSA_iijT1_PSD_Ps
	.globl	_ZN2at6native6mbtopk23computeBlockDigitCountsIN3c104HalfEjjLi2EEEvNS_4cuda6detail10TensorInfoIKT_T0_EEjPjjSA_iijT1_PSD_Ps
	.p2align	8
	.type	_ZN2at6native6mbtopk23computeBlockDigitCountsIN3c104HalfEjjLi2EEEvNS_4cuda6detail10TensorInfoIKT_T0_EEjPjjSA_iijT1_PSD_Ps,@function
_ZN2at6native6mbtopk23computeBlockDigitCountsIN3c104HalfEjjLi2EEEvNS_4cuda6detail10TensorInfoIKT_T0_EEjPjjSA_iijT1_PSD_Ps: ; @_ZN2at6native6mbtopk23computeBlockDigitCountsIN3c104HalfEjjLi2EEEvNS_4cuda6detail10TensorInfoIKT_T0_EEjPjjSA_iijT1_PSD_Ps
; %bb.0:
	s_load_dwordx2 s[10:11], s[4:5], 0xf8
	s_load_dwordx4 s[12:15], s[4:5], 0xe8
	s_load_dwordx2 s[0:1], s[4:5], 0x110
	s_waitcnt lgkmcnt(0)
	v_cvt_f32_u32_e32 v1, s10
	s_sub_i32 s2, 0, s10
	s_mul_i32 s1, s1, s8
	s_add_i32 s1, s1, s7
	v_rcp_iflag_f32_e32 v1, v1
	s_mul_i32 s16, s1, s0
	s_add_i32 s16, s16, s6
	s_mov_b32 s7, 0
	v_mul_f32_e32 v1, 0x4f7ffffe, v1
	v_cvt_u32_f32_e32 v1, v1
	v_readfirstlane_b32 s0, v1
	s_mul_i32 s2, s2, s0
	s_mul_hi_u32 s1, s0, s2
	s_add_i32 s0, s0, s1
	s_mul_hi_u32 s0, s16, s0
	s_mul_i32 s1, s0, s10
	s_sub_i32 s1, s16, s1
	s_add_i32 s2, s0, 1
	s_sub_i32 s3, s1, s10
	s_cmp_ge_u32 s1, s10
	s_cselect_b32 s0, s2, s0
	s_cselect_b32 s1, s3, s1
	s_add_i32 s2, s0, 1
	s_cmp_ge_u32 s1, s10
	s_cselect_b32 s6, s2, s0
	s_cmp_ge_u32 s6, s12
	s_cbranch_scc1 .LBB96_27
; %bb.1:
	s_load_dword s12, s[4:5], 0xc
	s_load_dwordx4 s[0:3], s[4:5], 0x100
	s_lshl_b64 s[8:9], s[6:7], 2
	s_movk_i32 s7, 0x100
	v_cmp_gt_u32_e32 vcc, s7, v0
	s_waitcnt lgkmcnt(0)
	v_cvt_f32_u32_e32 v1, s12
	s_add_u32 s0, s0, s8
	s_addc_u32 s1, s1, s9
	v_lshlrev_b32_e32 v3, 2, v0
	v_rcp_iflag_f32_e32 v1, v1
	v_mul_f32_e32 v1, 0x4f7ffffe, v1
	v_cvt_u32_f32_e32 v1, v1
	v_readfirstlane_b32 s18, v1
	s_and_saveexec_b64 s[8:9], vcc
; %bb.2:
	v_mov_b32_e32 v1, 0
	ds_write_b32 v3, v1
; %bb.3:
	s_or_b64 exec, exec, s[8:9]
	s_load_dword s8, s[4:5], 0xd8
	s_mul_i32 s7, s6, s10
	s_sub_i32 s7, s16, s7
	s_add_i32 s9, s7, 1
	s_mul_i32 s7, s15, s7
	s_lshl_b32 s17, s7, 8
	s_waitcnt lgkmcnt(0)
	s_sub_i32 s7, s8, s17
	s_add_u32 s20, s7, 0xff
	s_addc_u32 s21, 0, 0
	s_lshr_b64 s[20:21], s[20:21], 8
	s_cmp_lt_u32 s9, s10
	s_cselect_b32 s15, s15, s20
	s_cmp_lt_i32 s15, 1
	s_mov_b32 s7, 0
	s_barrier
	s_cbranch_scc1 .LBB96_25
; %bb.4:
	s_sub_i32 s9, 0, s12
	s_mul_i32 s9, s9, s18
	s_mul_hi_u32 s9, s18, s9
	s_add_i32 s9, s18, s9
	s_load_dwordx2 s[18:19], s[4:5], 0x6c
	s_load_dwordx2 s[20:21], s[4:5], 0x0
	s_mul_hi_u32 s4, s6, s9
	s_load_dword s9, s[0:1], 0x0
	s_mul_i32 s0, s4, s12
	s_sub_i32 s0, s6, s0
	s_add_i32 s1, s4, 1
	s_sub_i32 s5, s0, s12
	s_cmp_ge_u32 s0, s12
	s_cselect_b32 s1, s1, s4
	s_cselect_b32 s0, s5, s0
	s_add_i32 s4, s1, 1
	s_cmp_ge_u32 s0, s12
	s_cselect_b32 s0, s4, s1
	s_mul_i32 s1, s0, s12
	s_sub_i32 s1, s6, s1
	s_waitcnt lgkmcnt(0)
	s_mul_i32 s1, s1, s19
	s_mul_i32 s0, s0, s18
	s_add_i32 s6, s0, s1
	s_lshl_b64 s[0:1], s[6:7], 1
	s_add_u32 s6, s20, s0
	s_addc_u32 s10, s21, s1
	s_and_b32 s12, s14, 0xff
	s_cmp_lt_u32 s15, 4
	s_cbranch_scc1 .LBB96_19
; %bb.5:
	v_add_u32_e32 v1, s17, v0
	v_add_u32_e32 v2, 0x200, v1
	;; [unrolled: 1-line block ×3, first 2 shown]
	v_mul_lo_u32 v6, s13, v2
	v_add_u32_e32 v2, 0x100, v1
	v_mul_lo_u32 v5, s13, v4
	v_mul_lo_u32 v7, s13, v2
	;; [unrolled: 1-line block ×3, first 2 shown]
	s_and_b32 s7, s15, 0x7ffffffc
	s_lshl_b32 s14, s13, 10
	s_mov_b32 s18, 0
	v_mov_b32_e32 v2, 0
	v_mov_b32_e32 v9, 1
	;; [unrolled: 1-line block ×4, first 2 shown]
	s_mov_b32 s19, 0
	s_branch .LBB96_7
.LBB96_6:                               ;   in Loop: Header=BB96_7 Depth=1
	s_or_b64 exec, exec, s[4:5]
	s_add_i32 s19, s19, 4
	s_add_i32 s18, s18, s14
	s_cmp_eq_u32 s7, s19
	v_add_u32_e32 v4, 0x400, v4
	s_cbranch_scc1 .LBB96_19
.LBB96_7:                               ; =>This Inner Loop Header: Depth=1
	v_add_u32_e32 v1, 0xfffffd00, v4
	v_cmp_gt_u32_e64 s[0:1], s8, v1
	s_and_saveexec_b64 s[4:5], s[0:1]
	s_cbranch_execz .LBB96_10
; %bb.8:                                ;   in Loop: Header=BB96_7 Depth=1
	v_add_u32_e32 v1, s18, v8
	v_lshlrev_b64 v[12:13], 1, v[1:2]
	v_mov_b32_e32 v1, s10
	v_add_co_u32_e64 v12, s[0:1], s6, v12
	v_addc_co_u32_e64 v13, s[0:1], v1, v13, s[0:1]
	global_load_ushort v1, v[12:13], off
	s_waitcnt vmcnt(0)
	v_cmp_lt_i16_e64 s[0:1], -1, v1
	v_cndmask_b32_e64 v12, v10, v11, s[0:1]
	v_xor_b32_sdwa v12, v12, v1 dst_sel:DWORD dst_unused:UNUSED_PAD src0_sel:DWORD src1_sel:WORD_0
	v_cmp_o_f16_e64 s[0:1], v1, v1
	v_cndmask_b32_e64 v1, v10, v12, s[0:1]
	v_xor_b32_e32 v12, s9, v1
	v_and_b32_e32 v12, s11, v12
	v_cmp_eq_u32_e64 s[0:1], 0, v12
	s_and_b64 exec, exec, s[0:1]
; %bb.9:                                ;   in Loop: Header=BB96_7 Depth=1
	v_bfe_u32 v1, v1, s12, 8
	v_lshlrev_b32_e32 v1, 2, v1
	ds_add_u32 v1, v9
.LBB96_10:                              ;   in Loop: Header=BB96_7 Depth=1
	s_or_b64 exec, exec, s[4:5]
	v_add_u32_e32 v1, 0xfffffe00, v4
	v_cmp_gt_u32_e64 s[0:1], s8, v1
	s_and_saveexec_b64 s[4:5], s[0:1]
	s_cbranch_execz .LBB96_13
; %bb.11:                               ;   in Loop: Header=BB96_7 Depth=1
	v_add_u32_e32 v1, s18, v7
	v_lshlrev_b64 v[12:13], 1, v[1:2]
	v_mov_b32_e32 v1, s10
	v_add_co_u32_e64 v12, s[0:1], s6, v12
	v_addc_co_u32_e64 v13, s[0:1], v1, v13, s[0:1]
	global_load_ushort v1, v[12:13], off
	s_waitcnt vmcnt(0)
	v_cmp_lt_i16_e64 s[0:1], -1, v1
	v_cndmask_b32_e64 v12, v10, v11, s[0:1]
	v_xor_b32_sdwa v12, v12, v1 dst_sel:DWORD dst_unused:UNUSED_PAD src0_sel:DWORD src1_sel:WORD_0
	v_cmp_o_f16_e64 s[0:1], v1, v1
	v_cndmask_b32_e64 v1, v10, v12, s[0:1]
	v_xor_b32_e32 v12, s9, v1
	v_and_b32_e32 v12, s11, v12
	v_cmp_eq_u32_e64 s[0:1], 0, v12
	s_and_b64 exec, exec, s[0:1]
; %bb.12:                               ;   in Loop: Header=BB96_7 Depth=1
	v_bfe_u32 v1, v1, s12, 8
	v_lshlrev_b32_e32 v1, 2, v1
	ds_add_u32 v1, v9
.LBB96_13:                              ;   in Loop: Header=BB96_7 Depth=1
	s_or_b64 exec, exec, s[4:5]
	v_add_u32_e32 v1, 0xffffff00, v4
	v_cmp_gt_u32_e64 s[0:1], s8, v1
	s_and_saveexec_b64 s[4:5], s[0:1]
	s_cbranch_execz .LBB96_16
; %bb.14:                               ;   in Loop: Header=BB96_7 Depth=1
	v_add_u32_e32 v1, s18, v6
	v_lshlrev_b64 v[12:13], 1, v[1:2]
	v_mov_b32_e32 v1, s10
	v_add_co_u32_e64 v12, s[0:1], s6, v12
	v_addc_co_u32_e64 v13, s[0:1], v1, v13, s[0:1]
	global_load_ushort v1, v[12:13], off
	s_waitcnt vmcnt(0)
	v_cmp_lt_i16_e64 s[0:1], -1, v1
	v_cndmask_b32_e64 v12, v10, v11, s[0:1]
	v_xor_b32_sdwa v12, v12, v1 dst_sel:DWORD dst_unused:UNUSED_PAD src0_sel:DWORD src1_sel:WORD_0
	v_cmp_o_f16_e64 s[0:1], v1, v1
	v_cndmask_b32_e64 v1, v10, v12, s[0:1]
	v_xor_b32_e32 v12, s9, v1
	v_and_b32_e32 v12, s11, v12
	v_cmp_eq_u32_e64 s[0:1], 0, v12
	s_and_b64 exec, exec, s[0:1]
; %bb.15:                               ;   in Loop: Header=BB96_7 Depth=1
	v_bfe_u32 v1, v1, s12, 8
	v_lshlrev_b32_e32 v1, 2, v1
	ds_add_u32 v1, v9
.LBB96_16:                              ;   in Loop: Header=BB96_7 Depth=1
	s_or_b64 exec, exec, s[4:5]
	v_cmp_gt_u32_e64 s[0:1], s8, v4
	s_and_saveexec_b64 s[4:5], s[0:1]
	s_cbranch_execz .LBB96_6
; %bb.17:                               ;   in Loop: Header=BB96_7 Depth=1
	v_add_u32_e32 v1, s18, v5
	v_lshlrev_b64 v[12:13], 1, v[1:2]
	v_mov_b32_e32 v1, s10
	v_add_co_u32_e64 v12, s[0:1], s6, v12
	v_addc_co_u32_e64 v13, s[0:1], v1, v13, s[0:1]
	global_load_ushort v1, v[12:13], off
	s_waitcnt vmcnt(0)
	v_cmp_lt_i16_e64 s[0:1], -1, v1
	v_cndmask_b32_e64 v12, v10, v11, s[0:1]
	v_xor_b32_sdwa v12, v12, v1 dst_sel:DWORD dst_unused:UNUSED_PAD src0_sel:DWORD src1_sel:WORD_0
	v_cmp_o_f16_e64 s[0:1], v1, v1
	v_cndmask_b32_e64 v1, v10, v12, s[0:1]
	v_xor_b32_e32 v12, s9, v1
	v_and_b32_e32 v12, s11, v12
	v_cmp_eq_u32_e64 s[0:1], 0, v12
	s_and_b64 exec, exec, s[0:1]
	s_cbranch_execz .LBB96_6
; %bb.18:                               ;   in Loop: Header=BB96_7 Depth=1
	v_bfe_u32 v1, v1, s12, 8
	v_lshlrev_b32_e32 v1, 2, v1
	ds_add_u32 v1, v9
	s_branch .LBB96_6
.LBB96_19:
	s_and_b32 s14, s15, 3
	s_cmp_eq_u32 s14, 0
	s_cbranch_scc1 .LBB96_25
; %bb.20:
	s_lshl_b32 s0, s7, 8
	s_add_i32 s0, s0, s17
	v_add_u32_e32 v4, s0, v0
	v_mul_lo_u32 v1, s13, v4
	s_lshl_b32 s7, s13, 8
	v_mov_b32_e32 v2, 0
	v_mov_b32_e32 v5, 1
	;; [unrolled: 1-line block ×4, first 2 shown]
	s_branch .LBB96_22
.LBB96_21:                              ;   in Loop: Header=BB96_22 Depth=1
	s_or_b64 exec, exec, s[4:5]
	s_add_i32 s14, s14, -1
	v_add_u32_e32 v1, s7, v1
	s_cmp_lg_u32 s14, 0
	v_add_u32_e32 v4, 0x100, v4
	s_cbranch_scc0 .LBB96_25
.LBB96_22:                              ; =>This Inner Loop Header: Depth=1
	v_cmp_gt_u32_e64 s[0:1], s8, v4
	s_and_saveexec_b64 s[4:5], s[0:1]
	s_cbranch_execz .LBB96_21
; %bb.23:                               ;   in Loop: Header=BB96_22 Depth=1
	v_lshlrev_b64 v[8:9], 1, v[1:2]
	v_mov_b32_e32 v10, s10
	v_add_co_u32_e64 v8, s[0:1], s6, v8
	v_addc_co_u32_e64 v9, s[0:1], v10, v9, s[0:1]
	global_load_ushort v8, v[8:9], off
	s_waitcnt vmcnt(0)
	v_cmp_lt_i16_e64 s[0:1], -1, v8
	v_cndmask_b32_e64 v9, v6, v7, s[0:1]
	v_xor_b32_sdwa v9, v9, v8 dst_sel:DWORD dst_unused:UNUSED_PAD src0_sel:DWORD src1_sel:WORD_0
	v_cmp_o_f16_e64 s[0:1], v8, v8
	v_cndmask_b32_e64 v8, v6, v9, s[0:1]
	v_xor_b32_e32 v9, s9, v8
	v_and_b32_e32 v9, s11, v9
	v_cmp_eq_u32_e64 s[0:1], 0, v9
	s_and_b64 exec, exec, s[0:1]
	s_cbranch_execz .LBB96_21
; %bb.24:                               ;   in Loop: Header=BB96_22 Depth=1
	v_bfe_u32 v8, v8, s12, 8
	v_lshlrev_b32_e32 v8, 2, v8
	ds_add_u32 v8, v5
	s_branch .LBB96_21
.LBB96_25:
	s_waitcnt lgkmcnt(0)
	s_barrier
	s_and_saveexec_b64 s[0:1], vcc
	s_cbranch_execz .LBB96_27
; %bb.26:
	v_lshl_or_b32 v0, s16, 8, v0
	v_mov_b32_e32 v1, 0
	ds_read_b32 v3, v3
	v_lshlrev_b64 v[0:1], 1, v[0:1]
	v_mov_b32_e32 v2, s3
	v_add_co_u32_e32 v0, vcc, s2, v0
	v_addc_co_u32_e32 v1, vcc, v2, v1, vcc
	s_waitcnt lgkmcnt(0)
	global_store_short v[0:1], v3, off
.LBB96_27:
	s_endpgm
	.section	.rodata,"a",@progbits
	.p2align	6, 0x0
	.amdhsa_kernel _ZN2at6native6mbtopk23computeBlockDigitCountsIN3c104HalfEjjLi2EEEvNS_4cuda6detail10TensorInfoIKT_T0_EEjPjjSA_iijT1_PSD_Ps
		.amdhsa_group_segment_fixed_size 1024
		.amdhsa_private_segment_fixed_size 0
		.amdhsa_kernarg_size 528
		.amdhsa_user_sgpr_count 6
		.amdhsa_user_sgpr_private_segment_buffer 1
		.amdhsa_user_sgpr_dispatch_ptr 0
		.amdhsa_user_sgpr_queue_ptr 0
		.amdhsa_user_sgpr_kernarg_segment_ptr 1
		.amdhsa_user_sgpr_dispatch_id 0
		.amdhsa_user_sgpr_flat_scratch_init 0
		.amdhsa_user_sgpr_private_segment_size 0
		.amdhsa_uses_dynamic_stack 0
		.amdhsa_system_sgpr_private_segment_wavefront_offset 0
		.amdhsa_system_sgpr_workgroup_id_x 1
		.amdhsa_system_sgpr_workgroup_id_y 1
		.amdhsa_system_sgpr_workgroup_id_z 1
		.amdhsa_system_sgpr_workgroup_info 0
		.amdhsa_system_vgpr_workitem_id 0
		.amdhsa_next_free_vgpr 14
		.amdhsa_next_free_sgpr 22
		.amdhsa_reserve_vcc 1
		.amdhsa_reserve_flat_scratch 0
		.amdhsa_float_round_mode_32 0
		.amdhsa_float_round_mode_16_64 0
		.amdhsa_float_denorm_mode_32 3
		.amdhsa_float_denorm_mode_16_64 3
		.amdhsa_dx10_clamp 1
		.amdhsa_ieee_mode 1
		.amdhsa_fp16_overflow 0
		.amdhsa_exception_fp_ieee_invalid_op 0
		.amdhsa_exception_fp_denorm_src 0
		.amdhsa_exception_fp_ieee_div_zero 0
		.amdhsa_exception_fp_ieee_overflow 0
		.amdhsa_exception_fp_ieee_underflow 0
		.amdhsa_exception_fp_ieee_inexact 0
		.amdhsa_exception_int_div_zero 0
	.end_amdhsa_kernel
	.section	.text._ZN2at6native6mbtopk23computeBlockDigitCountsIN3c104HalfEjjLi2EEEvNS_4cuda6detail10TensorInfoIKT_T0_EEjPjjSA_iijT1_PSD_Ps,"axG",@progbits,_ZN2at6native6mbtopk23computeBlockDigitCountsIN3c104HalfEjjLi2EEEvNS_4cuda6detail10TensorInfoIKT_T0_EEjPjjSA_iijT1_PSD_Ps,comdat
.Lfunc_end96:
	.size	_ZN2at6native6mbtopk23computeBlockDigitCountsIN3c104HalfEjjLi2EEEvNS_4cuda6detail10TensorInfoIKT_T0_EEjPjjSA_iijT1_PSD_Ps, .Lfunc_end96-_ZN2at6native6mbtopk23computeBlockDigitCountsIN3c104HalfEjjLi2EEEvNS_4cuda6detail10TensorInfoIKT_T0_EEjPjjSA_iijT1_PSD_Ps
                                        ; -- End function
	.set _ZN2at6native6mbtopk23computeBlockDigitCountsIN3c104HalfEjjLi2EEEvNS_4cuda6detail10TensorInfoIKT_T0_EEjPjjSA_iijT1_PSD_Ps.num_vgpr, 14
	.set _ZN2at6native6mbtopk23computeBlockDigitCountsIN3c104HalfEjjLi2EEEvNS_4cuda6detail10TensorInfoIKT_T0_EEjPjjSA_iijT1_PSD_Ps.num_agpr, 0
	.set _ZN2at6native6mbtopk23computeBlockDigitCountsIN3c104HalfEjjLi2EEEvNS_4cuda6detail10TensorInfoIKT_T0_EEjPjjSA_iijT1_PSD_Ps.numbered_sgpr, 22
	.set _ZN2at6native6mbtopk23computeBlockDigitCountsIN3c104HalfEjjLi2EEEvNS_4cuda6detail10TensorInfoIKT_T0_EEjPjjSA_iijT1_PSD_Ps.num_named_barrier, 0
	.set _ZN2at6native6mbtopk23computeBlockDigitCountsIN3c104HalfEjjLi2EEEvNS_4cuda6detail10TensorInfoIKT_T0_EEjPjjSA_iijT1_PSD_Ps.private_seg_size, 0
	.set _ZN2at6native6mbtopk23computeBlockDigitCountsIN3c104HalfEjjLi2EEEvNS_4cuda6detail10TensorInfoIKT_T0_EEjPjjSA_iijT1_PSD_Ps.uses_vcc, 1
	.set _ZN2at6native6mbtopk23computeBlockDigitCountsIN3c104HalfEjjLi2EEEvNS_4cuda6detail10TensorInfoIKT_T0_EEjPjjSA_iijT1_PSD_Ps.uses_flat_scratch, 0
	.set _ZN2at6native6mbtopk23computeBlockDigitCountsIN3c104HalfEjjLi2EEEvNS_4cuda6detail10TensorInfoIKT_T0_EEjPjjSA_iijT1_PSD_Ps.has_dyn_sized_stack, 0
	.set _ZN2at6native6mbtopk23computeBlockDigitCountsIN3c104HalfEjjLi2EEEvNS_4cuda6detail10TensorInfoIKT_T0_EEjPjjSA_iijT1_PSD_Ps.has_recursion, 0
	.set _ZN2at6native6mbtopk23computeBlockDigitCountsIN3c104HalfEjjLi2EEEvNS_4cuda6detail10TensorInfoIKT_T0_EEjPjjSA_iijT1_PSD_Ps.has_indirect_call, 0
	.section	.AMDGPU.csdata,"",@progbits
; Kernel info:
; codeLenInByte = 1488
; TotalNumSgprs: 26
; NumVgprs: 14
; ScratchSize: 0
; MemoryBound: 0
; FloatMode: 240
; IeeeMode: 1
; LDSByteSize: 1024 bytes/workgroup (compile time only)
; SGPRBlocks: 3
; VGPRBlocks: 3
; NumSGPRsForWavesPerEU: 26
; NumVGPRsForWavesPerEU: 14
; Occupancy: 10
; WaveLimiterHint : 1
; COMPUTE_PGM_RSRC2:SCRATCH_EN: 0
; COMPUTE_PGM_RSRC2:USER_SGPR: 6
; COMPUTE_PGM_RSRC2:TRAP_HANDLER: 0
; COMPUTE_PGM_RSRC2:TGID_X_EN: 1
; COMPUTE_PGM_RSRC2:TGID_Y_EN: 1
; COMPUTE_PGM_RSRC2:TGID_Z_EN: 1
; COMPUTE_PGM_RSRC2:TIDIG_COMP_CNT: 0
	.section	.text._ZN2at6native6mbtopk10gatherTopKIN3c104HalfEjLi2EEEvNS_4cuda6detail10TensorInfoIKT_T0_EESA_SA_bjSA_NS7_IS8_SA_EESA_NS7_IlSA_EESA_jjPS8_PjSF_j,"axG",@progbits,_ZN2at6native6mbtopk10gatherTopKIN3c104HalfEjLi2EEEvNS_4cuda6detail10TensorInfoIKT_T0_EESA_SA_bjSA_NS7_IS8_SA_EESA_NS7_IlSA_EESA_jjPS8_PjSF_j,comdat
	.protected	_ZN2at6native6mbtopk10gatherTopKIN3c104HalfEjLi2EEEvNS_4cuda6detail10TensorInfoIKT_T0_EESA_SA_bjSA_NS7_IS8_SA_EESA_NS7_IlSA_EESA_jjPS8_PjSF_j ; -- Begin function _ZN2at6native6mbtopk10gatherTopKIN3c104HalfEjLi2EEEvNS_4cuda6detail10TensorInfoIKT_T0_EESA_SA_bjSA_NS7_IS8_SA_EESA_NS7_IlSA_EESA_jjPS8_PjSF_j
	.globl	_ZN2at6native6mbtopk10gatherTopKIN3c104HalfEjLi2EEEvNS_4cuda6detail10TensorInfoIKT_T0_EESA_SA_bjSA_NS7_IS8_SA_EESA_NS7_IlSA_EESA_jjPS8_PjSF_j
	.p2align	8
	.type	_ZN2at6native6mbtopk10gatherTopKIN3c104HalfEjLi2EEEvNS_4cuda6detail10TensorInfoIKT_T0_EESA_SA_bjSA_NS7_IS8_SA_EESA_NS7_IlSA_EESA_jjPS8_PjSF_j,@function
_ZN2at6native6mbtopk10gatherTopKIN3c104HalfEjLi2EEEvNS_4cuda6detail10TensorInfoIKT_T0_EESA_SA_bjSA_NS7_IS8_SA_EESA_NS7_IlSA_EESA_jjPS8_PjSF_j: ; @_ZN2at6native6mbtopk10gatherTopKIN3c104HalfEjLi2EEEvNS_4cuda6detail10TensorInfoIKT_T0_EESA_SA_bjSA_NS7_IS8_SA_EESA_NS7_IlSA_EESA_jjPS8_PjSF_j
; %bb.0:
	s_load_dwordx2 s[0:1], s[4:5], 0x2d8
	s_load_dword s2, s[4:5], 0x2d0
	s_waitcnt lgkmcnt(0)
	s_mul_i32 s1, s1, s8
	s_add_i32 s1, s1, s7
	s_mul_i32 s0, s1, s0
	s_add_i32 s0, s0, s6
	s_cmp_ge_u32 s0, s2
	s_cbranch_scc1 .LBB97_40
; %bb.1:
	s_load_dwordx8 s[8:15], s[4:5], 0x2a8
	s_load_dword s41, s[4:5], 0xc
	s_load_dword s33, s[4:5], 0x1dc
	s_load_dwordx2 s[6:7], s[4:5], 0x1d0
	s_load_dword s40, s[4:5], 0xfc
	s_mov_b32 s21, 0
	s_waitcnt lgkmcnt(0)
	v_cvt_f32_u32_e32 v1, s10
	v_cvt_f32_u32_e32 v2, s41
	s_sub_i32 s1, 0, s10
	v_cvt_f32_u32_e32 v3, s40
	v_rcp_iflag_f32_e32 v1, v1
	v_rcp_iflag_f32_e32 v2, v2
	v_mul_f32_e32 v1, 0x4f7ffffe, v1
	v_cvt_u32_f32_e32 v1, v1
	v_mul_f32_e32 v2, 0x4f7ffffe, v2
	v_cvt_u32_f32_e32 v2, v2
	v_readfirstlane_b32 s2, v1
	s_mul_i32 s1, s1, s2
	s_mul_hi_u32 s1, s2, s1
	s_add_i32 s2, s2, s1
	s_mul_hi_u32 s1, s0, s2
	s_mul_i32 s2, s1, s10
	s_sub_i32 s2, s0, s2
	s_add_i32 s3, s1, 1
	s_sub_i32 s11, s2, s10
	s_cmp_ge_u32 s2, s10
	s_cselect_b32 s1, s3, s1
	s_cselect_b32 s2, s11, s2
	s_add_i32 s3, s1, 1
	s_cmp_ge_u32 s2, s10
	v_rcp_iflag_f32_e32 v1, v3
	s_cselect_b32 s20, s3, s1
	v_readfirstlane_b32 s1, v2
	v_cvt_f32_u32_e32 v2, s33
	v_mul_f32_e32 v1, 0x4f7ffffe, v1
	s_mul_i32 s16, s20, s10
	v_cvt_u32_f32_e32 v1, v1
	v_rcp_iflag_f32_e32 v2, v2
	s_sub_i32 s11, s0, s16
	s_sub_i32 s0, 0, s41
	s_mul_i32 s0, s0, s1
	s_mul_hi_u32 s0, s1, s0
	s_add_i32 s2, s1, s0
	v_readfirstlane_b32 s1, v1
	v_mul_f32_e32 v1, 0x4f7ffffe, v2
	v_cvt_u32_f32_e32 v1, v1
	s_sub_i32 s0, 0, s40
	s_mul_i32 s0, s0, s1
	s_mul_hi_u32 s0, s1, s0
	s_add_i32 s3, s1, s0
	s_sub_i32 s0, 0, s33
	v_readfirstlane_b32 s1, v1
	s_mul_i32 s0, s0, s1
	s_mul_hi_u32 s0, s1, s0
	s_add_i32 s17, s1, s0
	s_lshl_b64 s[0:1], s[20:21], 1
	s_add_u32 s0, s12, s0
	s_addc_u32 s1, s13, s1
	v_mov_b32_e32 v1, 0
	global_load_ushort v1, v1, s[0:1]
	s_load_dwordx2 s[28:29], s[4:5], 0x15c
	s_load_dwordx2 s[22:23], s[4:5], 0xf0
	;; [unrolled: 1-line block ×5, first 2 shown]
	v_cmp_ne_u32_e64 s[0:1], 0, v0
	s_mul_hi_u32 s45, s20, s2
	s_mul_hi_u32 s44, s20, s3
	;; [unrolled: 1-line block ×3, first 2 shown]
	v_cmp_eq_u32_e64 s[2:3], 0, v0
	s_waitcnt vmcnt(0)
	v_readfirstlane_b32 s42, v1
	s_and_saveexec_b64 s[12:13], s[2:3]
	s_cbranch_execz .LBB97_17
; %bb.2:
	s_load_dwordx2 s[34:35], s[4:5], 0x2c8
	s_mov_b32 s17, s21
	s_lshl_b64 s[36:37], s[16:17], 2
	s_add_u32 s16, s14, s36
	s_addc_u32 s17, s15, s37
	s_waitcnt lgkmcnt(0)
	s_add_u32 s18, s34, s36
	s_addc_u32 s19, s35, s37
	s_cmp_lt_u32 s10, 4
	s_cbranch_scc1 .LBB97_14
; %bb.3:
	s_mov_b32 s46, s21
	s_mov_b32 s47, s21
	;; [unrolled: 1-line block ×3, first 2 shown]
.LBB97_4:                               ; =>This Inner Loop Header: Depth=1
	s_add_u32 s38, s14, s36
	s_addc_u32 s39, s15, s37
	s_load_dwordx4 s[16:19], s[38:39], 0x0
	s_add_u32 s38, s34, s36
	s_addc_u32 s39, s35, s37
	s_cmp_ge_u32 s48, s11
	s_cbranch_scc0 .LBB97_11
; %bb.5:                                ;   in Loop: Header=BB97_4 Depth=1
	s_add_i32 s49, s48, 1
	s_cmp_ge_u32 s49, s11
	s_cbranch_scc0 .LBB97_12
.LBB97_6:                               ;   in Loop: Header=BB97_4 Depth=1
	s_add_i32 s49, s49, 1
	s_cmp_ge_u32 s49, s11
	s_cbranch_scc0 .LBB97_13
.LBB97_7:                               ;   in Loop: Header=BB97_4 Depth=1
	s_add_i32 s49, s49, 1
	s_cmp_ge_u32 s49, s11
	s_cbranch_scc1 .LBB97_9
.LBB97_8:                               ;   in Loop: Header=BB97_4 Depth=1
	s_load_dword s38, s[38:39], 0xc
	s_waitcnt lgkmcnt(0)
	s_add_i32 s21, s21, s19
	s_add_i32 s46, s38, s46
.LBB97_9:                               ;   in Loop: Header=BB97_4 Depth=1
	s_waitcnt lgkmcnt(0)
	s_add_i32 s16, s16, s47
	s_add_i32 s16, s16, s17
	;; [unrolled: 1-line block ×4, first 2 shown]
	s_add_u32 s14, s14, 16
	s_addc_u32 s15, s15, 0
	s_add_u32 s34, s34, 16
	s_addc_u32 s35, s35, 0
	s_add_i32 s39, s49, 4
	s_add_u32 s18, s34, s36
	s_addc_u32 s19, s35, s37
	s_add_u32 s16, s14, s36
	s_addc_u32 s17, s15, s37
	s_add_i32 s38, s49, 1
	s_cmp_ge_u32 s39, s10
	s_cbranch_scc1 .LBB97_15
; %bb.10:                               ;   in Loop: Header=BB97_4 Depth=1
	s_mov_b32 s48, s38
	s_branch .LBB97_4
.LBB97_11:                              ;   in Loop: Header=BB97_4 Depth=1
	s_load_dword s49, s[38:39], 0x0
	s_waitcnt lgkmcnt(0)
	s_add_i32 s21, s16, s21
	s_add_i32 s46, s49, s46
	s_add_i32 s49, s48, 1
	s_cmp_ge_u32 s49, s11
	s_cbranch_scc1 .LBB97_6
.LBB97_12:                              ;   in Loop: Header=BB97_4 Depth=1
	s_load_dword s50, s[38:39], 0x4
	s_waitcnt lgkmcnt(0)
	s_add_i32 s21, s21, s17
	s_add_i32 s46, s50, s46
	;; [unrolled: 1-line block ×3, first 2 shown]
	s_cmp_ge_u32 s49, s11
	s_cbranch_scc1 .LBB97_7
.LBB97_13:                              ;   in Loop: Header=BB97_4 Depth=1
	s_load_dword s50, s[38:39], 0x8
	s_waitcnt lgkmcnt(0)
	s_add_i32 s21, s21, s18
	s_add_i32 s46, s50, s46
	;; [unrolled: 1-line block ×3, first 2 shown]
	s_cmp_ge_u32 s49, s11
	s_cbranch_scc0 .LBB97_8
	s_branch .LBB97_9
.LBB97_14:
	s_mov_b32 s46, 0
	s_mov_b32 s47, 0
	;; [unrolled: 1-line block ×3, first 2 shown]
	s_cmp_ge_u32 s14, s10
	s_cbranch_scc0 .LBB97_38
	s_branch .LBB97_16
.LBB97_15:
	s_add_i32 s14, s48, 4
	s_cmp_ge_u32 s14, s10
	s_cbranch_scc0 .LBB97_38
.LBB97_16:
	v_mov_b32_e32 v1, s46
	v_mov_b32_e32 v2, s47
	;; [unrolled: 1-line block ×4, first 2 shown]
	ds_write_b96 v4, v[1:3] offset:1056
.LBB97_17:
	s_or_b64 exec, exec, s[12:13]
	s_load_dwordx4 s[12:15], s[4:5], 0xd8
	s_mul_i32 s16, s9, s11
	s_lshl_b32 s34, s16, 8
	s_waitcnt lgkmcnt(0)
	s_add_i32 s15, s11, 1
	s_mov_b32 s11, 0
	s_sub_i32 s16, s12, s34
	s_add_u32 s16, s16, 0xff
	s_addc_u32 s17, 0, 0
	s_lshr_b64 s[16:17], s[16:17], 8
	s_cmp_lt_u32 s15, s10
	s_cselect_b32 s9, s9, s16
	s_cmp_eq_u32 s9, 0
	s_barrier
	s_cbranch_scc1 .LBB97_40
; %bb.18:
	s_mul_i32 s10, s45, s41
	s_sub_i32 s10, s20, s10
	s_add_i32 s15, s45, 1
	s_sub_i32 s16, s10, s41
	s_cmp_ge_u32 s10, s41
	s_cselect_b32 s15, s15, s45
	s_cselect_b32 s10, s16, s10
	s_add_i32 s16, s15, 1
	s_cmp_ge_u32 s10, s41
	s_cselect_b32 s10, s16, s15
	s_mul_i32 s15, s10, s41
	s_sub_i32 s15, s20, s15
	s_mul_i32 s15, s15, s31
	s_mul_i32 s10, s10, s30
	s_add_i32 s10, s10, s15
	s_mul_i32 s15, s44, s40
	s_sub_i32 s15, s20, s15
	s_add_i32 s16, s44, 1
	s_sub_i32 s17, s15, s40
	s_cmp_ge_u32 s15, s40
	s_cselect_b32 s16, s16, s44
	s_cselect_b32 s15, s17, s15
	s_add_i32 s17, s16, 1
	s_cmp_ge_u32 s15, s40
	s_cselect_b32 s15, s17, s16
	s_mul_i32 s16, s15, s40
	s_sub_i32 s16, s20, s16
	s_mul_i32 s16, s16, s29
	s_mul_i32 s15, s15, s28
	s_add_i32 s18, s15, s16
	;; [unrolled: 15-line block ×3, first 2 shown]
	s_lshl_b64 s[16:17], s[10:11], 1
	s_add_u32 s15, s24, s16
	s_mov_b32 s19, s11
	s_addc_u32 s16, s25, s17
	s_lshl_b64 s[18:19], s[18:19], 1
	s_add_u32 s17, s22, s18
	s_mov_b32 s21, s11
	v_mov_b32_e32 v5, 0
	s_addc_u32 s18, s23, s19
	s_lshl_b64 s[10:11], s[20:21], 3
	ds_read_b96 v[1:3], v5 offset:1056
	s_add_u32 s19, s6, s10
	s_addc_u32 s20, s7, s11
	s_and_b32 s10, 0xffff, s42
	s_sext_i32_i16 s6, s42
	s_cmp_gt_i32 s6, -1
	s_mov_b32 s6, 0x8000
	s_cselect_b32 s11, s6, 0xffff
	v_cmp_o_f16_e64 s[6:7], s42, s42
	s_xor_b32 s10, s11, s10
	s_waitcnt lgkmcnt(0)
	v_add_u32_e32 v2, v1, v2
	v_lshrrev_b32_e32 v1, 3, v0
	s_and_b64 s[6:7], s[6:7], exec
	v_and_b32_e32 v1, 28, v1
	s_cselect_b32 s21, s10, 0xffff
	s_bitcmp1_b32 s14, 0
	s_load_dword s10, s[4:5], 0xe8
	s_load_dword s14, s[4:5], 0x1c8
	v_lshl_add_u32 v6, v0, 2, v1
	v_lshrrev_b32_e32 v1, 1, v0
	v_and_b32_e32 v7, 0x7c, v1
	v_add_u32_e32 v1, -1, v0
	v_lshrrev_b32_e32 v4, 3, v1
	v_cmp_gt_u32_e64 s[4:5], 64, v0
	v_lshlrev_b32_e32 v8, 4, v0
	v_and_b32_e32 v4, 0x1ffffffc, v4
	v_add_u32_e32 v0, s34, v0
	v_lshl_add_u32 v9, v1, 2, v4
	s_waitcnt lgkmcnt(0)
	v_mul_lo_u32 v4, s10, v0
	v_mbcnt_lo_u32_b32 v1, -1, 0
	s_cselect_b64 s[6:7], -1, 0
	s_lshl_b32 s22, s10, 8
	v_mov_b32_e32 v10, 0xffff
	v_mov_b32_e32 v11, 0x8000
	v_mbcnt_hi_u32_b32 v12, -1, v1
                                        ; implicit-def: $vgpr13
	s_branch .LBB97_21
.LBB97_19:                              ;   in Loop: Header=BB97_21 Depth=1
	s_or_b64 exec, exec, s[10:11]
	v_add_u32_e32 v2, v16, v2
.LBB97_20:                              ;   in Loop: Header=BB97_21 Depth=1
	s_add_i32 s9, s9, -1
	v_add_u32_e32 v3, v15, v3
	v_add_u32_e32 v4, s22, v4
	s_cmp_lg_u32 s9, 0
	v_add_u32_e32 v0, 0x100, v0
	s_cbranch_scc0 .LBB97_40
.LBB97_21:                              ; =>This Inner Loop Header: Depth=1
	v_cmp_gt_u32_e32 vcc, s12, v0
	v_mov_b32_e32 v1, 0
	v_mov_b32_e32 v14, 0
	s_and_saveexec_b64 s[10:11], vcc
	s_cbranch_execz .LBB97_23
; %bb.22:                               ;   in Loop: Header=BB97_21 Depth=1
	v_lshlrev_b64 v[13:14], 1, v[4:5]
	v_mov_b32_e32 v1, s16
	v_add_co_u32_e32 v13, vcc, s15, v13
	v_addc_co_u32_e32 v14, vcc, v1, v14, vcc
	global_load_ushort v13, v[13:14], off
	s_waitcnt vmcnt(0)
	v_cmp_lt_i16_e32 vcc, -1, v13
	v_cndmask_b32_e32 v1, v10, v11, vcc
	v_xor_b32_sdwa v1, v1, v13 dst_sel:DWORD dst_unused:UNUSED_PAD src0_sel:DWORD src1_sel:WORD_0
	v_cmp_o_f16_e32 vcc, v13, v13
	v_cndmask_b32_e32 v14, v10, v1, vcc
	v_cmp_lt_u32_e32 vcc, s21, v14
	v_cndmask_b32_e64 v1, 0, 1, vcc
	v_cmp_gt_u32_e32 vcc, s21, v14
	v_cndmask_b32_e64 v15, 0, 1, vcc
	v_cndmask_b32_e64 v1, v15, v1, s[6:7]
	v_cmp_eq_u32_e32 vcc, s21, v14
	v_and_b32_e32 v1, 1, v1
	v_cndmask_b32_e64 v14, 0, 1, vcc
.LBB97_23:                              ;   in Loop: Header=BB97_21 Depth=1
	s_or_b64 exec, exec, s[10:11]
	ds_write_b32 v6, v1
	s_waitcnt vmcnt(0) lgkmcnt(0)
	s_barrier
	s_and_saveexec_b64 s[10:11], s[4:5]
	s_cbranch_execz .LBB97_25
; %bb.24:                               ;   in Loop: Header=BB97_21 Depth=1
	v_add_u32_e32 v19, v7, v8
	ds_read2_b32 v[15:16], v19 offset1:1
	ds_read2_b32 v[17:18], v19 offset0:2 offset1:3
	v_and_b32_e32 v20, 15, v12
	v_cmp_ne_u32_e32 vcc, 0, v20
	s_waitcnt lgkmcnt(1)
	v_add_u32_e32 v16, v16, v15
	s_waitcnt lgkmcnt(0)
	v_add3_u32 v16, v16, v17, v18
	v_bfe_i32 v18, v12, 4, 1
	; wave barrier
	s_nop 0
	v_mov_b32_dpp v17, v16 row_shr:1 row_mask:0xf bank_mask:0xf
	v_cndmask_b32_e32 v17, 0, v17, vcc
	v_add_u32_e32 v16, v17, v16
	v_cmp_lt_u32_e32 vcc, 1, v20
	s_nop 0
	v_mov_b32_dpp v17, v16 row_shr:2 row_mask:0xf bank_mask:0xf
	v_cndmask_b32_e32 v17, 0, v17, vcc
	v_add_u32_e32 v16, v16, v17
	v_cmp_lt_u32_e32 vcc, 3, v20
	;; [unrolled: 5-line block ×4, first 2 shown]
	s_nop 0
	v_mov_b32_dpp v17, v16 row_bcast:15 row_mask:0xf bank_mask:0xf
	v_and_b32_e32 v17, v18, v17
	v_add_u32_e32 v16, v16, v17
	v_and_b32_e32 v18, 64, v12
	s_nop 0
	v_mov_b32_dpp v17, v16 row_bcast:31 row_mask:0xf bank_mask:0xf
	v_cndmask_b32_e32 v17, 0, v17, vcc
	v_add_u32_e32 v16, v16, v17
	v_add_u32_e32 v17, -1, v12
	v_cmp_lt_i32_e32 vcc, v17, v18
	v_cndmask_b32_e32 v17, v17, v12, vcc
	v_lshlrev_b32_e32 v17, 2, v17
	ds_bpermute_b32 v16, v17, v16
	s_waitcnt lgkmcnt(0)
	v_add_u32_e32 v15, v16, v15
	v_cndmask_b32_e64 v17, v15, v1, s[2:3]
	ds_write_b32 v19, v17
	; wave barrier
	ds_read2_b32 v[15:16], v19 offset0:1 offset1:2
	ds_read_b32 v18, v19 offset:12
	s_waitcnt lgkmcnt(1)
	v_add_u32_e32 v15, v15, v17
	v_add_u32_e32 v16, v16, v15
	ds_write2_b32 v19, v15, v16 offset0:1 offset1:2
	s_waitcnt lgkmcnt(1)
	v_add_u32_e32 v15, v18, v16
	ds_write_b32 v19, v15 offset:12
.LBB97_25:                              ;   in Loop: Header=BB97_21 Depth=1
	s_or_b64 exec, exec, s[10:11]
	v_mov_b32_e32 v16, 0
	s_waitcnt lgkmcnt(0)
	s_barrier
	s_and_saveexec_b64 s[10:11], s[0:1]
; %bb.26:                               ;   in Loop: Header=BB97_21 Depth=1
	ds_read_b32 v16, v9
; %bb.27:                               ;   in Loop: Header=BB97_21 Depth=1
	s_or_b64 exec, exec, s[10:11]
	ds_read_b32 v15, v5 offset:1048
	v_cmp_ne_u32_e32 vcc, 0, v1
	s_waitcnt lgkmcnt(0)
	s_barrier
	s_and_saveexec_b64 s[10:11], vcc
	s_cbranch_execz .LBB97_29
; %bb.28:                               ;   in Loop: Header=BB97_21 Depth=1
	v_add_u32_e32 v1, v16, v3
	v_mul_lo_u32 v16, v1, s14
	v_mov_b32_e32 v17, v5
	v_mov_b32_e32 v18, s18
	;; [unrolled: 1-line block ×3, first 2 shown]
	v_lshlrev_b64 v[16:17], 1, v[16:17]
	v_add_co_u32_e32 v16, vcc, s17, v16
	v_addc_co_u32_e32 v17, vcc, v18, v17, vcc
	v_mul_lo_u32 v18, v1, s8
	global_store_short v[16:17], v13, off
	v_mov_b32_e32 v1, v5
	v_lshlrev_b64 v[16:17], 3, v[18:19]
	v_mov_b32_e32 v18, s20
	v_add_co_u32_e32 v16, vcc, s19, v16
	v_addc_co_u32_e32 v17, vcc, v18, v17, vcc
	global_store_dwordx2 v[16:17], v[0:1], off
.LBB97_29:                              ;   in Loop: Header=BB97_21 Depth=1
	s_or_b64 exec, exec, s[10:11]
	v_cmp_le_u32_e32 vcc, s13, v2
	s_cbranch_vccnz .LBB97_20
; %bb.30:                               ;   in Loop: Header=BB97_21 Depth=1
	ds_write_b32 v6, v14
	s_waitcnt vmcnt(0) lgkmcnt(0)
	s_barrier
	s_and_saveexec_b64 s[10:11], s[4:5]
	s_cbranch_execz .LBB97_32
; %bb.31:                               ;   in Loop: Header=BB97_21 Depth=1
	v_add_u32_e32 v1, v7, v8
	ds_read2_b32 v[16:17], v1 offset1:1
	ds_read2_b32 v[18:19], v1 offset0:2 offset1:3
	v_and_b32_e32 v20, 15, v12
	v_cmp_ne_u32_e32 vcc, 0, v20
	s_waitcnt lgkmcnt(1)
	v_add_u32_e32 v17, v17, v16
	s_waitcnt lgkmcnt(0)
	v_add3_u32 v17, v17, v18, v19
	v_bfe_i32 v19, v12, 4, 1
	; wave barrier
	s_nop 0
	v_mov_b32_dpp v18, v17 row_shr:1 row_mask:0xf bank_mask:0xf
	v_cndmask_b32_e32 v18, 0, v18, vcc
	v_add_u32_e32 v17, v18, v17
	v_cmp_lt_u32_e32 vcc, 1, v20
	s_nop 0
	v_mov_b32_dpp v18, v17 row_shr:2 row_mask:0xf bank_mask:0xf
	v_cndmask_b32_e32 v18, 0, v18, vcc
	v_add_u32_e32 v17, v17, v18
	v_cmp_lt_u32_e32 vcc, 3, v20
	;; [unrolled: 5-line block ×4, first 2 shown]
	s_nop 0
	v_mov_b32_dpp v18, v17 row_bcast:15 row_mask:0xf bank_mask:0xf
	v_and_b32_e32 v18, v19, v18
	v_add_u32_e32 v17, v17, v18
	v_and_b32_e32 v19, 64, v12
	s_nop 0
	v_mov_b32_dpp v18, v17 row_bcast:31 row_mask:0xf bank_mask:0xf
	v_cndmask_b32_e32 v18, 0, v18, vcc
	v_add_u32_e32 v17, v17, v18
	v_add_u32_e32 v18, -1, v12
	v_cmp_lt_i32_e32 vcc, v18, v19
	v_cndmask_b32_e32 v18, v18, v12, vcc
	v_lshlrev_b32_e32 v18, 2, v18
	ds_bpermute_b32 v17, v18, v17
	s_waitcnt lgkmcnt(0)
	v_add_u32_e32 v16, v17, v16
	v_cndmask_b32_e64 v18, v16, v14, s[2:3]
	ds_write_b32 v1, v18
	; wave barrier
	ds_read2_b32 v[16:17], v1 offset0:1 offset1:2
	ds_read_b32 v19, v1 offset:12
	s_waitcnt lgkmcnt(1)
	v_add_u32_e32 v16, v16, v18
	v_add_u32_e32 v17, v17, v16
	ds_write2_b32 v1, v16, v17 offset0:1 offset1:2
	s_waitcnt lgkmcnt(1)
	v_add_u32_e32 v16, v19, v17
	ds_write_b32 v1, v16 offset:12
.LBB97_32:                              ;   in Loop: Header=BB97_21 Depth=1
	s_or_b64 exec, exec, s[10:11]
	v_mov_b32_e32 v1, 0
	s_waitcnt lgkmcnt(0)
	s_barrier
	s_and_saveexec_b64 s[10:11], s[0:1]
; %bb.33:                               ;   in Loop: Header=BB97_21 Depth=1
	ds_read_b32 v1, v9
; %bb.34:                               ;   in Loop: Header=BB97_21 Depth=1
	s_or_b64 exec, exec, s[10:11]
	ds_read_b32 v16, v5 offset:1048
	v_cmp_ne_u32_e32 vcc, 0, v14
	s_waitcnt lgkmcnt(0)
	s_barrier
	s_and_saveexec_b64 s[10:11], vcc
	s_cbranch_execz .LBB97_19
; %bb.35:                               ;   in Loop: Header=BB97_21 Depth=1
	v_add_u32_e32 v1, v1, v2
	v_cmp_gt_u32_e32 vcc, s13, v1
	s_and_b64 exec, exec, vcc
	s_cbranch_execz .LBB97_19
; %bb.36:                               ;   in Loop: Header=BB97_21 Depth=1
	v_mul_lo_u32 v17, v1, s14
	v_mov_b32_e32 v18, v5
	v_mul_lo_u32 v19, v1, s8
	v_mov_b32_e32 v14, s18
	v_lshlrev_b64 v[17:18], 1, v[17:18]
	v_mov_b32_e32 v20, v5
	v_add_co_u32_e32 v17, vcc, s17, v17
	v_addc_co_u32_e32 v18, vcc, v14, v18, vcc
	global_store_short v[17:18], v13, off
	v_lshlrev_b64 v[17:18], 3, v[19:20]
	v_mov_b32_e32 v14, s20
	v_add_co_u32_e32 v17, vcc, s19, v17
	v_mov_b32_e32 v1, v5
	v_addc_co_u32_e32 v18, vcc, v14, v18, vcc
	global_store_dwordx2 v[17:18], v[0:1], off
	s_branch .LBB97_19
.LBB97_37:                              ;   in Loop: Header=BB97_38 Depth=1
	s_add_u32 s16, s16, 4
	s_addc_u32 s17, s17, 0
	s_waitcnt lgkmcnt(0)
	s_add_i32 s47, s15, s47
	s_add_u32 s18, s18, 4
	s_addc_u32 s19, s19, 0
	s_add_i32 s14, s14, 1
	s_cmp_lt_u32 s14, s10
	s_cbranch_scc0 .LBB97_16
.LBB97_38:                              ; =>This Inner Loop Header: Depth=1
	s_load_dword s15, s[16:17], 0x0
	s_cmp_ge_u32 s14, s11
	s_cbranch_scc1 .LBB97_37
; %bb.39:                               ;   in Loop: Header=BB97_38 Depth=1
	s_load_dword s34, s[18:19], 0x0
	s_waitcnt lgkmcnt(0)
	s_add_i32 s21, s15, s21
	s_add_i32 s46, s34, s46
	s_branch .LBB97_37
.LBB97_40:
	s_endpgm
	.section	.rodata,"a",@progbits
	.p2align	6, 0x0
	.amdhsa_kernel _ZN2at6native6mbtopk10gatherTopKIN3c104HalfEjLi2EEEvNS_4cuda6detail10TensorInfoIKT_T0_EESA_SA_bjSA_NS7_IS8_SA_EESA_NS7_IlSA_EESA_jjPS8_PjSF_j
		.amdhsa_group_segment_fixed_size 1068
		.amdhsa_private_segment_fixed_size 0
		.amdhsa_kernarg_size 984
		.amdhsa_user_sgpr_count 6
		.amdhsa_user_sgpr_private_segment_buffer 1
		.amdhsa_user_sgpr_dispatch_ptr 0
		.amdhsa_user_sgpr_queue_ptr 0
		.amdhsa_user_sgpr_kernarg_segment_ptr 1
		.amdhsa_user_sgpr_dispatch_id 0
		.amdhsa_user_sgpr_flat_scratch_init 0
		.amdhsa_user_sgpr_private_segment_size 0
		.amdhsa_uses_dynamic_stack 0
		.amdhsa_system_sgpr_private_segment_wavefront_offset 0
		.amdhsa_system_sgpr_workgroup_id_x 1
		.amdhsa_system_sgpr_workgroup_id_y 1
		.amdhsa_system_sgpr_workgroup_id_z 1
		.amdhsa_system_sgpr_workgroup_info 0
		.amdhsa_system_vgpr_workitem_id 0
		.amdhsa_next_free_vgpr 21
		.amdhsa_next_free_sgpr 51
		.amdhsa_reserve_vcc 1
		.amdhsa_reserve_flat_scratch 0
		.amdhsa_float_round_mode_32 0
		.amdhsa_float_round_mode_16_64 0
		.amdhsa_float_denorm_mode_32 3
		.amdhsa_float_denorm_mode_16_64 3
		.amdhsa_dx10_clamp 1
		.amdhsa_ieee_mode 1
		.amdhsa_fp16_overflow 0
		.amdhsa_exception_fp_ieee_invalid_op 0
		.amdhsa_exception_fp_denorm_src 0
		.amdhsa_exception_fp_ieee_div_zero 0
		.amdhsa_exception_fp_ieee_overflow 0
		.amdhsa_exception_fp_ieee_underflow 0
		.amdhsa_exception_fp_ieee_inexact 0
		.amdhsa_exception_int_div_zero 0
	.end_amdhsa_kernel
	.section	.text._ZN2at6native6mbtopk10gatherTopKIN3c104HalfEjLi2EEEvNS_4cuda6detail10TensorInfoIKT_T0_EESA_SA_bjSA_NS7_IS8_SA_EESA_NS7_IlSA_EESA_jjPS8_PjSF_j,"axG",@progbits,_ZN2at6native6mbtopk10gatherTopKIN3c104HalfEjLi2EEEvNS_4cuda6detail10TensorInfoIKT_T0_EESA_SA_bjSA_NS7_IS8_SA_EESA_NS7_IlSA_EESA_jjPS8_PjSF_j,comdat
.Lfunc_end97:
	.size	_ZN2at6native6mbtopk10gatherTopKIN3c104HalfEjLi2EEEvNS_4cuda6detail10TensorInfoIKT_T0_EESA_SA_bjSA_NS7_IS8_SA_EESA_NS7_IlSA_EESA_jjPS8_PjSF_j, .Lfunc_end97-_ZN2at6native6mbtopk10gatherTopKIN3c104HalfEjLi2EEEvNS_4cuda6detail10TensorInfoIKT_T0_EESA_SA_bjSA_NS7_IS8_SA_EESA_NS7_IlSA_EESA_jjPS8_PjSF_j
                                        ; -- End function
	.set _ZN2at6native6mbtopk10gatherTopKIN3c104HalfEjLi2EEEvNS_4cuda6detail10TensorInfoIKT_T0_EESA_SA_bjSA_NS7_IS8_SA_EESA_NS7_IlSA_EESA_jjPS8_PjSF_j.num_vgpr, 21
	.set _ZN2at6native6mbtopk10gatherTopKIN3c104HalfEjLi2EEEvNS_4cuda6detail10TensorInfoIKT_T0_EESA_SA_bjSA_NS7_IS8_SA_EESA_NS7_IlSA_EESA_jjPS8_PjSF_j.num_agpr, 0
	.set _ZN2at6native6mbtopk10gatherTopKIN3c104HalfEjLi2EEEvNS_4cuda6detail10TensorInfoIKT_T0_EESA_SA_bjSA_NS7_IS8_SA_EESA_NS7_IlSA_EESA_jjPS8_PjSF_j.numbered_sgpr, 51
	.set _ZN2at6native6mbtopk10gatherTopKIN3c104HalfEjLi2EEEvNS_4cuda6detail10TensorInfoIKT_T0_EESA_SA_bjSA_NS7_IS8_SA_EESA_NS7_IlSA_EESA_jjPS8_PjSF_j.num_named_barrier, 0
	.set _ZN2at6native6mbtopk10gatherTopKIN3c104HalfEjLi2EEEvNS_4cuda6detail10TensorInfoIKT_T0_EESA_SA_bjSA_NS7_IS8_SA_EESA_NS7_IlSA_EESA_jjPS8_PjSF_j.private_seg_size, 0
	.set _ZN2at6native6mbtopk10gatherTopKIN3c104HalfEjLi2EEEvNS_4cuda6detail10TensorInfoIKT_T0_EESA_SA_bjSA_NS7_IS8_SA_EESA_NS7_IlSA_EESA_jjPS8_PjSF_j.uses_vcc, 1
	.set _ZN2at6native6mbtopk10gatherTopKIN3c104HalfEjLi2EEEvNS_4cuda6detail10TensorInfoIKT_T0_EESA_SA_bjSA_NS7_IS8_SA_EESA_NS7_IlSA_EESA_jjPS8_PjSF_j.uses_flat_scratch, 0
	.set _ZN2at6native6mbtopk10gatherTopKIN3c104HalfEjLi2EEEvNS_4cuda6detail10TensorInfoIKT_T0_EESA_SA_bjSA_NS7_IS8_SA_EESA_NS7_IlSA_EESA_jjPS8_PjSF_j.has_dyn_sized_stack, 0
	.set _ZN2at6native6mbtopk10gatherTopKIN3c104HalfEjLi2EEEvNS_4cuda6detail10TensorInfoIKT_T0_EESA_SA_bjSA_NS7_IS8_SA_EESA_NS7_IlSA_EESA_jjPS8_PjSF_j.has_recursion, 0
	.set _ZN2at6native6mbtopk10gatherTopKIN3c104HalfEjLi2EEEvNS_4cuda6detail10TensorInfoIKT_T0_EESA_SA_bjSA_NS7_IS8_SA_EESA_NS7_IlSA_EESA_jjPS8_PjSF_j.has_indirect_call, 0
	.section	.AMDGPU.csdata,"",@progbits
; Kernel info:
; codeLenInByte = 2516
; TotalNumSgprs: 55
; NumVgprs: 21
; ScratchSize: 0
; MemoryBound: 0
; FloatMode: 240
; IeeeMode: 1
; LDSByteSize: 1068 bytes/workgroup (compile time only)
; SGPRBlocks: 6
; VGPRBlocks: 5
; NumSGPRsForWavesPerEU: 55
; NumVGPRsForWavesPerEU: 21
; Occupancy: 10
; WaveLimiterHint : 1
; COMPUTE_PGM_RSRC2:SCRATCH_EN: 0
; COMPUTE_PGM_RSRC2:USER_SGPR: 6
; COMPUTE_PGM_RSRC2:TRAP_HANDLER: 0
; COMPUTE_PGM_RSRC2:TGID_X_EN: 1
; COMPUTE_PGM_RSRC2:TGID_Y_EN: 1
; COMPUTE_PGM_RSRC2:TGID_Z_EN: 1
; COMPUTE_PGM_RSRC2:TIDIG_COMP_CNT: 0
	.section	.text._ZN2at6native6sbtopk10gatherTopKIN3c104HalfEjLi2ELb0EEEvNS_4cuda6detail10TensorInfoIKT_T0_EESA_SA_bSA_SA_NS7_IS8_SA_EESA_NS7_IlSA_EESA_PS8_,"axG",@progbits,_ZN2at6native6sbtopk10gatherTopKIN3c104HalfEjLi2ELb0EEEvNS_4cuda6detail10TensorInfoIKT_T0_EESA_SA_bSA_SA_NS7_IS8_SA_EESA_NS7_IlSA_EESA_PS8_,comdat
	.protected	_ZN2at6native6sbtopk10gatherTopKIN3c104HalfEjLi2ELb0EEEvNS_4cuda6detail10TensorInfoIKT_T0_EESA_SA_bSA_SA_NS7_IS8_SA_EESA_NS7_IlSA_EESA_PS8_ ; -- Begin function _ZN2at6native6sbtopk10gatherTopKIN3c104HalfEjLi2ELb0EEEvNS_4cuda6detail10TensorInfoIKT_T0_EESA_SA_bSA_SA_NS7_IS8_SA_EESA_NS7_IlSA_EESA_PS8_
	.globl	_ZN2at6native6sbtopk10gatherTopKIN3c104HalfEjLi2ELb0EEEvNS_4cuda6detail10TensorInfoIKT_T0_EESA_SA_bSA_SA_NS7_IS8_SA_EESA_NS7_IlSA_EESA_PS8_
	.p2align	8
	.type	_ZN2at6native6sbtopk10gatherTopKIN3c104HalfEjLi2ELb0EEEvNS_4cuda6detail10TensorInfoIKT_T0_EESA_SA_bSA_SA_NS7_IS8_SA_EESA_NS7_IlSA_EESA_PS8_,@function
_ZN2at6native6sbtopk10gatherTopKIN3c104HalfEjLi2ELb0EEEvNS_4cuda6detail10TensorInfoIKT_T0_EESA_SA_bSA_SA_NS7_IS8_SA_EESA_NS7_IlSA_EESA_PS8_: ; @_ZN2at6native6sbtopk10gatherTopKIN3c104HalfEjLi2ELb0EEEvNS_4cuda6detail10TensorInfoIKT_T0_EESA_SA_bSA_SA_NS7_IS8_SA_EESA_NS7_IlSA_EESA_PS8_
; %bb.0:
	s_load_dwordx2 s[14:15], s[4:5], 0x2b8
	s_load_dwordx4 s[36:39], s[4:5], 0xd8
	s_add_u32 s12, s4, 0x2b8
	s_addc_u32 s13, s5, 0
	s_waitcnt lgkmcnt(0)
	s_mul_i32 s0, s15, s8
	s_add_i32 s0, s0, s7
	s_mul_i32 s0, s0, s14
	s_add_i32 s18, s0, s6
	s_cmp_ge_u32 s18, s39
	s_cbranch_scc1 .LBB98_427
; %bb.1:
	s_load_dwordx2 s[10:11], s[4:5], 0x23c
                                        ; implicit-def: $vgpr52 : SGPR spill to VGPR lane
	s_load_dword s15, s[4:5], 0xc
	s_load_dword s9, s[4:5], 0xe8
	s_load_dwordx2 s[2:3], s[4:5], 0x6c
	s_load_dwordx2 s[0:1], s[4:5], 0x0
	s_load_dword s16, s[4:5], 0x1dc
	s_load_dword s8, s[4:5], 0xfc
	s_waitcnt lgkmcnt(0)
	v_cvt_f32_u32_e32 v1, s15
	s_mov_b32 s49, 0
	v_writelane_b32 v52, s10, 0
	v_writelane_b32 v52, s11, 1
	s_load_dwordx2 s[10:11], s[4:5], 0x1d0
	v_rcp_iflag_f32_e32 v1, v1
	v_cvt_f32_u32_e32 v2, s8
	v_mul_f32_e32 v1, 0x4f7ffffe, v1
	s_waitcnt lgkmcnt(0)
	v_writelane_b32 v52, s10, 2
	v_writelane_b32 v52, s11, 3
	s_load_dwordx2 s[10:11], s[4:5], 0x15c
	v_cvt_u32_f32_e32 v1, v1
	v_rcp_iflag_f32_e32 v2, v2
	s_waitcnt lgkmcnt(0)
	v_writelane_b32 v52, s10, 4
	v_writelane_b32 v52, s11, 5
	;; [unrolled: 1-line block ×4, first 2 shown]
	s_load_dwordx2 s[4:5], s[4:5], 0xf0
	v_readfirstlane_b32 s7, v1
	v_mul_f32_e32 v1, 0x4f7ffffe, v2
	v_cvt_f32_u32_e32 v2, s16
	v_cvt_u32_f32_e32 v1, v1
	s_waitcnt lgkmcnt(0)
	v_writelane_b32 v52, s4, 8
	v_writelane_b32 v52, s5, 9
	s_sub_i32 s5, 0, s15
	v_rcp_iflag_f32_e32 v2, v2
	s_mul_i32 s5, s5, s7
	s_mul_hi_u32 s5, s7, s5
	s_add_i32 s7, s7, s5
	s_mul_hi_u32 s5, s18, s7
	v_writelane_b32 v52, s8, 10
	s_sub_i32 s7, 0, s8
	v_readfirstlane_b32 s8, v1
	v_mul_f32_e32 v1, 0x4f7ffffe, v2
	v_cvt_u32_f32_e32 v1, v1
	s_mul_i32 s7, s7, s8
	s_mul_hi_u32 s7, s8, s7
	s_add_i32 s8, s8, s7
	s_mul_hi_u32 s4, s18, s8
	s_sub_i32 s7, 0, s16
	v_readfirstlane_b32 s8, v1
	s_mul_i32 s7, s7, s8
	s_mul_hi_u32 s7, s8, s7
	v_writelane_b32 v52, s4, 11
	s_add_i32 s8, s8, s7
	v_writelane_b32 v52, s16, 12
	s_mul_hi_u32 s4, s18, s8
	v_writelane_b32 v52, s4, 13
	v_cmp_eq_u32_e64 s[16:17], 0, v0
	s_mov_b64 s[10:11], exec
	v_writelane_b32 v52, s16, 14
	v_writelane_b32 v52, s17, 15
	s_and_b64 s[16:17], s[10:11], s[16:17]
	s_mov_b64 exec, s[16:17]
; %bb.2:
	v_mov_b32_e32 v1, 0
	v_mov_b32_e32 v2, s36
	;; [unrolled: 1-line block ×3, first 2 shown]
	ds_write_b96 v1, v[1:3] offset:4096
; %bb.3:
	s_or_b64 exec, exec, s[10:11]
	s_mul_i32 s7, s5, s15
	s_sub_i32 s7, s18, s7
	s_add_i32 s8, s5, 1
	s_sub_i32 s10, s7, s15
	s_cmp_ge_u32 s7, s15
	s_cselect_b32 s5, s8, s5
	s_cselect_b32 s7, s10, s7
	s_add_i32 s8, s5, 1
	s_cmp_ge_u32 s7, s15
	s_cselect_b32 s5, s8, s5
	s_mul_i32 s4, s5, s15
	s_sub_i32 s4, s18, s4
	s_mul_i32 s4, s4, s3
	s_mul_i32 s2, s5, s2
	s_add_i32 s48, s2, s4
	s_lshl_b64 s[2:3], s[48:49], 1
	s_add_u32 s33, s0, s2
	s_addc_u32 s48, s1, s3
	s_waitcnt lgkmcnt(0)
	s_barrier
	s_load_dword s0, s[12:13], 0xc
	s_bitcmp1_b32 s38, 0
	v_writelane_b32 v52, s18, 16
	s_cselect_b64 s[2:3], -1, 0
	v_writelane_b32 v52, s2, 17
	v_writelane_b32 v52, s3, 18
	s_xor_b64 s[2:3], s[2:3], -1
	v_mbcnt_lo_u32_b32 v1, -1, 0
	v_writelane_b32 v52, s2, 19
	v_mbcnt_hi_u32_b32 v24, -1, v1
	v_writelane_b32 v52, s3, 20
	s_waitcnt lgkmcnt(0)
	s_and_b32 s8, s0, 0xffff
	v_cmp_gt_u32_e32 vcc, 64, v0
	v_cmp_gt_i32_e64 s[2:3], 4, v24
	s_lshl_b32 s53, s8, 2
	s_bfe_u32 s4, s0, 0xa0006
	s_and_b64 s[2:3], vcc, s[2:3]
	v_writelane_b32 v52, s2, 21
	s_cmpk_gt_u32 s36, 0x600
	v_writelane_b32 v52, s3, 22
	s_cselect_b64 s[2:3], -1, 0
	v_mul_lo_u32 v7, s9, v0
	v_writelane_b32 v52, s2, 23
	v_writelane_b32 v52, s3, 24
	v_cmp_gt_u32_e64 s[2:3], s36, v0
	v_mov_b32_e32 v9, 0
	v_writelane_b32 v52, s2, 25
	s_cmp_gt_u32 s8, 63
	v_mov_b32_e32 v8, v9
	v_writelane_b32 v52, s3, 26
	s_cselect_b64 s[2:3], -1, 0
	v_lshlrev_b64 v[1:2], 1, v[7:8]
	v_writelane_b32 v52, s2, 27
	v_writelane_b32 v52, s3, 28
	v_cmp_gt_u32_e64 s[2:3], 2, v0
	v_mov_b32_e32 v3, s48
	v_add_co_u32_e32 v5, vcc, s33, v1
	v_writelane_b32 v52, s2, 29
	v_addc_co_u32_e32 v6, vcc, v3, v2, vcc
	v_writelane_b32 v52, s3, 30
	s_add_i32 s2, s8, -1
	v_lshlrev_b64 v[2:3], v24, -1
	v_writelane_b32 v52, s2, 31
	s_add_i32 s2, s2, s36
	v_not_b32_e32 v22, v2
	v_lshrrev_b32_e32 v2, 2, v0
	s_cmp_lt_u32 s6, s14
	v_and_b32_e32 v2, 0xf0, v2
	s_cselect_b32 s3, 12, 18
	v_or_b32_e32 v27, 0xc00, v2
	s_add_u32 s6, s12, s3
	v_add_u32_e32 v2, 2, v0
	s_addc_u32 s7, s13, 0
	v_max_u32_e32 v2, s36, v2
	v_writelane_b32 v52, s6, 32
	v_xad_u32 v2, v0, -1, v2
	v_not_b32_e32 v21, v3
	v_writelane_b32 v52, s7, 33
	v_add_u32_e32 v3, -2, v2
	v_cmp_lt_u32_e64 s[6:7], 31, v2
	v_lshrrev_b32_e32 v4, 1, v3
	v_writelane_b32 v52, s6, 34
	v_add_u32_e32 v4, 1, v4
	v_writelane_b32 v52, s7, 35
	v_cmp_lt_u32_e64 s[6:7], 13, v3
	v_and_b32_e32 v12, 7, v4
	v_writelane_b32 v52, s6, 36
	v_writelane_b32 v52, s7, 37
	v_cmp_ne_u32_e64 s[6:7], 0, v12
	v_and_b32_e32 v28, -2, v2
	v_writelane_b32 v52, s6, 38
	v_writelane_b32 v52, s7, 39
	v_cmp_ne_u32_e64 s[6:7], v2, v28
	v_cvt_f32_u32_e32 v2, s53
	s_add_i32 s3, s4, -1
	s_bfe_u32 s5, s8, 0x30006
	s_and_b32 s3, s3, 0xffff
	v_rcp_iflag_f32_e32 v2, v2
	v_writelane_b32 v52, s6, 40
	s_cmp_gt_u32 s3, 6
	v_writelane_b32 v52, s7, 41
	s_cselect_b64 s[6:7], -1, 0
	v_mul_f32_e32 v2, 0x4f7ffffe, v2
	v_writelane_b32 v52, s6, 42
	s_and_b32 s55, s4, 0x3f8
	v_cvt_u32_f32_e32 v2, v2
	v_writelane_b32 v52, s7, 43
	s_cmp_lg_u32 s5, 0
	v_writelane_b32 v52, s5, 44
	s_cselect_b64 s[4:5], -1, 0
	v_writelane_b32 v52, s4, 45
	v_writelane_b32 v52, s5, 46
	s_sub_i32 s3, 0, s53
	v_readfirstlane_b32 s4, v2
	s_mul_i32 s3, s3, s4
	s_mul_hi_u32 s3, s4, s3
	s_add_i32 s3, s4, s3
	v_writelane_b32 v52, s3, 47
	s_mul_hi_u32 s3, s36, s3
	s_mul_i32 s3, s3, s53
	v_cvt_f32_u32_e32 v2, s8
	s_sub_i32 s3, s36, s3
	s_sub_i32 s4, s3, s53
	s_cmp_ge_u32 s3, s53
	v_and_b32_e32 v30, -8, v4
	s_cselect_b32 s3, s4, s3
	v_rcp_iflag_f32_e32 v4, v2
	s_sub_i32 s4, s3, s53
	s_cmp_ge_u32 s3, s53
	s_cselect_b32 s3, s4, s3
	v_lshlrev_b32_e32 v23, 2, v0
	s_sub_i32 s21, s36, s3
	v_mul_f32_e32 v4, 0x4f7ffffe, v4
	v_cmp_gt_u32_e64 s[4:5], s21, v23
	v_cvt_u32_f32_e32 v4, v4
	v_add_u32_e32 v31, s21, v0
	v_writelane_b32 v52, s4, 48
	v_writelane_b32 v52, s5, 49
	v_cmp_gt_u32_e64 s[4:5], s36, v31
	v_writelane_b32 v52, s4, 50
	v_writelane_b32 v52, s5, 51
	s_sub_i32 s4, 0, s8
	v_readfirstlane_b32 s5, v4
	s_mul_i32 s4, s4, s5
	v_mul_lo_u32 v8, v31, s9
	s_mul_hi_u32 s4, s5, s4
	s_add_i32 s4, s5, s4
	v_writelane_b32 v52, s4, 52
	s_mul_hi_u32 s4, s2, s4
	s_mul_i32 s4, s4, s8
	v_lshlrev_b64 v[2:3], 1, v[8:9]
	s_sub_i32 s4, s2, s4
	s_sub_i32 s5, s4, s8
	v_add_co_u32_e32 v10, vcc, s33, v2
	s_cmp_ge_u32 s4, s8
	v_mul_lo_u32 v2, s9, v23
	s_cselect_b32 s4, s5, s4
	s_sub_i32 s5, s4, s8
	s_cmp_ge_u32 s4, s8
	s_cselect_b32 s4, s5, s4
	v_add_u32_e32 v33, s9, v2
	v_or_b32_e32 v2, 2, v23
	s_sub_i32 s22, s2, s4
	v_mul_lo_u32 v34, s9, v2
	v_or_b32_e32 v2, 3, v23
	s_add_i32 s2, s8, s36
	v_mul_lo_u32 v35, s9, v2
	v_add_u32_e32 v2, s2, v0
	v_subrev_u32_e32 v2, s3, v2
	v_mul_lo_u32 v36, s9, v2
	v_cmp_gt_u32_e64 s[4:5], s22, v0
	v_lshlrev_b32_e32 v25, 1, v0
	v_lshlrev_b32_e32 v1, 2, v24
	v_mov_b32_e32 v8, s48
	v_writelane_b32 v52, s4, 53
	s_mul_i32 s52, s9, s8
	v_cmp_eq_u32_e64 s[0:1], 0, v24
	v_add_u32_e32 v26, 0xc00, v25
	v_and_b32_e32 v20, 0x100, v1
	v_add_u32_e32 v29, v0, v28
	s_mov_b32 s54, s9
	v_addc_co_u32_e32 v11, vcc, v8, v3, vcc
	v_writelane_b32 v52, s5, 54
	v_lshlrev_b32_e32 v32, 2, v12
	s_lshl_b32 s23, s52, 2
	s_lshl_b32 s20, s8, 3
	;; [unrolled: 1-line block ×3, first 2 shown]
	v_or_b32_e32 v38, 0xc00, v1
	s_mov_b32 s5, 14
	s_mov_b64 s[62:63], 0
	s_movk_i32 s4, 0x3c00
	v_lshlrev_b32_e32 v39, 2, v7
	v_lshlrev_b32_e32 v40, 3, v0
	v_mov_b32_e32 v47, s37
	v_mov_b32_e32 v41, 0xffff
	;; [unrolled: 1-line block ×3, first 2 shown]
	v_mov_b32_e32 v43, -1
	v_mov_b32_e32 v44, 0x5040100
	v_mov_b32_e32 v46, 0
	;; [unrolled: 1-line block ×4, first 2 shown]
                                        ; implicit-def: $sgpr64_sgpr65
                                        ; implicit-def: $sgpr66_sgpr67
                                        ; implicit-def: $sgpr70_sgpr71
                                        ; implicit-def: $sgpr72_sgpr73
                                        ; implicit-def: $sgpr68_sgpr69
                                        ; implicit-def: $sgpr74_sgpr75
                                        ; implicit-def: $sgpr76_sgpr77
                                        ; implicit-def: $sgpr78_sgpr79
                                        ; implicit-def: $sgpr80_sgpr81
                                        ; implicit-def: $sgpr82_sgpr83
	s_branch .LBB98_6
.LBB98_4:                               ;   in Loop: Header=BB98_6 Depth=1
	s_or_b64 exec, exec, s[14:15]
	s_andn2_b64 s[14:15], s[82:83], exec
	s_and_b64 s[12:13], s[12:13], exec
	s_or_b64 s[82:83], s[14:15], s[12:13]
	s_andn2_b64 s[80:81], s[80:81], exec
	s_andn2_b64 s[78:79], s[78:79], exec
	;; [unrolled: 1-line block ×4, first 2 shown]
	s_orn2_b64 s[6:7], s[6:7], exec
	v_mov_b32_e32 v47, v4
.LBB98_5:                               ;   in Loop: Header=BB98_6 Depth=1
	s_or_b64 exec, exec, s[2:3]
	s_and_b64 s[2:3], exec, s[6:7]
	s_or_b64 s[62:63], s[2:3], s[62:63]
	s_andn2_b64 s[2:3], s[68:69], exec
	s_and_b64 s[6:7], s[82:83], exec
	s_or_b64 s[68:69], s[2:3], s[6:7]
	s_andn2_b64 s[2:3], s[72:73], exec
	s_and_b64 s[6:7], s[80:81], exec
	;; [unrolled: 3-line block ×5, first 2 shown]
	s_or_b64 s[64:65], s[2:3], s[6:7]
	s_andn2_b64 exec, exec, s[62:63]
	s_cbranch_execz .LBB98_423
.LBB98_6:                               ; =>This Loop Header: Depth=1
                                        ;     Child Loop BB98_11 Depth 2
                                        ;     Child Loop BB98_32 Depth 2
	;; [unrolled: 1-line block ×26, first 2 shown]
	ds_read_b64 v[1:2], v9 offset:4096
	s_waitcnt lgkmcnt(0)
	v_readfirstlane_b32 s11, v1
	s_cmp_lg_u32 s11, 0
	s_cbranch_scc1 .LBB98_51
; %bb.7:                                ;   in Loop: Header=BB98_6 Depth=1
	v_readlane_b32 s2, v52, 23
	v_readlane_b32 s3, v52, 24
	s_and_b64 vcc, exec, s[2:3]
	s_cbranch_vccz .LBB98_19
; %bb.8:                                ;   in Loop: Header=BB98_6 Depth=1
	s_movk_i32 s6, 0x601
	v_cmp_gt_u32_e32 vcc, s6, v2
	s_mov_b64 s[2:3], 0
	s_mov_b64 s[6:7], 0
	s_cbranch_vccz .LBB98_20
; %bb.9:                                ;   in Loop: Header=BB98_6 Depth=1
	v_readlane_b32 s6, v52, 32
	v_readlane_b32 s7, v52, 33
	s_nop 4
	global_load_ushort v1, v9, s[6:7]
	global_load_ushort v4, v[5:6], off
	s_mov_b64 s[12:13], 0
	v_mov_b32_e32 v3, v0
	s_waitcnt vmcnt(1)
	v_add_u32_e32 v2, v0, v1
	v_mul_lo_u32 v8, s9, v2
	v_mul_lo_u32 v2, s9, v1
	s_branch .LBB98_11
.LBB98_10:                              ;   in Loop: Header=BB98_11 Depth=2
	s_or_b64 exec, exec, s[6:7]
	v_add_u32_e32 v8, v8, v2
	v_mov_b32_e32 v4, v12
	s_andn2_b64 exec, exec, s[12:13]
	s_cbranch_execz .LBB98_26
.LBB98_11:                              ;   Parent Loop BB98_6 Depth=1
                                        ; =>  This Inner Loop Header: Depth=2
	v_add_u32_e32 v3, v3, v1
	v_cmp_gt_u32_e64 s[6:7], s36, v3
	v_cmp_le_u32_e32 vcc, s36, v3
	s_waitcnt lgkmcnt(0)
	v_mov_b32_e32 v13, 0
	v_mov_b32_e32 v12, 0
	s_and_saveexec_b64 s[14:15], s[6:7]
	s_cbranch_execz .LBB98_13
; %bb.12:                               ;   in Loop: Header=BB98_11 Depth=2
	v_lshlrev_b64 v[14:15], 1, v[8:9]
	v_mov_b32_e32 v12, s48
	v_add_co_u32_e64 v14, s[6:7], s33, v14
	v_addc_co_u32_e64 v15, s[6:7], v12, v15, s[6:7]
	global_load_ushort v12, v[14:15], off
.LBB98_13:                              ;   in Loop: Header=BB98_11 Depth=2
	s_or_b64 exec, exec, s[14:15]
	s_waitcnt vmcnt(0)
	v_cmp_lt_i16_e64 s[6:7], -1, v4
	v_cndmask_b32_e64 v14, v41, v42, s[6:7]
	v_xor_b32_sdwa v14, v14, v4 dst_sel:DWORD dst_unused:UNUSED_PAD src0_sel:DWORD src1_sel:WORD_0
	v_cmp_o_f16_e64 s[6:7], v4, v4
	v_cndmask_b32_e64 v14, v41, v14, s[6:7]
	v_and_b32_e32 v14, v14, v45
	v_cmp_eq_u32_e64 s[26:27], v14, v37
	s_cmp_lg_u64 s[26:27], 0
	s_cselect_b64 s[6:7], -1, 0
	s_and_b64 s[6:7], s[0:1], s[6:7]
	s_and_saveexec_b64 s[14:15], s[6:7]
	s_cbranch_execz .LBB98_17
; %bb.14:                               ;   in Loop: Header=BB98_11 Depth=2
	s_mov_b64 s[18:19], exec
	v_mbcnt_lo_u32_b32 v13, s18, 0
	v_mbcnt_hi_u32_b32 v13, s19, v13
	s_bcnt1_i32_b64 s11, s[26:27]
	v_cmp_eq_u32_e64 s[6:7], 0, v13
                                        ; implicit-def: $vgpr14
	s_and_saveexec_b64 s[16:17], s[6:7]
; %bb.15:                               ;   in Loop: Header=BB98_11 Depth=2
	s_bcnt1_i32_b64 s6, s[18:19]
	s_mul_i32 s6, s11, s6
	v_mov_b32_e32 v14, s6
	ds_add_rtn_u32 v14, v9, v14 offset:4104
; %bb.16:                               ;   in Loop: Header=BB98_11 Depth=2
	s_or_b64 exec, exec, s[16:17]
	s_waitcnt lgkmcnt(0)
	v_readfirstlane_b32 s6, v14
	v_mov_b32_e32 v14, s6
	v_mad_u32_u24 v13, s11, v13, v14
.LBB98_17:                              ;   in Loop: Header=BB98_11 Depth=2
	s_or_b64 exec, exec, s[14:15]
	ds_bpermute_b32 v13, v20, v13
	s_and_b64 s[6:7], exec, vcc
	s_or_b64 s[12:13], s[6:7], s[12:13]
	s_and_saveexec_b64 s[6:7], s[26:27]
	s_cbranch_execz .LBB98_10
; %bb.18:                               ;   in Loop: Header=BB98_11 Depth=2
	v_and_b32_e32 v15, s26, v22
	v_and_b32_e32 v14, s27, v21
	v_bcnt_u32_b32 v15, v15, 0
	v_bcnt_u32_b32 v14, v14, v15
	v_lshlrev_b32_e32 v14, 1, v14
	s_waitcnt lgkmcnt(0)
	v_lshl_add_u32 v13, v13, 1, v14
	ds_write_b16 v13, v4
	s_branch .LBB98_10
.LBB98_19:                              ;   in Loop: Header=BB98_6 Depth=1
	s_mov_b64 s[2:3], -1
	s_mov_b64 s[6:7], 0
.LBB98_20:                              ;   in Loop: Header=BB98_6 Depth=1
	s_and_b64 vcc, exec, s[2:3]
	s_cbranch_vccz .LBB98_49
.LBB98_21:                              ;   in Loop: Header=BB98_6 Depth=1
	s_mov_b64 s[26:27], exec
	v_readlane_b32 s2, v52, 25
	v_readlane_b32 s3, v52, 26
	s_and_b64 s[2:3], s[26:27], s[2:3]
	s_mov_b64 exec, s[2:3]
	s_cbranch_execz .LBB98_46
; %bb.22:                               ;   in Loop: Header=BB98_6 Depth=1
	v_readlane_b32 s2, v52, 32
	v_readlane_b32 s3, v52, 33
	s_nop 4
	global_load_ushort v1, v9, s[2:3]
	global_load_ushort v16, v[5:6], off
	s_waitcnt vmcnt(1)
	v_add_u32_e32 v12, v0, v1
	v_readfirstlane_b32 s11, v1
	v_cmp_gt_u32_e32 vcc, s36, v12
	v_mov_b32_e32 v1, v0
	s_and_saveexec_b64 s[30:31], vcc
	s_cbranch_execz .LBB98_45
; %bb.23:                               ;   in Loop: Header=BB98_6 Depth=1
	s_mov_b64 s[6:7], 0
	s_mul_i32 s14, s9, s11
                                        ; implicit-def: $vgpr1
                                        ; implicit-def: $vgpr3
                                        ; implicit-def: $vgpr2
	s_mov_b64 s[2:3], exec
	v_readlane_b32 s12, v52, 34
	v_readlane_b32 s13, v52, 35
	s_and_b64 s[12:13], s[2:3], s[12:13]
	s_xor_b64 s[34:35], s[12:13], s[2:3]
	s_mov_b64 exec, s[12:13]
	s_cbranch_execnz .LBB98_29
; %bb.24:                               ;   in Loop: Header=BB98_6 Depth=1
	s_andn2_saveexec_b64 s[2:3], s[34:35]
	s_cbranch_execnz .LBB98_40
.LBB98_25:                              ;   in Loop: Header=BB98_6 Depth=1
	s_or_b64 exec, exec, s[2:3]
	s_and_saveexec_b64 s[2:3], s[6:7]
	s_cbranch_execnz .LBB98_41
	s_branch .LBB98_44
.LBB98_26:                              ;   in Loop: Header=BB98_6 Depth=1
	s_or_b64 exec, exec, s[12:13]
	s_waitcnt lgkmcnt(0)
	s_barrier
	s_mov_b64 s[6:7], exec
	v_readlane_b32 s12, v52, 14
	v_readlane_b32 s13, v52, 15
	s_and_b64 s[12:13], s[6:7], s[12:13]
	s_mov_b64 exec, s[12:13]
	s_cbranch_execz .LBB98_28
; %bb.27:                               ;   in Loop: Header=BB98_6 Depth=1
	ds_read_b32 v1, v9 offset:4104
	s_waitcnt lgkmcnt(0)
	ds_write_b32 v9, v1 offset:4096
.LBB98_28:                              ;   in Loop: Header=BB98_6 Depth=1
	s_or_b64 exec, exec, s[6:7]
	s_waitcnt lgkmcnt(0)
	s_barrier
	s_mov_b64 s[6:7], -1
	s_and_b64 vcc, exec, s[2:3]
	s_cbranch_vccnz .LBB98_21
	s_branch .LBB98_49
.LBB98_29:                              ;   in Loop: Header=BB98_6 Depth=1
	v_cvt_f32_u32_e32 v1, s11
	s_sub_i32 s3, 0, s11
	v_add_u32_e32 v2, s11, v12
	v_max_u32_e32 v2, s36, v2
	v_rcp_iflag_f32_e32 v1, v1
	s_lshl_b32 s2, s11, 1
	v_sub_u32_e32 v2, v2, v0
	v_cmp_ne_u32_e32 vcc, s2, v2
	v_mul_f32_e32 v1, 0x4f7ffffe, v1
	v_cvt_u32_f32_e32 v1, v1
	v_cndmask_b32_e64 v8, 0, 1, vcc
	v_or_b32_e32 v8, s2, v8
	v_sub_u32_e32 v2, v2, v8
	v_mul_lo_u32 v3, s3, v1
	s_not_b32 s6, s14
	s_ashr_i32 s15, s6, 31
	s_abs_i32 s12, s14
	v_mul_hi_u32 v3, v1, v3
	v_mul_lo_u32 v4, s9, v12
	s_cmp_eq_u32 s11, 1
	s_mov_b64 s[2:3], -1
	v_add_u32_e32 v1, v1, v3
	v_mul_hi_u32 v3, v2, v1
	v_xor_b32_e32 v4, s15, v4
                                        ; implicit-def: $vgpr1
	v_mul_lo_u32 v8, v3, s11
	v_add_u32_e32 v13, 1, v3
	v_sub_u32_e32 v2, v2, v8
	v_subrev_u32_e32 v8, s11, v2
	v_cmp_le_u32_e64 s[6:7], s11, v2
	v_cndmask_b32_e64 v3, v3, v13, s[6:7]
	v_cndmask_b32_e64 v2, v2, v8, s[6:7]
	v_add_u32_e32 v8, 1, v3
	v_cmp_le_u32_e64 s[6:7], s11, v2
	v_cndmask_b32_e64 v2, v3, v8, s[6:7]
	v_addc_co_u32_e32 v2, vcc, 0, v2, vcc
	v_mul_hi_u32 v3, s12, v2
	v_mul_lo_u32 v2, s12, v2
	s_cselect_b64 s[12:13], -1, 0
	v_cmp_eq_u32_e32 vcc, 0, v3
	v_cmp_le_u32_e64 s[6:7], v2, v4
	s_and_b64 s[12:13], vcc, s[12:13]
	s_and_b64 s[12:13], s[12:13], s[6:7]
	v_mov_b32_e32 v3, v0
	s_and_saveexec_b64 s[6:7], s[12:13]
	s_cbranch_execz .LBB98_39
; %bb.30:                               ;   in Loop: Header=BB98_6 Depth=1
	v_add_u32_e32 v13, 1, v12
	v_mov_b32_e32 v15, v13
	s_waitcnt vmcnt(0)
	v_lshlrev_b32_e32 v17, 16, v16
	v_mov_b32_e32 v1, 0
	v_mov_b32_e32 v14, v12
                                        ; implicit-def: $vgpr16
	s_mov_b64 s[40:41], exec
	v_readlane_b32 s2, v52, 36
	v_readlane_b32 s3, v52, 37
	s_and_b64 s[2:3], s[40:41], s[2:3]
	s_mov_b64 exec, s[2:3]
	s_cbranch_execz .LBB98_34
; %bb.31:                               ;   in Loop: Header=BB98_6 Depth=1
	v_mov_b32_e32 v15, v13
	s_mov_b32 s2, 0
	s_mov_b64 s[84:85], 0
	v_mov_b32_e32 v48, v30
	v_mov_b32_e32 v49, v25
	;; [unrolled: 1-line block ×3, first 2 shown]
	s_mov_b32 s3, 0x5040100
.LBB98_32:                              ;   Parent Loop BB98_6 Depth=1
                                        ; =>  This Inner Loop Header: Depth=2
	v_mul_lo_u32 v8, v14, s9
	v_mul_lo_u32 v1, v15, s54
	v_mov_b32_e32 v13, s48
	v_add_u32_e32 v48, -8, v48
	v_lshlrev_b64 v[2:3], 1, v[8:9]
	s_add_i32 s2, s2, 16
	v_add_co_u32_e32 v18, vcc, s33, v2
	v_mov_b32_e32 v2, v9
	v_lshlrev_b64 v[1:2], 1, v[1:2]
	v_addc_co_u32_e32 v19, vcc, v13, v3, vcc
	v_add_co_u32_e32 v1, vcc, s33, v1
	v_addc_co_u32_e32 v2, vcc, v13, v2, vcc
	global_load_ushort v3, v[18:19], off
	s_nop 0
	global_load_ushort v18, v[1:2], off
	v_add_u32_e32 v2, 2, v15
	v_mul_lo_u32 v2, v2, s54
	s_waitcnt vmcnt(1)
	v_alignbit_b32 v1, v3, v17, 16
	v_add_u32_e32 v3, 2, v14
	v_mul_lo_u32 v8, v3, s9
	v_lshlrev_b64 v[3:4], 1, v[8:9]
	v_add_co_u32_e32 v16, vcc, s33, v3
	v_mov_b32_e32 v3, v9
	v_lshlrev_b64 v[2:3], 1, v[2:3]
	v_addc_co_u32_e32 v17, vcc, v13, v4, vcc
	v_add_co_u32_e32 v2, vcc, s33, v2
	v_addc_co_u32_e32 v3, vcc, v13, v3, vcc
	global_load_ushort v4, v[16:17], off
	global_load_ushort v19, v[2:3], off
	v_add_u32_e32 v3, 4, v15
	v_mul_lo_u32 v3, v3, s54
	s_waitcnt vmcnt(1)
	v_perm_b32 v2, v4, v18, s3
	v_add_u32_e32 v4, 4, v14
	v_mul_lo_u32 v8, v4, s9
	v_mov_b32_e32 v4, v9
	v_lshlrev_b64 v[3:4], 1, v[3:4]
	v_lshlrev_b64 v[16:17], 1, v[8:9]
	v_add_co_u32_e32 v16, vcc, s33, v16
	v_addc_co_u32_e32 v17, vcc, v13, v17, vcc
	v_add_co_u32_e32 v3, vcc, s33, v3
	v_addc_co_u32_e32 v4, vcc, v13, v4, vcc
	global_load_ushort v8, v[16:17], off
	s_nop 0
	global_load_ushort v4, v[3:4], off
	v_add_u32_e32 v16, 6, v15
	v_mul_lo_u32 v16, v16, s54
	s_waitcnt vmcnt(1)
	v_perm_b32 v3, v8, v19, s3
	v_add_u32_e32 v8, 6, v14
	v_mul_lo_u32 v8, v8, s9
	v_lshlrev_b64 v[17:18], 1, v[8:9]
	v_add_co_u32_e32 v50, vcc, s33, v17
	v_mov_b32_e32 v17, v9
	v_lshlrev_b64 v[16:17], 1, v[16:17]
	v_addc_co_u32_e32 v51, vcc, v13, v18, vcc
	v_add_co_u32_e32 v16, vcc, s33, v16
	v_addc_co_u32_e32 v17, vcc, v13, v17, vcc
	global_load_ushort v8, v[50:51], off
	global_load_ushort v18, v[16:17], off
	s_waitcnt vmcnt(1)
	v_perm_b32 v4, v8, v4, s3
	ds_write_b128 v49, v[1:4]
	v_add_u32_e32 v2, 8, v14
	v_mul_lo_u32 v8, v2, s9
	v_add_u32_e32 v1, 8, v15
	v_mul_lo_u32 v1, v1, s54
	v_lshlrev_b64 v[2:3], 1, v[8:9]
	v_add_co_u32_e32 v16, vcc, s33, v2
	v_mov_b32_e32 v2, v9
	v_lshlrev_b64 v[1:2], 1, v[1:2]
	v_addc_co_u32_e32 v17, vcc, v13, v3, vcc
	v_add_co_u32_e32 v1, vcc, s33, v1
	v_addc_co_u32_e32 v2, vcc, v13, v2, vcc
	global_load_ushort v3, v[16:17], off
	global_load_ushort v19, v[1:2], off
	v_add_u32_e32 v2, 10, v15
	v_mul_lo_u32 v2, v2, s54
	s_waitcnt vmcnt(1)
	v_perm_b32 v1, v3, v18, s3
	v_add_u32_e32 v3, 10, v14
	v_mul_lo_u32 v8, v3, s9
	v_lshlrev_b64 v[3:4], 1, v[8:9]
	v_add_co_u32_e32 v16, vcc, s33, v3
	v_mov_b32_e32 v3, v9
	v_lshlrev_b64 v[2:3], 1, v[2:3]
	v_addc_co_u32_e32 v17, vcc, v13, v4, vcc
	v_add_co_u32_e32 v2, vcc, s33, v2
	v_addc_co_u32_e32 v3, vcc, v13, v3, vcc
	global_load_ushort v4, v[16:17], off
	global_load_ushort v18, v[2:3], off
	v_add_u32_e32 v3, 12, v15
	v_mul_lo_u32 v3, v3, s54
	s_waitcnt vmcnt(1)
	v_perm_b32 v2, v4, v19, s3
	v_add_u32_e32 v4, 12, v14
	v_mul_lo_u32 v8, v4, s9
	v_mov_b32_e32 v4, v9
	v_lshlrev_b64 v[3:4], 1, v[3:4]
	v_mov_b32_e32 v19, v9
	v_lshlrev_b64 v[16:17], 1, v[8:9]
	v_add_co_u32_e32 v16, vcc, s33, v16
	v_addc_co_u32_e32 v17, vcc, v13, v17, vcc
	v_add_co_u32_e32 v3, vcc, s33, v3
	v_addc_co_u32_e32 v4, vcc, v13, v4, vcc
	global_load_ushort v8, v[16:17], off
	s_nop 0
	global_load_ushort v4, v[3:4], off
	v_add_u32_e32 v16, 14, v15
	v_add_u32_e32 v15, 16, v15
	s_waitcnt vmcnt(1)
	v_perm_b32 v3, v8, v18, s3
	v_add_u32_e32 v8, 14, v14
	v_mul_lo_u32 v8, v8, s9
	v_mul_lo_u32 v18, v16, s54
	v_add_u32_e32 v14, 16, v14
	v_lshlrev_b64 v[16:17], 1, v[8:9]
	v_lshlrev_b64 v[18:19], 1, v[18:19]
	v_add_co_u32_e32 v16, vcc, s33, v16
	v_addc_co_u32_e32 v17, vcc, v13, v17, vcc
	v_add_co_u32_e32 v18, vcc, s33, v18
	v_addc_co_u32_e32 v19, vcc, v13, v19, vcc
	global_load_ushort v8, v[16:17], off
	s_nop 0
	global_load_ushort v16, v[18:19], off
	v_cmp_eq_u32_e32 vcc, 0, v48
	s_or_b64 s[84:85], vcc, s[84:85]
	s_waitcnt vmcnt(1)
	v_perm_b32 v4, v8, v4, s3
	s_waitcnt vmcnt(0)
	v_perm_b32 v17, v16, v8, s3
	ds_write_b128 v49, v[1:4] offset:16
	v_add_u32_e32 v49, 32, v49
	v_mov_b32_e32 v1, s2
	s_andn2_b64 exec, exec, s[84:85]
	s_cbranch_execnz .LBB98_32
; %bb.33:                               ;   in Loop: Header=BB98_6 Depth=1
	s_or_b64 exec, exec, s[84:85]
.LBB98_34:                              ;   in Loop: Header=BB98_6 Depth=1
	s_or_b64 exec, exec, s[40:41]
	s_mov_b64 s[2:3], exec
	v_readlane_b32 s12, v52, 38
	v_readlane_b32 s13, v52, 39
	s_and_b64 s[12:13], s[2:3], s[12:13]
	s_mov_b64 exec, s[12:13]
	s_cbranch_execz .LBB98_38
; %bb.35:                               ;   in Loop: Header=BB98_6 Depth=1
	v_lshl_add_u32 v1, v1, 1, v25
	s_mov_b64 s[12:13], 0
	v_mov_b32_e32 v2, v32
	s_mov_b32 s15, 0x5040100
.LBB98_36:                              ;   Parent Loop BB98_6 Depth=1
                                        ; =>  This Inner Loop Header: Depth=2
	v_mul_lo_u32 v8, v14, s9
	v_mul_lo_u32 v3, v15, s54
	v_mov_b32_e32 v4, v9
	v_mov_b32_e32 v13, s48
	v_lshlrev_b64 v[18:19], 1, v[8:9]
	v_lshlrev_b64 v[3:4], 1, v[3:4]
	v_add_co_u32_e32 v18, vcc, s33, v18
	v_addc_co_u32_e32 v19, vcc, v13, v19, vcc
	v_add_co_u32_e32 v3, vcc, s33, v3
	v_addc_co_u32_e32 v4, vcc, v13, v4, vcc
	global_load_ushort v8, v[18:19], off
	global_load_ushort v16, v[3:4], off
	v_add_u32_e32 v2, -4, v2
	v_cmp_eq_u32_e32 vcc, 0, v2
	v_add_u32_e32 v15, 2, v15
	v_add_u32_e32 v14, 2, v14
	s_or_b64 s[12:13], vcc, s[12:13]
	s_waitcnt vmcnt(1)
	v_alignbit_b32 v4, v8, v17, 16
	s_waitcnt vmcnt(0)
	v_perm_b32 v3, v16, v8, s15
	ds_write_b32 v1, v4
	v_add_u32_e32 v1, 4, v1
	v_mov_b32_e32 v17, v3
	s_andn2_b64 exec, exec, s[12:13]
	s_cbranch_execnz .LBB98_36
; %bb.37:                               ;   in Loop: Header=BB98_6 Depth=1
	s_or_b64 exec, exec, s[12:13]
.LBB98_38:                              ;   in Loop: Header=BB98_6 Depth=1
	s_or_b64 exec, exec, s[2:3]
	v_readlane_b32 s2, v52, 40
	v_add_u32_e32 v12, v12, v28
	v_readlane_b32 s3, v52, 41
	v_add_u32_e32 v1, -1, v12
	s_orn2_b64 s[2:3], s[2:3], exec
	v_mov_b32_e32 v3, v29
.LBB98_39:                              ;   in Loop: Header=BB98_6 Depth=1
	s_or_b64 exec, exec, s[6:7]
	v_mov_b32_e32 v2, s14
	s_and_b64 s[6:7], s[2:3], exec
	s_andn2_saveexec_b64 s[2:3], s[34:35]
	s_cbranch_execz .LBB98_25
.LBB98_40:                              ;   in Loop: Header=BB98_6 Depth=1
	v_mov_b32_e32 v2, s14
	s_or_b64 s[6:7], s[6:7], exec
	v_mov_b32_e32 v3, v0
	s_or_b64 exec, exec, s[2:3]
	s_and_saveexec_b64 s[2:3], s[6:7]
	s_cbranch_execz .LBB98_44
.LBB98_41:                              ;   in Loop: Header=BB98_6 Depth=1
	v_mul_lo_u32 v8, s9, v12
	s_sub_i32 s12, 0, s11
	s_mov_b64 s[6:7], 0
.LBB98_42:                              ;   Parent Loop BB98_6 Depth=1
                                        ; =>  This Inner Loop Header: Depth=2
	v_mov_b32_e32 v4, v12
	v_lshlrev_b64 v[12:13], 1, v[8:9]
	v_mov_b32_e32 v14, s48
	v_add_co_u32_e32 v12, vcc, s33, v12
	v_addc_co_u32_e32 v13, vcc, v14, v13, vcc
	s_waitcnt vmcnt(0)
	v_mov_b32_e32 v1, v16
	global_load_ushort v16, v[12:13], off
	v_add_u32_e32 v12, s11, v4
	v_lshlrev_b32_e32 v3, 1, v3
	v_cmp_le_u32_e32 vcc, s36, v12
	ds_write_b16 v3, v1
	v_add_u32_e32 v8, v8, v2
	s_or_b64 s[6:7], vcc, s[6:7]
	v_mov_b32_e32 v3, v4
	s_andn2_b64 exec, exec, s[6:7]
	s_cbranch_execnz .LBB98_42
; %bb.43:                               ;   in Loop: Header=BB98_6 Depth=1
	s_or_b64 exec, exec, s[6:7]
	v_add_u32_e32 v1, s12, v12
.LBB98_44:                              ;   in Loop: Header=BB98_6 Depth=1
	s_or_b64 exec, exec, s[2:3]
.LBB98_45:                              ;   in Loop: Header=BB98_6 Depth=1
	s_or_b64 exec, exec, s[30:31]
	v_lshlrev_b32_e32 v1, 1, v1
	s_waitcnt vmcnt(0)
	ds_write_b16 v1, v16
.LBB98_46:                              ;   in Loop: Header=BB98_6 Depth=1
	s_or_b64 exec, exec, s[26:27]
	s_waitcnt lgkmcnt(0)
	s_barrier
	s_mov_b64 s[2:3], exec
	v_readlane_b32 s6, v52, 14
	v_readlane_b32 s7, v52, 15
	s_and_b64 s[6:7], s[2:3], s[6:7]
	s_mov_b64 exec, s[6:7]
; %bb.47:                               ;   in Loop: Header=BB98_6 Depth=1
	v_mov_b32_e32 v1, s36
	ds_write_b32 v9, v1 offset:4096
; %bb.48:                               ;   in Loop: Header=BB98_6 Depth=1
	s_or_b64 exec, exec, s[2:3]
	s_mov_b64 s[6:7], -1
	s_waitcnt lgkmcnt(0)
	s_barrier
.LBB98_49:                              ;   in Loop: Header=BB98_6 Depth=1
	s_mov_b32 s11, 0
	s_and_b64 vcc, exec, s[6:7]
	s_cbranch_vccz .LBB98_51
; %bb.50:                               ;   in Loop: Header=BB98_6 Depth=1
	ds_read_b32 v1, v9 offset:4096
	s_waitcnt lgkmcnt(0)
	v_readfirstlane_b32 s11, v1
.LBB98_51:                              ;   in Loop: Header=BB98_6 Depth=1
	s_cmp_lt_i32 s11, 1
	s_mov_b64 s[2:3], -1
                                        ; implicit-def: $vgpr1
	s_cbranch_scc1 .LBB98_61
; %bb.52:                               ;   in Loop: Header=BB98_6 Depth=1
	s_and_b64 vcc, exec, s[2:3]
	s_cbranch_vccnz .LBB98_72
.LBB98_53:                              ;   in Loop: Header=BB98_6 Depth=1
	s_lshl_b32 s6, s49, 6
	s_and_saveexec_b64 s[2:3], s[0:1]
.LBB98_54:                              ;   in Loop: Header=BB98_6 Depth=1
	v_lshl_add_u32 v8, s6, 2, v27
	ds_write_b128 v8, v[1:4]
.LBB98_55:                              ;   in Loop: Header=BB98_6 Depth=1
	s_or_b64 exec, exec, s[2:3]
	s_waitcnt lgkmcnt(0)
	s_barrier
	s_mov_b64 s[2:3], exec
	v_readlane_b32 s12, v52, 21
	v_readlane_b32 s13, v52, 22
	s_and_b64 s[12:13], s[2:3], s[12:13]
	s_mov_b64 exec, s[12:13]
	s_cbranch_execz .LBB98_86
; %bb.56:                               ;   in Loop: Header=BB98_6 Depth=1
	v_readlane_b32 s12, v52, 27
	v_readlane_b32 s13, v52, 28
	s_andn2_b64 vcc, exec, s[12:13]
	v_mov_b32_e32 v1, 0
	s_cbranch_vccnz .LBB98_85
; %bb.57:                               ;   in Loop: Header=BB98_6 Depth=1
	v_readlane_b32 s12, v52, 42
	v_readlane_b32 s13, v52, 43
	s_andn2_b64 vcc, exec, s[12:13]
	s_cbranch_vccnz .LBB98_81
; %bb.58:                               ;   in Loop: Header=BB98_6 Depth=1
	v_lshl_add_u32 v2, s49, 8, v38
	s_mov_b32 s7, 0
	v_mov_b32_e32 v1, 0
.LBB98_59:                              ;   Parent Loop BB98_6 Depth=1
                                        ; =>  This Inner Loop Header: Depth=2
	ds_read2_b32 v[3:4], v2 offset1:4
	ds_read2_b32 v[12:13], v2 offset0:8 offset1:12
	s_add_i32 s7, s7, 8
	s_cmp_eq_u32 s55, s7
	s_waitcnt lgkmcnt(1)
	v_add3_u32 v1, v3, v1, v4
	ds_read2_b32 v[3:4], v2 offset0:16 offset1:20
	s_waitcnt lgkmcnt(1)
	v_add3_u32 v1, v12, v1, v13
	s_waitcnt lgkmcnt(0)
	v_add3_u32 v1, v3, v1, v4
	ds_read2_b32 v[3:4], v2 offset0:24 offset1:28
	v_add_u32_e32 v2, 0x80, v2
	s_waitcnt lgkmcnt(0)
	v_add3_u32 v1, v3, v1, v4
	s_cbranch_scc0 .LBB98_59
; %bb.60:                               ;   in Loop: Header=BB98_6 Depth=1
	s_mov_b32 s7, s55
	s_branch .LBB98_82
.LBB98_61:                              ;   in Loop: Header=BB98_6 Depth=1
	v_mov_b32_e32 v1, 0
	v_mov_b32_e32 v2, 0
	;; [unrolled: 1-line block ×4, first 2 shown]
	s_mov_b64 s[84:85], exec
	v_readlane_b32 s2, v52, 48
	v_readlane_b32 s3, v52, 49
	s_and_b64 s[2:3], s[84:85], s[2:3]
	s_mov_b64 exec, s[2:3]
	s_cbranch_execz .LBB98_65
; %bb.62:                               ;   in Loop: Header=BB98_6 Depth=1
	s_mov_b32 s2, 0
	s_mov_b64 s[86:87], 0
	s_mov_b32 s3, 0
	s_mov_b32 s12, 0
	;; [unrolled: 1-line block ×4, first 2 shown]
	v_mov_b32_e32 v12, v23
.LBB98_63:                              ;   Parent Loop BB98_6 Depth=1
                                        ; =>  This Inner Loop Header: Depth=2
	v_add_u32_e32 v8, s2, v39
	v_lshlrev_b64 v[1:2], 1, v[8:9]
	v_mov_b32_e32 v3, s48
	v_add_co_u32_e32 v1, vcc, s33, v1
	v_addc_co_u32_e32 v2, vcc, v3, v2, vcc
	v_add_u32_e32 v8, s2, v33
	global_load_ushort v4, v[1:2], off
	v_lshlrev_b64 v[1:2], 1, v[8:9]
	v_add_u32_e32 v8, s2, v34
	v_add_co_u32_e32 v1, vcc, s33, v1
	v_addc_co_u32_e32 v2, vcc, v3, v2, vcc
	global_load_ushort v13, v[1:2], off
	v_lshlrev_b64 v[1:2], 1, v[8:9]
	v_add_u32_e32 v8, s2, v35
	v_add_co_u32_e32 v1, vcc, s33, v1
	v_addc_co_u32_e32 v2, vcc, v3, v2, vcc
	;; [unrolled: 5-line block ×3, first 2 shown]
	global_load_ushort v1, v[1:2], off
	s_add_i32 s2, s2, s23
	s_waitcnt vmcnt(3)
	v_cmp_lt_i16_e32 vcc, -1, v4
	v_cndmask_b32_e32 v2, v41, v42, vcc
	v_cmp_o_f16_e32 vcc, v4, v4
	v_xor_b32_sdwa v2, v2, v4 dst_sel:DWORD dst_unused:UNUSED_PAD src0_sel:DWORD src1_sel:WORD_0
	v_cndmask_b32_e32 v2, v41, v2, vcc
	s_waitcnt vmcnt(2)
	v_cmp_lt_i16_e32 vcc, -1, v13
	v_cndmask_b32_e32 v3, v41, v42, vcc
	v_cmp_o_f16_e32 vcc, v13, v13
	v_xor_b32_sdwa v3, v3, v13 dst_sel:DWORD dst_unused:UNUSED_PAD src0_sel:DWORD src1_sel:WORD_0
	v_cndmask_b32_e32 v3, v41, v3, vcc
	;; [unrolled: 6-line block ×3, first 2 shown]
	s_waitcnt vmcnt(0)
	v_cmp_lt_i16_e32 vcc, -1, v1
	v_cndmask_b32_e32 v8, v41, v42, vcc
	v_cmp_o_f16_e32 vcc, v1, v1
	v_xor_b32_sdwa v1, v8, v1 dst_sel:DWORD dst_unused:UNUSED_PAD src0_sel:DWORD src1_sel:WORD_0
	v_and_b32_e32 v8, v2, v45
	v_bfe_u32 v2, v2, s5, 2
	v_cndmask_b32_e32 v1, v41, v1, vcc
	v_cmp_eq_u32_e32 vcc, v8, v37
	v_and_b32_e32 v8, v3, v45
	v_bfe_u32 v3, v3, s5, 2
	v_cmp_eq_u32_e64 s[34:35], 0, v2
	v_cmp_eq_u32_e64 s[6:7], v8, v37
	v_and_b32_e32 v8, v4, v45
	v_bfe_u32 v4, v4, s5, 2
	s_and_b64 s[16:17], vcc, s[34:35]
	v_cmp_eq_u32_e64 s[34:35], 0, v3
	v_cmp_eq_u32_e64 s[26:27], v8, v37
	v_and_b32_e32 v8, v1, v45
	v_bfe_u32 v1, v1, s5, 2
	s_and_b64 s[18:19], s[6:7], s[34:35]
	v_cmp_eq_u32_e64 s[34:35], 0, v4
	v_cmp_eq_u32_e64 s[30:31], v8, v37
	s_and_b64 s[24:25], s[26:27], s[34:35]
	v_cmp_eq_u32_e64 s[34:35], 0, v1
	v_cndmask_b32_e64 v8, 0, 1, s[16:17]
	s_and_b64 s[28:29], s[30:31], s[34:35]
	v_cmp_ne_u32_e64 s[34:35], 0, v8
	v_cndmask_b32_e64 v8, 0, 1, s[18:19]
	s_bcnt1_i32_b64 s15, s[34:35]
	v_cmp_ne_u32_e64 s[34:35], 0, v8
	v_cndmask_b32_e64 v8, 0, 1, s[24:25]
	s_bcnt1_i32_b64 s16, s[34:35]
	v_cmp_ne_u32_e64 s[34:35], 0, v8
	v_cndmask_b32_e64 v8, 0, 1, s[28:29]
	s_bcnt1_i32_b64 s17, s[34:35]
	v_cmp_ne_u32_e64 s[34:35], 0, v8
	s_add_i32 s14, s14, s15
	s_bcnt1_i32_b64 s18, s[34:35]
	s_add_i32 s14, s14, s16
	v_cmp_eq_u32_e64 s[34:35], 1, v2
	s_add_i32 s14, s14, s17
	s_and_b64 s[16:17], vcc, s[34:35]
	v_cmp_eq_u32_e64 s[34:35], 1, v3
	s_add_i32 s14, s14, s18
	s_and_b64 s[18:19], s[6:7], s[34:35]
	v_cmp_eq_u32_e64 s[34:35], 1, v4
	s_and_b64 s[24:25], s[26:27], s[34:35]
	v_cmp_eq_u32_e64 s[34:35], 1, v1
	v_cndmask_b32_e64 v8, 0, 1, s[16:17]
	s_and_b64 s[28:29], s[30:31], s[34:35]
	v_cmp_ne_u32_e64 s[34:35], 0, v8
	v_cndmask_b32_e64 v8, 0, 1, s[18:19]
	s_bcnt1_i32_b64 s15, s[34:35]
	v_cmp_ne_u32_e64 s[34:35], 0, v8
	v_cndmask_b32_e64 v8, 0, 1, s[24:25]
	s_bcnt1_i32_b64 s16, s[34:35]
	;; [unrolled: 3-line block ×3, first 2 shown]
	v_cmp_ne_u32_e64 s[34:35], 0, v8
	s_add_i32 s13, s13, s15
	s_bcnt1_i32_b64 s18, s[34:35]
	s_add_i32 s13, s13, s16
	v_cmp_eq_u32_e64 s[34:35], 2, v2
	s_add_i32 s13, s13, s17
	s_and_b64 s[16:17], vcc, s[34:35]
	v_cmp_eq_u32_e64 s[34:35], 2, v3
	s_add_i32 s13, s13, s18
	s_and_b64 s[18:19], s[6:7], s[34:35]
	v_cmp_eq_u32_e64 s[34:35], 2, v4
	s_and_b64 s[24:25], s[26:27], s[34:35]
	v_cmp_eq_u32_e64 s[34:35], 2, v1
	v_cndmask_b32_e64 v8, 0, 1, s[16:17]
	s_and_b64 s[28:29], s[30:31], s[34:35]
	v_cmp_ne_u32_e64 s[34:35], 0, v8
	v_cndmask_b32_e64 v8, 0, 1, s[18:19]
	s_bcnt1_i32_b64 s15, s[34:35]
	v_cmp_ne_u32_e64 s[34:35], 0, v8
	v_cndmask_b32_e64 v8, 0, 1, s[24:25]
	s_bcnt1_i32_b64 s16, s[34:35]
	;; [unrolled: 3-line block ×3, first 2 shown]
	v_cmp_ne_u32_e64 s[34:35], 0, v8
	s_add_i32 s12, s12, s15
	s_bcnt1_i32_b64 s18, s[34:35]
	s_add_i32 s12, s12, s16
	v_cmp_eq_u32_e64 s[34:35], 3, v2
	s_add_i32 s12, s12, s17
	s_and_b64 s[16:17], vcc, s[34:35]
	v_cmp_eq_u32_e32 vcc, 3, v3
	s_and_b64 s[6:7], s[6:7], vcc
	v_cmp_eq_u32_e32 vcc, 3, v4
	s_add_i32 s12, s12, s18
	s_and_b64 s[18:19], s[26:27], vcc
	v_cmp_eq_u32_e32 vcc, 3, v1
	v_cndmask_b32_e64 v1, 0, 1, s[16:17]
	s_and_b64 s[24:25], s[30:31], vcc
	v_cmp_ne_u32_e32 vcc, 0, v1
	v_cndmask_b32_e64 v1, 0, 1, s[6:7]
	s_bcnt1_i32_b64 s15, vcc
	v_cmp_ne_u32_e32 vcc, 0, v1
	v_cndmask_b32_e64 v1, 0, 1, s[18:19]
	s_bcnt1_i32_b64 s6, vcc
	v_cmp_ne_u32_e32 vcc, 0, v1
	v_cndmask_b32_e64 v1, 0, 1, s[24:25]
	s_add_i32 s3, s3, s15
	s_bcnt1_i32_b64 s7, vcc
	v_cmp_ne_u32_e32 vcc, 0, v1
	s_add_i32 s3, s3, s6
	s_bcnt1_i32_b64 s16, vcc
	s_add_i32 s3, s3, s7
	s_add_i32 s3, s3, s16
	v_cmp_le_u32_e32 vcc, s21, v12
	s_or_b64 s[86:87], vcc, s[86:87]
	v_mov_b32_e32 v1, s14
	v_mov_b32_e32 v2, s13
	;; [unrolled: 1-line block ×4, first 2 shown]
	s_andn2_b64 exec, exec, s[86:87]
	s_cbranch_execnz .LBB98_63
; %bb.64:                               ;   in Loop: Header=BB98_6 Depth=1
	s_or_b64 exec, exec, s[86:87]
.LBB98_65:                              ;   in Loop: Header=BB98_6 Depth=1
	s_or_b64 exec, exec, s[84:85]
	s_mov_b64 s[2:3], exec
	v_readlane_b32 s6, v52, 50
	v_readlane_b32 s7, v52, 51
	s_and_b64 s[6:7], s[2:3], s[6:7]
	s_mov_b64 exec, s[6:7]
	s_cbranch_execz .LBB98_71
; %bb.66:                               ;   in Loop: Header=BB98_6 Depth=1
	global_load_ushort v13, v[10:11], off
	s_mov_b64 s[12:13], 0
	v_mov_b32_e32 v8, v36
	v_mov_b32_e32 v12, v31
	s_branch .LBB98_68
.LBB98_67:                              ;   in Loop: Header=BB98_68 Depth=2
	s_or_b64 exec, exec, s[14:15]
	s_and_b64 s[6:7], exec, vcc
	s_waitcnt vmcnt(0)
	v_cmp_lt_i16_e32 vcc, -1, v13
	v_cndmask_b32_e32 v15, v41, v42, vcc
	v_xor_b32_sdwa v15, v15, v13 dst_sel:DWORD dst_unused:UNUSED_PAD src0_sel:DWORD src1_sel:WORD_0
	v_cmp_o_f16_e32 vcc, v13, v13
	v_cndmask_b32_e32 v13, v41, v15, vcc
	v_and_b32_e32 v15, v13, v45
	v_bfe_u32 v13, v13, s5, 2
	s_or_b64 s[12:13], s[6:7], s[12:13]
	v_cmp_eq_u32_e32 vcc, v15, v37
	v_cmp_eq_u32_e64 s[6:7], 0, v13
	s_and_b64 s[6:7], vcc, s[6:7]
	v_cndmask_b32_e64 v15, 0, 1, s[6:7]
	v_cmp_ne_u32_e64 s[6:7], 0, v15
	s_bcnt1_i32_b64 s6, s[6:7]
	v_add_u32_e32 v1, s6, v1
	v_cmp_eq_u32_e64 s[6:7], 1, v13
	s_and_b64 s[6:7], vcc, s[6:7]
	v_cndmask_b32_e64 v15, 0, 1, s[6:7]
	v_cmp_ne_u32_e64 s[6:7], 0, v15
	s_bcnt1_i32_b64 s6, s[6:7]
	v_add_u32_e32 v2, s6, v2
	;; [unrolled: 6-line block ×3, first 2 shown]
	v_cmp_eq_u32_e64 s[6:7], 3, v13
	s_and_b64 s[6:7], vcc, s[6:7]
	v_cndmask_b32_e64 v13, 0, 1, s[6:7]
	v_cmp_ne_u32_e32 vcc, 0, v13
	s_bcnt1_i32_b64 s6, vcc
	v_add_u32_e32 v4, s6, v4
	v_add_u32_e32 v8, s52, v8
	v_mov_b32_e32 v13, v14
	s_andn2_b64 exec, exec, s[12:13]
	s_cbranch_execz .LBB98_70
.LBB98_68:                              ;   Parent Loop BB98_6 Depth=1
                                        ; =>  This Inner Loop Header: Depth=2
	v_add_u32_e32 v12, s8, v12
	v_cmp_gt_u32_e64 s[6:7], s36, v12
	v_cmp_le_u32_e32 vcc, s36, v12
	v_mov_b32_e32 v14, 0
	s_and_saveexec_b64 s[14:15], s[6:7]
	s_cbranch_execz .LBB98_67
; %bb.69:                               ;   in Loop: Header=BB98_68 Depth=2
	v_lshlrev_b64 v[14:15], 1, v[8:9]
	v_mov_b32_e32 v16, s48
	v_add_co_u32_e64 v14, s[6:7], s33, v14
	v_addc_co_u32_e64 v15, s[6:7], v16, v15, s[6:7]
	global_load_ushort v14, v[14:15], off
	s_branch .LBB98_67
.LBB98_70:                              ;   in Loop: Header=BB98_6 Depth=1
	s_or_b64 exec, exec, s[12:13]
.LBB98_71:                              ;   in Loop: Header=BB98_6 Depth=1
	s_or_b64 exec, exec, s[2:3]
	s_branch .LBB98_53
.LBB98_72:                              ;   in Loop: Header=BB98_6 Depth=1
	v_readlane_b32 s2, v52, 47
	s_mul_hi_u32 s2, s11, s2
	s_mul_i32 s2, s2, s53
	s_sub_i32 s2, s11, s2
	s_sub_i32 s3, s2, s53
	s_cmp_ge_u32 s2, s53
	s_cselect_b32 s2, s3, s2
	s_sub_i32 s3, s2, s53
	s_cmp_ge_u32 s2, s53
	s_cselect_b32 s2, s3, s2
	s_sub_i32 s2, s11, s2
	v_cmp_gt_u32_e32 vcc, s2, v23
	v_mov_b32_e32 v1, 0
	v_mov_b32_e32 v2, 0
	;; [unrolled: 1-line block ×4, first 2 shown]
	s_and_saveexec_b64 s[84:85], vcc
	s_cbranch_execz .LBB98_76
; %bb.73:                               ;   in Loop: Header=BB98_6 Depth=1
	s_mov_b32 s3, 0
	s_mov_b64 s[86:87], 0
	v_mov_b32_e32 v8, v40
	s_mov_b32 s12, 0
	s_mov_b32 s13, 0
	;; [unrolled: 1-line block ×3, first 2 shown]
	v_mov_b32_e32 v12, v23
.LBB98_74:                              ;   Parent Loop BB98_6 Depth=1
                                        ; =>  This Inner Loop Header: Depth=2
	ds_read_b64 v[1:2], v8
	v_add_u32_e32 v12, s53, v12
	v_add_u32_e32 v8, s20, v8
	s_waitcnt lgkmcnt(0)
	v_cmp_lt_i16_e32 vcc, -1, v1
	v_cndmask_b32_e32 v3, v41, v42, vcc
	v_cmp_o_f16_e32 vcc, v1, v1
	v_xor_b32_sdwa v3, v3, v1 dst_sel:DWORD dst_unused:UNUSED_PAD src0_sel:DWORD src1_sel:WORD_0
	v_cndmask_b32_e32 v3, v41, v3, vcc
	v_cmp_gt_i16_sdwa vcc, v1, v43 src0_sel:WORD_1 src1_sel:DWORD
	v_cndmask_b32_e32 v4, v41, v42, vcc
	v_cmp_o_f16_sdwa vcc, v1, v1 src0_sel:WORD_1 src1_sel:WORD_1
	v_xor_b32_sdwa v1, v4, v1 dst_sel:DWORD dst_unused:UNUSED_PAD src0_sel:DWORD src1_sel:WORD_1
	v_cndmask_b32_e32 v1, v41, v1, vcc
	v_cmp_lt_i16_e32 vcc, -1, v2
	v_cndmask_b32_e32 v4, v41, v42, vcc
	v_cmp_o_f16_e32 vcc, v2, v2
	v_xor_b32_sdwa v4, v4, v2 dst_sel:DWORD dst_unused:UNUSED_PAD src0_sel:DWORD src1_sel:WORD_0
	v_cndmask_b32_e32 v4, v41, v4, vcc
	v_cmp_gt_i16_sdwa vcc, v2, v43 src0_sel:WORD_1 src1_sel:DWORD
	v_cndmask_b32_e32 v13, v41, v42, vcc
	v_cmp_o_f16_sdwa vcc, v2, v2 src0_sel:WORD_1 src1_sel:WORD_1
	v_xor_b32_sdwa v2, v13, v2 dst_sel:DWORD dst_unused:UNUSED_PAD src0_sel:DWORD src1_sel:WORD_1
	v_and_b32_e32 v13, v3, v45
	v_bfe_u32 v3, v3, s5, 2
	v_cndmask_b32_e32 v2, v41, v2, vcc
	v_cmp_eq_u32_e32 vcc, v13, v37
	v_and_b32_e32 v13, v1, v45
	v_bfe_u32 v1, v1, s5, 2
	v_cmp_eq_u32_e64 s[34:35], 0, v3
	v_cmp_eq_u32_e64 s[6:7], v13, v37
	v_and_b32_e32 v13, v4, v45
	v_bfe_u32 v4, v4, s5, 2
	s_and_b64 s[16:17], vcc, s[34:35]
	v_cmp_eq_u32_e64 s[34:35], 0, v1
	v_cmp_eq_u32_e64 s[26:27], v13, v37
	v_and_b32_e32 v13, v2, v45
	v_bfe_u32 v2, v2, s5, 2
	s_and_b64 s[18:19], s[6:7], s[34:35]
	v_cmp_eq_u32_e64 s[34:35], 0, v4
	v_cmp_eq_u32_e64 s[30:31], v13, v37
	s_and_b64 s[24:25], s[26:27], s[34:35]
	v_cmp_eq_u32_e64 s[34:35], 0, v2
	v_cndmask_b32_e64 v13, 0, 1, s[16:17]
	s_and_b64 s[28:29], s[30:31], s[34:35]
	v_cmp_ne_u32_e64 s[34:35], 0, v13
	v_cndmask_b32_e64 v13, 0, 1, s[18:19]
	s_bcnt1_i32_b64 s15, s[34:35]
	v_cmp_ne_u32_e64 s[34:35], 0, v13
	v_cndmask_b32_e64 v13, 0, 1, s[24:25]
	s_bcnt1_i32_b64 s16, s[34:35]
	;; [unrolled: 3-line block ×3, first 2 shown]
	v_cmp_ne_u32_e64 s[34:35], 0, v13
	s_add_i32 s14, s14, s15
	s_bcnt1_i32_b64 s18, s[34:35]
	s_add_i32 s14, s14, s16
	v_cmp_eq_u32_e64 s[34:35], 1, v3
	s_add_i32 s14, s14, s17
	s_and_b64 s[16:17], vcc, s[34:35]
	v_cmp_eq_u32_e64 s[34:35], 1, v1
	s_add_i32 s14, s14, s18
	s_and_b64 s[18:19], s[6:7], s[34:35]
	v_cmp_eq_u32_e64 s[34:35], 1, v4
	s_and_b64 s[24:25], s[26:27], s[34:35]
	v_cmp_eq_u32_e64 s[34:35], 1, v2
	v_cndmask_b32_e64 v13, 0, 1, s[16:17]
	s_and_b64 s[28:29], s[30:31], s[34:35]
	v_cmp_ne_u32_e64 s[34:35], 0, v13
	v_cndmask_b32_e64 v13, 0, 1, s[18:19]
	s_bcnt1_i32_b64 s15, s[34:35]
	v_cmp_ne_u32_e64 s[34:35], 0, v13
	v_cndmask_b32_e64 v13, 0, 1, s[24:25]
	s_bcnt1_i32_b64 s16, s[34:35]
	;; [unrolled: 3-line block ×3, first 2 shown]
	v_cmp_ne_u32_e64 s[34:35], 0, v13
	s_add_i32 s13, s13, s15
	s_bcnt1_i32_b64 s18, s[34:35]
	s_add_i32 s13, s13, s16
	v_cmp_eq_u32_e64 s[34:35], 2, v3
	s_add_i32 s13, s13, s17
	s_and_b64 s[16:17], vcc, s[34:35]
	v_cmp_eq_u32_e64 s[34:35], 2, v1
	s_add_i32 s13, s13, s18
	s_and_b64 s[18:19], s[6:7], s[34:35]
	v_cmp_eq_u32_e64 s[34:35], 2, v4
	s_and_b64 s[24:25], s[26:27], s[34:35]
	v_cmp_eq_u32_e64 s[34:35], 2, v2
	v_cndmask_b32_e64 v13, 0, 1, s[16:17]
	s_and_b64 s[28:29], s[30:31], s[34:35]
	v_cmp_ne_u32_e64 s[34:35], 0, v13
	v_cndmask_b32_e64 v13, 0, 1, s[18:19]
	s_bcnt1_i32_b64 s15, s[34:35]
	v_cmp_ne_u32_e64 s[34:35], 0, v13
	v_cndmask_b32_e64 v13, 0, 1, s[24:25]
	s_bcnt1_i32_b64 s16, s[34:35]
	v_cmp_ne_u32_e64 s[34:35], 0, v13
	v_cndmask_b32_e64 v13, 0, 1, s[28:29]
	s_bcnt1_i32_b64 s17, s[34:35]
	v_cmp_ne_u32_e64 s[34:35], 0, v13
	s_add_i32 s12, s12, s15
	s_bcnt1_i32_b64 s18, s[34:35]
	s_add_i32 s12, s12, s16
	v_cmp_eq_u32_e64 s[34:35], 3, v3
	s_add_i32 s12, s12, s17
	s_and_b64 s[16:17], vcc, s[34:35]
	v_cmp_eq_u32_e32 vcc, 3, v1
	s_and_b64 s[6:7], s[6:7], vcc
	v_cmp_eq_u32_e32 vcc, 3, v4
	s_add_i32 s12, s12, s18
	s_and_b64 s[18:19], s[26:27], vcc
	v_cmp_eq_u32_e32 vcc, 3, v2
	v_cndmask_b32_e64 v1, 0, 1, s[16:17]
	s_and_b64 s[24:25], s[30:31], vcc
	v_cmp_ne_u32_e32 vcc, 0, v1
	v_cndmask_b32_e64 v1, 0, 1, s[6:7]
	s_bcnt1_i32_b64 s15, vcc
	v_cmp_ne_u32_e32 vcc, 0, v1
	v_cndmask_b32_e64 v1, 0, 1, s[18:19]
	s_bcnt1_i32_b64 s6, vcc
	v_cmp_ne_u32_e32 vcc, 0, v1
	v_cndmask_b32_e64 v1, 0, 1, s[24:25]
	s_add_i32 s3, s3, s15
	s_bcnt1_i32_b64 s7, vcc
	v_cmp_ne_u32_e32 vcc, 0, v1
	s_add_i32 s3, s3, s6
	s_bcnt1_i32_b64 s16, vcc
	s_add_i32 s3, s3, s7
	s_add_i32 s3, s3, s16
	v_cmp_le_u32_e32 vcc, s2, v12
	s_or_b64 s[86:87], vcc, s[86:87]
	v_mov_b32_e32 v1, s14
	v_mov_b32_e32 v2, s13
	;; [unrolled: 1-line block ×4, first 2 shown]
	s_andn2_b64 exec, exec, s[86:87]
	s_cbranch_execnz .LBB98_74
; %bb.75:                               ;   in Loop: Header=BB98_6 Depth=1
	s_or_b64 exec, exec, s[86:87]
.LBB98_76:                              ;   in Loop: Header=BB98_6 Depth=1
	s_or_b64 exec, exec, s[84:85]
	v_add_u32_e32 v8, s2, v0
	v_cmp_gt_u32_e32 vcc, s11, v8
	s_and_saveexec_b64 s[14:15], vcc
	s_cbranch_execz .LBB98_80
; %bb.77:                               ;   in Loop: Header=BB98_6 Depth=1
	v_lshlrev_b32_e32 v12, 1, v8
	s_mov_b64 s[16:17], 0
.LBB98_78:                              ;   Parent Loop BB98_6 Depth=1
                                        ; =>  This Inner Loop Header: Depth=2
	ds_read_u16 v13, v12
	v_add_u32_e32 v8, s8, v8
	v_add_u32_e32 v12, s10, v12
	s_waitcnt lgkmcnt(0)
	v_cmp_lt_i16_e32 vcc, -1, v13
	v_cndmask_b32_e32 v14, v41, v42, vcc
	v_cmp_o_f16_e32 vcc, v13, v13
	v_xor_b32_sdwa v13, v14, v13 dst_sel:DWORD dst_unused:UNUSED_PAD src0_sel:DWORD src1_sel:WORD_0
	v_cndmask_b32_e32 v13, v41, v13, vcc
	v_and_b32_e32 v14, v13, v45
	v_bfe_u32 v13, v13, s5, 2
	v_cmp_eq_u32_e32 vcc, v14, v37
	v_cmp_eq_u32_e64 s[6:7], 0, v13
	s_and_b64 s[2:3], vcc, s[6:7]
	v_cndmask_b32_e64 v14, 0, 1, s[2:3]
	v_cmp_ne_u32_e64 s[6:7], 0, v14
	s_bcnt1_i32_b64 s2, s[6:7]
	v_cmp_eq_u32_e64 s[6:7], 1, v13
	v_add_u32_e32 v1, s2, v1
	s_and_b64 s[2:3], vcc, s[6:7]
	v_cndmask_b32_e64 v14, 0, 1, s[2:3]
	v_cmp_ne_u32_e64 s[6:7], 0, v14
	s_bcnt1_i32_b64 s2, s[6:7]
	v_cmp_eq_u32_e64 s[6:7], 2, v13
	v_add_u32_e32 v2, s2, v2
	;; [unrolled: 6-line block ×3, first 2 shown]
	s_and_b64 s[2:3], vcc, s[6:7]
	v_cndmask_b32_e64 v13, 0, 1, s[2:3]
	v_cmp_ne_u32_e32 vcc, 0, v13
	s_bcnt1_i32_b64 s2, vcc
	v_cmp_le_u32_e32 vcc, s11, v8
	v_add_u32_e32 v4, s2, v4
	s_or_b64 s[16:17], vcc, s[16:17]
	s_andn2_b64 exec, exec, s[16:17]
	s_cbranch_execnz .LBB98_78
; %bb.79:                               ;   in Loop: Header=BB98_6 Depth=1
	s_or_b64 exec, exec, s[16:17]
.LBB98_80:                              ;   in Loop: Header=BB98_6 Depth=1
	s_or_b64 exec, exec, s[14:15]
	s_lshl_b32 s6, s49, 6
	s_and_saveexec_b64 s[2:3], s[0:1]
	s_cbranch_execnz .LBB98_54
	s_branch .LBB98_55
.LBB98_81:                              ;   in Loop: Header=BB98_6 Depth=1
	v_mov_b32_e32 v1, 0
	s_mov_b32 s7, 0
.LBB98_82:                              ;   in Loop: Header=BB98_6 Depth=1
	v_readlane_b32 s12, v52, 45
	v_readlane_b32 s13, v52, 46
	s_andn2_b64 vcc, exec, s[12:13]
	s_cbranch_vccnz .LBB98_85
; %bb.83:                               ;   in Loop: Header=BB98_6 Depth=1
	s_lshl_b32 s11, s49, 8
	s_lshl_b32 s7, s7, 4
	s_add_i32 s11, s11, s7
	v_add_u32_e32 v2, s11, v38
	v_readlane_b32 s7, v52, 44
.LBB98_84:                              ;   Parent Loop BB98_6 Depth=1
                                        ; =>  This Inner Loop Header: Depth=2
	ds_read_b32 v3, v2
	s_add_i32 s7, s7, -1
	v_add_u32_e32 v2, 16, v2
	s_cmp_lg_u32 s7, 0
	s_waitcnt lgkmcnt(0)
	v_add_u32_e32 v1, v3, v1
	s_cbranch_scc1 .LBB98_84
.LBB98_85:                              ;   in Loop: Header=BB98_6 Depth=1
	v_add_lshl_u32 v2, s6, v24, 2
	ds_write_b32 v2, v1 offset:3072
.LBB98_86:                              ;   in Loop: Header=BB98_6 Depth=1
	s_or_b64 exec, exec, s[2:3]
	s_lshl_b32 s2, s6, 2
	v_mov_b32_e32 v1, s2
	s_waitcnt lgkmcnt(0)
	s_barrier
	ds_read_b128 v[1:4], v1 offset:3072
	v_readlane_b32 s2, v52, 19
	s_lshl_b32 s38, 3, s5
	v_readlane_b32 s3, v52, 20
	s_not_b32 s39, s38
	s_waitcnt lgkmcnt(0)
	v_readfirstlane_b32 s11, v1
	v_readfirstlane_b32 s50, v2
	;; [unrolled: 1-line block ×4, first 2 shown]
	v_cmp_eq_u32_e64 s[26:27], 1, v47
	s_mov_b64 s[90:91], -1
	s_mov_b64 s[30:31], 0
	s_andn2_b64 vcc, exec, s[2:3]
	s_mov_b64 s[84:85], 0
	s_mov_b64 s[34:35], 0
                                        ; implicit-def: $sgpr86_sgpr87
                                        ; implicit-def: $sgpr88_sgpr89
                                        ; implicit-def: $vgpr4
                                        ; implicit-def: $vgpr1
                                        ; implicit-def: $vgpr3
                                        ; implicit-def: $vgpr2
                                        ; implicit-def: $vgpr8
	s_cbranch_vccnz .LBB98_252
; %bb.87:                               ;   in Loop: Header=BB98_6 Depth=1
	s_cmp_eq_u32 s11, 1
	s_cselect_b64 s[2:3], -1, 0
	s_and_b64 s[6:7], s[2:3], s[26:27]
	s_mov_b64 s[2:3], -1
	v_mov_b32_e32 v3, v37
	v_mov_b32_e32 v2, v45
	;; [unrolled: 1-line block ×3, first 2 shown]
                                        ; implicit-def: $sgpr88_sgpr89
                                        ; implicit-def: $sgpr86_sgpr87
	s_and_saveexec_b64 s[14:15], s[6:7]
	s_cbranch_execz .LBB98_115
; %bb.88:                               ;   in Loop: Header=BB98_6 Depth=1
	ds_read_b32 v1, v9 offset:4096
	s_waitcnt lgkmcnt(0)
	s_barrier
	v_readfirstlane_b32 s34, v1
	s_mov_b64 s[2:3], exec
	v_readlane_b32 s12, v52, 29
	v_readlane_b32 s13, v52, 30
	s_and_b64 s[12:13], s[2:3], s[12:13]
	s_mov_b64 exec, s[12:13]
; %bb.89:                               ;   in Loop: Header=BB98_6 Depth=1
	ds_write_b16 v26, v9
; %bb.90:                               ;   in Loop: Header=BB98_6 Depth=1
	s_or_b64 exec, exec, s[2:3]
	v_and_b32_e32 v3, s39, v37
	v_or_b32_e32 v2, s38, v45
	s_mov_b64 s[86:87], -1
	s_mov_b64 s[88:89], 0
	s_cmp_eq_u32 s34, 0
	s_mov_b64 s[2:3], 0
	s_mov_b64 s[12:13], -1
	s_waitcnt lgkmcnt(0)
	s_barrier
                                        ; implicit-def: $vgpr8
	s_cbranch_scc1 .LBB98_102
; %bb.91:                               ;   in Loop: Header=BB98_6 Depth=1
	v_readlane_b32 s2, v52, 31
	s_add_i32 s2, s34, s2
	v_readlane_b32 s3, v52, 52
	s_mul_hi_u32 s3, s2, s3
	s_mul_i32 s3, s3, s8
	s_sub_i32 s3, s2, s3
	s_sub_i32 s12, s3, s8
	s_cmp_ge_u32 s3, s8
	s_cselect_b32 s3, s12, s3
	s_sub_i32 s12, s3, s8
	s_cmp_ge_u32 s3, s8
	s_cselect_b32 s3, s12, s3
	s_sub_i32 s35, s2, s3
	v_cmp_gt_u32_e32 vcc, s35, v0
	s_mov_b64 s[12:13], 0
	s_mov_b64 s[2:3], 0
                                        ; implicit-def: $vgpr8
	s_and_saveexec_b64 s[16:17], vcc
	s_cbranch_execz .LBB98_101
; %bb.92:                               ;   in Loop: Header=BB98_6 Depth=1
	v_mov_b32_e32 v1, v25
	v_mov_b32_e32 v4, v0
                                        ; implicit-def: $sgpr18_sgpr19
	s_branch .LBB98_96
.LBB98_93:                              ;   in Loop: Header=BB98_96 Depth=2
	s_or_b64 exec, exec, s[24:25]
	s_waitcnt lgkmcnt(0)
	s_barrier
	ds_read_b32 v8, v9 offset:3072
	s_waitcnt lgkmcnt(0)
	s_barrier
	v_cmp_neq_f16_e32 vcc, 0, v8
	s_cbranch_vccnz .LBB98_99
; %bb.94:                               ;   in Loop: Header=BB98_96 Depth=2
	v_add_u32_e32 v4, s8, v4
	v_cmp_le_u32_e32 vcc, s35, v4
	v_add_u32_e32 v1, s10, v1
	s_mov_b64 s[24:25], 0
	s_orn2_b64 s[28:29], vcc, exec
.LBB98_95:                              ;   in Loop: Header=BB98_96 Depth=2
	s_and_b64 s[28:29], exec, s[28:29]
	s_or_b64 s[2:3], s[28:29], s[2:3]
	s_andn2_b64 s[18:19], s[18:19], exec
	s_and_b64 s[24:25], s[24:25], exec
	s_or_b64 s[18:19], s[18:19], s[24:25]
	s_andn2_b64 exec, exec, s[2:3]
	s_cbranch_execz .LBB98_100
.LBB98_96:                              ;   Parent Loop BB98_6 Depth=1
                                        ; =>  This Inner Loop Header: Depth=2
	v_cmp_gt_u32_e32 vcc, s34, v4
	s_and_saveexec_b64 s[24:25], vcc
	s_cbranch_execz .LBB98_93
; %bb.97:                               ;   in Loop: Header=BB98_96 Depth=2
	ds_read_u16 v8, v1
	s_waitcnt lgkmcnt(0)
	v_cmp_lt_i16_e32 vcc, -1, v8
	v_cndmask_b32_e32 v12, v41, v42, vcc
	v_xor_b32_sdwa v12, v12, v8 dst_sel:DWORD dst_unused:UNUSED_PAD src0_sel:DWORD src1_sel:WORD_0
	v_cmp_o_f16_e32 vcc, v8, v8
	v_cndmask_b32_e32 v12, v41, v12, vcc
	v_and_b32_e32 v12, v12, v2
	v_cmp_eq_u32_e32 vcc, v12, v3
	s_and_b64 exec, exec, vcc
	s_cbranch_execz .LBB98_93
; %bb.98:                               ;   in Loop: Header=BB98_96 Depth=2
	v_perm_b32 v8, v8, s4, v44
	ds_write_b32 v9, v8 offset:3072
	s_branch .LBB98_93
.LBB98_99:                              ;   in Loop: Header=BB98_96 Depth=2
	s_mov_b64 s[28:29], -1
                                        ; implicit-def: $vgpr4
                                        ; implicit-def: $vgpr1
	s_mov_b64 s[24:25], -1
	s_branch .LBB98_95
.LBB98_100:                             ;   in Loop: Header=BB98_6 Depth=1
	s_or_b64 exec, exec, s[2:3]
	v_lshrrev_b32_e32 v8, 16, v8
	s_and_b64 s[2:3], s[18:19], exec
.LBB98_101:                             ;   in Loop: Header=BB98_6 Depth=1
	s_or_b64 exec, exec, s[16:17]
.LBB98_102:                             ;   in Loop: Header=BB98_6 Depth=1
	s_and_b64 vcc, exec, s[12:13]
	s_cbranch_vccz .LBB98_114
; %bb.103:                              ;   in Loop: Header=BB98_6 Depth=1
                                        ; implicit-def: $vgpr8
	s_mov_b64 s[12:13], exec
	v_readlane_b32 s16, v52, 53
	v_readlane_b32 s17, v52, 54
	s_and_b64 s[16:17], s[12:13], s[16:17]
	s_mov_b64 exec, s[16:17]
	s_cbranch_execz .LBB98_113
; %bb.104:                              ;   in Loop: Header=BB98_6 Depth=1
	s_mov_b64 s[16:17], 0
	v_mov_b32_e32 v8, v7
	v_mov_b32_e32 v1, v0
                                        ; implicit-def: $sgpr18_sgpr19
	s_branch .LBB98_108
.LBB98_105:                             ;   in Loop: Header=BB98_108 Depth=2
	s_or_b64 exec, exec, s[28:29]
	s_waitcnt lgkmcnt(0)
	s_barrier
	ds_read_b32 v4, v9 offset:3072
	s_waitcnt lgkmcnt(0)
	s_barrier
	v_cmp_neq_f16_e32 vcc, 0, v4
	s_cbranch_vccnz .LBB98_111
; %bb.106:                              ;   in Loop: Header=BB98_108 Depth=2
	v_add_u32_e32 v1, s8, v1
	v_cmp_le_u32_e32 vcc, s22, v1
	v_add_u32_e32 v8, s52, v8
	s_mov_b64 s[24:25], 0
	s_orn2_b64 s[28:29], vcc, exec
.LBB98_107:                             ;   in Loop: Header=BB98_108 Depth=2
	s_and_b64 s[28:29], exec, s[28:29]
	s_or_b64 s[16:17], s[28:29], s[16:17]
	s_andn2_b64 s[18:19], s[18:19], exec
	s_and_b64 s[24:25], s[24:25], exec
	s_or_b64 s[18:19], s[18:19], s[24:25]
	s_andn2_b64 exec, exec, s[16:17]
	s_cbranch_execz .LBB98_112
.LBB98_108:                             ;   Parent Loop BB98_6 Depth=1
                                        ; =>  This Inner Loop Header: Depth=2
	v_cmp_gt_u32_e32 vcc, s36, v1
	s_and_saveexec_b64 s[28:29], vcc
	s_cbranch_execz .LBB98_105
; %bb.109:                              ;   in Loop: Header=BB98_108 Depth=2
	v_lshlrev_b64 v[12:13], 1, v[8:9]
	v_mov_b32_e32 v4, s48
	v_add_co_u32_e32 v12, vcc, s33, v12
	v_addc_co_u32_e32 v13, vcc, v4, v13, vcc
	global_load_ushort v4, v[12:13], off
	s_waitcnt vmcnt(0)
	v_cmp_lt_i16_e32 vcc, -1, v4
	v_cndmask_b32_e32 v12, v41, v42, vcc
	v_xor_b32_sdwa v12, v12, v4 dst_sel:DWORD dst_unused:UNUSED_PAD src0_sel:DWORD src1_sel:WORD_0
	v_cmp_o_f16_e32 vcc, v4, v4
	v_cndmask_b32_e32 v12, v41, v12, vcc
	v_and_b32_e32 v12, v12, v2
	v_cmp_eq_u32_e32 vcc, v12, v3
	s_and_b64 exec, exec, vcc
	s_cbranch_execz .LBB98_105
; %bb.110:                              ;   in Loop: Header=BB98_108 Depth=2
	v_perm_b32 v4, v4, s4, v44
	ds_write_b32 v9, v4 offset:3072
	s_branch .LBB98_105
.LBB98_111:                             ;   in Loop: Header=BB98_108 Depth=2
	s_mov_b64 s[28:29], -1
                                        ; implicit-def: $vgpr1
	s_mov_b64 s[24:25], -1
	s_branch .LBB98_107
.LBB98_112:                             ;   in Loop: Header=BB98_6 Depth=1
	s_or_b64 exec, exec, s[16:17]
	s_andn2_b64 s[2:3], s[2:3], exec
	s_and_b64 s[16:17], s[18:19], exec
	v_lshrrev_b32_e32 v8, 16, v4
	s_or_b64 s[2:3], s[2:3], s[16:17]
.LBB98_113:                             ;   in Loop: Header=BB98_6 Depth=1
	s_or_b64 exec, exec, s[12:13]
	s_mov_b64 s[86:87], 0
	s_mov_b64 s[88:89], -1
.LBB98_114:                             ;   in Loop: Header=BB98_6 Depth=1
	s_orn2_b64 s[2:3], s[2:3], exec
.LBB98_115:                             ;   in Loop: Header=BB98_6 Depth=1
	s_or_b64 exec, exec, s[14:15]
	s_mov_b64 s[90:91], 0
	s_mov_b64 s[84:85], 0
	;; [unrolled: 1-line block ×3, first 2 shown]
                                        ; implicit-def: $vgpr4
                                        ; implicit-def: $vgpr1
	s_and_saveexec_b64 s[92:93], s[2:3]
	s_cbranch_execz .LBB98_251
; %bb.116:                              ;   in Loop: Header=BB98_6 Depth=1
	s_xor_b64 s[12:13], s[6:7], -1
	s_mov_b64 s[6:7], 0
	v_mov_b32_e32 v4, 1
	v_mov_b32_e32 v1, 1
	s_and_saveexec_b64 s[2:3], s[12:13]
	s_cbranch_execz .LBB98_125
; %bb.117:                              ;   in Loop: Header=BB98_6 Depth=1
	v_cmp_ge_u32_e32 vcc, s11, v47
	s_and_saveexec_b64 s[6:7], vcc
	s_xor_b64 s[6:7], exec, s[6:7]
	s_cbranch_execz .LBB98_122
; %bb.118:                              ;   in Loop: Header=BB98_6 Depth=1
	ds_read_b32 v1, v9 offset:4096
	v_and_b32_e32 v3, s39, v3
	v_or_b32_e32 v2, s38, v2
	s_waitcnt lgkmcnt(0)
	v_cmp_ne_u32_e32 vcc, 0, v1
	s_cbranch_vccnz .LBB98_122
; %bb.119:                              ;   in Loop: Header=BB98_6 Depth=1
	s_mov_b64 s[12:13], exec
	v_readlane_b32 s14, v52, 14
	v_readlane_b32 s15, v52, 15
	s_and_b64 s[14:15], s[12:13], s[14:15]
	s_mov_b64 exec, s[14:15]
; %bb.120:                              ;   in Loop: Header=BB98_6 Depth=1
	v_mov_b32_e32 v1, s11
	ds_write_b32 v9, v1 offset:4100
; %bb.121:                              ;   in Loop: Header=BB98_6 Depth=1
	s_or_b64 exec, exec, s[12:13]
	s_waitcnt lgkmcnt(0)
	s_barrier
.LBB98_122:                             ;   in Loop: Header=BB98_6 Depth=1
	s_or_saveexec_b64 s[6:7], s[6:7]
	s_mov_b64 s[12:13], 0
	v_mov_b32_e32 v1, 8
	v_mov_b32_e32 v4, v47
	s_xor_b64 exec, exec, s[6:7]
; %bb.123:                              ;   in Loop: Header=BB98_6 Depth=1
	s_mov_b64 s[12:13], exec
	v_subrev_u32_e32 v4, s11, v47
	v_mov_b32_e32 v1, 0
; %bb.124:                              ;   in Loop: Header=BB98_6 Depth=1
	s_or_b64 exec, exec, s[6:7]
	s_and_b64 s[6:7], s[12:13], exec
.LBB98_125:                             ;   in Loop: Header=BB98_6 Depth=1
	s_or_b64 exec, exec, s[2:3]
	s_mov_b64 s[2:3], -1
                                        ; implicit-def: $sgpr34_sgpr35
                                        ; implicit-def: $sgpr84_sgpr85
	s_and_saveexec_b64 s[12:13], s[6:7]
	s_xor_b64 s[6:7], exec, s[12:13]
	s_cbranch_execz .LBB98_248
; %bb.126:                              ;   in Loop: Header=BB98_6 Depth=1
	s_cmp_eq_u32 s50, 1
	s_cselect_b64 s[2:3], -1, 0
	v_cmp_eq_u32_e32 vcc, 1, v4
	s_and_b64 s[14:15], s[2:3], vcc
	s_mov_b64 s[2:3], -1
                                        ; implicit-def: $sgpr84_sgpr85
                                        ; implicit-def: $sgpr34_sgpr35
	s_and_saveexec_b64 s[16:17], s[14:15]
	s_cbranch_execz .LBB98_154
; %bb.127:                              ;   in Loop: Header=BB98_6 Depth=1
	ds_read_b32 v8, v9 offset:4096
	s_waitcnt lgkmcnt(0)
	s_barrier
	v_readfirstlane_b32 s42, v8
	s_mov_b64 s[2:3], exec
	v_readlane_b32 s12, v52, 29
	v_readlane_b32 s13, v52, 30
	s_and_b64 s[12:13], s[2:3], s[12:13]
	s_mov_b64 exec, s[12:13]
; %bb.128:                              ;   in Loop: Header=BB98_6 Depth=1
	ds_write_b16 v26, v9
; %bb.129:                              ;   in Loop: Header=BB98_6 Depth=1
	s_or_b64 exec, exec, s[2:3]
	v_and_b32_e32 v3, s39, v3
	v_lshl_or_b32 v3, 1, s5, v3
	v_or_b32_e32 v2, s38, v2
	s_mov_b64 s[34:35], -1
	s_mov_b64 s[84:85], 0
	s_cmp_eq_u32 s42, 0
	s_mov_b64 s[12:13], 0
	s_mov_b64 s[2:3], -1
	s_waitcnt lgkmcnt(0)
	s_barrier
                                        ; implicit-def: $vgpr8
	s_cbranch_scc1 .LBB98_141
; %bb.130:                              ;   in Loop: Header=BB98_6 Depth=1
	v_readlane_b32 s2, v52, 31
	s_add_i32 s2, s42, s2
	v_readlane_b32 s3, v52, 52
	s_mul_hi_u32 s3, s2, s3
	s_mul_i32 s3, s3, s8
	s_sub_i32 s3, s2, s3
	s_sub_i32 s12, s3, s8
	s_cmp_ge_u32 s3, s8
	s_cselect_b32 s3, s12, s3
	s_sub_i32 s12, s3, s8
	s_cmp_ge_u32 s3, s8
	s_cselect_b32 s3, s12, s3
	s_sub_i32 s43, s2, s3
	v_cmp_gt_u32_e32 vcc, s43, v0
	s_mov_b64 s[2:3], 0
	s_mov_b64 s[12:13], 0
                                        ; implicit-def: $vgpr8
	s_and_saveexec_b64 s[18:19], vcc
	s_cbranch_execz .LBB98_140
; %bb.131:                              ;   in Loop: Header=BB98_6 Depth=1
	v_mov_b32_e32 v8, v25
	v_mov_b32_e32 v12, v0
                                        ; implicit-def: $sgpr28_sgpr29
	s_branch .LBB98_135
.LBB98_132:                             ;   in Loop: Header=BB98_135 Depth=2
	s_or_b64 exec, exec, s[40:41]
	s_waitcnt lgkmcnt(0)
	s_barrier
	ds_read_b32 v13, v9 offset:3072
	s_waitcnt lgkmcnt(0)
	s_barrier
	v_cmp_neq_f16_e32 vcc, 0, v13
	s_cbranch_vccnz .LBB98_138
; %bb.133:                              ;   in Loop: Header=BB98_135 Depth=2
	v_add_u32_e32 v12, s8, v12
	v_cmp_le_u32_e32 vcc, s43, v12
	v_add_u32_e32 v8, s10, v8
	s_mov_b64 s[24:25], 0
	s_orn2_b64 s[40:41], vcc, exec
.LBB98_134:                             ;   in Loop: Header=BB98_135 Depth=2
	s_and_b64 s[40:41], exec, s[40:41]
	s_or_b64 s[12:13], s[40:41], s[12:13]
	s_andn2_b64 s[28:29], s[28:29], exec
	s_and_b64 s[24:25], s[24:25], exec
	s_or_b64 s[28:29], s[28:29], s[24:25]
	s_andn2_b64 exec, exec, s[12:13]
	s_cbranch_execz .LBB98_139
.LBB98_135:                             ;   Parent Loop BB98_6 Depth=1
                                        ; =>  This Inner Loop Header: Depth=2
	v_cmp_gt_u32_e32 vcc, s42, v12
	s_and_saveexec_b64 s[40:41], vcc
	s_cbranch_execz .LBB98_132
; %bb.136:                              ;   in Loop: Header=BB98_135 Depth=2
	ds_read_u16 v13, v8
	s_waitcnt lgkmcnt(0)
	v_cmp_lt_i16_e32 vcc, -1, v13
	v_cndmask_b32_e32 v14, v41, v42, vcc
	v_xor_b32_sdwa v14, v14, v13 dst_sel:DWORD dst_unused:UNUSED_PAD src0_sel:DWORD src1_sel:WORD_0
	v_cmp_o_f16_e32 vcc, v13, v13
	v_cndmask_b32_e32 v14, v41, v14, vcc
	v_and_b32_e32 v14, v14, v2
	v_cmp_eq_u32_e32 vcc, v14, v3
	s_and_b64 exec, exec, vcc
	s_cbranch_execz .LBB98_132
; %bb.137:                              ;   in Loop: Header=BB98_135 Depth=2
	v_perm_b32 v13, v13, s4, v44
	ds_write_b32 v9, v13 offset:3072
	s_branch .LBB98_132
.LBB98_138:                             ;   in Loop: Header=BB98_135 Depth=2
	s_mov_b64 s[40:41], -1
                                        ; implicit-def: $vgpr12
                                        ; implicit-def: $vgpr8
	s_mov_b64 s[24:25], -1
	s_branch .LBB98_134
.LBB98_139:                             ;   in Loop: Header=BB98_6 Depth=1
	s_or_b64 exec, exec, s[12:13]
	v_lshrrev_b32_e32 v8, 16, v13
	s_and_b64 s[12:13], s[28:29], exec
.LBB98_140:                             ;   in Loop: Header=BB98_6 Depth=1
	s_or_b64 exec, exec, s[18:19]
.LBB98_141:                             ;   in Loop: Header=BB98_6 Depth=1
	s_and_b64 vcc, exec, s[2:3]
	s_cbranch_vccz .LBB98_153
; %bb.142:                              ;   in Loop: Header=BB98_6 Depth=1
                                        ; implicit-def: $vgpr8
	s_mov_b64 s[2:3], exec
	v_readlane_b32 s18, v52, 53
	v_readlane_b32 s19, v52, 54
	s_and_b64 s[18:19], s[2:3], s[18:19]
	s_mov_b64 exec, s[18:19]
	s_cbranch_execz .LBB98_152
; %bb.143:                              ;   in Loop: Header=BB98_6 Depth=1
	s_mov_b64 s[18:19], 0
	v_mov_b32_e32 v8, v7
	v_mov_b32_e32 v12, v0
                                        ; implicit-def: $sgpr28_sgpr29
	s_branch .LBB98_147
.LBB98_144:                             ;   in Loop: Header=BB98_147 Depth=2
	s_or_b64 exec, exec, s[34:35]
	s_waitcnt lgkmcnt(0)
	s_barrier
	ds_read_b32 v13, v9 offset:3072
	s_waitcnt lgkmcnt(0)
	s_barrier
	v_cmp_eq_f16_e32 vcc, 0, v13
	s_cbranch_vccz .LBB98_150
; %bb.145:                              ;   in Loop: Header=BB98_147 Depth=2
	v_add_u32_e32 v12, s8, v12
	v_cmp_le_u32_e32 vcc, s22, v12
	v_add_u32_e32 v8, s52, v8
	s_mov_b64 s[24:25], 0
	s_orn2_b64 s[34:35], vcc, exec
.LBB98_146:                             ;   in Loop: Header=BB98_147 Depth=2
	s_and_b64 s[34:35], exec, s[34:35]
	s_or_b64 s[18:19], s[34:35], s[18:19]
	s_andn2_b64 s[28:29], s[28:29], exec
	s_and_b64 s[24:25], s[24:25], exec
	s_or_b64 s[28:29], s[28:29], s[24:25]
	s_andn2_b64 exec, exec, s[18:19]
	s_cbranch_execz .LBB98_151
.LBB98_147:                             ;   Parent Loop BB98_6 Depth=1
                                        ; =>  This Inner Loop Header: Depth=2
	v_cmp_gt_u32_e32 vcc, s36, v12
	s_and_saveexec_b64 s[34:35], vcc
	s_cbranch_execz .LBB98_144
; %bb.148:                              ;   in Loop: Header=BB98_147 Depth=2
	v_lshlrev_b64 v[13:14], 1, v[8:9]
	v_mov_b32_e32 v15, s48
	v_add_co_u32_e32 v13, vcc, s33, v13
	v_addc_co_u32_e32 v14, vcc, v15, v14, vcc
	global_load_ushort v13, v[13:14], off
	s_waitcnt vmcnt(0)
	v_cmp_lt_i16_e32 vcc, -1, v13
	v_cndmask_b32_e32 v14, v41, v42, vcc
	v_xor_b32_sdwa v14, v14, v13 dst_sel:DWORD dst_unused:UNUSED_PAD src0_sel:DWORD src1_sel:WORD_0
	v_cmp_o_f16_e32 vcc, v13, v13
	v_cndmask_b32_e32 v14, v41, v14, vcc
	v_and_b32_e32 v14, v14, v2
	v_cmp_eq_u32_e32 vcc, v14, v3
	s_and_b64 exec, exec, vcc
	s_cbranch_execz .LBB98_144
; %bb.149:                              ;   in Loop: Header=BB98_147 Depth=2
	v_perm_b32 v13, v13, s4, v44
	ds_write_b32 v9, v13 offset:3072
	s_branch .LBB98_144
.LBB98_150:                             ;   in Loop: Header=BB98_147 Depth=2
	s_mov_b64 s[34:35], -1
                                        ; implicit-def: $vgpr12
	s_mov_b64 s[24:25], -1
	s_branch .LBB98_146
.LBB98_151:                             ;   in Loop: Header=BB98_6 Depth=1
	s_or_b64 exec, exec, s[18:19]
	s_andn2_b64 s[12:13], s[12:13], exec
	s_and_b64 s[18:19], s[28:29], exec
	v_lshrrev_b32_e32 v8, 16, v13
	s_or_b64 s[12:13], s[12:13], s[18:19]
.LBB98_152:                             ;   in Loop: Header=BB98_6 Depth=1
	s_or_b64 exec, exec, s[2:3]
	s_mov_b64 s[34:35], 0
	s_mov_b64 s[84:85], -1
.LBB98_153:                             ;   in Loop: Header=BB98_6 Depth=1
	s_orn2_b64 s[2:3], s[12:13], exec
.LBB98_154:                             ;   in Loop: Header=BB98_6 Depth=1
	s_or_b64 exec, exec, s[16:17]
	s_mov_b64 s[12:13], 0
	s_and_saveexec_b64 s[94:95], s[2:3]
	s_cbranch_execz .LBB98_247
; %bb.155:                              ;   in Loop: Header=BB98_6 Depth=1
	s_xor_b64 s[14:15], s[14:15], -1
	v_mov_b32_e32 v12, 1
	v_mov_b32_e32 v1, 1
	s_and_saveexec_b64 s[2:3], s[14:15]
	s_cbranch_execz .LBB98_164
; %bb.156:                              ;   in Loop: Header=BB98_6 Depth=1
	v_cmp_ge_u32_e32 vcc, s50, v4
	s_and_saveexec_b64 s[12:13], vcc
	s_xor_b64 s[12:13], exec, s[12:13]
	s_cbranch_execz .LBB98_161
; %bb.157:                              ;   in Loop: Header=BB98_6 Depth=1
	v_and_b32_e32 v1, s39, v3
	v_lshl_or_b32 v3, 1, s5, v1
	ds_read_b32 v1, v9 offset:4096
	v_or_b32_e32 v2, s38, v2
	s_waitcnt lgkmcnt(0)
	v_cmp_ne_u32_e32 vcc, 0, v1
	s_cbranch_vccnz .LBB98_161
; %bb.158:                              ;   in Loop: Header=BB98_6 Depth=1
	s_mov_b64 s[14:15], exec
	v_readlane_b32 s16, v52, 14
	v_readlane_b32 s17, v52, 15
	s_and_b64 s[16:17], s[14:15], s[16:17]
	s_mov_b64 exec, s[16:17]
; %bb.159:                              ;   in Loop: Header=BB98_6 Depth=1
	v_mov_b32_e32 v1, s50
	ds_write_b32 v9, v1 offset:4100
; %bb.160:                              ;   in Loop: Header=BB98_6 Depth=1
	s_or_b64 exec, exec, s[14:15]
	s_waitcnt lgkmcnt(0)
	s_barrier
.LBB98_161:                             ;   in Loop: Header=BB98_6 Depth=1
	s_or_saveexec_b64 s[12:13], s[12:13]
	s_mov_b64 s[14:15], 0
	v_mov_b32_e32 v1, 8
	s_xor_b64 exec, exec, s[12:13]
; %bb.162:                              ;   in Loop: Header=BB98_6 Depth=1
	s_mov_b64 s[14:15], exec
	v_subrev_u32_e32 v4, s50, v4
	v_mov_b32_e32 v1, 0
; %bb.163:                              ;   in Loop: Header=BB98_6 Depth=1
	s_or_b64 exec, exec, s[12:13]
	s_and_b64 s[12:13], s[14:15], exec
	v_mov_b32_e32 v12, v4
.LBB98_164:                             ;   in Loop: Header=BB98_6 Depth=1
	s_or_b64 exec, exec, s[2:3]
	s_mov_b64 s[2:3], -1
                                        ; implicit-def: $sgpr14_sgpr15
                                        ; kill: killed $sgpr14_sgpr15
                                        ; implicit-def: $sgpr42_sgpr43
	s_and_saveexec_b64 s[40:41], s[12:13]
	s_cbranch_execz .LBB98_246
; %bb.165:                              ;   in Loop: Header=BB98_6 Depth=1
	s_cmp_eq_u32 s51, 1
	s_cselect_b64 s[2:3], -1, 0
	v_cmp_eq_u32_e32 vcc, 1, v12
	s_and_b64 s[14:15], s[2:3], vcc
	s_mov_b64 s[2:3], -1
                                        ; implicit-def: $sgpr42_sgpr43
                                        ; implicit-def: $sgpr12_sgpr13
                                        ; kill: killed $sgpr12_sgpr13
	s_and_saveexec_b64 s[16:17], s[14:15]
	s_cbranch_execz .LBB98_193
; %bb.166:                              ;   in Loop: Header=BB98_6 Depth=1
	ds_read_b32 v4, v9 offset:4096
	s_waitcnt lgkmcnt(0)
	s_barrier
	v_readfirstlane_b32 s45, v4
	s_mov_b64 s[2:3], exec
	v_readlane_b32 s12, v52, 29
	v_readlane_b32 s13, v52, 30
	s_and_b64 s[12:13], s[2:3], s[12:13]
	s_mov_b64 exec, s[12:13]
; %bb.167:                              ;   in Loop: Header=BB98_6 Depth=1
	ds_write_b16 v26, v9
; %bb.168:                              ;   in Loop: Header=BB98_6 Depth=1
	s_or_b64 exec, exec, s[2:3]
	s_mov_b64 s[2:3], -1
	v_and_b32_e32 v3, s39, v3
	v_writelane_b32 v52, s2, 55
	v_lshl_or_b32 v3, 2, s5, v3
	v_or_b32_e32 v2, s38, v2
	v_writelane_b32 v52, s3, 56
	s_mov_b64 s[42:43], 0
	s_cmp_eq_u32 s45, 0
	s_mov_b64 s[12:13], 0
	s_mov_b64 s[2:3], -1
	s_waitcnt lgkmcnt(0)
	s_barrier
                                        ; implicit-def: $vgpr8
	s_cbranch_scc1 .LBB98_180
; %bb.169:                              ;   in Loop: Header=BB98_6 Depth=1
	v_readlane_b32 s2, v52, 31
	s_add_i32 s2, s45, s2
	v_readlane_b32 s3, v52, 52
	s_mul_hi_u32 s3, s2, s3
	s_mul_i32 s3, s3, s8
	s_sub_i32 s3, s2, s3
	s_sub_i32 s12, s3, s8
	s_cmp_ge_u32 s3, s8
	s_cselect_b32 s3, s12, s3
	s_sub_i32 s12, s3, s8
	s_cmp_ge_u32 s3, s8
	s_cselect_b32 s3, s12, s3
	s_sub_i32 s56, s2, s3
	v_cmp_gt_u32_e32 vcc, s56, v0
	s_mov_b64 s[2:3], 0
	s_mov_b64 s[12:13], 0
                                        ; implicit-def: $vgpr8
	s_and_saveexec_b64 s[18:19], vcc
	s_cbranch_execz .LBB98_179
; %bb.170:                              ;   in Loop: Header=BB98_6 Depth=1
	v_mov_b32_e32 v4, v25
	v_mov_b32_e32 v8, v0
                                        ; implicit-def: $sgpr28_sgpr29
	s_branch .LBB98_174
.LBB98_171:                             ;   in Loop: Header=BB98_174 Depth=2
	s_or_b64 exec, exec, s[46:47]
	s_waitcnt lgkmcnt(0)
	s_barrier
	ds_read_b32 v13, v9 offset:3072
	s_waitcnt lgkmcnt(0)
	s_barrier
	v_cmp_neq_f16_e32 vcc, 0, v13
	s_cbranch_vccnz .LBB98_177
; %bb.172:                              ;   in Loop: Header=BB98_174 Depth=2
	v_add_u32_e32 v8, s8, v8
	v_cmp_le_u32_e32 vcc, s56, v8
	v_add_u32_e32 v4, s10, v4
	s_mov_b64 s[24:25], 0
	s_orn2_b64 s[46:47], vcc, exec
.LBB98_173:                             ;   in Loop: Header=BB98_174 Depth=2
	s_and_b64 s[46:47], exec, s[46:47]
	s_or_b64 s[12:13], s[46:47], s[12:13]
	s_andn2_b64 s[28:29], s[28:29], exec
	s_and_b64 s[24:25], s[24:25], exec
	s_or_b64 s[28:29], s[28:29], s[24:25]
	s_andn2_b64 exec, exec, s[12:13]
	s_cbranch_execz .LBB98_178
.LBB98_174:                             ;   Parent Loop BB98_6 Depth=1
                                        ; =>  This Inner Loop Header: Depth=2
	v_cmp_gt_u32_e32 vcc, s45, v8
	s_and_saveexec_b64 s[46:47], vcc
	s_cbranch_execz .LBB98_171
; %bb.175:                              ;   in Loop: Header=BB98_174 Depth=2
	ds_read_u16 v13, v4
	s_waitcnt lgkmcnt(0)
	v_cmp_lt_i16_e32 vcc, -1, v13
	v_cndmask_b32_e32 v14, v41, v42, vcc
	v_xor_b32_sdwa v14, v14, v13 dst_sel:DWORD dst_unused:UNUSED_PAD src0_sel:DWORD src1_sel:WORD_0
	v_cmp_o_f16_e32 vcc, v13, v13
	v_cndmask_b32_e32 v14, v41, v14, vcc
	v_and_b32_e32 v14, v14, v2
	v_cmp_eq_u32_e32 vcc, v14, v3
	s_and_b64 exec, exec, vcc
	s_cbranch_execz .LBB98_171
; %bb.176:                              ;   in Loop: Header=BB98_174 Depth=2
	v_perm_b32 v13, v13, s4, v44
	ds_write_b32 v9, v13 offset:3072
	s_branch .LBB98_171
.LBB98_177:                             ;   in Loop: Header=BB98_174 Depth=2
	s_mov_b64 s[46:47], -1
                                        ; implicit-def: $vgpr8
                                        ; implicit-def: $vgpr4
	s_mov_b64 s[24:25], -1
	s_branch .LBB98_173
.LBB98_178:                             ;   in Loop: Header=BB98_6 Depth=1
	s_or_b64 exec, exec, s[12:13]
	v_lshrrev_b32_e32 v8, 16, v13
	s_and_b64 s[12:13], s[28:29], exec
.LBB98_179:                             ;   in Loop: Header=BB98_6 Depth=1
	s_or_b64 exec, exec, s[18:19]
.LBB98_180:                             ;   in Loop: Header=BB98_6 Depth=1
	s_and_b64 vcc, exec, s[2:3]
	s_cbranch_vccz .LBB98_192
; %bb.181:                              ;   in Loop: Header=BB98_6 Depth=1
                                        ; implicit-def: $vgpr8
	s_mov_b64 s[2:3], exec
	v_readlane_b32 s18, v52, 53
	v_readlane_b32 s19, v52, 54
	s_and_b64 s[18:19], s[2:3], s[18:19]
	s_mov_b64 exec, s[18:19]
	s_cbranch_execz .LBB98_191
; %bb.182:                              ;   in Loop: Header=BB98_6 Depth=1
	s_mov_b64 s[18:19], 0
	v_mov_b32_e32 v8, v7
	v_mov_b32_e32 v4, v0
                                        ; implicit-def: $sgpr28_sgpr29
	s_branch .LBB98_186
.LBB98_183:                             ;   in Loop: Header=BB98_186 Depth=2
	s_or_b64 exec, exec, s[42:43]
	s_waitcnt lgkmcnt(0)
	s_barrier
	ds_read_b32 v13, v9 offset:3072
	s_waitcnt lgkmcnt(0)
	s_barrier
	v_cmp_eq_f16_e32 vcc, 0, v13
	s_cbranch_vccz .LBB98_189
; %bb.184:                              ;   in Loop: Header=BB98_186 Depth=2
	v_add_u32_e32 v4, s8, v4
	v_cmp_le_u32_e32 vcc, s22, v4
	v_add_u32_e32 v8, s52, v8
	s_mov_b64 s[24:25], 0
	s_orn2_b64 s[42:43], vcc, exec
.LBB98_185:                             ;   in Loop: Header=BB98_186 Depth=2
	s_and_b64 s[42:43], exec, s[42:43]
	s_or_b64 s[18:19], s[42:43], s[18:19]
	s_andn2_b64 s[28:29], s[28:29], exec
	s_and_b64 s[24:25], s[24:25], exec
	s_or_b64 s[28:29], s[28:29], s[24:25]
	s_andn2_b64 exec, exec, s[18:19]
	s_cbranch_execz .LBB98_190
.LBB98_186:                             ;   Parent Loop BB98_6 Depth=1
                                        ; =>  This Inner Loop Header: Depth=2
	v_cmp_gt_u32_e32 vcc, s36, v4
	s_and_saveexec_b64 s[42:43], vcc
	s_cbranch_execz .LBB98_183
; %bb.187:                              ;   in Loop: Header=BB98_186 Depth=2
	v_lshlrev_b64 v[13:14], 1, v[8:9]
	v_mov_b32_e32 v15, s48
	v_add_co_u32_e32 v13, vcc, s33, v13
	v_addc_co_u32_e32 v14, vcc, v15, v14, vcc
	global_load_ushort v13, v[13:14], off
	s_waitcnt vmcnt(0)
	v_cmp_lt_i16_e32 vcc, -1, v13
	v_cndmask_b32_e32 v14, v41, v42, vcc
	v_xor_b32_sdwa v14, v14, v13 dst_sel:DWORD dst_unused:UNUSED_PAD src0_sel:DWORD src1_sel:WORD_0
	v_cmp_o_f16_e32 vcc, v13, v13
	v_cndmask_b32_e32 v14, v41, v14, vcc
	v_and_b32_e32 v14, v14, v2
	v_cmp_eq_u32_e32 vcc, v14, v3
	s_and_b64 exec, exec, vcc
	s_cbranch_execz .LBB98_183
; %bb.188:                              ;   in Loop: Header=BB98_186 Depth=2
	v_perm_b32 v13, v13, s4, v44
	ds_write_b32 v9, v13 offset:3072
	s_branch .LBB98_183
.LBB98_189:                             ;   in Loop: Header=BB98_186 Depth=2
	s_mov_b64 s[42:43], -1
                                        ; implicit-def: $vgpr4
	s_mov_b64 s[24:25], -1
	s_branch .LBB98_185
.LBB98_190:                             ;   in Loop: Header=BB98_6 Depth=1
	s_or_b64 exec, exec, s[18:19]
	s_andn2_b64 s[12:13], s[12:13], exec
	s_and_b64 s[18:19], s[28:29], exec
	v_lshrrev_b32_e32 v8, 16, v13
	s_or_b64 s[12:13], s[12:13], s[18:19]
.LBB98_191:                             ;   in Loop: Header=BB98_6 Depth=1
	s_or_b64 exec, exec, s[2:3]
	s_mov_b64 s[2:3], 0
	v_writelane_b32 v52, s2, 55
	v_writelane_b32 v52, s3, 56
	s_mov_b64 s[42:43], -1
.LBB98_192:                             ;   in Loop: Header=BB98_6 Depth=1
	s_orn2_b64 s[2:3], s[12:13], exec
.LBB98_193:                             ;   in Loop: Header=BB98_6 Depth=1
	s_or_b64 exec, exec, s[16:17]
	s_mov_b64 s[12:13], 0
	s_and_saveexec_b64 s[46:47], s[2:3]
	s_cbranch_execz .LBB98_245
; %bb.194:                              ;   in Loop: Header=BB98_6 Depth=1
	s_xor_b64 s[14:15], s[14:15], -1
	v_mov_b32_e32 v4, 1
	v_mov_b32_e32 v1, 1
	s_and_saveexec_b64 s[2:3], s[14:15]
	s_cbranch_execz .LBB98_203
; %bb.195:                              ;   in Loop: Header=BB98_6 Depth=1
	v_cmp_ge_u32_e32 vcc, s51, v12
	s_and_saveexec_b64 s[12:13], vcc
	s_xor_b64 s[12:13], exec, s[12:13]
	s_cbranch_execz .LBB98_200
; %bb.196:                              ;   in Loop: Header=BB98_6 Depth=1
	v_and_b32_e32 v1, s39, v3
	v_lshl_or_b32 v3, 2, s5, v1
	ds_read_b32 v1, v9 offset:4096
	v_or_b32_e32 v2, s38, v2
	s_waitcnt lgkmcnt(0)
	v_cmp_ne_u32_e32 vcc, 0, v1
	s_cbranch_vccnz .LBB98_200
; %bb.197:                              ;   in Loop: Header=BB98_6 Depth=1
	s_mov_b64 s[14:15], exec
	v_readlane_b32 s16, v52, 14
	v_readlane_b32 s17, v52, 15
	s_and_b64 s[16:17], s[14:15], s[16:17]
	s_mov_b64 exec, s[16:17]
; %bb.198:                              ;   in Loop: Header=BB98_6 Depth=1
	v_mov_b32_e32 v1, s51
	ds_write_b32 v9, v1 offset:4100
; %bb.199:                              ;   in Loop: Header=BB98_6 Depth=1
	s_or_b64 exec, exec, s[14:15]
	s_waitcnt lgkmcnt(0)
	s_barrier
.LBB98_200:                             ;   in Loop: Header=BB98_6 Depth=1
	s_or_saveexec_b64 s[12:13], s[12:13]
	s_mov_b64 s[14:15], 0
	v_mov_b32_e32 v1, 8
	s_xor_b64 exec, exec, s[12:13]
; %bb.201:                              ;   in Loop: Header=BB98_6 Depth=1
	s_mov_b64 s[14:15], exec
	v_subrev_u32_e32 v12, s51, v12
	v_mov_b32_e32 v1, 0
; %bb.202:                              ;   in Loop: Header=BB98_6 Depth=1
	s_or_b64 exec, exec, s[12:13]
	s_and_b64 s[12:13], s[14:15], exec
	v_mov_b32_e32 v4, v12
.LBB98_203:                             ;   in Loop: Header=BB98_6 Depth=1
	s_or_b64 exec, exec, s[2:3]
	s_mov_b64 s[2:3], -1
                                        ; implicit-def: $sgpr28_sgpr29
                                        ; implicit-def: $sgpr18_sgpr19
	s_and_saveexec_b64 s[14:15], s[12:13]
	s_cbranch_execz .LBB98_244
; %bb.204:                              ;   in Loop: Header=BB98_6 Depth=1
	s_cmp_eq_u32 s44, 1
	s_cselect_b64 s[2:3], -1, 0
	v_cmp_eq_u32_e32 vcc, 1, v4
	s_mov_b64 s[56:57], -1
	s_and_b64 s[2:3], s[2:3], vcc
                                        ; implicit-def: $sgpr28_sgpr29
                                        ; implicit-def: $sgpr18_sgpr19
	s_mov_b64 s[12:13], exec
	v_writelane_b32 v52, s2, 57
	v_writelane_b32 v52, s3, 58
	s_and_b64 s[2:3], s[12:13], s[2:3]
	s_mov_b64 exec, s[2:3]
	s_cbranch_execz .LBB98_232
; %bb.205:                              ;   in Loop: Header=BB98_6 Depth=1
	ds_read_b32 v8, v9 offset:4096
	s_waitcnt lgkmcnt(0)
	s_barrier
	v_readfirstlane_b32 s45, v8
	s_mov_b64 s[2:3], exec
	v_readlane_b32 s16, v52, 29
	v_readlane_b32 s17, v52, 30
	s_and_b64 s[16:17], s[2:3], s[16:17]
	s_mov_b64 exec, s[16:17]
; %bb.206:                              ;   in Loop: Header=BB98_6 Depth=1
	ds_write_b16 v26, v9
; %bb.207:                              ;   in Loop: Header=BB98_6 Depth=1
	s_or_b64 exec, exec, s[2:3]
	v_or_b32_e32 v3, s38, v3
	v_or_b32_e32 v2, s38, v2
	s_mov_b64 s[18:19], -1
	s_mov_b64 s[28:29], 0
	s_cmp_eq_u32 s45, 0
	s_mov_b64 s[2:3], 0
	s_waitcnt lgkmcnt(0)
	s_barrier
                                        ; implicit-def: $vgpr8
	s_cbranch_scc1 .LBB98_219
; %bb.208:                              ;   in Loop: Header=BB98_6 Depth=1
	v_readlane_b32 s2, v52, 31
	s_add_i32 s2, s45, s2
	v_readlane_b32 s3, v52, 52
	s_mul_hi_u32 s3, s2, s3
	s_mul_i32 s3, s3, s8
	s_sub_i32 s3, s2, s3
	s_sub_i32 s16, s3, s8
	s_cmp_ge_u32 s3, s8
	s_cselect_b32 s3, s16, s3
	s_sub_i32 s16, s3, s8
	s_cmp_ge_u32 s3, s8
	s_cselect_b32 s3, s16, s3
	s_sub_i32 s16, s2, s3
	v_cmp_gt_u32_e32 vcc, s16, v0
	s_mov_b64 s[56:57], 0
	s_mov_b64 s[2:3], 0
                                        ; implicit-def: $vgpr8
	s_and_saveexec_b64 s[58:59], vcc
	s_cbranch_execz .LBB98_218
; %bb.209:                              ;   in Loop: Header=BB98_6 Depth=1
	v_mov_b32_e32 v8, v25
	v_mov_b32_e32 v12, v0
                                        ; implicit-def: $sgpr60_sgpr61
	s_branch .LBB98_213
.LBB98_210:                             ;   in Loop: Header=BB98_213 Depth=2
	s_or_b64 exec, exec, s[24:25]
	s_waitcnt lgkmcnt(0)
	s_barrier
	ds_read_b32 v13, v9 offset:3072
	s_waitcnt lgkmcnt(0)
	s_barrier
	v_cmp_neq_f16_e32 vcc, 0, v13
	s_cbranch_vccnz .LBB98_216
; %bb.211:                              ;   in Loop: Header=BB98_213 Depth=2
	v_add_u32_e32 v12, s8, v12
	v_cmp_le_u32_e32 vcc, s16, v12
	v_add_u32_e32 v8, s10, v8
	s_mov_b64 s[24:25], 0
	s_orn2_b64 vcc, vcc, exec
.LBB98_212:                             ;   in Loop: Header=BB98_213 Depth=2
	s_and_b64 vcc, exec, vcc
	s_or_b64 s[2:3], vcc, s[2:3]
	s_andn2_b64 s[60:61], s[60:61], exec
	s_and_b64 s[24:25], s[24:25], exec
	s_or_b64 s[60:61], s[60:61], s[24:25]
	s_andn2_b64 exec, exec, s[2:3]
	s_cbranch_execz .LBB98_217
.LBB98_213:                             ;   Parent Loop BB98_6 Depth=1
                                        ; =>  This Inner Loop Header: Depth=2
	v_cmp_gt_u32_e32 vcc, s45, v12
	s_and_saveexec_b64 s[24:25], vcc
	s_cbranch_execz .LBB98_210
; %bb.214:                              ;   in Loop: Header=BB98_213 Depth=2
	ds_read_u16 v13, v8
	s_waitcnt lgkmcnt(0)
	v_cmp_lt_i16_e32 vcc, -1, v13
	v_cndmask_b32_e32 v14, v41, v42, vcc
	v_xor_b32_sdwa v14, v14, v13 dst_sel:DWORD dst_unused:UNUSED_PAD src0_sel:DWORD src1_sel:WORD_0
	v_cmp_o_f16_e32 vcc, v13, v13
	v_cndmask_b32_e32 v14, v41, v14, vcc
	v_and_b32_e32 v14, v14, v2
	v_cmp_eq_u32_e32 vcc, v14, v3
	s_and_b64 exec, exec, vcc
	s_cbranch_execz .LBB98_210
; %bb.215:                              ;   in Loop: Header=BB98_213 Depth=2
	v_perm_b32 v13, v13, s4, v44
	ds_write_b32 v9, v13 offset:3072
	s_branch .LBB98_210
.LBB98_216:                             ;   in Loop: Header=BB98_213 Depth=2
	s_mov_b64 vcc, -1
                                        ; implicit-def: $vgpr12
                                        ; implicit-def: $vgpr8
	s_mov_b64 s[24:25], -1
	s_branch .LBB98_212
.LBB98_217:                             ;   in Loop: Header=BB98_6 Depth=1
	s_or_b64 exec, exec, s[2:3]
	v_lshrrev_b32_e32 v8, 16, v13
	s_and_b64 s[2:3], s[60:61], exec
.LBB98_218:                             ;   in Loop: Header=BB98_6 Depth=1
	s_or_b64 exec, exec, s[58:59]
.LBB98_219:                             ;   in Loop: Header=BB98_6 Depth=1
	s_and_b64 vcc, exec, s[56:57]
	s_cbranch_vccz .LBB98_231
; %bb.220:                              ;   in Loop: Header=BB98_6 Depth=1
                                        ; implicit-def: $vgpr8
	s_mov_b64 s[18:19], exec
	v_readlane_b32 s16, v52, 53
	v_readlane_b32 s17, v52, 54
	s_and_b64 s[16:17], s[18:19], s[16:17]
	s_mov_b64 exec, s[16:17]
	s_cbranch_execz .LBB98_230
; %bb.221:                              ;   in Loop: Header=BB98_6 Depth=1
	s_mov_b64 s[28:29], 0
	v_mov_b32_e32 v8, v7
	v_mov_b32_e32 v12, v0
                                        ; implicit-def: $sgpr56_sgpr57
	s_branch .LBB98_225
.LBB98_222:                             ;   in Loop: Header=BB98_225 Depth=2
	s_or_b64 exec, exec, s[58:59]
	s_waitcnt lgkmcnt(0)
	s_barrier
	ds_read_b32 v13, v9 offset:3072
	s_waitcnt lgkmcnt(0)
	s_barrier
	v_cmp_eq_f16_e32 vcc, 0, v13
	s_cbranch_vccz .LBB98_228
; %bb.223:                              ;   in Loop: Header=BB98_225 Depth=2
	v_add_u32_e32 v12, s8, v12
	v_cmp_le_u32_e32 vcc, s22, v12
	v_add_u32_e32 v8, s52, v8
	s_mov_b64 s[24:25], 0
	s_orn2_b64 s[58:59], vcc, exec
.LBB98_224:                             ;   in Loop: Header=BB98_225 Depth=2
	s_and_b64 s[16:17], exec, s[58:59]
	s_or_b64 s[28:29], s[16:17], s[28:29]
	s_andn2_b64 s[16:17], s[56:57], exec
	s_and_b64 s[24:25], s[24:25], exec
	s_or_b64 s[56:57], s[16:17], s[24:25]
	s_andn2_b64 exec, exec, s[28:29]
	s_cbranch_execz .LBB98_229
.LBB98_225:                             ;   Parent Loop BB98_6 Depth=1
                                        ; =>  This Inner Loop Header: Depth=2
	v_cmp_gt_u32_e32 vcc, s36, v12
	s_and_saveexec_b64 s[58:59], vcc
	s_cbranch_execz .LBB98_222
; %bb.226:                              ;   in Loop: Header=BB98_225 Depth=2
	v_lshlrev_b64 v[13:14], 1, v[8:9]
	v_mov_b32_e32 v15, s48
	v_add_co_u32_e32 v13, vcc, s33, v13
	v_addc_co_u32_e32 v14, vcc, v15, v14, vcc
	global_load_ushort v13, v[13:14], off
	s_waitcnt vmcnt(0)
	v_cmp_lt_i16_e32 vcc, -1, v13
	v_cndmask_b32_e32 v14, v41, v42, vcc
	v_xor_b32_sdwa v14, v14, v13 dst_sel:DWORD dst_unused:UNUSED_PAD src0_sel:DWORD src1_sel:WORD_0
	v_cmp_o_f16_e32 vcc, v13, v13
	v_cndmask_b32_e32 v14, v41, v14, vcc
	v_and_b32_e32 v14, v14, v2
	v_cmp_eq_u32_e32 vcc, v14, v3
	s_and_b64 exec, exec, vcc
	s_cbranch_execz .LBB98_222
; %bb.227:                              ;   in Loop: Header=BB98_225 Depth=2
	v_perm_b32 v13, v13, s4, v44
	ds_write_b32 v9, v13 offset:3072
	s_branch .LBB98_222
.LBB98_228:                             ;   in Loop: Header=BB98_225 Depth=2
	s_mov_b64 s[58:59], -1
                                        ; implicit-def: $vgpr12
	s_mov_b64 s[24:25], -1
	s_branch .LBB98_224
.LBB98_229:                             ;   in Loop: Header=BB98_6 Depth=1
	s_or_b64 exec, exec, s[28:29]
	s_andn2_b64 s[2:3], s[2:3], exec
	s_and_b64 s[16:17], s[56:57], exec
	v_lshrrev_b32_e32 v8, 16, v13
	s_or_b64 s[2:3], s[2:3], s[16:17]
.LBB98_230:                             ;   in Loop: Header=BB98_6 Depth=1
	s_or_b64 exec, exec, s[18:19]
	s_mov_b64 s[18:19], 0
	s_mov_b64 s[28:29], -1
.LBB98_231:                             ;   in Loop: Header=BB98_6 Depth=1
	s_orn2_b64 s[56:57], s[2:3], exec
.LBB98_232:                             ;   in Loop: Header=BB98_6 Depth=1
	s_or_b64 exec, exec, s[12:13]
	s_mov_b64 s[12:13], 0
	s_and_saveexec_b64 s[2:3], s[56:57]
	s_cbranch_execz .LBB98_243
; %bb.233:                              ;   in Loop: Header=BB98_6 Depth=1
	v_readlane_b32 s12, v52, 57
	v_readlane_b32 s13, v52, 58
	s_xor_b64 s[16:17], s[12:13], -1
	v_mov_b32_e32 v1, 1
	v_mov_b32_e32 v12, 1
	s_and_saveexec_b64 s[12:13], s[16:17]
	s_cbranch_execz .LBB98_242
; %bb.234:                              ;   in Loop: Header=BB98_6 Depth=1
	v_cmp_ge_u32_e32 vcc, s44, v4
	s_and_saveexec_b64 s[16:17], vcc
	s_xor_b64 s[16:17], exec, s[16:17]
	s_cbranch_execz .LBB98_239
; %bb.235:                              ;   in Loop: Header=BB98_6 Depth=1
	ds_read_b32 v1, v9 offset:4096
	v_or_b32_e32 v3, s38, v3
	v_or_b32_e32 v2, s38, v2
	s_waitcnt lgkmcnt(0)
	v_cmp_ne_u32_e32 vcc, 0, v1
	s_cbranch_vccnz .LBB98_239
; %bb.236:                              ;   in Loop: Header=BB98_6 Depth=1
	s_mov_b64 s[24:25], exec
	v_readlane_b32 s56, v52, 14
	v_readlane_b32 s57, v52, 15
	s_and_b64 s[56:57], s[24:25], s[56:57]
	s_mov_b64 exec, s[56:57]
; %bb.237:                              ;   in Loop: Header=BB98_6 Depth=1
	v_mov_b32_e32 v1, s44
	ds_write_b32 v9, v1 offset:4100
; %bb.238:                              ;   in Loop: Header=BB98_6 Depth=1
	s_or_b64 exec, exec, s[24:25]
	s_waitcnt lgkmcnt(0)
	s_barrier
.LBB98_239:                             ;   in Loop: Header=BB98_6 Depth=1
	s_andn2_saveexec_b64 s[16:17], s[16:17]
; %bb.240:                              ;   in Loop: Header=BB98_6 Depth=1
	v_subrev_u32_e32 v4, s44, v4
; %bb.241:                              ;   in Loop: Header=BB98_6 Depth=1
	s_or_b64 exec, exec, s[16:17]
	v_mov_b32_e32 v1, 8
	v_mov_b32_e32 v12, v4
.LBB98_242:                             ;   in Loop: Header=BB98_6 Depth=1
	s_or_b64 exec, exec, s[12:13]
	s_mov_b64 s[12:13], exec
	v_mov_b32_e32 v4, v12
.LBB98_243:                             ;   in Loop: Header=BB98_6 Depth=1
	s_or_b64 exec, exec, s[2:3]
	s_orn2_b64 s[2:3], s[12:13], exec
.LBB98_244:                             ;   in Loop: Header=BB98_6 Depth=1
	s_or_b64 exec, exec, s[14:15]
	s_andn2_b64 s[12:13], s[42:43], exec
	s_and_b64 s[14:15], s[28:29], exec
	s_or_b64 s[42:43], s[12:13], s[14:15]
	v_readlane_b32 s12, v52, 55
	v_readlane_b32 s13, v52, 56
	s_andn2_b64 s[12:13], s[12:13], exec
	s_and_b64 s[14:15], s[18:19], exec
	s_or_b64 s[12:13], s[12:13], s[14:15]
	v_writelane_b32 v52, s12, 55
	v_writelane_b32 v52, s13, 56
	s_and_b64 s[12:13], s[2:3], exec
	v_mov_b32_e32 v12, v4
.LBB98_245:                             ;   in Loop: Header=BB98_6 Depth=1
	s_or_b64 exec, exec, s[46:47]
	s_orn2_b64 s[2:3], s[12:13], exec
.LBB98_246:                             ;   in Loop: Header=BB98_6 Depth=1
	s_or_b64 exec, exec, s[40:41]
	s_andn2_b64 s[12:13], s[84:85], exec
	s_and_b64 s[14:15], s[42:43], exec
	s_or_b64 s[84:85], s[12:13], s[14:15]
	v_readlane_b32 s14, v52, 55
	v_readlane_b32 s15, v52, 56
	s_andn2_b64 s[12:13], s[34:35], exec
	s_and_b64 s[14:15], s[14:15], exec
	s_or_b64 s[34:35], s[12:13], s[14:15]
	s_and_b64 s[12:13], s[2:3], exec
	v_mov_b32_e32 v4, v12
.LBB98_247:                             ;   in Loop: Header=BB98_6 Depth=1
	s_or_b64 exec, exec, s[94:95]
	s_orn2_b64 s[2:3], s[12:13], exec
.LBB98_248:                             ;   in Loop: Header=BB98_6 Depth=1
	s_or_b64 exec, exec, s[6:7]
	s_mov_b64 s[6:7], 0
	s_mov_b64 s[12:13], 0
	s_and_saveexec_b64 s[14:15], s[2:3]
	s_xor_b64 s[2:3], exec, s[14:15]
; %bb.249:                              ;   in Loop: Header=BB98_6 Depth=1
	v_cmp_eq_u32_e32 vcc, 8, v1
	v_cmp_ne_u32_e64 s[6:7], 8, v1
	s_and_b64 s[12:13], s[6:7], exec
	s_and_b64 s[6:7], vcc, exec
; %bb.250:                              ;   in Loop: Header=BB98_6 Depth=1
	s_or_b64 exec, exec, s[2:3]
	s_andn2_b64 s[2:3], s[88:89], exec
	s_and_b64 s[14:15], s[84:85], exec
	s_or_b64 s[88:89], s[2:3], s[14:15]
	s_andn2_b64 s[2:3], s[86:87], exec
	s_and_b64 s[14:15], s[34:35], exec
	s_or_b64 s[86:87], s[2:3], s[14:15]
	s_and_b64 s[34:35], s[12:13], exec
	s_and_b64 s[84:85], s[6:7], exec
.LBB98_251:                             ;   in Loop: Header=BB98_6 Depth=1
	s_or_b64 exec, exec, s[92:93]
.LBB98_252:                             ;   in Loop: Header=BB98_6 Depth=1
	s_and_b64 vcc, exec, s[90:91]
	s_cbranch_vccz .LBB98_266
; %bb.253:                              ;   in Loop: Header=BB98_6 Depth=1
	s_cmp_eq_u32 s44, 1
	s_cselect_b64 s[2:3], -1, 0
	s_and_b64 s[6:7], s[2:3], s[26:27]
	s_mov_b64 s[2:3], -1
                                        ; implicit-def: $sgpr26_sgpr27
                                        ; implicit-def: $sgpr30_sgpr31
	s_and_saveexec_b64 s[14:15], s[6:7]
	s_cbranch_execz .LBB98_282
; %bb.254:                              ;   in Loop: Header=BB98_6 Depth=1
	ds_read_b32 v1, v9 offset:4096
	s_waitcnt lgkmcnt(0)
	s_barrier
	v_readfirstlane_b32 s40, v1
	s_mov_b64 s[2:3], exec
	v_readlane_b32 s12, v52, 29
	v_readlane_b32 s13, v52, 30
	s_and_b64 s[12:13], s[2:3], s[12:13]
	s_mov_b64 exec, s[12:13]
; %bb.255:                              ;   in Loop: Header=BB98_6 Depth=1
	ds_write_b16 v26, v9
; %bb.256:                              ;   in Loop: Header=BB98_6 Depth=1
	s_or_b64 exec, exec, s[2:3]
	v_or_b32_e32 v37, s38, v37
	v_or_b32_e32 v45, s38, v45
	s_mov_b64 s[30:31], -1
	s_mov_b64 s[26:27], 0
	s_cmp_eq_u32 s40, 0
	s_mov_b64 s[12:13], 0
	s_mov_b64 s[2:3], -1
	s_waitcnt lgkmcnt(0)
	s_barrier
                                        ; implicit-def: $vgpr46
	s_cbranch_scc1 .LBB98_269
; %bb.257:                              ;   in Loop: Header=BB98_6 Depth=1
	v_readlane_b32 s2, v52, 31
	s_add_i32 s2, s40, s2
	v_readlane_b32 s3, v52, 52
	s_mul_hi_u32 s3, s2, s3
	s_mul_i32 s3, s3, s8
	s_sub_i32 s3, s2, s3
	s_sub_i32 s12, s3, s8
	s_cmp_ge_u32 s3, s8
	s_cselect_b32 s3, s12, s3
	s_sub_i32 s12, s3, s8
	s_cmp_ge_u32 s3, s8
	s_cselect_b32 s3, s12, s3
	s_sub_i32 s41, s2, s3
	v_cmp_gt_u32_e32 vcc, s41, v0
	s_mov_b64 s[2:3], 0
	s_mov_b64 s[12:13], 0
                                        ; implicit-def: $vgpr46
	s_and_saveexec_b64 s[16:17], vcc
	s_cbranch_execz .LBB98_268
; %bb.258:                              ;   in Loop: Header=BB98_6 Depth=1
	v_mov_b32_e32 v1, v25
	v_mov_b32_e32 v2, v0
                                        ; implicit-def: $sgpr18_sgpr19
	s_branch .LBB98_262
.LBB98_259:                             ;   in Loop: Header=BB98_262 Depth=2
	s_or_b64 exec, exec, s[28:29]
	s_waitcnt lgkmcnt(0)
	s_barrier
	ds_read_b32 v3, v9 offset:3072
	s_waitcnt lgkmcnt(0)
	s_barrier
	v_cmp_neq_f16_e32 vcc, 0, v3
	s_cbranch_vccnz .LBB98_265
; %bb.260:                              ;   in Loop: Header=BB98_262 Depth=2
	v_add_u32_e32 v2, s8, v2
	v_cmp_le_u32_e32 vcc, s41, v2
	v_add_u32_e32 v1, s10, v1
	s_mov_b64 s[24:25], 0
	s_orn2_b64 s[28:29], vcc, exec
.LBB98_261:                             ;   in Loop: Header=BB98_262 Depth=2
	s_and_b64 s[28:29], exec, s[28:29]
	s_or_b64 s[12:13], s[28:29], s[12:13]
	s_andn2_b64 s[18:19], s[18:19], exec
	s_and_b64 s[24:25], s[24:25], exec
	s_or_b64 s[18:19], s[18:19], s[24:25]
	s_andn2_b64 exec, exec, s[12:13]
	s_cbranch_execz .LBB98_267
.LBB98_262:                             ;   Parent Loop BB98_6 Depth=1
                                        ; =>  This Inner Loop Header: Depth=2
	v_cmp_gt_u32_e32 vcc, s40, v2
	s_and_saveexec_b64 s[28:29], vcc
	s_cbranch_execz .LBB98_259
; %bb.263:                              ;   in Loop: Header=BB98_262 Depth=2
	ds_read_u16 v3, v1
	s_waitcnt lgkmcnt(0)
	v_cmp_lt_i16_e32 vcc, -1, v3
	v_cndmask_b32_e32 v4, v41, v42, vcc
	v_xor_b32_sdwa v4, v4, v3 dst_sel:DWORD dst_unused:UNUSED_PAD src0_sel:DWORD src1_sel:WORD_0
	v_cmp_o_f16_e32 vcc, v3, v3
	v_cndmask_b32_e32 v4, v41, v4, vcc
	v_and_b32_e32 v4, v4, v45
	v_cmp_eq_u32_e32 vcc, v4, v37
	s_and_b64 exec, exec, vcc
	s_cbranch_execz .LBB98_259
; %bb.264:                              ;   in Loop: Header=BB98_262 Depth=2
	v_perm_b32 v3, v3, s4, v44
	ds_write_b32 v9, v3 offset:3072
	s_branch .LBB98_259
.LBB98_265:                             ;   in Loop: Header=BB98_262 Depth=2
	s_mov_b64 s[28:29], -1
                                        ; implicit-def: $vgpr2
                                        ; implicit-def: $vgpr1
	s_mov_b64 s[24:25], -1
	s_branch .LBB98_261
.LBB98_266:                             ;   in Loop: Header=BB98_6 Depth=1
	s_mov_b64 s[26:27], 0
	v_mov_b32_e32 v37, v3
	v_mov_b32_e32 v45, v2
	;; [unrolled: 1-line block ×3, first 2 shown]
	s_and_saveexec_b64 s[2:3], s[84:85]
	s_cbranch_execnz .LBB98_419
	s_branch .LBB98_420
.LBB98_267:                             ;   in Loop: Header=BB98_6 Depth=1
	s_or_b64 exec, exec, s[12:13]
	v_lshrrev_b32_e32 v46, 16, v3
	s_and_b64 s[12:13], s[18:19], exec
.LBB98_268:                             ;   in Loop: Header=BB98_6 Depth=1
	s_or_b64 exec, exec, s[16:17]
.LBB98_269:                             ;   in Loop: Header=BB98_6 Depth=1
	s_and_b64 vcc, exec, s[2:3]
	s_cbranch_vccz .LBB98_281
; %bb.270:                              ;   in Loop: Header=BB98_6 Depth=1
                                        ; implicit-def: $vgpr46
	s_mov_b64 s[2:3], exec
	v_readlane_b32 s16, v52, 53
	v_readlane_b32 s17, v52, 54
	s_and_b64 s[16:17], s[2:3], s[16:17]
	s_mov_b64 exec, s[16:17]
	s_cbranch_execz .LBB98_280
; %bb.271:                              ;   in Loop: Header=BB98_6 Depth=1
	s_mov_b64 s[16:17], 0
	v_mov_b32_e32 v8, v7
	v_mov_b32_e32 v1, v0
                                        ; implicit-def: $sgpr18_sgpr19
	s_branch .LBB98_275
.LBB98_272:                             ;   in Loop: Header=BB98_275 Depth=2
	s_or_b64 exec, exec, s[26:27]
	s_waitcnt lgkmcnt(0)
	s_barrier
	ds_read_b32 v2, v9 offset:3072
	s_waitcnt lgkmcnt(0)
	s_barrier
	v_cmp_neq_f16_e32 vcc, 0, v2
	s_cbranch_vccnz .LBB98_278
; %bb.273:                              ;   in Loop: Header=BB98_275 Depth=2
	v_add_u32_e32 v1, s8, v1
	v_cmp_le_u32_e32 vcc, s22, v1
	v_add_u32_e32 v8, s52, v8
	s_mov_b64 s[24:25], 0
	s_orn2_b64 s[26:27], vcc, exec
.LBB98_274:                             ;   in Loop: Header=BB98_275 Depth=2
	s_and_b64 s[26:27], exec, s[26:27]
	s_or_b64 s[16:17], s[26:27], s[16:17]
	s_andn2_b64 s[18:19], s[18:19], exec
	s_and_b64 s[24:25], s[24:25], exec
	s_or_b64 s[18:19], s[18:19], s[24:25]
	s_andn2_b64 exec, exec, s[16:17]
	s_cbranch_execz .LBB98_279
.LBB98_275:                             ;   Parent Loop BB98_6 Depth=1
                                        ; =>  This Inner Loop Header: Depth=2
	v_cmp_gt_u32_e32 vcc, s36, v1
	s_and_saveexec_b64 s[26:27], vcc
	s_cbranch_execz .LBB98_272
; %bb.276:                              ;   in Loop: Header=BB98_275 Depth=2
	v_lshlrev_b64 v[2:3], 1, v[8:9]
	v_mov_b32_e32 v4, s48
	v_add_co_u32_e32 v2, vcc, s33, v2
	v_addc_co_u32_e32 v3, vcc, v4, v3, vcc
	global_load_ushort v2, v[2:3], off
	s_waitcnt vmcnt(0)
	v_cmp_lt_i16_e32 vcc, -1, v2
	v_cndmask_b32_e32 v3, v41, v42, vcc
	v_xor_b32_sdwa v3, v3, v2 dst_sel:DWORD dst_unused:UNUSED_PAD src0_sel:DWORD src1_sel:WORD_0
	v_cmp_o_f16_e32 vcc, v2, v2
	v_cndmask_b32_e32 v3, v41, v3, vcc
	v_and_b32_e32 v3, v3, v45
	v_cmp_eq_u32_e32 vcc, v3, v37
	s_and_b64 exec, exec, vcc
	s_cbranch_execz .LBB98_272
; %bb.277:                              ;   in Loop: Header=BB98_275 Depth=2
	v_perm_b32 v2, v2, s4, v44
	ds_write_b32 v9, v2 offset:3072
	s_branch .LBB98_272
.LBB98_278:                             ;   in Loop: Header=BB98_275 Depth=2
	s_mov_b64 s[26:27], -1
                                        ; implicit-def: $vgpr1
	s_mov_b64 s[24:25], -1
	s_branch .LBB98_274
.LBB98_279:                             ;   in Loop: Header=BB98_6 Depth=1
	s_or_b64 exec, exec, s[16:17]
	s_andn2_b64 s[12:13], s[12:13], exec
	s_and_b64 s[16:17], s[18:19], exec
	v_lshrrev_b32_e32 v46, 16, v2
	s_or_b64 s[12:13], s[12:13], s[16:17]
.LBB98_280:                             ;   in Loop: Header=BB98_6 Depth=1
	s_or_b64 exec, exec, s[2:3]
	s_mov_b64 s[30:31], 0
	s_mov_b64 s[26:27], -1
.LBB98_281:                             ;   in Loop: Header=BB98_6 Depth=1
	s_orn2_b64 s[2:3], s[12:13], exec
.LBB98_282:                             ;   in Loop: Header=BB98_6 Depth=1
	s_or_b64 exec, exec, s[14:15]
                                        ; implicit-def: $vgpr4
                                        ; implicit-def: $vgpr1
	s_and_saveexec_b64 s[86:87], s[2:3]
	s_cbranch_execz .LBB98_418
; %bb.283:                              ;   in Loop: Header=BB98_6 Depth=1
	s_xor_b64 s[12:13], s[6:7], -1
	s_mov_b64 s[6:7], 0
	v_mov_b32_e32 v4, 1
	v_mov_b32_e32 v1, 1
	s_and_saveexec_b64 s[2:3], s[12:13]
	s_cbranch_execz .LBB98_292
; %bb.284:                              ;   in Loop: Header=BB98_6 Depth=1
	v_cmp_ge_u32_e32 vcc, s44, v47
	s_and_saveexec_b64 s[6:7], vcc
	s_xor_b64 s[6:7], exec, s[6:7]
	s_cbranch_execz .LBB98_289
; %bb.285:                              ;   in Loop: Header=BB98_6 Depth=1
	ds_read_b32 v1, v9 offset:4096
	v_or_b32_e32 v37, s38, v37
	v_or_b32_e32 v45, s38, v45
	s_waitcnt lgkmcnt(0)
	v_cmp_ne_u32_e32 vcc, 0, v1
	s_cbranch_vccnz .LBB98_289
; %bb.286:                              ;   in Loop: Header=BB98_6 Depth=1
	s_mov_b64 s[12:13], exec
	v_readlane_b32 s14, v52, 14
	v_readlane_b32 s15, v52, 15
	s_and_b64 s[14:15], s[12:13], s[14:15]
	s_mov_b64 exec, s[14:15]
; %bb.287:                              ;   in Loop: Header=BB98_6 Depth=1
	v_mov_b32_e32 v1, s44
	ds_write_b32 v9, v1 offset:4100
; %bb.288:                              ;   in Loop: Header=BB98_6 Depth=1
	s_or_b64 exec, exec, s[12:13]
	s_waitcnt lgkmcnt(0)
	s_barrier
.LBB98_289:                             ;   in Loop: Header=BB98_6 Depth=1
	s_or_saveexec_b64 s[6:7], s[6:7]
	s_mov_b64 s[12:13], 0
	v_mov_b32_e32 v1, 5
	s_xor_b64 exec, exec, s[6:7]
; %bb.290:                              ;   in Loop: Header=BB98_6 Depth=1
	v_subrev_u32_e32 v47, s44, v47
	v_mov_b32_e32 v1, 0
	s_mov_b64 s[12:13], exec
; %bb.291:                              ;   in Loop: Header=BB98_6 Depth=1
	s_or_b64 exec, exec, s[6:7]
	s_and_b64 s[6:7], s[12:13], exec
	v_mov_b32_e32 v4, v47
.LBB98_292:                             ;   in Loop: Header=BB98_6 Depth=1
	s_or_b64 exec, exec, s[2:3]
	s_mov_b64 s[2:3], -1
                                        ; implicit-def: $sgpr88_sgpr89
                                        ; implicit-def: $sgpr90_sgpr91
	s_and_saveexec_b64 s[12:13], s[6:7]
	s_xor_b64 s[6:7], exec, s[12:13]
	s_cbranch_execz .LBB98_415
; %bb.293:                              ;   in Loop: Header=BB98_6 Depth=1
	s_cmp_eq_u32 s51, 1
	s_cselect_b64 s[2:3], -1, 0
	v_cmp_eq_u32_e32 vcc, 1, v4
	s_and_b64 s[14:15], s[2:3], vcc
	s_mov_b64 s[2:3], -1
                                        ; implicit-def: $sgpr90_sgpr91
                                        ; implicit-def: $sgpr88_sgpr89
	s_and_saveexec_b64 s[16:17], s[14:15]
	s_cbranch_execz .LBB98_321
; %bb.294:                              ;   in Loop: Header=BB98_6 Depth=1
	ds_read_b32 v2, v9 offset:4096
	s_waitcnt lgkmcnt(0)
	s_barrier
	v_readfirstlane_b32 s42, v2
	s_mov_b64 s[2:3], exec
	v_readlane_b32 s12, v52, 29
	v_readlane_b32 s13, v52, 30
	s_and_b64 s[12:13], s[2:3], s[12:13]
	s_mov_b64 exec, s[12:13]
; %bb.295:                              ;   in Loop: Header=BB98_6 Depth=1
	ds_write_b16 v26, v9
; %bb.296:                              ;   in Loop: Header=BB98_6 Depth=1
	s_or_b64 exec, exec, s[2:3]
	v_and_b32_e32 v2, s39, v37
	v_lshl_or_b32 v37, 2, s5, v2
	v_or_b32_e32 v45, s38, v45
	s_mov_b64 s[88:89], -1
	s_mov_b64 s[90:91], 0
	s_cmp_eq_u32 s42, 0
	s_mov_b64 s[12:13], 0
	s_mov_b64 s[2:3], -1
	s_waitcnt lgkmcnt(0)
	s_barrier
                                        ; implicit-def: $vgpr46
	s_cbranch_scc1 .LBB98_308
; %bb.297:                              ;   in Loop: Header=BB98_6 Depth=1
	v_readlane_b32 s2, v52, 31
	s_add_i32 s2, s42, s2
	v_readlane_b32 s3, v52, 52
	s_mul_hi_u32 s3, s2, s3
	s_mul_i32 s3, s3, s8
	s_sub_i32 s3, s2, s3
	s_sub_i32 s12, s3, s8
	s_cmp_ge_u32 s3, s8
	s_cselect_b32 s3, s12, s3
	s_sub_i32 s12, s3, s8
	s_cmp_ge_u32 s3, s8
	s_cselect_b32 s3, s12, s3
	s_sub_i32 s43, s2, s3
	v_cmp_gt_u32_e32 vcc, s43, v0
	s_mov_b64 s[2:3], 0
	s_mov_b64 s[12:13], 0
                                        ; implicit-def: $vgpr46
	s_and_saveexec_b64 s[18:19], vcc
	s_cbranch_execz .LBB98_307
; %bb.298:                              ;   in Loop: Header=BB98_6 Depth=1
	v_mov_b32_e32 v2, v25
	v_mov_b32_e32 v3, v0
                                        ; implicit-def: $sgpr28_sgpr29
	s_branch .LBB98_302
.LBB98_299:                             ;   in Loop: Header=BB98_302 Depth=2
	s_or_b64 exec, exec, s[40:41]
	s_waitcnt lgkmcnt(0)
	s_barrier
	ds_read_b32 v8, v9 offset:3072
	s_waitcnt lgkmcnt(0)
	s_barrier
	v_cmp_neq_f16_e32 vcc, 0, v8
	s_cbranch_vccnz .LBB98_305
; %bb.300:                              ;   in Loop: Header=BB98_302 Depth=2
	v_add_u32_e32 v3, s8, v3
	v_cmp_le_u32_e32 vcc, s43, v3
	v_add_u32_e32 v2, s10, v2
	s_mov_b64 s[24:25], 0
	s_orn2_b64 s[40:41], vcc, exec
.LBB98_301:                             ;   in Loop: Header=BB98_302 Depth=2
	s_and_b64 s[40:41], exec, s[40:41]
	s_or_b64 s[12:13], s[40:41], s[12:13]
	s_andn2_b64 s[28:29], s[28:29], exec
	s_and_b64 s[24:25], s[24:25], exec
	s_or_b64 s[28:29], s[28:29], s[24:25]
	s_andn2_b64 exec, exec, s[12:13]
	s_cbranch_execz .LBB98_306
.LBB98_302:                             ;   Parent Loop BB98_6 Depth=1
                                        ; =>  This Inner Loop Header: Depth=2
	v_cmp_gt_u32_e32 vcc, s42, v3
	s_and_saveexec_b64 s[40:41], vcc
	s_cbranch_execz .LBB98_299
; %bb.303:                              ;   in Loop: Header=BB98_302 Depth=2
	ds_read_u16 v8, v2
	s_waitcnt lgkmcnt(0)
	v_cmp_lt_i16_e32 vcc, -1, v8
	v_cndmask_b32_e32 v12, v41, v42, vcc
	v_xor_b32_sdwa v12, v12, v8 dst_sel:DWORD dst_unused:UNUSED_PAD src0_sel:DWORD src1_sel:WORD_0
	v_cmp_o_f16_e32 vcc, v8, v8
	v_cndmask_b32_e32 v12, v41, v12, vcc
	v_and_b32_e32 v12, v12, v45
	v_cmp_eq_u32_e32 vcc, v12, v37
	s_and_b64 exec, exec, vcc
	s_cbranch_execz .LBB98_299
; %bb.304:                              ;   in Loop: Header=BB98_302 Depth=2
	v_perm_b32 v8, v8, s4, v44
	ds_write_b32 v9, v8 offset:3072
	s_branch .LBB98_299
.LBB98_305:                             ;   in Loop: Header=BB98_302 Depth=2
	s_mov_b64 s[40:41], -1
                                        ; implicit-def: $vgpr3
                                        ; implicit-def: $vgpr2
	s_mov_b64 s[24:25], -1
	s_branch .LBB98_301
.LBB98_306:                             ;   in Loop: Header=BB98_6 Depth=1
	s_or_b64 exec, exec, s[12:13]
	v_lshrrev_b32_e32 v46, 16, v8
	s_and_b64 s[12:13], s[28:29], exec
.LBB98_307:                             ;   in Loop: Header=BB98_6 Depth=1
	s_or_b64 exec, exec, s[18:19]
.LBB98_308:                             ;   in Loop: Header=BB98_6 Depth=1
	s_and_b64 vcc, exec, s[2:3]
	s_cbranch_vccz .LBB98_320
; %bb.309:                              ;   in Loop: Header=BB98_6 Depth=1
                                        ; implicit-def: $vgpr46
	s_mov_b64 s[2:3], exec
	v_readlane_b32 s18, v52, 53
	v_readlane_b32 s19, v52, 54
	s_and_b64 s[18:19], s[2:3], s[18:19]
	s_mov_b64 exec, s[18:19]
	s_cbranch_execz .LBB98_319
; %bb.310:                              ;   in Loop: Header=BB98_6 Depth=1
	s_mov_b64 s[18:19], 0
	v_mov_b32_e32 v8, v7
	v_mov_b32_e32 v2, v0
                                        ; implicit-def: $sgpr28_sgpr29
	s_branch .LBB98_314
.LBB98_311:                             ;   in Loop: Header=BB98_314 Depth=2
	s_or_b64 exec, exec, s[40:41]
	s_waitcnt lgkmcnt(0)
	s_barrier
	ds_read_b32 v3, v9 offset:3072
	s_waitcnt lgkmcnt(0)
	s_barrier
	v_cmp_eq_f16_e32 vcc, 0, v3
	s_cbranch_vccz .LBB98_317
; %bb.312:                              ;   in Loop: Header=BB98_314 Depth=2
	v_add_u32_e32 v2, s8, v2
	v_cmp_le_u32_e32 vcc, s22, v2
	v_add_u32_e32 v8, s52, v8
	s_mov_b64 s[24:25], 0
	s_orn2_b64 s[40:41], vcc, exec
.LBB98_313:                             ;   in Loop: Header=BB98_314 Depth=2
	s_and_b64 s[40:41], exec, s[40:41]
	s_or_b64 s[18:19], s[40:41], s[18:19]
	s_andn2_b64 s[28:29], s[28:29], exec
	s_and_b64 s[24:25], s[24:25], exec
	s_or_b64 s[28:29], s[28:29], s[24:25]
	s_andn2_b64 exec, exec, s[18:19]
	s_cbranch_execz .LBB98_318
.LBB98_314:                             ;   Parent Loop BB98_6 Depth=1
                                        ; =>  This Inner Loop Header: Depth=2
	v_cmp_gt_u32_e32 vcc, s36, v2
	s_and_saveexec_b64 s[40:41], vcc
	s_cbranch_execz .LBB98_311
; %bb.315:                              ;   in Loop: Header=BB98_314 Depth=2
	v_lshlrev_b64 v[12:13], 1, v[8:9]
	v_mov_b32_e32 v3, s48
	v_add_co_u32_e32 v12, vcc, s33, v12
	v_addc_co_u32_e32 v13, vcc, v3, v13, vcc
	global_load_ushort v3, v[12:13], off
	s_waitcnt vmcnt(0)
	v_cmp_lt_i16_e32 vcc, -1, v3
	v_cndmask_b32_e32 v12, v41, v42, vcc
	v_xor_b32_sdwa v12, v12, v3 dst_sel:DWORD dst_unused:UNUSED_PAD src0_sel:DWORD src1_sel:WORD_0
	v_cmp_o_f16_e32 vcc, v3, v3
	v_cndmask_b32_e32 v12, v41, v12, vcc
	v_and_b32_e32 v12, v12, v45
	v_cmp_eq_u32_e32 vcc, v12, v37
	s_and_b64 exec, exec, vcc
	s_cbranch_execz .LBB98_311
; %bb.316:                              ;   in Loop: Header=BB98_314 Depth=2
	v_perm_b32 v3, v3, s4, v44
	ds_write_b32 v9, v3 offset:3072
	s_branch .LBB98_311
.LBB98_317:                             ;   in Loop: Header=BB98_314 Depth=2
	s_mov_b64 s[40:41], -1
                                        ; implicit-def: $vgpr2
	s_mov_b64 s[24:25], -1
	s_branch .LBB98_313
.LBB98_318:                             ;   in Loop: Header=BB98_6 Depth=1
	s_or_b64 exec, exec, s[18:19]
	s_andn2_b64 s[12:13], s[12:13], exec
	s_and_b64 s[18:19], s[28:29], exec
	v_lshrrev_b32_e32 v46, 16, v3
	s_or_b64 s[12:13], s[12:13], s[18:19]
.LBB98_319:                             ;   in Loop: Header=BB98_6 Depth=1
	s_or_b64 exec, exec, s[2:3]
	s_mov_b64 s[88:89], 0
	s_mov_b64 s[90:91], -1
.LBB98_320:                             ;   in Loop: Header=BB98_6 Depth=1
	s_orn2_b64 s[2:3], s[12:13], exec
.LBB98_321:                             ;   in Loop: Header=BB98_6 Depth=1
	s_or_b64 exec, exec, s[16:17]
	s_mov_b64 s[12:13], 0
	s_and_saveexec_b64 s[92:93], s[2:3]
	s_cbranch_execz .LBB98_414
; %bb.322:                              ;   in Loop: Header=BB98_6 Depth=1
	s_xor_b64 s[14:15], s[14:15], -1
	v_mov_b32_e32 v2, 1
	v_mov_b32_e32 v1, 1
	s_and_saveexec_b64 s[2:3], s[14:15]
	s_cbranch_execz .LBB98_331
; %bb.323:                              ;   in Loop: Header=BB98_6 Depth=1
	v_cmp_ge_u32_e32 vcc, s51, v4
	s_and_saveexec_b64 s[12:13], vcc
	s_xor_b64 s[12:13], exec, s[12:13]
	s_cbranch_execz .LBB98_328
; %bb.324:                              ;   in Loop: Header=BB98_6 Depth=1
	v_and_b32_e32 v1, s39, v37
	v_lshl_or_b32 v37, 2, s5, v1
	ds_read_b32 v1, v9 offset:4096
	v_or_b32_e32 v45, s38, v45
	s_waitcnt lgkmcnt(0)
	v_cmp_ne_u32_e32 vcc, 0, v1
	s_cbranch_vccnz .LBB98_328
; %bb.325:                              ;   in Loop: Header=BB98_6 Depth=1
	s_mov_b64 s[14:15], exec
	v_readlane_b32 s16, v52, 14
	v_readlane_b32 s17, v52, 15
	s_and_b64 s[16:17], s[14:15], s[16:17]
	s_mov_b64 exec, s[16:17]
; %bb.326:                              ;   in Loop: Header=BB98_6 Depth=1
	v_mov_b32_e32 v1, s51
	ds_write_b32 v9, v1 offset:4100
; %bb.327:                              ;   in Loop: Header=BB98_6 Depth=1
	s_or_b64 exec, exec, s[14:15]
	s_waitcnt lgkmcnt(0)
	s_barrier
.LBB98_328:                             ;   in Loop: Header=BB98_6 Depth=1
	s_or_saveexec_b64 s[12:13], s[12:13]
	s_mov_b64 s[14:15], 0
	v_mov_b32_e32 v1, 5
	s_xor_b64 exec, exec, s[12:13]
; %bb.329:                              ;   in Loop: Header=BB98_6 Depth=1
	v_subrev_u32_e32 v4, s51, v4
	v_mov_b32_e32 v1, 0
	s_mov_b64 s[14:15], exec
; %bb.330:                              ;   in Loop: Header=BB98_6 Depth=1
	s_or_b64 exec, exec, s[12:13]
	s_and_b64 s[12:13], s[14:15], exec
	v_mov_b32_e32 v2, v4
.LBB98_331:                             ;   in Loop: Header=BB98_6 Depth=1
	s_or_b64 exec, exec, s[2:3]
	s_mov_b64 s[2:3], -1
                                        ; implicit-def: $sgpr40_sgpr41
                                        ; implicit-def: $sgpr42_sgpr43
	s_and_saveexec_b64 s[94:95], s[12:13]
	s_cbranch_execz .LBB98_413
; %bb.332:                              ;   in Loop: Header=BB98_6 Depth=1
	s_cmp_eq_u32 s50, 1
	s_cselect_b64 s[2:3], -1, 0
	v_cmp_eq_u32_e32 vcc, 1, v2
	s_and_b64 s[14:15], s[2:3], vcc
	s_mov_b64 s[2:3], -1
                                        ; implicit-def: $sgpr42_sgpr43
                                        ; implicit-def: $sgpr40_sgpr41
	s_and_saveexec_b64 s[16:17], s[14:15]
	s_cbranch_execz .LBB98_360
; %bb.333:                              ;   in Loop: Header=BB98_6 Depth=1
	ds_read_b32 v3, v9 offset:4096
	s_waitcnt lgkmcnt(0)
	s_barrier
	v_readfirstlane_b32 s46, v3
	s_mov_b64 s[2:3], exec
	v_readlane_b32 s12, v52, 29
	v_readlane_b32 s13, v52, 30
	s_and_b64 s[12:13], s[2:3], s[12:13]
	s_mov_b64 exec, s[12:13]
; %bb.334:                              ;   in Loop: Header=BB98_6 Depth=1
	ds_write_b16 v26, v9
; %bb.335:                              ;   in Loop: Header=BB98_6 Depth=1
	s_or_b64 exec, exec, s[2:3]
	v_and_b32_e32 v3, s39, v37
	v_lshl_or_b32 v37, 1, s5, v3
	v_or_b32_e32 v45, s38, v45
	s_mov_b64 s[40:41], -1
	s_mov_b64 s[42:43], 0
	s_cmp_eq_u32 s46, 0
	s_mov_b64 s[12:13], 0
	s_mov_b64 s[2:3], -1
	s_waitcnt lgkmcnt(0)
	s_barrier
                                        ; implicit-def: $vgpr46
	s_cbranch_scc1 .LBB98_347
; %bb.336:                              ;   in Loop: Header=BB98_6 Depth=1
	v_readlane_b32 s2, v52, 31
	s_add_i32 s2, s46, s2
	v_readlane_b32 s3, v52, 52
	s_mul_hi_u32 s3, s2, s3
	s_mul_i32 s3, s3, s8
	s_sub_i32 s3, s2, s3
	s_sub_i32 s12, s3, s8
	s_cmp_ge_u32 s3, s8
	s_cselect_b32 s3, s12, s3
	s_sub_i32 s12, s3, s8
	s_cmp_ge_u32 s3, s8
	s_cselect_b32 s3, s12, s3
	s_sub_i32 s47, s2, s3
	v_cmp_gt_u32_e32 vcc, s47, v0
	s_mov_b64 s[2:3], 0
	s_mov_b64 s[12:13], 0
                                        ; implicit-def: $vgpr46
	s_and_saveexec_b64 s[18:19], vcc
	s_cbranch_execz .LBB98_346
; %bb.337:                              ;   in Loop: Header=BB98_6 Depth=1
	v_mov_b32_e32 v3, v25
	v_mov_b32_e32 v4, v0
                                        ; implicit-def: $sgpr28_sgpr29
	s_branch .LBB98_341
.LBB98_338:                             ;   in Loop: Header=BB98_341 Depth=2
	s_or_b64 exec, exec, s[44:45]
	s_waitcnt lgkmcnt(0)
	s_barrier
	ds_read_b32 v8, v9 offset:3072
	s_waitcnt lgkmcnt(0)
	s_barrier
	v_cmp_neq_f16_e32 vcc, 0, v8
	s_cbranch_vccnz .LBB98_344
; %bb.339:                              ;   in Loop: Header=BB98_341 Depth=2
	v_add_u32_e32 v4, s8, v4
	v_cmp_le_u32_e32 vcc, s47, v4
	v_add_u32_e32 v3, s10, v3
	s_mov_b64 s[24:25], 0
	s_orn2_b64 s[44:45], vcc, exec
.LBB98_340:                             ;   in Loop: Header=BB98_341 Depth=2
	s_and_b64 s[44:45], exec, s[44:45]
	s_or_b64 s[12:13], s[44:45], s[12:13]
	s_andn2_b64 s[28:29], s[28:29], exec
	s_and_b64 s[24:25], s[24:25], exec
	s_or_b64 s[28:29], s[28:29], s[24:25]
	s_andn2_b64 exec, exec, s[12:13]
	s_cbranch_execz .LBB98_345
.LBB98_341:                             ;   Parent Loop BB98_6 Depth=1
                                        ; =>  This Inner Loop Header: Depth=2
	v_cmp_gt_u32_e32 vcc, s46, v4
	s_and_saveexec_b64 s[44:45], vcc
	s_cbranch_execz .LBB98_338
; %bb.342:                              ;   in Loop: Header=BB98_341 Depth=2
	ds_read_u16 v8, v3
	s_waitcnt lgkmcnt(0)
	v_cmp_lt_i16_e32 vcc, -1, v8
	v_cndmask_b32_e32 v12, v41, v42, vcc
	v_xor_b32_sdwa v12, v12, v8 dst_sel:DWORD dst_unused:UNUSED_PAD src0_sel:DWORD src1_sel:WORD_0
	v_cmp_o_f16_e32 vcc, v8, v8
	v_cndmask_b32_e32 v12, v41, v12, vcc
	v_and_b32_e32 v12, v12, v45
	v_cmp_eq_u32_e32 vcc, v12, v37
	s_and_b64 exec, exec, vcc
	s_cbranch_execz .LBB98_338
; %bb.343:                              ;   in Loop: Header=BB98_341 Depth=2
	v_perm_b32 v8, v8, s4, v44
	ds_write_b32 v9, v8 offset:3072
	s_branch .LBB98_338
.LBB98_344:                             ;   in Loop: Header=BB98_341 Depth=2
	s_mov_b64 s[44:45], -1
                                        ; implicit-def: $vgpr4
                                        ; implicit-def: $vgpr3
	s_mov_b64 s[24:25], -1
	s_branch .LBB98_340
.LBB98_345:                             ;   in Loop: Header=BB98_6 Depth=1
	s_or_b64 exec, exec, s[12:13]
	v_lshrrev_b32_e32 v46, 16, v8
	s_and_b64 s[12:13], s[28:29], exec
.LBB98_346:                             ;   in Loop: Header=BB98_6 Depth=1
	s_or_b64 exec, exec, s[18:19]
.LBB98_347:                             ;   in Loop: Header=BB98_6 Depth=1
	s_and_b64 vcc, exec, s[2:3]
	s_cbranch_vccz .LBB98_359
; %bb.348:                              ;   in Loop: Header=BB98_6 Depth=1
                                        ; implicit-def: $vgpr46
	s_mov_b64 s[2:3], exec
	v_readlane_b32 s18, v52, 53
	v_readlane_b32 s19, v52, 54
	s_and_b64 s[18:19], s[2:3], s[18:19]
	s_mov_b64 exec, s[18:19]
	s_cbranch_execz .LBB98_358
; %bb.349:                              ;   in Loop: Header=BB98_6 Depth=1
	s_mov_b64 s[18:19], 0
	v_mov_b32_e32 v8, v7
	v_mov_b32_e32 v3, v0
                                        ; implicit-def: $sgpr28_sgpr29
	s_branch .LBB98_353
.LBB98_350:                             ;   in Loop: Header=BB98_353 Depth=2
	s_or_b64 exec, exec, s[40:41]
	s_waitcnt lgkmcnt(0)
	s_barrier
	ds_read_b32 v4, v9 offset:3072
	s_waitcnt lgkmcnt(0)
	s_barrier
	v_cmp_eq_f16_e32 vcc, 0, v4
	s_cbranch_vccz .LBB98_356
; %bb.351:                              ;   in Loop: Header=BB98_353 Depth=2
	v_add_u32_e32 v3, s8, v3
	v_cmp_le_u32_e32 vcc, s22, v3
	v_add_u32_e32 v8, s52, v8
	s_mov_b64 s[24:25], 0
	s_orn2_b64 s[40:41], vcc, exec
.LBB98_352:                             ;   in Loop: Header=BB98_353 Depth=2
	s_and_b64 s[40:41], exec, s[40:41]
	s_or_b64 s[18:19], s[40:41], s[18:19]
	s_andn2_b64 s[28:29], s[28:29], exec
	s_and_b64 s[24:25], s[24:25], exec
	s_or_b64 s[28:29], s[28:29], s[24:25]
	s_andn2_b64 exec, exec, s[18:19]
	s_cbranch_execz .LBB98_357
.LBB98_353:                             ;   Parent Loop BB98_6 Depth=1
                                        ; =>  This Inner Loop Header: Depth=2
	v_cmp_gt_u32_e32 vcc, s36, v3
	s_and_saveexec_b64 s[40:41], vcc
	s_cbranch_execz .LBB98_350
; %bb.354:                              ;   in Loop: Header=BB98_353 Depth=2
	v_lshlrev_b64 v[12:13], 1, v[8:9]
	v_mov_b32_e32 v4, s48
	v_add_co_u32_e32 v12, vcc, s33, v12
	v_addc_co_u32_e32 v13, vcc, v4, v13, vcc
	global_load_ushort v4, v[12:13], off
	s_waitcnt vmcnt(0)
	v_cmp_lt_i16_e32 vcc, -1, v4
	v_cndmask_b32_e32 v12, v41, v42, vcc
	v_xor_b32_sdwa v12, v12, v4 dst_sel:DWORD dst_unused:UNUSED_PAD src0_sel:DWORD src1_sel:WORD_0
	v_cmp_o_f16_e32 vcc, v4, v4
	v_cndmask_b32_e32 v12, v41, v12, vcc
	v_and_b32_e32 v12, v12, v45
	v_cmp_eq_u32_e32 vcc, v12, v37
	s_and_b64 exec, exec, vcc
	s_cbranch_execz .LBB98_350
; %bb.355:                              ;   in Loop: Header=BB98_353 Depth=2
	v_perm_b32 v4, v4, s4, v44
	ds_write_b32 v9, v4 offset:3072
	s_branch .LBB98_350
.LBB98_356:                             ;   in Loop: Header=BB98_353 Depth=2
	s_mov_b64 s[40:41], -1
                                        ; implicit-def: $vgpr3
	s_mov_b64 s[24:25], -1
	s_branch .LBB98_352
.LBB98_357:                             ;   in Loop: Header=BB98_6 Depth=1
	s_or_b64 exec, exec, s[18:19]
	s_andn2_b64 s[12:13], s[12:13], exec
	s_and_b64 s[18:19], s[28:29], exec
	v_lshrrev_b32_e32 v46, 16, v4
	s_or_b64 s[12:13], s[12:13], s[18:19]
.LBB98_358:                             ;   in Loop: Header=BB98_6 Depth=1
	s_or_b64 exec, exec, s[2:3]
	s_mov_b64 s[40:41], 0
	s_mov_b64 s[42:43], -1
.LBB98_359:                             ;   in Loop: Header=BB98_6 Depth=1
	s_orn2_b64 s[2:3], s[12:13], exec
.LBB98_360:                             ;   in Loop: Header=BB98_6 Depth=1
	s_or_b64 exec, exec, s[16:17]
	s_mov_b64 s[12:13], 0
	s_and_saveexec_b64 s[44:45], s[2:3]
	s_cbranch_execz .LBB98_412
; %bb.361:                              ;   in Loop: Header=BB98_6 Depth=1
	s_xor_b64 s[14:15], s[14:15], -1
	v_mov_b32_e32 v3, 1
	v_mov_b32_e32 v1, 1
	s_and_saveexec_b64 s[2:3], s[14:15]
	s_cbranch_execz .LBB98_370
; %bb.362:                              ;   in Loop: Header=BB98_6 Depth=1
	v_cmp_ge_u32_e32 vcc, s50, v2
	s_and_saveexec_b64 s[12:13], vcc
	s_xor_b64 s[12:13], exec, s[12:13]
	s_cbranch_execz .LBB98_367
; %bb.363:                              ;   in Loop: Header=BB98_6 Depth=1
	v_and_b32_e32 v1, s39, v37
	v_lshl_or_b32 v37, 1, s5, v1
	ds_read_b32 v1, v9 offset:4096
	v_or_b32_e32 v45, s38, v45
	s_waitcnt lgkmcnt(0)
	v_cmp_ne_u32_e32 vcc, 0, v1
	s_cbranch_vccnz .LBB98_367
; %bb.364:                              ;   in Loop: Header=BB98_6 Depth=1
	s_mov_b64 s[14:15], exec
	v_readlane_b32 s16, v52, 14
	v_readlane_b32 s17, v52, 15
	s_and_b64 s[16:17], s[14:15], s[16:17]
	s_mov_b64 exec, s[16:17]
; %bb.365:                              ;   in Loop: Header=BB98_6 Depth=1
	v_mov_b32_e32 v1, s50
	ds_write_b32 v9, v1 offset:4100
; %bb.366:                              ;   in Loop: Header=BB98_6 Depth=1
	s_or_b64 exec, exec, s[14:15]
	s_waitcnt lgkmcnt(0)
	s_barrier
.LBB98_367:                             ;   in Loop: Header=BB98_6 Depth=1
	s_or_saveexec_b64 s[12:13], s[12:13]
	s_mov_b64 s[14:15], 0
	v_mov_b32_e32 v1, 5
	s_xor_b64 exec, exec, s[12:13]
; %bb.368:                              ;   in Loop: Header=BB98_6 Depth=1
	v_subrev_u32_e32 v2, s50, v2
	v_mov_b32_e32 v1, 0
	s_mov_b64 s[14:15], exec
; %bb.369:                              ;   in Loop: Header=BB98_6 Depth=1
	s_or_b64 exec, exec, s[12:13]
	s_and_b64 s[12:13], s[14:15], exec
	v_mov_b32_e32 v3, v2
.LBB98_370:                             ;   in Loop: Header=BB98_6 Depth=1
	s_or_b64 exec, exec, s[2:3]
	s_mov_b64 s[2:3], -1
                                        ; implicit-def: $sgpr16_sgpr17
                                        ; implicit-def: $sgpr14_sgpr15
	s_and_saveexec_b64 s[46:47], s[12:13]
	s_cbranch_execz .LBB98_411
; %bb.371:                              ;   in Loop: Header=BB98_6 Depth=1
	s_cmp_eq_u32 s11, 1
	s_cselect_b64 s[2:3], -1, 0
	v_cmp_eq_u32_e32 vcc, 1, v3
	s_and_b64 s[18:19], s[2:3], vcc
	s_mov_b64 s[12:13], -1
                                        ; implicit-def: $sgpr16_sgpr17
                                        ; implicit-def: $sgpr14_sgpr15
	s_and_saveexec_b64 s[28:29], s[18:19]
	s_cbranch_execz .LBB98_399
; %bb.372:                              ;   in Loop: Header=BB98_6 Depth=1
	ds_read_b32 v2, v9 offset:4096
	s_waitcnt lgkmcnt(0)
	s_barrier
	v_readfirstlane_b32 s50, v2
	s_mov_b64 s[2:3], exec
	v_readlane_b32 s12, v52, 29
	v_readlane_b32 s13, v52, 30
	s_and_b64 s[12:13], s[2:3], s[12:13]
	s_mov_b64 exec, s[12:13]
; %bb.373:                              ;   in Loop: Header=BB98_6 Depth=1
	ds_write_b16 v26, v9
; %bb.374:                              ;   in Loop: Header=BB98_6 Depth=1
	s_or_b64 exec, exec, s[2:3]
	v_and_b32_e32 v37, s39, v37
	v_or_b32_e32 v45, s38, v45
	s_mov_b64 s[14:15], -1
	s_mov_b64 s[16:17], 0
	s_cmp_eq_u32 s50, 0
	s_mov_b64 s[12:13], 0
	s_mov_b64 s[2:3], -1
	s_waitcnt lgkmcnt(0)
	s_barrier
                                        ; implicit-def: $vgpr46
	s_cbranch_scc1 .LBB98_386
; %bb.375:                              ;   in Loop: Header=BB98_6 Depth=1
	v_readlane_b32 s2, v52, 31
	s_add_i32 s2, s50, s2
	v_readlane_b32 s3, v52, 52
	s_mul_hi_u32 s3, s2, s3
	s_mul_i32 s3, s3, s8
	s_sub_i32 s3, s2, s3
	s_sub_i32 s12, s3, s8
	s_cmp_ge_u32 s3, s8
	s_cselect_b32 s3, s12, s3
	s_sub_i32 s12, s3, s8
	s_cmp_ge_u32 s3, s8
	s_cselect_b32 s3, s12, s3
	s_sub_i32 s51, s2, s3
	v_cmp_gt_u32_e32 vcc, s51, v0
	s_mov_b64 s[2:3], 0
	s_mov_b64 s[12:13], 0
                                        ; implicit-def: $vgpr46
	s_and_saveexec_b64 s[56:57], vcc
	s_cbranch_execz .LBB98_385
; %bb.376:                              ;   in Loop: Header=BB98_6 Depth=1
	v_mov_b32_e32 v2, v25
	v_mov_b32_e32 v4, v0
                                        ; implicit-def: $sgpr58_sgpr59
	s_branch .LBB98_380
.LBB98_377:                             ;   in Loop: Header=BB98_380 Depth=2
	s_or_b64 exec, exec, s[60:61]
	s_waitcnt lgkmcnt(0)
	s_barrier
	ds_read_b32 v8, v9 offset:3072
	s_waitcnt lgkmcnt(0)
	s_barrier
	v_cmp_neq_f16_e32 vcc, 0, v8
	s_cbranch_vccnz .LBB98_383
; %bb.378:                              ;   in Loop: Header=BB98_380 Depth=2
	v_add_u32_e32 v4, s8, v4
	v_cmp_le_u32_e32 vcc, s51, v4
	v_add_u32_e32 v2, s10, v2
	s_mov_b64 s[24:25], 0
	s_orn2_b64 s[60:61], vcc, exec
.LBB98_379:                             ;   in Loop: Header=BB98_380 Depth=2
	s_and_b64 s[60:61], exec, s[60:61]
	s_or_b64 s[12:13], s[60:61], s[12:13]
	s_andn2_b64 s[58:59], s[58:59], exec
	s_and_b64 s[24:25], s[24:25], exec
	s_or_b64 s[58:59], s[58:59], s[24:25]
	s_andn2_b64 exec, exec, s[12:13]
	s_cbranch_execz .LBB98_384
.LBB98_380:                             ;   Parent Loop BB98_6 Depth=1
                                        ; =>  This Inner Loop Header: Depth=2
	v_cmp_gt_u32_e32 vcc, s50, v4
	s_and_saveexec_b64 s[60:61], vcc
	s_cbranch_execz .LBB98_377
; %bb.381:                              ;   in Loop: Header=BB98_380 Depth=2
	ds_read_u16 v8, v2
	s_waitcnt lgkmcnt(0)
	v_cmp_lt_i16_e32 vcc, -1, v8
	v_cndmask_b32_e32 v12, v41, v42, vcc
	v_xor_b32_sdwa v12, v12, v8 dst_sel:DWORD dst_unused:UNUSED_PAD src0_sel:DWORD src1_sel:WORD_0
	v_cmp_o_f16_e32 vcc, v8, v8
	v_cndmask_b32_e32 v12, v41, v12, vcc
	v_and_b32_e32 v12, v12, v45
	v_cmp_eq_u32_e32 vcc, v12, v37
	s_and_b64 exec, exec, vcc
	s_cbranch_execz .LBB98_377
; %bb.382:                              ;   in Loop: Header=BB98_380 Depth=2
	v_perm_b32 v8, v8, s4, v44
	ds_write_b32 v9, v8 offset:3072
	s_branch .LBB98_377
.LBB98_383:                             ;   in Loop: Header=BB98_380 Depth=2
	s_mov_b64 s[60:61], -1
                                        ; implicit-def: $vgpr4
                                        ; implicit-def: $vgpr2
	s_mov_b64 s[24:25], -1
	s_branch .LBB98_379
.LBB98_384:                             ;   in Loop: Header=BB98_6 Depth=1
	s_or_b64 exec, exec, s[12:13]
	v_lshrrev_b32_e32 v46, 16, v8
	s_and_b64 s[12:13], s[58:59], exec
.LBB98_385:                             ;   in Loop: Header=BB98_6 Depth=1
	s_or_b64 exec, exec, s[56:57]
.LBB98_386:                             ;   in Loop: Header=BB98_6 Depth=1
	s_and_b64 vcc, exec, s[2:3]
	s_cbranch_vccz .LBB98_398
; %bb.387:                              ;   in Loop: Header=BB98_6 Depth=1
                                        ; implicit-def: $vgpr46
	s_mov_b64 s[2:3], exec
	v_readlane_b32 s14, v52, 53
	v_readlane_b32 s15, v52, 54
	s_and_b64 s[14:15], s[2:3], s[14:15]
	s_mov_b64 exec, s[14:15]
	s_cbranch_execz .LBB98_397
; %bb.388:                              ;   in Loop: Header=BB98_6 Depth=1
	s_mov_b64 s[14:15], 0
	v_mov_b32_e32 v8, v7
	v_mov_b32_e32 v2, v0
                                        ; implicit-def: $sgpr16_sgpr17
	s_branch .LBB98_392
.LBB98_389:                             ;   in Loop: Header=BB98_392 Depth=2
	s_or_b64 exec, exec, s[56:57]
	s_waitcnt lgkmcnt(0)
	s_barrier
	ds_read_b32 v4, v9 offset:3072
	s_waitcnt lgkmcnt(0)
	s_barrier
	v_cmp_eq_f16_e32 vcc, 0, v4
	s_cbranch_vccz .LBB98_395
; %bb.390:                              ;   in Loop: Header=BB98_392 Depth=2
	v_add_u32_e32 v2, s8, v2
	v_cmp_le_u32_e32 vcc, s22, v2
	v_add_u32_e32 v8, s52, v8
	s_mov_b64 s[24:25], 0
	s_orn2_b64 s[56:57], vcc, exec
.LBB98_391:                             ;   in Loop: Header=BB98_392 Depth=2
	s_and_b64 s[50:51], exec, s[56:57]
	s_or_b64 s[14:15], s[50:51], s[14:15]
	s_andn2_b64 s[16:17], s[16:17], exec
	s_and_b64 s[24:25], s[24:25], exec
	s_or_b64 s[16:17], s[16:17], s[24:25]
	s_andn2_b64 exec, exec, s[14:15]
	s_cbranch_execz .LBB98_396
.LBB98_392:                             ;   Parent Loop BB98_6 Depth=1
                                        ; =>  This Inner Loop Header: Depth=2
	v_cmp_gt_u32_e32 vcc, s36, v2
	s_and_saveexec_b64 s[56:57], vcc
	s_cbranch_execz .LBB98_389
; %bb.393:                              ;   in Loop: Header=BB98_392 Depth=2
	v_lshlrev_b64 v[12:13], 1, v[8:9]
	v_mov_b32_e32 v4, s48
	v_add_co_u32_e32 v12, vcc, s33, v12
	v_addc_co_u32_e32 v13, vcc, v4, v13, vcc
	global_load_ushort v4, v[12:13], off
	s_waitcnt vmcnt(0)
	v_cmp_lt_i16_e32 vcc, -1, v4
	v_cndmask_b32_e32 v12, v41, v42, vcc
	v_xor_b32_sdwa v12, v12, v4 dst_sel:DWORD dst_unused:UNUSED_PAD src0_sel:DWORD src1_sel:WORD_0
	v_cmp_o_f16_e32 vcc, v4, v4
	v_cndmask_b32_e32 v12, v41, v12, vcc
	v_and_b32_e32 v12, v12, v45
	v_cmp_eq_u32_e32 vcc, v12, v37
	s_and_b64 exec, exec, vcc
	s_cbranch_execz .LBB98_389
; %bb.394:                              ;   in Loop: Header=BB98_392 Depth=2
	v_perm_b32 v4, v4, s4, v44
	ds_write_b32 v9, v4 offset:3072
	s_branch .LBB98_389
.LBB98_395:                             ;   in Loop: Header=BB98_392 Depth=2
	s_mov_b64 s[56:57], -1
                                        ; implicit-def: $vgpr2
	s_mov_b64 s[24:25], -1
	s_branch .LBB98_391
.LBB98_396:                             ;   in Loop: Header=BB98_6 Depth=1
	s_or_b64 exec, exec, s[14:15]
	s_andn2_b64 s[12:13], s[12:13], exec
	s_and_b64 s[14:15], s[16:17], exec
	v_lshrrev_b32_e32 v46, 16, v4
	s_or_b64 s[12:13], s[12:13], s[14:15]
.LBB98_397:                             ;   in Loop: Header=BB98_6 Depth=1
	s_or_b64 exec, exec, s[2:3]
	s_mov_b64 s[14:15], 0
	s_mov_b64 s[16:17], -1
.LBB98_398:                             ;   in Loop: Header=BB98_6 Depth=1
	s_orn2_b64 s[12:13], s[12:13], exec
.LBB98_399:                             ;   in Loop: Header=BB98_6 Depth=1
	s_or_b64 exec, exec, s[28:29]
	s_mov_b64 s[24:25], 0
	s_and_saveexec_b64 s[2:3], s[12:13]
	s_cbranch_execz .LBB98_410
; %bb.400:                              ;   in Loop: Header=BB98_6 Depth=1
	s_xor_b64 s[18:19], s[18:19], -1
	v_mov_b32_e32 v1, 1
	v_mov_b32_e32 v2, 1
	s_and_saveexec_b64 s[12:13], s[18:19]
	s_cbranch_execz .LBB98_409
; %bb.401:                              ;   in Loop: Header=BB98_6 Depth=1
	v_cmp_ge_u32_e32 vcc, s11, v3
	s_and_saveexec_b64 s[18:19], vcc
	s_xor_b64 s[18:19], exec, s[18:19]
	s_cbranch_execz .LBB98_406
; %bb.402:                              ;   in Loop: Header=BB98_6 Depth=1
	ds_read_b32 v1, v9 offset:4096
	v_and_b32_e32 v37, s39, v37
	v_or_b32_e32 v45, s38, v45
	s_waitcnt lgkmcnt(0)
	v_cmp_ne_u32_e32 vcc, 0, v1
	s_cbranch_vccnz .LBB98_406
; %bb.403:                              ;   in Loop: Header=BB98_6 Depth=1
	s_mov_b64 s[24:25], exec
	v_readlane_b32 s28, v52, 14
	v_readlane_b32 s29, v52, 15
	s_and_b64 s[28:29], s[24:25], s[28:29]
	s_mov_b64 exec, s[28:29]
; %bb.404:                              ;   in Loop: Header=BB98_6 Depth=1
	v_mov_b32_e32 v1, s11
	ds_write_b32 v9, v1 offset:4100
; %bb.405:                              ;   in Loop: Header=BB98_6 Depth=1
	s_or_b64 exec, exec, s[24:25]
	s_waitcnt lgkmcnt(0)
	s_barrier
.LBB98_406:                             ;   in Loop: Header=BB98_6 Depth=1
	s_andn2_saveexec_b64 s[18:19], s[18:19]
; %bb.407:                              ;   in Loop: Header=BB98_6 Depth=1
	v_subrev_u32_e32 v3, s11, v3
; %bb.408:                              ;   in Loop: Header=BB98_6 Depth=1
	s_or_b64 exec, exec, s[18:19]
	v_mov_b32_e32 v1, 5
	v_mov_b32_e32 v2, v3
.LBB98_409:                             ;   in Loop: Header=BB98_6 Depth=1
	s_or_b64 exec, exec, s[12:13]
	s_mov_b64 s[24:25], exec
	v_mov_b32_e32 v3, v2
.LBB98_410:                             ;   in Loop: Header=BB98_6 Depth=1
	s_or_b64 exec, exec, s[2:3]
	s_orn2_b64 s[2:3], s[24:25], exec
.LBB98_411:                             ;   in Loop: Header=BB98_6 Depth=1
	s_or_b64 exec, exec, s[46:47]
	s_andn2_b64 s[12:13], s[42:43], exec
	s_and_b64 s[16:17], s[16:17], exec
	s_or_b64 s[42:43], s[12:13], s[16:17]
	s_andn2_b64 s[12:13], s[40:41], exec
	s_and_b64 s[14:15], s[14:15], exec
	s_or_b64 s[40:41], s[12:13], s[14:15]
	s_and_b64 s[12:13], s[2:3], exec
	v_mov_b32_e32 v2, v3
.LBB98_412:                             ;   in Loop: Header=BB98_6 Depth=1
	s_or_b64 exec, exec, s[44:45]
	s_orn2_b64 s[2:3], s[12:13], exec
.LBB98_413:                             ;   in Loop: Header=BB98_6 Depth=1
	s_or_b64 exec, exec, s[94:95]
	s_andn2_b64 s[12:13], s[90:91], exec
	s_and_b64 s[14:15], s[42:43], exec
	s_or_b64 s[90:91], s[12:13], s[14:15]
	s_andn2_b64 s[12:13], s[88:89], exec
	s_and_b64 s[14:15], s[40:41], exec
	s_or_b64 s[88:89], s[12:13], s[14:15]
	s_and_b64 s[12:13], s[2:3], exec
	v_mov_b32_e32 v4, v2
.LBB98_414:                             ;   in Loop: Header=BB98_6 Depth=1
	s_or_b64 exec, exec, s[92:93]
	s_orn2_b64 s[2:3], s[12:13], exec
.LBB98_415:                             ;   in Loop: Header=BB98_6 Depth=1
	s_or_b64 exec, exec, s[6:7]
	s_mov_b64 s[6:7], s[84:85]
	s_mov_b64 s[12:13], s[34:35]
	s_and_saveexec_b64 s[14:15], s[2:3]
; %bb.416:                              ;   in Loop: Header=BB98_6 Depth=1
	v_cmp_ne_u32_e64 s[6:7], 5, v1
	v_cmp_eq_u32_e32 vcc, 5, v1
	s_andn2_b64 s[2:3], s[34:35], exec
	s_and_b64 s[6:7], s[6:7], exec
	s_or_b64 s[12:13], s[2:3], s[6:7]
	s_andn2_b64 s[2:3], s[84:85], exec
	s_and_b64 s[6:7], vcc, exec
	s_or_b64 s[6:7], s[2:3], s[6:7]
; %bb.417:                              ;   in Loop: Header=BB98_6 Depth=1
	s_or_b64 exec, exec, s[14:15]
	s_andn2_b64 s[2:3], s[26:27], exec
	s_and_b64 s[14:15], s[90:91], exec
	s_or_b64 s[26:27], s[2:3], s[14:15]
	s_andn2_b64 s[2:3], s[30:31], exec
	s_and_b64 s[14:15], s[88:89], exec
	s_or_b64 s[30:31], s[2:3], s[14:15]
	;; [unrolled: 3-line block ×4, first 2 shown]
.LBB98_418:                             ;   in Loop: Header=BB98_6 Depth=1
	s_or_b64 exec, exec, s[86:87]
	s_mov_b64 s[86:87], 0
	s_mov_b64 s[88:89], 0
	s_and_saveexec_b64 s[2:3], s[84:85]
.LBB98_419:                             ;   in Loop: Header=BB98_6 Depth=1
	v_mov_b32_e32 v1, 0
	s_or_b64 s[34:35], s[34:35], exec
.LBB98_420:                             ;   in Loop: Header=BB98_6 Depth=1
	s_or_b64 exec, exec, s[2:3]
	s_andn2_b64 s[2:3], s[80:81], exec
	s_and_b64 s[12:13], s[26:27], exec
	s_or_b64 s[80:81], s[2:3], s[12:13]
	s_andn2_b64 s[2:3], s[78:79], exec
	s_and_b64 s[12:13], s[30:31], exec
	s_or_b64 s[78:79], s[2:3], s[12:13]
	;; [unrolled: 3-line block ×3, first 2 shown]
	s_andn2_b64 s[2:3], s[74:75], exec
	s_and_b64 s[12:13], s[86:87], exec
	s_mov_b64 s[6:7], -1
	s_andn2_b64 s[82:83], s[82:83], exec
	s_or_b64 s[74:75], s[2:3], s[12:13]
	v_mov_b32_e32 v47, v4
	s_and_saveexec_b64 s[2:3], s[34:35]
	s_xor_b64 s[2:3], exec, s[2:3]
	s_cbranch_execz .LBB98_5
; %bb.421:                              ;   in Loop: Header=BB98_6 Depth=1
	v_cmp_eq_u32_e32 vcc, 0, v1
	s_mov_b64 s[12:13], -1
	s_and_saveexec_b64 s[14:15], vcc
	s_cbranch_execz .LBB98_4
; %bb.422:                              ;   in Loop: Header=BB98_6 Depth=1
	s_xor_b32 s49, s49, 1
	s_add_i32 s11, s5, -2
	s_cmp_eq_u32 s5, 0
	s_cselect_b64 s[6:7], -1, 0
	s_xor_b64 s[12:13], exec, -1
	s_orn2_b64 s[6:7], s[6:7], exec
	s_mov_b32 s5, s11
	s_branch .LBB98_4
.LBB98_423:
	s_or_b64 exec, exec, s[62:63]
	s_xor_b64 s[6:7], s[72:73], -1
	s_xor_b64 s[18:19], s[70:71], -1
	s_xor_b64 s[16:17], s[66:67], -1
	s_xor_b64 s[4:5], s[64:65], -1
	s_xor_b64 s[2:3], s[68:69], -1
	s_mov_b64 s[12:13], 0
	s_and_saveexec_b64 s[10:11], s[4:5]
	s_xor_b64 s[10:11], exec, s[10:11]
	s_cbranch_execnz .LBB98_428
; %bb.424:
	s_andn2_saveexec_b64 s[0:1], s[10:11]
	s_cbranch_execnz .LBB98_447
.LBB98_425:
	s_or_b64 exec, exec, s[0:1]
	s_and_saveexec_b64 s[0:1], s[12:13]
.LBB98_426:
	; divergent unreachable
.LBB98_427:
	s_endpgm
.LBB98_428:
	s_mov_b64 s[14:15], 0
	s_and_saveexec_b64 s[4:5], s[16:17]
	s_xor_b64 s[12:13], exec, s[4:5]
	s_cbranch_execz .LBB98_445
; %bb.429:
	s_mov_b64 s[16:17], 0
	s_and_saveexec_b64 s[4:5], s[18:19]
	s_xor_b64 s[14:15], exec, s[4:5]
	s_cbranch_execz .LBB98_443
; %bb.430:
	;; [unrolled: 5-line block ×3, first 2 shown]
	s_and_saveexec_b64 s[4:5], s[2:3]
	s_xor_b64 s[2:3], exec, s[4:5]
; %bb.432:
	v_and_b32_e32 v1, 0x8000, v37
	v_mov_b32_e32 v2, 0x8000
	v_mov_b32_e32 v3, 0xffff
	v_cmp_eq_u32_e32 vcc, 0, v1
	v_cndmask_b32_e32 v1, v2, v3, vcc
	v_xor_b32_e32 v46, v1, v37
; %bb.433:
	s_or_b64 exec, exec, s[2:3]
	s_mov_b64 s[2:3], exec
	v_readlane_b32 s4, v52, 14
	v_readlane_b32 s5, v52, 15
	;; [unrolled: 1-line block ×3, first 2 shown]
	s_and_b64 s[4:5], s[2:3], s[4:5]
	v_readlane_b32 s45, v52, 18
	v_readlane_b32 s6, v52, 16
	s_mov_b64 exec, s[4:5]
; %bb.434:
	v_mov_b32_e32 v1, 0
	ds_write_b32 v1, v1 offset:4108
; %bb.435:
	s_or_b64 exec, exec, s[2:3]
	v_mov_b32_e32 v4, 0
	s_waitcnt lgkmcnt(0)
	s_barrier
	s_mov_b64 s[2:3], exec
	v_readlane_b32 s4, v52, 25
	v_readlane_b32 s5, v52, 26
	s_and_b64 s[4:5], s[2:3], s[4:5]
	s_mov_b64 exec, s[4:5]
	s_cbranch_execz .LBB98_437
; %bb.436:
	global_load_ushort v4, v[5:6], off
.LBB98_437:
	s_or_b64 exec, exec, s[2:3]
	v_readlane_b32 s5, v52, 10
	v_readlane_b32 s7, v52, 11
	s_mul_i32 s2, s7, s5
	s_add_i32 s34, s36, 63
	s_sub_i32 s2, s6, s2
	s_andn2_b32 s34, s34, 63
	s_add_i32 s3, s7, 1
	s_sub_i32 s4, s2, s5
	s_cmp_ge_u32 s2, s5
	s_cselect_b32 s3, s3, s7
	s_cselect_b32 s2, s4, s2
	s_add_i32 s4, s3, 1
	s_cmp_ge_u32 s2, s5
	s_cselect_b32 s2, s4, s3
	s_mul_i32 s3, s2, s5
	v_readlane_b32 s4, v52, 4
	s_sub_i32 s3, s6, s3
	v_readlane_b32 s5, v52, 5
	s_mul_i32 s3, s3, s5
	s_mul_i32 s2, s2, s4
	v_readlane_b32 s7, v52, 12
	v_readlane_b32 s18, v52, 13
	s_add_i32 s2, s2, s3
	s_mul_i32 s3, s18, s7
	s_sub_i32 s3, s6, s3
	s_add_i32 s4, s18, 1
	s_sub_i32 s5, s3, s7
	s_cmp_ge_u32 s3, s7
	s_cselect_b32 s4, s4, s18
	s_cselect_b32 s3, s5, s3
	s_add_i32 s5, s4, 1
	s_cmp_ge_u32 s3, s7
	s_cselect_b32 s3, s5, s4
	s_mul_i32 s4, s3, s7
	s_sub_i32 s4, s6, s4
	v_readlane_b32 s6, v52, 0
	v_readlane_b32 s7, v52, 1
	s_mul_i32 s4, s4, s7
	s_mul_i32 s3, s3, s6
	s_add_i32 s4, s3, s4
	s_mov_b32 s3, 0
	s_lshl_b64 s[6:7], s[2:3], 1
	v_readlane_b32 s18, v52, 8
	v_readlane_b32 s19, v52, 9
	s_add_u32 s35, s18, s6
	s_mov_b32 s5, s3
	s_addc_u32 s38, s19, s7
	s_lshl_b64 s[2:3], s[4:5], 3
	v_readlane_b32 s4, v52, 2
	v_readlane_b32 s5, v52, 3
	s_add_u32 s39, s4, s2
	s_addc_u32 s40, s5, s3
	v_readlane_b32 s2, v52, 6
	v_readlane_b32 s3, v52, 7
	s_load_dword s41, s[2:3], 0x1c8
	s_load_dword s42, s[2:3], 0x2a8
	v_mov_b32_e32 v8, 0xffff
	v_mov_b32_e32 v9, 0x8000
	v_cmp_lt_i16_e32 vcc, -1, v46
	v_cndmask_b32_e32 v1, v8, v9, vcc
	v_xor_b32_sdwa v1, v1, v46 dst_sel:DWORD dst_unused:UNUSED_PAD src0_sel:DWORD src1_sel:WORD_0
	v_cmp_o_f16_e32 vcc, v46, v46
	v_cndmask_b32_e32 v7, v8, v1, vcc
	v_cmp_gt_u32_e32 vcc, s34, v0
	s_mov_b64 s[2:3], -1
	s_mov_b64 s[30:31], 0
	s_mov_b64 s[4:5], 0
	s_and_saveexec_b64 s[18:19], vcc
	s_cbranch_execnz .LBB98_448
; %bb.438:
	s_or_b64 exec, exec, s[18:19]
	s_and_saveexec_b64 s[6:7], s[2:3]
	s_cbranch_execnz .LBB98_465
.LBB98_439:
	s_or_b64 exec, exec, s[6:7]
	s_and_saveexec_b64 s[0:1], s[4:5]
	s_xor_b64 s[0:1], exec, s[0:1]
	s_cbranch_execnz .LBB98_488
.LBB98_440:
	s_or_b64 exec, exec, s[0:1]
	s_and_b64 s[18:19], s[30:31], exec
.LBB98_441:
	s_andn2_saveexec_b64 s[0:1], s[16:17]
	s_cbranch_execnz .LBB98_490
.LBB98_442:
	s_or_b64 exec, exec, s[0:1]
	s_and_b64 s[16:17], s[18:19], exec
.LBB98_443:
	s_andn2_saveexec_b64 s[0:1], s[14:15]
	s_cbranch_execnz .LBB98_489
.LBB98_444:
	s_or_b64 exec, exec, s[0:1]
	s_and_b64 s[14:15], s[16:17], exec
.LBB98_445:
	s_andn2_saveexec_b64 s[0:1], s[12:13]
	s_cbranch_execnz .LBB98_484
.LBB98_446:
	s_or_b64 exec, exec, s[0:1]
	s_and_b64 s[12:13], s[14:15], exec
	s_andn2_saveexec_b64 s[0:1], s[10:11]
	s_cbranch_execz .LBB98_425
.LBB98_447:
	s_or_b64 s[12:13], s[12:13], exec
	s_trap 2
	s_or_b64 exec, exec, s[0:1]
	s_and_saveexec_b64 s[0:1], s[12:13]
	s_cbranch_execnz .LBB98_426
	s_branch .LBB98_427
.LBB98_448:
	v_add_u32_e32 v1, s8, v0
	v_mul_lo_u32 v1, s9, v1
	s_mov_b64 s[20:21], 0
	v_mov_b32_e32 v2, 0
	v_mov_b32_e32 v3, v0
                                        ; implicit-def: $sgpr22_sgpr23
                                        ; implicit-def: $vgpr11
	s_branch .LBB98_450
.LBB98_449:                             ;   in Loop: Header=BB98_450 Depth=1
	s_or_b64 exec, exec, s[24:25]
	s_xor_b64 s[4:5], s[6:7], -1
	s_and_b64 s[2:3], exec, s[2:3]
	s_or_b64 s[20:21], s[2:3], s[20:21]
	s_andn2_b64 s[2:3], s[22:23], exec
	s_and_b64 s[4:5], s[4:5], exec
	s_or_b64 s[22:23], s[2:3], s[4:5]
	v_mov_b32_e32 v3, v10
	s_waitcnt vmcnt(0)
	v_mov_b32_e32 v4, v12
	s_andn2_b64 exec, exec, s[20:21]
	s_cbranch_execz .LBB98_464
.LBB98_450:                             ; =>This Inner Loop Header: Depth=1
	v_add_u32_e32 v10, s8, v3
	v_cmp_gt_u32_e64 s[4:5], s36, v10
	v_mov_b32_e32 v12, 0
	s_and_saveexec_b64 s[2:3], s[4:5]
	s_cbranch_execz .LBB98_452
; %bb.451:                              ;   in Loop: Header=BB98_450 Depth=1
	v_lshlrev_b64 v[12:13], 1, v[1:2]
	v_mov_b32_e32 v14, s48
	v_add_co_u32_e64 v12, s[4:5], s33, v12
	v_addc_co_u32_e64 v13, s[4:5], v14, v13, s[4:5]
	global_load_ushort v12, v[12:13], off
.LBB98_452:                             ;   in Loop: Header=BB98_450 Depth=1
	s_or_b64 exec, exec, s[2:3]
	v_cmp_gt_u32_e64 s[4:5], s36, v3
	s_mov_b64 s[24:25], 0
	s_and_saveexec_b64 s[2:3], s[4:5]
	s_cbranch_execz .LBB98_454
; %bb.453:                              ;   in Loop: Header=BB98_450 Depth=1
	s_waitcnt vmcnt(0)
	v_cmp_lt_i16_e64 s[4:5], -1, v4
	v_cndmask_b32_e64 v13, v8, v9, s[4:5]
	v_xor_b32_sdwa v13, v13, v4 dst_sel:DWORD dst_unused:UNUSED_PAD src0_sel:DWORD src1_sel:WORD_0
	v_cmp_o_f16_e64 s[4:5], v4, v4
	v_cndmask_b32_e64 v13, v8, v13, s[4:5]
	v_cmp_gt_u32_e64 s[4:5], v13, v7
	v_cndmask_b32_e64 v14, 0, 1, s[4:5]
	v_cmp_lt_u32_e64 s[4:5], v13, v7
	v_cndmask_b32_e64 v13, 0, 1, s[4:5]
	v_cndmask_b32_e64 v13, v13, v14, s[44:45]
	v_and_b32_e32 v13, 1, v13
	v_cmp_eq_u32_e64 s[4:5], 1, v13
	s_and_b64 s[24:25], s[4:5], exec
.LBB98_454:                             ;   in Loop: Header=BB98_450 Depth=1
	s_or_b64 exec, exec, s[2:3]
	v_cndmask_b32_e64 v13, 0, 1, s[24:25]
	v_cmp_ne_u32_e64 s[4:5], 0, v13
	s_cmp_lg_u64 s[4:5], 0
	s_cselect_b64 s[2:3], -1, 0
	s_and_b64 s[6:7], s[0:1], s[2:3]
	s_and_saveexec_b64 s[2:3], s[6:7]
	s_cbranch_execz .LBB98_458
; %bb.455:                              ;   in Loop: Header=BB98_450 Depth=1
	s_mov_b64 s[28:29], exec
	s_waitcnt lgkmcnt(0)
	v_mbcnt_lo_u32_b32 v11, s28, 0
	v_mbcnt_hi_u32_b32 v11, s29, v11
	s_bcnt1_i32_b64 s43, s[4:5]
	v_cmp_eq_u32_e64 s[6:7], 0, v11
                                        ; implicit-def: $vgpr13
	s_and_saveexec_b64 s[26:27], s[6:7]
; %bb.456:                              ;   in Loop: Header=BB98_450 Depth=1
	s_bcnt1_i32_b64 s6, s[28:29]
	s_mul_i32 s6, s43, s6
	v_mov_b32_e32 v13, s6
	ds_add_rtn_u32 v13, v2, v13 offset:4108
; %bb.457:                              ;   in Loop: Header=BB98_450 Depth=1
	s_or_b64 exec, exec, s[26:27]
	s_waitcnt lgkmcnt(0)
	v_readfirstlane_b32 s6, v13
	v_mov_b32_e32 v13, s6
	v_mad_u32_u24 v11, s43, v11, v13
.LBB98_458:                             ;   in Loop: Header=BB98_450 Depth=1
	s_or_b64 exec, exec, s[2:3]
	s_waitcnt lgkmcnt(0)
	ds_bpermute_b32 v11, v20, v11
	s_mov_b64 s[2:3], -1
	s_mov_b64 s[26:27], -1
	s_and_saveexec_b64 s[6:7], s[24:25]
	s_cbranch_execz .LBB98_462
; %bb.459:                              ;   in Loop: Header=BB98_450 Depth=1
	v_and_b32_e32 v14, s4, v22
	v_and_b32_e32 v13, s5, v21
	v_bcnt_u32_b32 v14, v14, 0
	v_bcnt_u32_b32 v13, v13, v14
	s_waitcnt lgkmcnt(0)
	v_add_u32_e32 v13, v11, v13
	v_cmp_gt_u32_e64 s[4:5], s37, v13
	s_mov_b64 s[24:25], 0
	s_and_saveexec_b64 s[26:27], s[4:5]
	s_cbranch_execz .LBB98_461
; %bb.460:                              ;   in Loop: Header=BB98_450 Depth=1
	v_mul_lo_u32 v14, v13, s41
	v_mov_b32_e32 v15, v2
	v_mul_lo_u32 v13, v13, s42
	v_mov_b32_e32 v16, s38
	v_lshlrev_b64 v[14:15], 1, v[14:15]
	s_mov_b64 s[24:25], exec
	v_add_co_u32_e64 v14, s[4:5], s35, v14
	v_addc_co_u32_e64 v15, s[4:5], v16, v15, s[4:5]
	s_waitcnt vmcnt(0)
	global_store_short v[14:15], v4, off
	v_mov_b32_e32 v14, v2
	v_lshlrev_b64 v[13:14], 3, v[13:14]
	v_mov_b32_e32 v15, s40
	v_add_co_u32_e64 v13, s[4:5], s39, v13
	v_mov_b32_e32 v4, v2
	v_addc_co_u32_e64 v14, s[4:5], v15, v14, s[4:5]
	global_store_dwordx2 v[13:14], v[3:4], off
.LBB98_461:                             ;   in Loop: Header=BB98_450 Depth=1
	s_or_b64 exec, exec, s[26:27]
	s_orn2_b64 s[26:27], s[24:25], exec
.LBB98_462:                             ;   in Loop: Header=BB98_450 Depth=1
	s_or_b64 exec, exec, s[6:7]
	s_mov_b64 s[6:7], -1
	s_and_saveexec_b64 s[24:25], s[26:27]
	s_cbranch_execz .LBB98_449
; %bb.463:                              ;   in Loop: Header=BB98_450 Depth=1
	v_cmp_le_u32_e64 s[4:5], s34, v10
	v_add_u32_e32 v1, s52, v1
	s_xor_b64 s[6:7], exec, -1
	s_orn2_b64 s[2:3], s[4:5], exec
	s_branch .LBB98_449
.LBB98_464:
	s_or_b64 exec, exec, s[20:21]
	s_mov_b64 s[4:5], exec
	s_orn2_b64 s[2:3], s[22:23], exec
	s_or_b64 exec, exec, s[18:19]
	s_and_saveexec_b64 s[6:7], s[2:3]
	s_cbranch_execz .LBB98_439
.LBB98_465:
	v_mov_b32_e32 v1, 0
	s_waitcnt vmcnt(0) lgkmcnt(0)
	s_barrier
	s_mov_b64 s[2:3], exec
	v_readlane_b32 s18, v52, 25
	v_readlane_b32 s19, v52, 26
	s_and_b64 s[18:19], s[2:3], s[18:19]
	s_mov_b64 exec, s[18:19]
	s_cbranch_execz .LBB98_467
; %bb.466:
	global_load_ushort v1, v[5:6], off
.LBB98_467:
	s_or_b64 exec, exec, s[2:3]
	s_mov_b64 s[2:3], 0
	s_and_saveexec_b64 s[30:31], vcc
	s_cbranch_execz .LBB98_487
; %bb.468:
	v_add_u32_e32 v2, s8, v0
	v_mul_lo_u32 v2, s9, v2
	s_mov_b64 s[18:19], 0
	v_mov_b32_e32 v3, 0
	v_mov_b32_e32 v4, 0xffff
	;; [unrolled: 1-line block ×3, first 2 shown]
                                        ; implicit-def: $sgpr20_sgpr21
                                        ; implicit-def: $vgpr8
	s_branch .LBB98_471
.LBB98_469:                             ;   in Loop: Header=BB98_471 Depth=1
	s_or_b64 exec, exec, s[24:25]
	s_orn2_b64 s[26:27], s[28:29], exec
	s_orn2_b64 s[24:25], s[22:23], exec
.LBB98_470:                             ;   in Loop: Header=BB98_471 Depth=1
	s_or_b64 exec, exec, s[2:3]
	s_xor_b64 s[2:3], s[26:27], -1
	s_and_b64 s[22:23], exec, s[24:25]
	s_or_b64 s[18:19], s[22:23], s[18:19]
	s_andn2_b64 s[20:21], s[20:21], exec
	s_and_b64 s[2:3], s[2:3], exec
	s_or_b64 s[20:21], s[20:21], s[2:3]
	v_mov_b32_e32 v0, v6
	v_mov_b32_e32 v1, v9
	s_andn2_b64 exec, exec, s[18:19]
	s_cbranch_execz .LBB98_485
.LBB98_471:                             ; =>This Inner Loop Header: Depth=1
	v_add_u32_e32 v6, s8, v0
	v_cmp_gt_u32_e32 vcc, s36, v6
	v_mov_b32_e32 v9, 0
	s_and_saveexec_b64 s[2:3], vcc
	s_cbranch_execz .LBB98_473
; %bb.472:                              ;   in Loop: Header=BB98_471 Depth=1
	v_lshlrev_b64 v[9:10], 1, v[2:3]
	v_mov_b32_e32 v11, s48
	v_add_co_u32_e32 v9, vcc, s33, v9
	v_addc_co_u32_e32 v10, vcc, v11, v10, vcc
	global_load_ushort v9, v[9:10], off
.LBB98_473:                             ;   in Loop: Header=BB98_471 Depth=1
	s_or_b64 exec, exec, s[2:3]
	s_waitcnt vmcnt(0)
	v_cmp_lt_i16_e64 s[2:3], -1, v1
	v_cndmask_b32_e64 v10, v4, v5, s[2:3]
	v_xor_b32_sdwa v10, v10, v1 dst_sel:DWORD dst_unused:UNUSED_PAD src0_sel:DWORD src1_sel:WORD_0
	v_cmp_o_f16_e64 s[2:3], v1, v1
	v_cndmask_b32_e64 v10, v4, v10, s[2:3]
	v_cmp_gt_u32_e32 vcc, s36, v0
	v_cmp_eq_u32_e64 s[2:3], v10, v7
	s_and_b64 s[22:23], vcc, s[2:3]
	v_cndmask_b32_e64 v10, 0, 1, s[22:23]
	v_cmp_ne_u32_e32 vcc, 0, v10
	s_cmp_lg_u64 vcc, 0
	s_cselect_b64 s[2:3], -1, 0
	s_and_b64 s[2:3], s[0:1], s[2:3]
	s_and_saveexec_b64 s[24:25], s[2:3]
	s_cbranch_execz .LBB98_477
; %bb.474:                              ;   in Loop: Header=BB98_471 Depth=1
	s_mov_b64 s[28:29], exec
	v_mbcnt_lo_u32_b32 v8, s28, 0
	v_mbcnt_hi_u32_b32 v8, s29, v8
	s_bcnt1_i32_b64 s9, vcc
	v_cmp_eq_u32_e64 s[2:3], 0, v8
                                        ; implicit-def: $vgpr10
	s_and_saveexec_b64 s[26:27], s[2:3]
; %bb.475:                              ;   in Loop: Header=BB98_471 Depth=1
	s_bcnt1_i32_b64 s2, s[28:29]
	s_mul_i32 s2, s9, s2
	v_mov_b32_e32 v10, s2
	ds_add_rtn_u32 v10, v3, v10 offset:4108
; %bb.476:                              ;   in Loop: Header=BB98_471 Depth=1
	s_or_b64 exec, exec, s[26:27]
	s_waitcnt lgkmcnt(0)
	v_readfirstlane_b32 s2, v10
	v_mov_b32_e32 v10, s2
	v_mad_u32_u24 v8, s9, v8, v10
.LBB98_477:                             ;   in Loop: Header=BB98_471 Depth=1
	s_or_b64 exec, exec, s[24:25]
	ds_bpermute_b32 v8, v20, v8
	s_cmp_eq_u64 vcc, 0
	s_cselect_b64 s[26:27], -1, 0
	s_mov_b64 s[24:25], -1
	s_waitcnt lgkmcnt(0)
	v_cmp_gt_u32_e64 s[2:3], s37, v8
	s_or_b64 s[28:29], s[26:27], s[2:3]
	s_mov_b64 s[26:27], -1
	s_and_saveexec_b64 s[2:3], s[28:29]
	s_cbranch_execz .LBB98_470
; %bb.478:                              ;   in Loop: Header=BB98_471 Depth=1
	v_and_b32_e32 v11, vcc_lo, v22
	v_and_b32_e32 v10, vcc_hi, v21
	v_bcnt_u32_b32 v11, v11, 0
	v_bcnt_u32_b32 v10, v10, v11
	v_sub_u32_e32 v11, s37, v8
	v_cmp_gt_u32_e32 vcc, v11, v10
	s_and_b64 s[44:45], s[22:23], vcc
	s_mov_b64 s[22:23], -1
	s_mov_b64 s[28:29], -1
	s_and_saveexec_b64 s[24:25], s[44:45]
	s_cbranch_execz .LBB98_482
; %bb.479:                              ;   in Loop: Header=BB98_471 Depth=1
	v_add_u32_e32 v10, v8, v10
	v_cmp_gt_u32_e32 vcc, s37, v10
	s_mov_b64 s[26:27], 0
	s_and_saveexec_b64 s[28:29], vcc
; %bb.480:                              ;   in Loop: Header=BB98_471 Depth=1
	v_mul_lo_u32 v11, v10, s41
	v_mov_b32_e32 v12, v3
	v_mul_lo_u32 v10, v10, s42
	v_mov_b32_e32 v13, s38
	v_lshlrev_b64 v[11:12], 1, v[11:12]
	s_mov_b64 s[26:27], exec
	v_add_co_u32_e32 v11, vcc, s35, v11
	v_addc_co_u32_e32 v12, vcc, v13, v12, vcc
	global_store_short v[11:12], v1, off
	v_mov_b32_e32 v11, v3
	v_lshlrev_b64 v[10:11], 3, v[10:11]
	v_mov_b32_e32 v12, s40
	v_add_co_u32_e32 v10, vcc, s39, v10
	v_mov_b32_e32 v1, v3
	v_addc_co_u32_e32 v11, vcc, v12, v11, vcc
	global_store_dwordx2 v[10:11], v[0:1], off
; %bb.481:                              ;   in Loop: Header=BB98_471 Depth=1
	s_or_b64 exec, exec, s[28:29]
	s_xor_b64 s[28:29], exec, -1
	s_orn2_b64 s[26:27], s[26:27], exec
.LBB98_482:                             ;   in Loop: Header=BB98_471 Depth=1
	s_or_b64 exec, exec, s[24:25]
	s_and_saveexec_b64 s[24:25], s[26:27]
	s_cbranch_execz .LBB98_469
; %bb.483:                              ;   in Loop: Header=BB98_471 Depth=1
	v_cmp_le_u32_e32 vcc, s34, v6
	v_add_u32_e32 v2, s52, v2
	s_or_b64 s[28:29], s[28:29], exec
	s_orn2_b64 s[22:23], vcc, exec
	s_branch .LBB98_469
.LBB98_484:
	s_or_b64 s[14:15], s[14:15], exec
	s_trap 2
	s_branch .LBB98_446
.LBB98_485:
	s_or_b64 exec, exec, s[18:19]
	s_mov_b64 s[0:1], 0
	s_and_saveexec_b64 s[2:3], s[20:21]
	s_xor_b64 s[2:3], exec, s[2:3]
	s_cbranch_execnz .LBB98_491
.LBB98_486:
	s_or_b64 exec, exec, s[2:3]
	s_and_b64 s[2:3], s[0:1], exec
.LBB98_487:
	s_or_b64 exec, exec, s[30:31]
	s_and_b64 s[30:31], s[2:3], exec
	s_andn2_b64 s[4:5], s[4:5], exec
	s_or_b64 exec, exec, s[6:7]
	s_and_saveexec_b64 s[0:1], s[4:5]
	s_xor_b64 s[0:1], exec, s[0:1]
	s_cbranch_execz .LBB98_440
.LBB98_488:
	s_trap 2
	s_or_b64 s[30:31], s[30:31], exec
	s_branch .LBB98_440
.LBB98_489:
	s_or_b64 s[16:17], s[16:17], exec
	s_trap 2
	s_branch .LBB98_444
.LBB98_490:
	s_trap 2
	s_or_b64 s[18:19], s[18:19], exec
	s_branch .LBB98_442
.LBB98_491:
	s_mov_b64 s[0:1], exec
	s_trap 2
	s_branch .LBB98_486
	.section	.rodata,"a",@progbits
	.p2align	6, 0x0
	.amdhsa_kernel _ZN2at6native6sbtopk10gatherTopKIN3c104HalfEjLi2ELb0EEEvNS_4cuda6detail10TensorInfoIKT_T0_EESA_SA_bSA_SA_NS7_IS8_SA_EESA_NS7_IlSA_EESA_PS8_
		.amdhsa_group_segment_fixed_size 4112
		.amdhsa_private_segment_fixed_size 0
		.amdhsa_kernarg_size 952
		.amdhsa_user_sgpr_count 6
		.amdhsa_user_sgpr_private_segment_buffer 1
		.amdhsa_user_sgpr_dispatch_ptr 0
		.amdhsa_user_sgpr_queue_ptr 0
		.amdhsa_user_sgpr_kernarg_segment_ptr 1
		.amdhsa_user_sgpr_dispatch_id 0
		.amdhsa_user_sgpr_flat_scratch_init 0
		.amdhsa_user_sgpr_private_segment_size 0
		.amdhsa_uses_dynamic_stack 0
		.amdhsa_system_sgpr_private_segment_wavefront_offset 0
		.amdhsa_system_sgpr_workgroup_id_x 1
		.amdhsa_system_sgpr_workgroup_id_y 1
		.amdhsa_system_sgpr_workgroup_id_z 1
		.amdhsa_system_sgpr_workgroup_info 0
		.amdhsa_system_vgpr_workitem_id 0
		.amdhsa_next_free_vgpr 53
		.amdhsa_next_free_sgpr 96
		.amdhsa_reserve_vcc 1
		.amdhsa_reserve_flat_scratch 0
		.amdhsa_float_round_mode_32 0
		.amdhsa_float_round_mode_16_64 0
		.amdhsa_float_denorm_mode_32 3
		.amdhsa_float_denorm_mode_16_64 3
		.amdhsa_dx10_clamp 1
		.amdhsa_ieee_mode 1
		.amdhsa_fp16_overflow 0
		.amdhsa_exception_fp_ieee_invalid_op 0
		.amdhsa_exception_fp_denorm_src 0
		.amdhsa_exception_fp_ieee_div_zero 0
		.amdhsa_exception_fp_ieee_overflow 0
		.amdhsa_exception_fp_ieee_underflow 0
		.amdhsa_exception_fp_ieee_inexact 0
		.amdhsa_exception_int_div_zero 0
	.end_amdhsa_kernel
	.section	.text._ZN2at6native6sbtopk10gatherTopKIN3c104HalfEjLi2ELb0EEEvNS_4cuda6detail10TensorInfoIKT_T0_EESA_SA_bSA_SA_NS7_IS8_SA_EESA_NS7_IlSA_EESA_PS8_,"axG",@progbits,_ZN2at6native6sbtopk10gatherTopKIN3c104HalfEjLi2ELb0EEEvNS_4cuda6detail10TensorInfoIKT_T0_EESA_SA_bSA_SA_NS7_IS8_SA_EESA_NS7_IlSA_EESA_PS8_,comdat
.Lfunc_end98:
	.size	_ZN2at6native6sbtopk10gatherTopKIN3c104HalfEjLi2ELb0EEEvNS_4cuda6detail10TensorInfoIKT_T0_EESA_SA_bSA_SA_NS7_IS8_SA_EESA_NS7_IlSA_EESA_PS8_, .Lfunc_end98-_ZN2at6native6sbtopk10gatherTopKIN3c104HalfEjLi2ELb0EEEvNS_4cuda6detail10TensorInfoIKT_T0_EESA_SA_bSA_SA_NS7_IS8_SA_EESA_NS7_IlSA_EESA_PS8_
                                        ; -- End function
	.set _ZN2at6native6sbtopk10gatherTopKIN3c104HalfEjLi2ELb0EEEvNS_4cuda6detail10TensorInfoIKT_T0_EESA_SA_bSA_SA_NS7_IS8_SA_EESA_NS7_IlSA_EESA_PS8_.num_vgpr, 53
	.set _ZN2at6native6sbtopk10gatherTopKIN3c104HalfEjLi2ELb0EEEvNS_4cuda6detail10TensorInfoIKT_T0_EESA_SA_bSA_SA_NS7_IS8_SA_EESA_NS7_IlSA_EESA_PS8_.num_agpr, 0
	.set _ZN2at6native6sbtopk10gatherTopKIN3c104HalfEjLi2ELb0EEEvNS_4cuda6detail10TensorInfoIKT_T0_EESA_SA_bSA_SA_NS7_IS8_SA_EESA_NS7_IlSA_EESA_PS8_.numbered_sgpr, 96
	.set _ZN2at6native6sbtopk10gatherTopKIN3c104HalfEjLi2ELb0EEEvNS_4cuda6detail10TensorInfoIKT_T0_EESA_SA_bSA_SA_NS7_IS8_SA_EESA_NS7_IlSA_EESA_PS8_.num_named_barrier, 0
	.set _ZN2at6native6sbtopk10gatherTopKIN3c104HalfEjLi2ELb0EEEvNS_4cuda6detail10TensorInfoIKT_T0_EESA_SA_bSA_SA_NS7_IS8_SA_EESA_NS7_IlSA_EESA_PS8_.private_seg_size, 0
	.set _ZN2at6native6sbtopk10gatherTopKIN3c104HalfEjLi2ELb0EEEvNS_4cuda6detail10TensorInfoIKT_T0_EESA_SA_bSA_SA_NS7_IS8_SA_EESA_NS7_IlSA_EESA_PS8_.uses_vcc, 1
	.set _ZN2at6native6sbtopk10gatherTopKIN3c104HalfEjLi2ELb0EEEvNS_4cuda6detail10TensorInfoIKT_T0_EESA_SA_bSA_SA_NS7_IS8_SA_EESA_NS7_IlSA_EESA_PS8_.uses_flat_scratch, 0
	.set _ZN2at6native6sbtopk10gatherTopKIN3c104HalfEjLi2ELb0EEEvNS_4cuda6detail10TensorInfoIKT_T0_EESA_SA_bSA_SA_NS7_IS8_SA_EESA_NS7_IlSA_EESA_PS8_.has_dyn_sized_stack, 0
	.set _ZN2at6native6sbtopk10gatherTopKIN3c104HalfEjLi2ELb0EEEvNS_4cuda6detail10TensorInfoIKT_T0_EESA_SA_bSA_SA_NS7_IS8_SA_EESA_NS7_IlSA_EESA_PS8_.has_recursion, 0
	.set _ZN2at6native6sbtopk10gatherTopKIN3c104HalfEjLi2ELb0EEEvNS_4cuda6detail10TensorInfoIKT_T0_EESA_SA_bSA_SA_NS7_IS8_SA_EESA_NS7_IlSA_EESA_PS8_.has_indirect_call, 0
	.section	.AMDGPU.csdata,"",@progbits
; Kernel info:
; codeLenInByte = 17068
; TotalNumSgprs: 100
; NumVgprs: 53
; ScratchSize: 0
; MemoryBound: 0
; FloatMode: 240
; IeeeMode: 1
; LDSByteSize: 4112 bytes/workgroup (compile time only)
; SGPRBlocks: 12
; VGPRBlocks: 13
; NumSGPRsForWavesPerEU: 100
; NumVGPRsForWavesPerEU: 53
; Occupancy: 4
; WaveLimiterHint : 1
; COMPUTE_PGM_RSRC2:SCRATCH_EN: 0
; COMPUTE_PGM_RSRC2:USER_SGPR: 6
; COMPUTE_PGM_RSRC2:TRAP_HANDLER: 0
; COMPUTE_PGM_RSRC2:TGID_X_EN: 1
; COMPUTE_PGM_RSRC2:TGID_Y_EN: 1
; COMPUTE_PGM_RSRC2:TGID_Z_EN: 1
; COMPUTE_PGM_RSRC2:TIDIG_COMP_CNT: 0
	.section	.text._ZN2at6native6mbtopk23computeBlockDigitCountsIN3c104HalfEjjLi3EEEvNS_4cuda6detail10TensorInfoIKT_T0_EEjPjjSA_iijT1_PSD_Ps,"axG",@progbits,_ZN2at6native6mbtopk23computeBlockDigitCountsIN3c104HalfEjjLi3EEEvNS_4cuda6detail10TensorInfoIKT_T0_EEjPjjSA_iijT1_PSD_Ps,comdat
	.protected	_ZN2at6native6mbtopk23computeBlockDigitCountsIN3c104HalfEjjLi3EEEvNS_4cuda6detail10TensorInfoIKT_T0_EEjPjjSA_iijT1_PSD_Ps ; -- Begin function _ZN2at6native6mbtopk23computeBlockDigitCountsIN3c104HalfEjjLi3EEEvNS_4cuda6detail10TensorInfoIKT_T0_EEjPjjSA_iijT1_PSD_Ps
	.globl	_ZN2at6native6mbtopk23computeBlockDigitCountsIN3c104HalfEjjLi3EEEvNS_4cuda6detail10TensorInfoIKT_T0_EEjPjjSA_iijT1_PSD_Ps
	.p2align	8
	.type	_ZN2at6native6mbtopk23computeBlockDigitCountsIN3c104HalfEjjLi3EEEvNS_4cuda6detail10TensorInfoIKT_T0_EEjPjjSA_iijT1_PSD_Ps,@function
_ZN2at6native6mbtopk23computeBlockDigitCountsIN3c104HalfEjjLi3EEEvNS_4cuda6detail10TensorInfoIKT_T0_EEjPjjSA_iijT1_PSD_Ps: ; @_ZN2at6native6mbtopk23computeBlockDigitCountsIN3c104HalfEjjLi3EEEvNS_4cuda6detail10TensorInfoIKT_T0_EEjPjjSA_iijT1_PSD_Ps
; %bb.0:
	s_load_dwordx2 s[10:11], s[4:5], 0xf8
	s_load_dwordx4 s[12:15], s[4:5], 0xe8
	s_load_dwordx2 s[0:1], s[4:5], 0x110
	s_waitcnt lgkmcnt(0)
	v_cvt_f32_u32_e32 v1, s10
	s_sub_i32 s2, 0, s10
	s_mul_i32 s1, s1, s8
	s_add_i32 s1, s1, s7
	v_rcp_iflag_f32_e32 v1, v1
	s_mul_i32 s18, s1, s0
	s_add_i32 s18, s18, s6
	s_mov_b32 s7, 0
	v_mul_f32_e32 v1, 0x4f7ffffe, v1
	v_cvt_u32_f32_e32 v1, v1
	v_readfirstlane_b32 s0, v1
	s_mul_i32 s2, s2, s0
	s_mul_hi_u32 s1, s0, s2
	s_add_i32 s0, s0, s1
	s_mul_hi_u32 s0, s18, s0
	s_mul_i32 s1, s0, s10
	s_sub_i32 s1, s18, s1
	s_add_i32 s2, s0, 1
	s_sub_i32 s3, s1, s10
	s_cmp_ge_u32 s1, s10
	s_cselect_b32 s0, s2, s0
	s_cselect_b32 s1, s3, s1
	s_add_i32 s2, s0, 1
	s_cmp_ge_u32 s1, s10
	s_cselect_b32 s6, s2, s0
	s_cmp_ge_u32 s6, s12
	s_cbranch_scc1 .LBB99_27
; %bb.1:
	s_load_dwordx2 s[8:9], s[4:5], 0xc
	s_load_dwordx4 s[0:3], s[4:5], 0x100
	s_lshl_b64 s[16:17], s[6:7], 2
	s_movk_i32 s7, 0x100
	v_cmp_gt_u32_e32 vcc, s7, v0
	s_waitcnt lgkmcnt(0)
	v_cvt_f32_u32_e32 v1, s9
	v_cvt_f32_u32_e32 v2, s8
	s_add_u32 s0, s0, s16
	s_addc_u32 s1, s1, s17
	v_rcp_iflag_f32_e32 v1, v1
	s_sub_i32 s12, 0, s9
	v_rcp_iflag_f32_e32 v2, v2
	v_lshlrev_b32_e32 v3, 2, v0
	v_mul_f32_e32 v1, 0x4f7ffffe, v1
	v_cvt_u32_f32_e32 v1, v1
	v_mul_f32_e32 v2, 0x4f7ffffe, v2
	v_cvt_u32_f32_e32 v2, v2
	v_readfirstlane_b32 s16, v1
	s_mul_i32 s12, s12, s16
	s_mul_hi_u32 s12, s16, s12
	s_add_i32 s16, s16, s12
	s_mul_hi_u32 s12, s6, s16
	s_mul_i32 s16, s12, s9
	s_sub_i32 s16, s6, s16
	s_add_i32 s17, s12, 1
	s_sub_i32 s19, s16, s9
	s_cmp_ge_u32 s16, s9
	s_cselect_b32 s12, s17, s12
	s_cselect_b32 s16, s19, s16
	s_add_i32 s17, s12, 1
	s_cmp_ge_u32 s16, s9
	v_readfirstlane_b32 s20, v2
	s_cselect_b32 s19, s17, s12
	s_and_saveexec_b64 s[16:17], vcc
; %bb.2:
	v_mov_b32_e32 v1, 0
	ds_write_b32 v3, v1
; %bb.3:
	s_or_b64 exec, exec, s[16:17]
	s_load_dword s12, s[4:5], 0xd8
	s_mul_i32 s7, s6, s10
	s_sub_i32 s7, s18, s7
	s_add_i32 s17, s7, 1
	s_mul_i32 s7, s15, s7
	s_lshl_b32 s16, s7, 8
	s_waitcnt lgkmcnt(0)
	s_sub_i32 s7, s12, s16
	s_add_u32 s22, s7, 0xff
	s_addc_u32 s23, 0, 0
	s_lshr_b64 s[22:23], s[22:23], 8
	s_cmp_lt_u32 s17, s10
	s_cselect_b32 s15, s15, s22
	s_cmp_lt_i32 s15, 1
	s_mov_b32 s7, 0
	s_barrier
	s_cbranch_scc1 .LBB99_25
; %bb.4:
	s_sub_i32 s10, 0, s8
	s_mul_i32 s10, s10, s20
	s_mul_hi_u32 s10, s20, s10
	s_add_i32 s10, s20, s10
	s_load_dwordx4 s[20:23], s[4:5], 0x6c
	s_load_dwordx2 s[24:25], s[4:5], 0x0
	s_mul_hi_u32 s4, s19, s10
	s_load_dword s10, s[0:1], 0x0
	s_mul_i32 s1, s4, s8
	s_mul_i32 s0, s19, s9
	s_sub_i32 s1, s19, s1
	s_sub_i32 s0, s6, s0
	s_add_i32 s5, s4, 1
	s_sub_i32 s6, s1, s8
	s_cmp_ge_u32 s1, s8
	s_cselect_b32 s4, s5, s4
	s_cselect_b32 s1, s6, s1
	s_add_i32 s5, s4, 1
	s_cmp_ge_u32 s1, s8
	s_cselect_b32 s1, s5, s4
	s_mul_i32 s4, s1, s8
	s_sub_i32 s4, s19, s4
	s_waitcnt lgkmcnt(0)
	s_mul_i32 s0, s0, s22
	s_mul_i32 s4, s4, s21
	s_add_i32 s0, s4, s0
	s_mul_i32 s1, s1, s20
	s_add_i32 s6, s0, s1
	s_lshl_b64 s[0:1], s[6:7], 1
	s_add_u32 s6, s24, s0
	s_addc_u32 s8, s25, s1
	s_and_b32 s9, s14, 0xff
	s_cmp_lt_u32 s15, 4
	s_cbranch_scc1 .LBB99_19
; %bb.5:
	v_add_u32_e32 v1, s16, v0
	v_add_u32_e32 v2, 0x200, v1
	;; [unrolled: 1-line block ×3, first 2 shown]
	v_mul_lo_u32 v6, s13, v2
	v_add_u32_e32 v2, 0x100, v1
	v_mul_lo_u32 v5, s13, v4
	v_mul_lo_u32 v7, s13, v2
	;; [unrolled: 1-line block ×3, first 2 shown]
	s_and_b32 s7, s15, 0x7ffffffc
	s_lshl_b32 s14, s13, 10
	s_mov_b32 s17, 0
	v_mov_b32_e32 v2, 0
	v_mov_b32_e32 v9, 1
	;; [unrolled: 1-line block ×4, first 2 shown]
	s_mov_b32 s19, 0
	s_branch .LBB99_7
.LBB99_6:                               ;   in Loop: Header=BB99_7 Depth=1
	s_or_b64 exec, exec, s[4:5]
	s_add_i32 s19, s19, 4
	s_add_i32 s17, s17, s14
	s_cmp_eq_u32 s7, s19
	v_add_u32_e32 v4, 0x400, v4
	s_cbranch_scc1 .LBB99_19
.LBB99_7:                               ; =>This Inner Loop Header: Depth=1
	v_add_u32_e32 v1, 0xfffffd00, v4
	v_cmp_gt_u32_e64 s[0:1], s12, v1
	s_and_saveexec_b64 s[4:5], s[0:1]
	s_cbranch_execz .LBB99_10
; %bb.8:                                ;   in Loop: Header=BB99_7 Depth=1
	v_add_u32_e32 v1, s17, v8
	v_lshlrev_b64 v[12:13], 1, v[1:2]
	v_mov_b32_e32 v1, s8
	v_add_co_u32_e64 v12, s[0:1], s6, v12
	v_addc_co_u32_e64 v13, s[0:1], v1, v13, s[0:1]
	global_load_ushort v1, v[12:13], off
	s_waitcnt vmcnt(0)
	v_cmp_lt_i16_e64 s[0:1], -1, v1
	v_cndmask_b32_e64 v12, v10, v11, s[0:1]
	v_xor_b32_sdwa v12, v12, v1 dst_sel:DWORD dst_unused:UNUSED_PAD src0_sel:DWORD src1_sel:WORD_0
	v_cmp_o_f16_e64 s[0:1], v1, v1
	v_cndmask_b32_e64 v1, v10, v12, s[0:1]
	v_xor_b32_e32 v12, s10, v1
	v_and_b32_e32 v12, s11, v12
	v_cmp_eq_u32_e64 s[0:1], 0, v12
	s_and_b64 exec, exec, s[0:1]
; %bb.9:                                ;   in Loop: Header=BB99_7 Depth=1
	v_bfe_u32 v1, v1, s9, 8
	v_lshlrev_b32_e32 v1, 2, v1
	ds_add_u32 v1, v9
.LBB99_10:                              ;   in Loop: Header=BB99_7 Depth=1
	s_or_b64 exec, exec, s[4:5]
	v_add_u32_e32 v1, 0xfffffe00, v4
	v_cmp_gt_u32_e64 s[0:1], s12, v1
	s_and_saveexec_b64 s[4:5], s[0:1]
	s_cbranch_execz .LBB99_13
; %bb.11:                               ;   in Loop: Header=BB99_7 Depth=1
	v_add_u32_e32 v1, s17, v7
	v_lshlrev_b64 v[12:13], 1, v[1:2]
	v_mov_b32_e32 v1, s8
	v_add_co_u32_e64 v12, s[0:1], s6, v12
	v_addc_co_u32_e64 v13, s[0:1], v1, v13, s[0:1]
	global_load_ushort v1, v[12:13], off
	s_waitcnt vmcnt(0)
	v_cmp_lt_i16_e64 s[0:1], -1, v1
	v_cndmask_b32_e64 v12, v10, v11, s[0:1]
	v_xor_b32_sdwa v12, v12, v1 dst_sel:DWORD dst_unused:UNUSED_PAD src0_sel:DWORD src1_sel:WORD_0
	v_cmp_o_f16_e64 s[0:1], v1, v1
	v_cndmask_b32_e64 v1, v10, v12, s[0:1]
	v_xor_b32_e32 v12, s10, v1
	v_and_b32_e32 v12, s11, v12
	v_cmp_eq_u32_e64 s[0:1], 0, v12
	s_and_b64 exec, exec, s[0:1]
; %bb.12:                               ;   in Loop: Header=BB99_7 Depth=1
	v_bfe_u32 v1, v1, s9, 8
	v_lshlrev_b32_e32 v1, 2, v1
	ds_add_u32 v1, v9
.LBB99_13:                              ;   in Loop: Header=BB99_7 Depth=1
	s_or_b64 exec, exec, s[4:5]
	v_add_u32_e32 v1, 0xffffff00, v4
	v_cmp_gt_u32_e64 s[0:1], s12, v1
	s_and_saveexec_b64 s[4:5], s[0:1]
	s_cbranch_execz .LBB99_16
; %bb.14:                               ;   in Loop: Header=BB99_7 Depth=1
	v_add_u32_e32 v1, s17, v6
	v_lshlrev_b64 v[12:13], 1, v[1:2]
	v_mov_b32_e32 v1, s8
	v_add_co_u32_e64 v12, s[0:1], s6, v12
	v_addc_co_u32_e64 v13, s[0:1], v1, v13, s[0:1]
	global_load_ushort v1, v[12:13], off
	s_waitcnt vmcnt(0)
	v_cmp_lt_i16_e64 s[0:1], -1, v1
	v_cndmask_b32_e64 v12, v10, v11, s[0:1]
	v_xor_b32_sdwa v12, v12, v1 dst_sel:DWORD dst_unused:UNUSED_PAD src0_sel:DWORD src1_sel:WORD_0
	v_cmp_o_f16_e64 s[0:1], v1, v1
	v_cndmask_b32_e64 v1, v10, v12, s[0:1]
	v_xor_b32_e32 v12, s10, v1
	v_and_b32_e32 v12, s11, v12
	v_cmp_eq_u32_e64 s[0:1], 0, v12
	s_and_b64 exec, exec, s[0:1]
; %bb.15:                               ;   in Loop: Header=BB99_7 Depth=1
	v_bfe_u32 v1, v1, s9, 8
	v_lshlrev_b32_e32 v1, 2, v1
	ds_add_u32 v1, v9
.LBB99_16:                              ;   in Loop: Header=BB99_7 Depth=1
	s_or_b64 exec, exec, s[4:5]
	v_cmp_gt_u32_e64 s[0:1], s12, v4
	s_and_saveexec_b64 s[4:5], s[0:1]
	s_cbranch_execz .LBB99_6
; %bb.17:                               ;   in Loop: Header=BB99_7 Depth=1
	v_add_u32_e32 v1, s17, v5
	v_lshlrev_b64 v[12:13], 1, v[1:2]
	v_mov_b32_e32 v1, s8
	v_add_co_u32_e64 v12, s[0:1], s6, v12
	v_addc_co_u32_e64 v13, s[0:1], v1, v13, s[0:1]
	global_load_ushort v1, v[12:13], off
	s_waitcnt vmcnt(0)
	v_cmp_lt_i16_e64 s[0:1], -1, v1
	v_cndmask_b32_e64 v12, v10, v11, s[0:1]
	v_xor_b32_sdwa v12, v12, v1 dst_sel:DWORD dst_unused:UNUSED_PAD src0_sel:DWORD src1_sel:WORD_0
	v_cmp_o_f16_e64 s[0:1], v1, v1
	v_cndmask_b32_e64 v1, v10, v12, s[0:1]
	v_xor_b32_e32 v12, s10, v1
	v_and_b32_e32 v12, s11, v12
	v_cmp_eq_u32_e64 s[0:1], 0, v12
	s_and_b64 exec, exec, s[0:1]
	s_cbranch_execz .LBB99_6
; %bb.18:                               ;   in Loop: Header=BB99_7 Depth=1
	v_bfe_u32 v1, v1, s9, 8
	v_lshlrev_b32_e32 v1, 2, v1
	ds_add_u32 v1, v9
	s_branch .LBB99_6
.LBB99_19:
	s_and_b32 s14, s15, 3
	s_cmp_eq_u32 s14, 0
	s_cbranch_scc1 .LBB99_25
; %bb.20:
	s_lshl_b32 s0, s7, 8
	s_add_i32 s0, s0, s16
	v_add_u32_e32 v4, s0, v0
	v_mul_lo_u32 v1, s13, v4
	s_lshl_b32 s7, s13, 8
	v_mov_b32_e32 v2, 0
	v_mov_b32_e32 v5, 1
	;; [unrolled: 1-line block ×4, first 2 shown]
	s_branch .LBB99_22
.LBB99_21:                              ;   in Loop: Header=BB99_22 Depth=1
	s_or_b64 exec, exec, s[4:5]
	s_add_i32 s14, s14, -1
	v_add_u32_e32 v1, s7, v1
	s_cmp_lg_u32 s14, 0
	v_add_u32_e32 v4, 0x100, v4
	s_cbranch_scc0 .LBB99_25
.LBB99_22:                              ; =>This Inner Loop Header: Depth=1
	v_cmp_gt_u32_e64 s[0:1], s12, v4
	s_and_saveexec_b64 s[4:5], s[0:1]
	s_cbranch_execz .LBB99_21
; %bb.23:                               ;   in Loop: Header=BB99_22 Depth=1
	v_lshlrev_b64 v[8:9], 1, v[1:2]
	v_mov_b32_e32 v10, s8
	v_add_co_u32_e64 v8, s[0:1], s6, v8
	v_addc_co_u32_e64 v9, s[0:1], v10, v9, s[0:1]
	global_load_ushort v8, v[8:9], off
	s_waitcnt vmcnt(0)
	v_cmp_lt_i16_e64 s[0:1], -1, v8
	v_cndmask_b32_e64 v9, v6, v7, s[0:1]
	v_xor_b32_sdwa v9, v9, v8 dst_sel:DWORD dst_unused:UNUSED_PAD src0_sel:DWORD src1_sel:WORD_0
	v_cmp_o_f16_e64 s[0:1], v8, v8
	v_cndmask_b32_e64 v8, v6, v9, s[0:1]
	v_xor_b32_e32 v9, s10, v8
	v_and_b32_e32 v9, s11, v9
	v_cmp_eq_u32_e64 s[0:1], 0, v9
	s_and_b64 exec, exec, s[0:1]
	s_cbranch_execz .LBB99_21
; %bb.24:                               ;   in Loop: Header=BB99_22 Depth=1
	v_bfe_u32 v8, v8, s9, 8
	v_lshlrev_b32_e32 v8, 2, v8
	ds_add_u32 v8, v5
	s_branch .LBB99_21
.LBB99_25:
	s_waitcnt lgkmcnt(0)
	s_barrier
	s_and_saveexec_b64 s[0:1], vcc
	s_cbranch_execz .LBB99_27
; %bb.26:
	v_lshl_or_b32 v0, s18, 8, v0
	v_mov_b32_e32 v1, 0
	ds_read_b32 v3, v3
	v_lshlrev_b64 v[0:1], 1, v[0:1]
	v_mov_b32_e32 v2, s3
	v_add_co_u32_e32 v0, vcc, s2, v0
	v_addc_co_u32_e32 v1, vcc, v2, v1, vcc
	s_waitcnt lgkmcnt(0)
	global_store_short v[0:1], v3, off
.LBB99_27:
	s_endpgm
	.section	.rodata,"a",@progbits
	.p2align	6, 0x0
	.amdhsa_kernel _ZN2at6native6mbtopk23computeBlockDigitCountsIN3c104HalfEjjLi3EEEvNS_4cuda6detail10TensorInfoIKT_T0_EEjPjjSA_iijT1_PSD_Ps
		.amdhsa_group_segment_fixed_size 1024
		.amdhsa_private_segment_fixed_size 0
		.amdhsa_kernarg_size 528
		.amdhsa_user_sgpr_count 6
		.amdhsa_user_sgpr_private_segment_buffer 1
		.amdhsa_user_sgpr_dispatch_ptr 0
		.amdhsa_user_sgpr_queue_ptr 0
		.amdhsa_user_sgpr_kernarg_segment_ptr 1
		.amdhsa_user_sgpr_dispatch_id 0
		.amdhsa_user_sgpr_flat_scratch_init 0
		.amdhsa_user_sgpr_private_segment_size 0
		.amdhsa_uses_dynamic_stack 0
		.amdhsa_system_sgpr_private_segment_wavefront_offset 0
		.amdhsa_system_sgpr_workgroup_id_x 1
		.amdhsa_system_sgpr_workgroup_id_y 1
		.amdhsa_system_sgpr_workgroup_id_z 1
		.amdhsa_system_sgpr_workgroup_info 0
		.amdhsa_system_vgpr_workitem_id 0
		.amdhsa_next_free_vgpr 14
		.amdhsa_next_free_sgpr 26
		.amdhsa_reserve_vcc 1
		.amdhsa_reserve_flat_scratch 0
		.amdhsa_float_round_mode_32 0
		.amdhsa_float_round_mode_16_64 0
		.amdhsa_float_denorm_mode_32 3
		.amdhsa_float_denorm_mode_16_64 3
		.amdhsa_dx10_clamp 1
		.amdhsa_ieee_mode 1
		.amdhsa_fp16_overflow 0
		.amdhsa_exception_fp_ieee_invalid_op 0
		.amdhsa_exception_fp_denorm_src 0
		.amdhsa_exception_fp_ieee_div_zero 0
		.amdhsa_exception_fp_ieee_overflow 0
		.amdhsa_exception_fp_ieee_underflow 0
		.amdhsa_exception_fp_ieee_inexact 0
		.amdhsa_exception_int_div_zero 0
	.end_amdhsa_kernel
	.section	.text._ZN2at6native6mbtopk23computeBlockDigitCountsIN3c104HalfEjjLi3EEEvNS_4cuda6detail10TensorInfoIKT_T0_EEjPjjSA_iijT1_PSD_Ps,"axG",@progbits,_ZN2at6native6mbtopk23computeBlockDigitCountsIN3c104HalfEjjLi3EEEvNS_4cuda6detail10TensorInfoIKT_T0_EEjPjjSA_iijT1_PSD_Ps,comdat
.Lfunc_end99:
	.size	_ZN2at6native6mbtopk23computeBlockDigitCountsIN3c104HalfEjjLi3EEEvNS_4cuda6detail10TensorInfoIKT_T0_EEjPjjSA_iijT1_PSD_Ps, .Lfunc_end99-_ZN2at6native6mbtopk23computeBlockDigitCountsIN3c104HalfEjjLi3EEEvNS_4cuda6detail10TensorInfoIKT_T0_EEjPjjSA_iijT1_PSD_Ps
                                        ; -- End function
	.set _ZN2at6native6mbtopk23computeBlockDigitCountsIN3c104HalfEjjLi3EEEvNS_4cuda6detail10TensorInfoIKT_T0_EEjPjjSA_iijT1_PSD_Ps.num_vgpr, 14
	.set _ZN2at6native6mbtopk23computeBlockDigitCountsIN3c104HalfEjjLi3EEEvNS_4cuda6detail10TensorInfoIKT_T0_EEjPjjSA_iijT1_PSD_Ps.num_agpr, 0
	.set _ZN2at6native6mbtopk23computeBlockDigitCountsIN3c104HalfEjjLi3EEEvNS_4cuda6detail10TensorInfoIKT_T0_EEjPjjSA_iijT1_PSD_Ps.numbered_sgpr, 26
	.set _ZN2at6native6mbtopk23computeBlockDigitCountsIN3c104HalfEjjLi3EEEvNS_4cuda6detail10TensorInfoIKT_T0_EEjPjjSA_iijT1_PSD_Ps.num_named_barrier, 0
	.set _ZN2at6native6mbtopk23computeBlockDigitCountsIN3c104HalfEjjLi3EEEvNS_4cuda6detail10TensorInfoIKT_T0_EEjPjjSA_iijT1_PSD_Ps.private_seg_size, 0
	.set _ZN2at6native6mbtopk23computeBlockDigitCountsIN3c104HalfEjjLi3EEEvNS_4cuda6detail10TensorInfoIKT_T0_EEjPjjSA_iijT1_PSD_Ps.uses_vcc, 1
	.set _ZN2at6native6mbtopk23computeBlockDigitCountsIN3c104HalfEjjLi3EEEvNS_4cuda6detail10TensorInfoIKT_T0_EEjPjjSA_iijT1_PSD_Ps.uses_flat_scratch, 0
	.set _ZN2at6native6mbtopk23computeBlockDigitCountsIN3c104HalfEjjLi3EEEvNS_4cuda6detail10TensorInfoIKT_T0_EEjPjjSA_iijT1_PSD_Ps.has_dyn_sized_stack, 0
	.set _ZN2at6native6mbtopk23computeBlockDigitCountsIN3c104HalfEjjLi3EEEvNS_4cuda6detail10TensorInfoIKT_T0_EEjPjjSA_iijT1_PSD_Ps.has_recursion, 0
	.set _ZN2at6native6mbtopk23computeBlockDigitCountsIN3c104HalfEjjLi3EEEvNS_4cuda6detail10TensorInfoIKT_T0_EEjPjjSA_iijT1_PSD_Ps.has_indirect_call, 0
	.section	.AMDGPU.csdata,"",@progbits
; Kernel info:
; codeLenInByte = 1588
; TotalNumSgprs: 30
; NumVgprs: 14
; ScratchSize: 0
; MemoryBound: 0
; FloatMode: 240
; IeeeMode: 1
; LDSByteSize: 1024 bytes/workgroup (compile time only)
; SGPRBlocks: 3
; VGPRBlocks: 3
; NumSGPRsForWavesPerEU: 30
; NumVGPRsForWavesPerEU: 14
; Occupancy: 10
; WaveLimiterHint : 1
; COMPUTE_PGM_RSRC2:SCRATCH_EN: 0
; COMPUTE_PGM_RSRC2:USER_SGPR: 6
; COMPUTE_PGM_RSRC2:TRAP_HANDLER: 0
; COMPUTE_PGM_RSRC2:TGID_X_EN: 1
; COMPUTE_PGM_RSRC2:TGID_Y_EN: 1
; COMPUTE_PGM_RSRC2:TGID_Z_EN: 1
; COMPUTE_PGM_RSRC2:TIDIG_COMP_CNT: 0
	.section	.text._ZN2at6native6mbtopk10gatherTopKIN3c104HalfEjLi3EEEvNS_4cuda6detail10TensorInfoIKT_T0_EESA_SA_bjSA_NS7_IS8_SA_EESA_NS7_IlSA_EESA_jjPS8_PjSF_j,"axG",@progbits,_ZN2at6native6mbtopk10gatherTopKIN3c104HalfEjLi3EEEvNS_4cuda6detail10TensorInfoIKT_T0_EESA_SA_bjSA_NS7_IS8_SA_EESA_NS7_IlSA_EESA_jjPS8_PjSF_j,comdat
	.protected	_ZN2at6native6mbtopk10gatherTopKIN3c104HalfEjLi3EEEvNS_4cuda6detail10TensorInfoIKT_T0_EESA_SA_bjSA_NS7_IS8_SA_EESA_NS7_IlSA_EESA_jjPS8_PjSF_j ; -- Begin function _ZN2at6native6mbtopk10gatherTopKIN3c104HalfEjLi3EEEvNS_4cuda6detail10TensorInfoIKT_T0_EESA_SA_bjSA_NS7_IS8_SA_EESA_NS7_IlSA_EESA_jjPS8_PjSF_j
	.globl	_ZN2at6native6mbtopk10gatherTopKIN3c104HalfEjLi3EEEvNS_4cuda6detail10TensorInfoIKT_T0_EESA_SA_bjSA_NS7_IS8_SA_EESA_NS7_IlSA_EESA_jjPS8_PjSF_j
	.p2align	8
	.type	_ZN2at6native6mbtopk10gatherTopKIN3c104HalfEjLi3EEEvNS_4cuda6detail10TensorInfoIKT_T0_EESA_SA_bjSA_NS7_IS8_SA_EESA_NS7_IlSA_EESA_jjPS8_PjSF_j,@function
_ZN2at6native6mbtopk10gatherTopKIN3c104HalfEjLi3EEEvNS_4cuda6detail10TensorInfoIKT_T0_EESA_SA_bjSA_NS7_IS8_SA_EESA_NS7_IlSA_EESA_jjPS8_PjSF_j: ; @_ZN2at6native6mbtopk10gatherTopKIN3c104HalfEjLi3EEEvNS_4cuda6detail10TensorInfoIKT_T0_EESA_SA_bjSA_NS7_IS8_SA_EESA_NS7_IlSA_EESA_jjPS8_PjSF_j
; %bb.0:
	s_load_dwordx2 s[0:1], s[4:5], 0x2d8
	s_load_dword s2, s[4:5], 0x2d0
	s_waitcnt lgkmcnt(0)
	s_mul_i32 s1, s1, s8
	s_add_i32 s1, s1, s7
	s_mul_i32 s0, s1, s0
	s_add_i32 s0, s0, s6
	s_cmp_ge_u32 s0, s2
	s_cbranch_scc1 .LBB100_40
; %bb.1:
	s_load_dwordx8 s[8:15], s[4:5], 0x2a8
	s_load_dwordx2 s[36:37], s[4:5], 0xc
	s_load_dwordx2 s[40:41], s[4:5], 0xfc
	s_load_dwordx2 s[34:35], s[4:5], 0x1dc
	s_load_dwordx2 s[6:7], s[4:5], 0x1d0
	s_mov_b32 s39, 0
	s_waitcnt lgkmcnt(0)
	v_cvt_f32_u32_e32 v1, s10
	s_sub_i32 s1, 0, s10
	v_cvt_f32_u32_e32 v2, s37
	v_rcp_iflag_f32_e32 v1, v1
	v_rcp_iflag_f32_e32 v2, v2
	v_mul_f32_e32 v1, 0x4f7ffffe, v1
	v_cvt_u32_f32_e32 v1, v1
	v_mul_f32_e32 v2, 0x4f7ffffe, v2
	v_cvt_u32_f32_e32 v2, v2
	v_readfirstlane_b32 s2, v1
	s_mul_i32 s1, s1, s2
	s_mul_hi_u32 s1, s2, s1
	s_add_i32 s2, s2, s1
	s_mul_hi_u32 s1, s0, s2
	s_mul_i32 s2, s1, s10
	s_sub_i32 s2, s0, s2
	s_add_i32 s3, s1, 1
	s_sub_i32 s11, s2, s10
	s_cmp_ge_u32 s2, s10
	s_cselect_b32 s1, s3, s1
	s_cselect_b32 s2, s11, s2
	s_add_i32 s3, s1, 1
	s_cmp_ge_u32 s2, s10
	s_cselect_b32 s38, s3, s1
	v_cvt_f32_u32_e32 v1, s36
	s_mul_i32 s28, s38, s10
	s_sub_i32 s1, 0, s37
	s_sub_i32 s11, s0, s28
	v_readfirstlane_b32 s0, v2
	s_mul_i32 s1, s1, s0
	s_mul_hi_u32 s1, s0, s1
	v_rcp_iflag_f32_e32 v1, v1
	s_add_i32 s0, s0, s1
	v_cvt_f32_u32_e32 v2, s41
	s_mul_hi_u32 s0, s38, s0
	s_mul_i32 s1, s0, s37
	s_sub_i32 s1, s38, s1
	v_mul_f32_e32 v1, 0x4f7ffffe, v1
	s_add_i32 s2, s0, 1
	s_sub_i32 s3, s1, s37
	v_cvt_u32_f32_e32 v1, v1
	v_rcp_iflag_f32_e32 v2, v2
	s_cmp_ge_u32 s1, s37
	s_cselect_b32 s0, s2, s0
	s_cselect_b32 s1, s3, s1
	s_add_i32 s2, s0, 1
	s_cmp_ge_u32 s1, s37
	v_readfirstlane_b32 s1, v1
	v_mul_f32_e32 v1, 0x4f7ffffe, v2
	v_cvt_u32_f32_e32 v1, v1
	s_cselect_b32 s33, s2, s0
	s_sub_i32 s0, 0, s36
	s_mul_i32 s0, s0, s1
	s_mul_hi_u32 s0, s1, s0
	s_add_i32 s2, s1, s0
	v_readfirstlane_b32 s1, v1
	v_cvt_f32_u32_e32 v1, s40
	s_sub_i32 s0, 0, s41
	s_mul_i32 s0, s0, s1
	s_mul_hi_u32 s0, s1, s0
	v_rcp_iflag_f32_e32 v1, v1
	s_add_i32 s1, s1, s0
	v_cvt_f32_u32_e32 v2, s35
	s_mul_hi_u32 s0, s38, s1
	s_mul_i32 s1, s0, s41
	s_sub_i32 s1, s38, s1
	v_mul_f32_e32 v1, 0x4f7ffffe, v1
	s_add_i32 s3, s0, 1
	s_sub_i32 s16, s1, s41
	v_cvt_u32_f32_e32 v1, v1
	v_rcp_iflag_f32_e32 v2, v2
	s_cmp_ge_u32 s1, s41
	s_cselect_b32 s0, s3, s0
	s_cselect_b32 s1, s16, s1
	s_add_i32 s3, s0, 1
	s_cmp_ge_u32 s1, s41
	v_readfirstlane_b32 s1, v1
	v_mul_f32_e32 v1, 0x4f7ffffe, v2
	v_cvt_u32_f32_e32 v1, v1
	s_cselect_b32 s52, s3, s0
	s_sub_i32 s0, 0, s40
	s_mul_i32 s0, s0, s1
	s_mul_hi_u32 s0, s1, s0
	s_add_i32 s3, s1, s0
	v_readfirstlane_b32 s1, v1
	v_cvt_f32_u32_e32 v1, s34
	s_sub_i32 s0, 0, s35
	s_mul_i32 s0, s0, s1
	s_mul_hi_u32 s0, s1, s0
	s_add_i32 s1, s1, s0
	v_rcp_iflag_f32_e32 v1, v1
	s_mul_hi_u32 s0, s38, s1
	s_mul_i32 s1, s0, s35
	s_sub_i32 s1, s38, s1
	s_add_i32 s16, s0, 1
	s_sub_i32 s17, s1, s35
	v_mul_f32_e32 v1, 0x4f7ffffe, v1
	s_cmp_ge_u32 s1, s35
	v_cvt_u32_f32_e32 v1, v1
	s_cselect_b32 s0, s16, s0
	s_cselect_b32 s1, s17, s1
	s_add_i32 s16, s0, 1
	s_cmp_ge_u32 s1, s35
	s_cselect_b32 s53, s16, s0
	s_sub_i32 s0, 0, s34
	v_readfirstlane_b32 s1, v1
	s_mul_i32 s0, s0, s1
	s_mul_hi_u32 s0, s1, s0
	s_add_i32 s29, s1, s0
	s_lshl_b64 s[0:1], s[38:39], 1
	s_add_u32 s0, s12, s0
	s_addc_u32 s1, s13, s1
	v_mov_b32_e32 v1, 0
	global_load_ushort v1, v1, s[0:1]
	s_load_dwordx2 s[44:45], s[4:5], 0x0
	s_load_dwordx4 s[20:23], s[4:5], 0x15c
	s_load_dwordx4 s[16:19], s[4:5], 0x23c
	s_load_dwordx2 s[42:43], s[4:5], 0xf0
	s_load_dwordx4 s[24:27], s[4:5], 0x6c
	v_cmp_ne_u32_e64 s[0:1], 0, v0
	s_mul_hi_u32 s54, s33, s2
	s_waitcnt lgkmcnt(0)
	s_mul_hi_u32 s27, s52, s3
	s_mul_hi_u32 s19, s53, s29
	v_cmp_eq_u32_e64 s[2:3], 0, v0
	s_waitcnt vmcnt(0)
	v_readfirstlane_b32 s23, v1
	s_and_saveexec_b64 s[12:13], s[2:3]
	s_cbranch_execz .LBB100_17
; %bb.2:
	s_load_dwordx2 s[46:47], s[4:5], 0x2c8
	s_mov_b32 s29, s39
	s_lshl_b64 s[48:49], s[28:29], 2
	s_add_u32 s28, s14, s48
	s_addc_u32 s29, s15, s49
	s_waitcnt lgkmcnt(0)
	s_add_u32 s30, s46, s48
	s_addc_u32 s31, s47, s49
	s_cmp_lt_u32 s10, 4
	s_cbranch_scc1 .LBB100_14
; %bb.3:
	s_mov_b32 s55, s39
	s_mov_b32 s56, s39
	;; [unrolled: 1-line block ×3, first 2 shown]
.LBB100_4:                              ; =>This Inner Loop Header: Depth=1
	s_add_u32 s50, s14, s48
	s_addc_u32 s51, s15, s49
	s_load_dwordx4 s[28:31], s[50:51], 0x0
	s_add_u32 s50, s46, s48
	s_addc_u32 s51, s47, s49
	s_cmp_ge_u32 s57, s11
	s_cbranch_scc0 .LBB100_11
; %bb.5:                                ;   in Loop: Header=BB100_4 Depth=1
	s_add_i32 s58, s57, 1
	s_cmp_ge_u32 s58, s11
	s_cbranch_scc0 .LBB100_12
.LBB100_6:                              ;   in Loop: Header=BB100_4 Depth=1
	s_add_i32 s58, s58, 1
	s_cmp_ge_u32 s58, s11
	s_cbranch_scc0 .LBB100_13
.LBB100_7:                              ;   in Loop: Header=BB100_4 Depth=1
	s_add_i32 s58, s58, 1
	s_cmp_ge_u32 s58, s11
	s_cbranch_scc1 .LBB100_9
.LBB100_8:                              ;   in Loop: Header=BB100_4 Depth=1
	s_load_dword s50, s[50:51], 0xc
	s_waitcnt lgkmcnt(0)
	s_add_i32 s39, s39, s31
	s_add_i32 s55, s50, s55
.LBB100_9:                              ;   in Loop: Header=BB100_4 Depth=1
	s_waitcnt lgkmcnt(0)
	s_add_i32 s28, s28, s56
	s_add_i32 s28, s28, s29
	;; [unrolled: 1-line block ×4, first 2 shown]
	s_add_u32 s14, s14, 16
	s_addc_u32 s15, s15, 0
	s_add_u32 s46, s46, 16
	s_addc_u32 s47, s47, 0
	s_add_i32 s51, s58, 4
	s_add_u32 s30, s46, s48
	s_addc_u32 s31, s47, s49
	s_add_u32 s28, s14, s48
	s_addc_u32 s29, s15, s49
	s_add_i32 s50, s58, 1
	s_cmp_ge_u32 s51, s10
	s_cbranch_scc1 .LBB100_15
; %bb.10:                               ;   in Loop: Header=BB100_4 Depth=1
	s_mov_b32 s57, s50
	s_branch .LBB100_4
.LBB100_11:                             ;   in Loop: Header=BB100_4 Depth=1
	s_load_dword s58, s[50:51], 0x0
	s_waitcnt lgkmcnt(0)
	s_add_i32 s39, s28, s39
	s_add_i32 s55, s58, s55
	;; [unrolled: 1-line block ×3, first 2 shown]
	s_cmp_ge_u32 s58, s11
	s_cbranch_scc1 .LBB100_6
.LBB100_12:                             ;   in Loop: Header=BB100_4 Depth=1
	s_load_dword s59, s[50:51], 0x4
	s_waitcnt lgkmcnt(0)
	s_add_i32 s39, s39, s29
	s_add_i32 s55, s59, s55
	;; [unrolled: 1-line block ×3, first 2 shown]
	s_cmp_ge_u32 s58, s11
	s_cbranch_scc1 .LBB100_7
.LBB100_13:                             ;   in Loop: Header=BB100_4 Depth=1
	s_load_dword s59, s[50:51], 0x8
	s_waitcnt lgkmcnt(0)
	s_add_i32 s39, s39, s30
	s_add_i32 s55, s59, s55
	;; [unrolled: 1-line block ×3, first 2 shown]
	s_cmp_ge_u32 s58, s11
	s_cbranch_scc0 .LBB100_8
	s_branch .LBB100_9
.LBB100_14:
	s_mov_b32 s55, 0
	s_mov_b32 s56, 0
	;; [unrolled: 1-line block ×3, first 2 shown]
	s_cmp_ge_u32 s14, s10
	s_cbranch_scc0 .LBB100_38
	s_branch .LBB100_16
.LBB100_15:
	s_add_i32 s14, s57, 4
	s_cmp_ge_u32 s14, s10
	s_cbranch_scc0 .LBB100_38
.LBB100_16:
	v_mov_b32_e32 v1, s55
	v_mov_b32_e32 v2, s56
	;; [unrolled: 1-line block ×4, first 2 shown]
	ds_write_b96 v4, v[1:3] offset:1056
.LBB100_17:
	s_or_b64 exec, exec, s[12:13]
	s_load_dwordx4 s[12:15], s[4:5], 0xd8
	s_mul_i32 s28, s9, s11
	s_lshl_b32 s28, s28, 8
	s_waitcnt lgkmcnt(0)
	s_add_i32 s15, s11, 1
	s_mov_b32 s11, 0
	s_sub_i32 s29, s12, s28
	s_add_u32 s30, s29, 0xff
	s_addc_u32 s31, 0, 0
	s_lshr_b64 s[30:31], s[30:31], 8
	s_cmp_lt_u32 s15, s10
	s_cselect_b32 s9, s9, s30
	s_cmp_eq_u32 s9, 0
	s_barrier
	s_cbranch_scc1 .LBB100_40
; %bb.18:
	s_mul_i32 s10, s33, s37
	s_mul_i32 s15, s54, s36
	s_sub_i32 s10, s38, s10
	s_sub_i32 s15, s33, s15
	s_mul_i32 s10, s10, s26
	s_add_i32 s26, s54, 1
	s_sub_i32 s29, s15, s36
	s_cmp_ge_u32 s15, s36
	s_cselect_b32 s26, s26, s54
	s_cselect_b32 s15, s29, s15
	s_add_i32 s29, s26, 1
	s_cmp_ge_u32 s15, s36
	s_cselect_b32 s15, s29, s26
	s_mul_i32 s26, s15, s36
	s_sub_i32 s26, s33, s26
	s_mul_i32 s25, s26, s25
	s_add_i32 s10, s25, s10
	s_mul_i32 s15, s15, s24
	s_add_i32 s10, s10, s15
	s_mul_i32 s15, s52, s41
	s_sub_i32 s15, s38, s15
	s_mul_i32 s15, s15, s22
	s_mul_i32 s22, s27, s40
	s_sub_i32 s22, s52, s22
	s_add_i32 s24, s27, 1
	s_sub_i32 s25, s22, s40
	s_cmp_ge_u32 s22, s40
	s_cselect_b32 s24, s24, s27
	s_cselect_b32 s22, s25, s22
	s_add_i32 s25, s24, 1
	s_cmp_ge_u32 s22, s40
	s_cselect_b32 s22, s25, s24
	s_mul_i32 s24, s22, s40
	s_sub_i32 s24, s52, s24
	s_mul_i32 s21, s24, s21
	s_add_i32 s15, s21, s15
	s_mul_i32 s22, s22, s20
	s_add_i32 s20, s15, s22
	s_mul_i32 s15, s53, s35
	s_sub_i32 s15, s38, s15
	s_mul_i32 s15, s15, s18
	s_mul_i32 s18, s19, s34
	s_sub_i32 s18, s53, s18
	s_add_i32 s21, s19, 1
	s_sub_i32 s22, s18, s34
	s_cmp_ge_u32 s18, s34
	s_cselect_b32 s19, s21, s19
	s_cselect_b32 s18, s22, s18
	s_add_i32 s21, s19, 1
	s_cmp_ge_u32 s18, s34
	s_cselect_b32 s18, s21, s19
	s_mul_i32 s19, s18, s34
	s_sub_i32 s19, s53, s19
	s_mul_i32 s17, s19, s17
	s_add_i32 s15, s17, s15
	s_mul_i32 s18, s18, s16
	s_add_i32 s24, s15, s18
	s_lshl_b64 s[16:17], s[10:11], 1
	s_add_u32 s15, s44, s16
	s_mov_b32 s21, s11
	s_addc_u32 s16, s45, s17
	s_lshl_b64 s[18:19], s[20:21], 1
	s_add_u32 s17, s42, s18
	s_mov_b32 s25, s11
	v_mov_b32_e32 v5, 0
	s_addc_u32 s18, s43, s19
	s_lshl_b64 s[10:11], s[24:25], 3
	ds_read_b96 v[1:3], v5 offset:1056
	s_add_u32 s19, s6, s10
	s_addc_u32 s20, s7, s11
	s_and_b32 s10, 0xffff, s23
	s_sext_i32_i16 s6, s23
	s_cmp_gt_i32 s6, -1
	s_mov_b32 s6, 0x8000
	s_cselect_b32 s11, s6, 0xffff
	v_cmp_o_f16_e64 s[6:7], s23, s23
	s_xor_b32 s10, s11, s10
	s_waitcnt lgkmcnt(0)
	v_add_u32_e32 v2, v1, v2
	v_lshrrev_b32_e32 v1, 3, v0
	s_and_b64 s[6:7], s[6:7], exec
	v_and_b32_e32 v1, 28, v1
	s_cselect_b32 s21, s10, 0xffff
	s_bitcmp1_b32 s14, 0
	s_load_dword s10, s[4:5], 0xe8
	s_load_dword s14, s[4:5], 0x1c8
	v_lshl_add_u32 v6, v0, 2, v1
	v_lshrrev_b32_e32 v1, 1, v0
	v_and_b32_e32 v7, 0x7c, v1
	v_add_u32_e32 v1, -1, v0
	v_lshrrev_b32_e32 v4, 3, v1
	v_cmp_gt_u32_e64 s[4:5], 64, v0
	v_lshlrev_b32_e32 v8, 4, v0
	v_and_b32_e32 v4, 0x1ffffffc, v4
	v_add_u32_e32 v0, s28, v0
	v_lshl_add_u32 v9, v1, 2, v4
	s_waitcnt lgkmcnt(0)
	v_mul_lo_u32 v4, s10, v0
	v_mbcnt_lo_u32_b32 v1, -1, 0
	s_cselect_b64 s[6:7], -1, 0
	s_lshl_b32 s22, s10, 8
	v_mov_b32_e32 v10, 0xffff
	v_mov_b32_e32 v11, 0x8000
	v_mbcnt_hi_u32_b32 v12, -1, v1
                                        ; implicit-def: $vgpr13
	s_branch .LBB100_21
.LBB100_19:                             ;   in Loop: Header=BB100_21 Depth=1
	s_or_b64 exec, exec, s[10:11]
	v_add_u32_e32 v2, v16, v2
.LBB100_20:                             ;   in Loop: Header=BB100_21 Depth=1
	s_add_i32 s9, s9, -1
	v_add_u32_e32 v3, v15, v3
	v_add_u32_e32 v4, s22, v4
	s_cmp_lg_u32 s9, 0
	v_add_u32_e32 v0, 0x100, v0
	s_cbranch_scc0 .LBB100_40
.LBB100_21:                             ; =>This Inner Loop Header: Depth=1
	v_cmp_gt_u32_e32 vcc, s12, v0
	v_mov_b32_e32 v1, 0
	v_mov_b32_e32 v14, 0
	s_and_saveexec_b64 s[10:11], vcc
	s_cbranch_execz .LBB100_23
; %bb.22:                               ;   in Loop: Header=BB100_21 Depth=1
	v_lshlrev_b64 v[13:14], 1, v[4:5]
	v_mov_b32_e32 v1, s16
	v_add_co_u32_e32 v13, vcc, s15, v13
	v_addc_co_u32_e32 v14, vcc, v1, v14, vcc
	global_load_ushort v13, v[13:14], off
	s_waitcnt vmcnt(0)
	v_cmp_lt_i16_e32 vcc, -1, v13
	v_cndmask_b32_e32 v1, v10, v11, vcc
	v_xor_b32_sdwa v1, v1, v13 dst_sel:DWORD dst_unused:UNUSED_PAD src0_sel:DWORD src1_sel:WORD_0
	v_cmp_o_f16_e32 vcc, v13, v13
	v_cndmask_b32_e32 v14, v10, v1, vcc
	v_cmp_lt_u32_e32 vcc, s21, v14
	v_cndmask_b32_e64 v1, 0, 1, vcc
	v_cmp_gt_u32_e32 vcc, s21, v14
	v_cndmask_b32_e64 v15, 0, 1, vcc
	v_cndmask_b32_e64 v1, v15, v1, s[6:7]
	v_cmp_eq_u32_e32 vcc, s21, v14
	v_and_b32_e32 v1, 1, v1
	v_cndmask_b32_e64 v14, 0, 1, vcc
.LBB100_23:                             ;   in Loop: Header=BB100_21 Depth=1
	s_or_b64 exec, exec, s[10:11]
	ds_write_b32 v6, v1
	s_waitcnt vmcnt(0) lgkmcnt(0)
	s_barrier
	s_and_saveexec_b64 s[10:11], s[4:5]
	s_cbranch_execz .LBB100_25
; %bb.24:                               ;   in Loop: Header=BB100_21 Depth=1
	v_add_u32_e32 v19, v7, v8
	ds_read2_b32 v[15:16], v19 offset1:1
	ds_read2_b32 v[17:18], v19 offset0:2 offset1:3
	v_and_b32_e32 v20, 15, v12
	v_cmp_ne_u32_e32 vcc, 0, v20
	s_waitcnt lgkmcnt(1)
	v_add_u32_e32 v16, v16, v15
	s_waitcnt lgkmcnt(0)
	v_add3_u32 v16, v16, v17, v18
	v_bfe_i32 v18, v12, 4, 1
	; wave barrier
	s_nop 0
	v_mov_b32_dpp v17, v16 row_shr:1 row_mask:0xf bank_mask:0xf
	v_cndmask_b32_e32 v17, 0, v17, vcc
	v_add_u32_e32 v16, v17, v16
	v_cmp_lt_u32_e32 vcc, 1, v20
	s_nop 0
	v_mov_b32_dpp v17, v16 row_shr:2 row_mask:0xf bank_mask:0xf
	v_cndmask_b32_e32 v17, 0, v17, vcc
	v_add_u32_e32 v16, v16, v17
	v_cmp_lt_u32_e32 vcc, 3, v20
	;; [unrolled: 5-line block ×4, first 2 shown]
	s_nop 0
	v_mov_b32_dpp v17, v16 row_bcast:15 row_mask:0xf bank_mask:0xf
	v_and_b32_e32 v17, v18, v17
	v_add_u32_e32 v16, v16, v17
	v_and_b32_e32 v18, 64, v12
	s_nop 0
	v_mov_b32_dpp v17, v16 row_bcast:31 row_mask:0xf bank_mask:0xf
	v_cndmask_b32_e32 v17, 0, v17, vcc
	v_add_u32_e32 v16, v16, v17
	v_add_u32_e32 v17, -1, v12
	v_cmp_lt_i32_e32 vcc, v17, v18
	v_cndmask_b32_e32 v17, v17, v12, vcc
	v_lshlrev_b32_e32 v17, 2, v17
	ds_bpermute_b32 v16, v17, v16
	s_waitcnt lgkmcnt(0)
	v_add_u32_e32 v15, v16, v15
	v_cndmask_b32_e64 v17, v15, v1, s[2:3]
	ds_write_b32 v19, v17
	; wave barrier
	ds_read2_b32 v[15:16], v19 offset0:1 offset1:2
	ds_read_b32 v18, v19 offset:12
	s_waitcnt lgkmcnt(1)
	v_add_u32_e32 v15, v15, v17
	v_add_u32_e32 v16, v16, v15
	ds_write2_b32 v19, v15, v16 offset0:1 offset1:2
	s_waitcnt lgkmcnt(1)
	v_add_u32_e32 v15, v18, v16
	ds_write_b32 v19, v15 offset:12
.LBB100_25:                             ;   in Loop: Header=BB100_21 Depth=1
	s_or_b64 exec, exec, s[10:11]
	v_mov_b32_e32 v16, 0
	s_waitcnt lgkmcnt(0)
	s_barrier
	s_and_saveexec_b64 s[10:11], s[0:1]
; %bb.26:                               ;   in Loop: Header=BB100_21 Depth=1
	ds_read_b32 v16, v9
; %bb.27:                               ;   in Loop: Header=BB100_21 Depth=1
	s_or_b64 exec, exec, s[10:11]
	ds_read_b32 v15, v5 offset:1048
	v_cmp_ne_u32_e32 vcc, 0, v1
	s_waitcnt lgkmcnt(0)
	s_barrier
	s_and_saveexec_b64 s[10:11], vcc
	s_cbranch_execz .LBB100_29
; %bb.28:                               ;   in Loop: Header=BB100_21 Depth=1
	v_add_u32_e32 v1, v16, v3
	v_mul_lo_u32 v16, v1, s14
	v_mov_b32_e32 v17, v5
	v_mov_b32_e32 v18, s18
	;; [unrolled: 1-line block ×3, first 2 shown]
	v_lshlrev_b64 v[16:17], 1, v[16:17]
	v_add_co_u32_e32 v16, vcc, s17, v16
	v_addc_co_u32_e32 v17, vcc, v18, v17, vcc
	v_mul_lo_u32 v18, v1, s8
	global_store_short v[16:17], v13, off
	v_mov_b32_e32 v1, v5
	v_lshlrev_b64 v[16:17], 3, v[18:19]
	v_mov_b32_e32 v18, s20
	v_add_co_u32_e32 v16, vcc, s19, v16
	v_addc_co_u32_e32 v17, vcc, v18, v17, vcc
	global_store_dwordx2 v[16:17], v[0:1], off
.LBB100_29:                             ;   in Loop: Header=BB100_21 Depth=1
	s_or_b64 exec, exec, s[10:11]
	v_cmp_le_u32_e32 vcc, s13, v2
	s_cbranch_vccnz .LBB100_20
; %bb.30:                               ;   in Loop: Header=BB100_21 Depth=1
	ds_write_b32 v6, v14
	s_waitcnt vmcnt(0) lgkmcnt(0)
	s_barrier
	s_and_saveexec_b64 s[10:11], s[4:5]
	s_cbranch_execz .LBB100_32
; %bb.31:                               ;   in Loop: Header=BB100_21 Depth=1
	v_add_u32_e32 v1, v7, v8
	ds_read2_b32 v[16:17], v1 offset1:1
	ds_read2_b32 v[18:19], v1 offset0:2 offset1:3
	v_and_b32_e32 v20, 15, v12
	v_cmp_ne_u32_e32 vcc, 0, v20
	s_waitcnt lgkmcnt(1)
	v_add_u32_e32 v17, v17, v16
	s_waitcnt lgkmcnt(0)
	v_add3_u32 v17, v17, v18, v19
	v_bfe_i32 v19, v12, 4, 1
	; wave barrier
	s_nop 0
	v_mov_b32_dpp v18, v17 row_shr:1 row_mask:0xf bank_mask:0xf
	v_cndmask_b32_e32 v18, 0, v18, vcc
	v_add_u32_e32 v17, v18, v17
	v_cmp_lt_u32_e32 vcc, 1, v20
	s_nop 0
	v_mov_b32_dpp v18, v17 row_shr:2 row_mask:0xf bank_mask:0xf
	v_cndmask_b32_e32 v18, 0, v18, vcc
	v_add_u32_e32 v17, v17, v18
	v_cmp_lt_u32_e32 vcc, 3, v20
	;; [unrolled: 5-line block ×4, first 2 shown]
	s_nop 0
	v_mov_b32_dpp v18, v17 row_bcast:15 row_mask:0xf bank_mask:0xf
	v_and_b32_e32 v18, v19, v18
	v_add_u32_e32 v17, v17, v18
	v_and_b32_e32 v19, 64, v12
	s_nop 0
	v_mov_b32_dpp v18, v17 row_bcast:31 row_mask:0xf bank_mask:0xf
	v_cndmask_b32_e32 v18, 0, v18, vcc
	v_add_u32_e32 v17, v17, v18
	v_add_u32_e32 v18, -1, v12
	v_cmp_lt_i32_e32 vcc, v18, v19
	v_cndmask_b32_e32 v18, v18, v12, vcc
	v_lshlrev_b32_e32 v18, 2, v18
	ds_bpermute_b32 v17, v18, v17
	s_waitcnt lgkmcnt(0)
	v_add_u32_e32 v16, v17, v16
	v_cndmask_b32_e64 v18, v16, v14, s[2:3]
	ds_write_b32 v1, v18
	; wave barrier
	ds_read2_b32 v[16:17], v1 offset0:1 offset1:2
	ds_read_b32 v19, v1 offset:12
	s_waitcnt lgkmcnt(1)
	v_add_u32_e32 v16, v16, v18
	v_add_u32_e32 v17, v17, v16
	ds_write2_b32 v1, v16, v17 offset0:1 offset1:2
	s_waitcnt lgkmcnt(1)
	v_add_u32_e32 v16, v19, v17
	ds_write_b32 v1, v16 offset:12
.LBB100_32:                             ;   in Loop: Header=BB100_21 Depth=1
	s_or_b64 exec, exec, s[10:11]
	v_mov_b32_e32 v1, 0
	s_waitcnt lgkmcnt(0)
	s_barrier
	s_and_saveexec_b64 s[10:11], s[0:1]
; %bb.33:                               ;   in Loop: Header=BB100_21 Depth=1
	ds_read_b32 v1, v9
; %bb.34:                               ;   in Loop: Header=BB100_21 Depth=1
	s_or_b64 exec, exec, s[10:11]
	ds_read_b32 v16, v5 offset:1048
	v_cmp_ne_u32_e32 vcc, 0, v14
	s_waitcnt lgkmcnt(0)
	s_barrier
	s_and_saveexec_b64 s[10:11], vcc
	s_cbranch_execz .LBB100_19
; %bb.35:                               ;   in Loop: Header=BB100_21 Depth=1
	v_add_u32_e32 v1, v1, v2
	v_cmp_gt_u32_e32 vcc, s13, v1
	s_and_b64 exec, exec, vcc
	s_cbranch_execz .LBB100_19
; %bb.36:                               ;   in Loop: Header=BB100_21 Depth=1
	v_mul_lo_u32 v17, v1, s14
	v_mov_b32_e32 v18, v5
	v_mul_lo_u32 v19, v1, s8
	v_mov_b32_e32 v14, s18
	v_lshlrev_b64 v[17:18], 1, v[17:18]
	v_mov_b32_e32 v20, v5
	v_add_co_u32_e32 v17, vcc, s17, v17
	v_addc_co_u32_e32 v18, vcc, v14, v18, vcc
	global_store_short v[17:18], v13, off
	v_lshlrev_b64 v[17:18], 3, v[19:20]
	v_mov_b32_e32 v14, s20
	v_add_co_u32_e32 v17, vcc, s19, v17
	v_mov_b32_e32 v1, v5
	v_addc_co_u32_e32 v18, vcc, v14, v18, vcc
	global_store_dwordx2 v[17:18], v[0:1], off
	s_branch .LBB100_19
.LBB100_37:                             ;   in Loop: Header=BB100_38 Depth=1
	s_add_u32 s28, s28, 4
	s_addc_u32 s29, s29, 0
	s_waitcnt lgkmcnt(0)
	s_add_i32 s56, s15, s56
	s_add_u32 s30, s30, 4
	s_addc_u32 s31, s31, 0
	s_add_i32 s14, s14, 1
	s_cmp_lt_u32 s14, s10
	s_cbranch_scc0 .LBB100_16
.LBB100_38:                             ; =>This Inner Loop Header: Depth=1
	s_load_dword s15, s[28:29], 0x0
	s_cmp_ge_u32 s14, s11
	s_cbranch_scc1 .LBB100_37
; %bb.39:                               ;   in Loop: Header=BB100_38 Depth=1
	s_load_dword s46, s[30:31], 0x0
	s_waitcnt lgkmcnt(0)
	s_add_i32 s39, s15, s39
	s_add_i32 s55, s46, s55
	s_branch .LBB100_37
.LBB100_40:
	s_endpgm
	.section	.rodata,"a",@progbits
	.p2align	6, 0x0
	.amdhsa_kernel _ZN2at6native6mbtopk10gatherTopKIN3c104HalfEjLi3EEEvNS_4cuda6detail10TensorInfoIKT_T0_EESA_SA_bjSA_NS7_IS8_SA_EESA_NS7_IlSA_EESA_jjPS8_PjSF_j
		.amdhsa_group_segment_fixed_size 1068
		.amdhsa_private_segment_fixed_size 0
		.amdhsa_kernarg_size 984
		.amdhsa_user_sgpr_count 6
		.amdhsa_user_sgpr_private_segment_buffer 1
		.amdhsa_user_sgpr_dispatch_ptr 0
		.amdhsa_user_sgpr_queue_ptr 0
		.amdhsa_user_sgpr_kernarg_segment_ptr 1
		.amdhsa_user_sgpr_dispatch_id 0
		.amdhsa_user_sgpr_flat_scratch_init 0
		.amdhsa_user_sgpr_private_segment_size 0
		.amdhsa_uses_dynamic_stack 0
		.amdhsa_system_sgpr_private_segment_wavefront_offset 0
		.amdhsa_system_sgpr_workgroup_id_x 1
		.amdhsa_system_sgpr_workgroup_id_y 1
		.amdhsa_system_sgpr_workgroup_id_z 1
		.amdhsa_system_sgpr_workgroup_info 0
		.amdhsa_system_vgpr_workitem_id 0
		.amdhsa_next_free_vgpr 21
		.amdhsa_next_free_sgpr 60
		.amdhsa_reserve_vcc 1
		.amdhsa_reserve_flat_scratch 0
		.amdhsa_float_round_mode_32 0
		.amdhsa_float_round_mode_16_64 0
		.amdhsa_float_denorm_mode_32 3
		.amdhsa_float_denorm_mode_16_64 3
		.amdhsa_dx10_clamp 1
		.amdhsa_ieee_mode 1
		.amdhsa_fp16_overflow 0
		.amdhsa_exception_fp_ieee_invalid_op 0
		.amdhsa_exception_fp_denorm_src 0
		.amdhsa_exception_fp_ieee_div_zero 0
		.amdhsa_exception_fp_ieee_overflow 0
		.amdhsa_exception_fp_ieee_underflow 0
		.amdhsa_exception_fp_ieee_inexact 0
		.amdhsa_exception_int_div_zero 0
	.end_amdhsa_kernel
	.section	.text._ZN2at6native6mbtopk10gatherTopKIN3c104HalfEjLi3EEEvNS_4cuda6detail10TensorInfoIKT_T0_EESA_SA_bjSA_NS7_IS8_SA_EESA_NS7_IlSA_EESA_jjPS8_PjSF_j,"axG",@progbits,_ZN2at6native6mbtopk10gatherTopKIN3c104HalfEjLi3EEEvNS_4cuda6detail10TensorInfoIKT_T0_EESA_SA_bjSA_NS7_IS8_SA_EESA_NS7_IlSA_EESA_jjPS8_PjSF_j,comdat
.Lfunc_end100:
	.size	_ZN2at6native6mbtopk10gatherTopKIN3c104HalfEjLi3EEEvNS_4cuda6detail10TensorInfoIKT_T0_EESA_SA_bjSA_NS7_IS8_SA_EESA_NS7_IlSA_EESA_jjPS8_PjSF_j, .Lfunc_end100-_ZN2at6native6mbtopk10gatherTopKIN3c104HalfEjLi3EEEvNS_4cuda6detail10TensorInfoIKT_T0_EESA_SA_bjSA_NS7_IS8_SA_EESA_NS7_IlSA_EESA_jjPS8_PjSF_j
                                        ; -- End function
	.set _ZN2at6native6mbtopk10gatherTopKIN3c104HalfEjLi3EEEvNS_4cuda6detail10TensorInfoIKT_T0_EESA_SA_bjSA_NS7_IS8_SA_EESA_NS7_IlSA_EESA_jjPS8_PjSF_j.num_vgpr, 21
	.set _ZN2at6native6mbtopk10gatherTopKIN3c104HalfEjLi3EEEvNS_4cuda6detail10TensorInfoIKT_T0_EESA_SA_bjSA_NS7_IS8_SA_EESA_NS7_IlSA_EESA_jjPS8_PjSF_j.num_agpr, 0
	.set _ZN2at6native6mbtopk10gatherTopKIN3c104HalfEjLi3EEEvNS_4cuda6detail10TensorInfoIKT_T0_EESA_SA_bjSA_NS7_IS8_SA_EESA_NS7_IlSA_EESA_jjPS8_PjSF_j.numbered_sgpr, 60
	.set _ZN2at6native6mbtopk10gatherTopKIN3c104HalfEjLi3EEEvNS_4cuda6detail10TensorInfoIKT_T0_EESA_SA_bjSA_NS7_IS8_SA_EESA_NS7_IlSA_EESA_jjPS8_PjSF_j.num_named_barrier, 0
	.set _ZN2at6native6mbtopk10gatherTopKIN3c104HalfEjLi3EEEvNS_4cuda6detail10TensorInfoIKT_T0_EESA_SA_bjSA_NS7_IS8_SA_EESA_NS7_IlSA_EESA_jjPS8_PjSF_j.private_seg_size, 0
	.set _ZN2at6native6mbtopk10gatherTopKIN3c104HalfEjLi3EEEvNS_4cuda6detail10TensorInfoIKT_T0_EESA_SA_bjSA_NS7_IS8_SA_EESA_NS7_IlSA_EESA_jjPS8_PjSF_j.uses_vcc, 1
	.set _ZN2at6native6mbtopk10gatherTopKIN3c104HalfEjLi3EEEvNS_4cuda6detail10TensorInfoIKT_T0_EESA_SA_bjSA_NS7_IS8_SA_EESA_NS7_IlSA_EESA_jjPS8_PjSF_j.uses_flat_scratch, 0
	.set _ZN2at6native6mbtopk10gatherTopKIN3c104HalfEjLi3EEEvNS_4cuda6detail10TensorInfoIKT_T0_EESA_SA_bjSA_NS7_IS8_SA_EESA_NS7_IlSA_EESA_jjPS8_PjSF_j.has_dyn_sized_stack, 0
	.set _ZN2at6native6mbtopk10gatherTopKIN3c104HalfEjLi3EEEvNS_4cuda6detail10TensorInfoIKT_T0_EESA_SA_bjSA_NS7_IS8_SA_EESA_NS7_IlSA_EESA_jjPS8_PjSF_j.has_recursion, 0
	.set _ZN2at6native6mbtopk10gatherTopKIN3c104HalfEjLi3EEEvNS_4cuda6detail10TensorInfoIKT_T0_EESA_SA_bjSA_NS7_IS8_SA_EESA_NS7_IlSA_EESA_jjPS8_PjSF_j.has_indirect_call, 0
	.section	.AMDGPU.csdata,"",@progbits
; Kernel info:
; codeLenInByte = 2820
; TotalNumSgprs: 64
; NumVgprs: 21
; ScratchSize: 0
; MemoryBound: 0
; FloatMode: 240
; IeeeMode: 1
; LDSByteSize: 1068 bytes/workgroup (compile time only)
; SGPRBlocks: 7
; VGPRBlocks: 5
; NumSGPRsForWavesPerEU: 64
; NumVGPRsForWavesPerEU: 21
; Occupancy: 10
; WaveLimiterHint : 1
; COMPUTE_PGM_RSRC2:SCRATCH_EN: 0
; COMPUTE_PGM_RSRC2:USER_SGPR: 6
; COMPUTE_PGM_RSRC2:TRAP_HANDLER: 0
; COMPUTE_PGM_RSRC2:TGID_X_EN: 1
; COMPUTE_PGM_RSRC2:TGID_Y_EN: 1
; COMPUTE_PGM_RSRC2:TGID_Z_EN: 1
; COMPUTE_PGM_RSRC2:TIDIG_COMP_CNT: 0
	.section	.text._ZN2at6native6sbtopk10gatherTopKIN3c104HalfEjLi3ELb0EEEvNS_4cuda6detail10TensorInfoIKT_T0_EESA_SA_bSA_SA_NS7_IS8_SA_EESA_NS7_IlSA_EESA_PS8_,"axG",@progbits,_ZN2at6native6sbtopk10gatherTopKIN3c104HalfEjLi3ELb0EEEvNS_4cuda6detail10TensorInfoIKT_T0_EESA_SA_bSA_SA_NS7_IS8_SA_EESA_NS7_IlSA_EESA_PS8_,comdat
	.protected	_ZN2at6native6sbtopk10gatherTopKIN3c104HalfEjLi3ELb0EEEvNS_4cuda6detail10TensorInfoIKT_T0_EESA_SA_bSA_SA_NS7_IS8_SA_EESA_NS7_IlSA_EESA_PS8_ ; -- Begin function _ZN2at6native6sbtopk10gatherTopKIN3c104HalfEjLi3ELb0EEEvNS_4cuda6detail10TensorInfoIKT_T0_EESA_SA_bSA_SA_NS7_IS8_SA_EESA_NS7_IlSA_EESA_PS8_
	.globl	_ZN2at6native6sbtopk10gatherTopKIN3c104HalfEjLi3ELb0EEEvNS_4cuda6detail10TensorInfoIKT_T0_EESA_SA_bSA_SA_NS7_IS8_SA_EESA_NS7_IlSA_EESA_PS8_
	.p2align	8
	.type	_ZN2at6native6sbtopk10gatherTopKIN3c104HalfEjLi3ELb0EEEvNS_4cuda6detail10TensorInfoIKT_T0_EESA_SA_bSA_SA_NS7_IS8_SA_EESA_NS7_IlSA_EESA_PS8_,@function
_ZN2at6native6sbtopk10gatherTopKIN3c104HalfEjLi3ELb0EEEvNS_4cuda6detail10TensorInfoIKT_T0_EESA_SA_bSA_SA_NS7_IS8_SA_EESA_NS7_IlSA_EESA_PS8_: ; @_ZN2at6native6sbtopk10gatherTopKIN3c104HalfEjLi3ELb0EEEvNS_4cuda6detail10TensorInfoIKT_T0_EESA_SA_bSA_SA_NS7_IS8_SA_EESA_NS7_IlSA_EESA_PS8_
; %bb.0:
	s_load_dwordx2 s[14:15], s[4:5], 0x2b8
	s_load_dwordx4 s[36:39], s[4:5], 0xd8
	s_add_u32 s12, s4, 0x2b8
	s_addc_u32 s13, s5, 0
	s_waitcnt lgkmcnt(0)
	s_mul_i32 s0, s15, s8
	s_add_i32 s0, s0, s7
	s_mul_i32 s0, s0, s14
	s_add_i32 s22, s0, s6
	s_cmp_ge_u32 s22, s39
	s_cbranch_scc1 .LBB101_427
; %bb.1:
	s_load_dwordx4 s[0:3], s[4:5], 0x23c
                                        ; implicit-def: $vgpr53 : SGPR spill to VGPR lane
	s_load_dwordx2 s[16:17], s[4:5], 0xc
	s_load_dwordx2 s[10:11], s[4:5], 0x0
	s_mov_b32 s57, 0
	s_load_dword s9, s[4:5], 0xe8
	s_waitcnt lgkmcnt(0)
	v_writelane_b32 v53, s0, 0
	v_writelane_b32 v53, s1, 1
	;; [unrolled: 1-line block ×4, first 2 shown]
	s_load_dwordx2 s[18:19], s[4:5], 0x1dc
	s_load_dwordx2 s[0:1], s[4:5], 0x1d0
	v_cvt_f32_u32_e32 v1, s17
	v_cvt_f32_u32_e32 v2, s16
	s_waitcnt lgkmcnt(0)
	v_writelane_b32 v53, s0, 4
	v_writelane_b32 v53, s1, 5
	s_load_dwordx4 s[0:3], s[4:5], 0x15c
	v_rcp_iflag_f32_e32 v1, v1
	v_mul_f32_e32 v1, 0x4f7ffffe, v1
	s_waitcnt lgkmcnt(0)
	v_writelane_b32 v53, s0, 6
	v_writelane_b32 v53, s1, 7
	;; [unrolled: 1-line block ×4, first 2 shown]
	s_load_dwordx2 s[20:21], s[4:5], 0xfc
	s_load_dwordx2 s[0:1], s[4:5], 0xf0
	v_cvt_u32_f32_e32 v1, v1
	s_waitcnt lgkmcnt(0)
	v_writelane_b32 v53, s0, 10
	v_writelane_b32 v53, s1, 11
	;; [unrolled: 1-line block ×3, first 2 shown]
	s_load_dwordx4 s[0:3], s[4:5], 0x6c
	v_writelane_b32 v53, s5, 13
	s_waitcnt lgkmcnt(0)
	s_sub_i32 s3, 0, s17
	v_readfirstlane_b32 s4, v1
	s_mul_i32 s3, s3, s4
	s_mul_hi_u32 s3, s4, s3
	s_add_i32 s4, s4, s3
	v_rcp_iflag_f32_e32 v1, v2
	s_mul_hi_u32 s3, s22, s4
	v_cvt_f32_u32_e32 v2, s21
	s_mul_i32 s4, s3, s17
	s_sub_i32 s4, s22, s4
	s_add_i32 s5, s3, 1
	s_sub_i32 s7, s4, s17
	v_mul_f32_e32 v1, 0x4f7ffffe, v1
	s_cmp_ge_u32 s4, s17
	v_cvt_u32_f32_e32 v1, v1
	v_rcp_iflag_f32_e32 v2, v2
	s_cselect_b32 s3, s5, s3
	s_cselect_b32 s4, s7, s4
	s_add_i32 s5, s3, 1
	s_cmp_ge_u32 s4, s17
	s_cselect_b32 s3, s5, s3
	v_readfirstlane_b32 s5, v1
	v_mul_f32_e32 v1, 0x4f7ffffe, v2
	v_cvt_u32_f32_e32 v1, v1
	s_sub_i32 s4, 0, s16
	s_mul_i32 s4, s4, s5
	s_mul_hi_u32 s4, s5, s4
	v_readfirstlane_b32 s7, v1
	v_cvt_f32_u32_e32 v1, s20
	s_add_i32 s5, s5, s4
	s_mul_hi_u32 s4, s3, s5
	s_sub_i32 s5, 0, s21
	s_mul_i32 s5, s5, s7
	s_mul_hi_u32 s5, s7, s5
	v_rcp_iflag_f32_e32 v1, v1
	s_add_i32 s7, s7, s5
	v_cvt_f32_u32_e32 v2, s19
	s_mul_hi_u32 s5, s22, s7
	s_mul_i32 s7, s5, s21
	s_sub_i32 s7, s22, s7
	v_mul_f32_e32 v1, 0x4f7ffffe, v1
	s_add_i32 s8, s5, 1
	s_sub_i32 s15, s7, s21
	v_cvt_u32_f32_e32 v1, v1
	v_rcp_iflag_f32_e32 v2, v2
	s_cmp_ge_u32 s7, s21
	s_cselect_b32 s5, s8, s5
	s_cselect_b32 s7, s15, s7
	s_add_i32 s8, s5, 1
	s_cmp_ge_u32 s7, s21
	v_readfirstlane_b32 s7, v1
	v_mul_f32_e32 v1, 0x4f7ffffe, v2
	s_cselect_b32 s8, s8, s5
	v_writelane_b32 v53, s20, 14
	s_sub_i32 s5, 0, s20
	v_cvt_u32_f32_e32 v1, v1
	s_mul_i32 s5, s5, s7
	s_mul_hi_u32 s5, s7, s5
	v_writelane_b32 v53, s21, 15
	s_add_i32 s7, s7, s5
	v_writelane_b32 v53, s8, 16
	s_mul_hi_u32 s5, s8, s7
	v_readfirstlane_b32 s7, v1
	v_cvt_f32_u32_e32 v1, s18
	v_writelane_b32 v53, s5, 17
	s_sub_i32 s5, 0, s19
	s_mul_i32 s5, s5, s7
	s_mul_hi_u32 s5, s7, s5
	s_add_i32 s7, s7, s5
	v_rcp_iflag_f32_e32 v1, v1
	s_mul_hi_u32 s5, s22, s7
	s_mul_i32 s7, s5, s19
	s_sub_i32 s7, s22, s7
	s_add_i32 s8, s5, 1
	s_sub_i32 s15, s7, s19
	v_mul_f32_e32 v1, 0x4f7ffffe, v1
	s_cmp_ge_u32 s7, s19
	v_cvt_u32_f32_e32 v1, v1
	s_cselect_b32 s5, s8, s5
	s_cselect_b32 s7, s15, s7
	s_add_i32 s8, s5, 1
	s_cmp_ge_u32 s7, s19
	s_cselect_b32 s8, s8, s5
	v_writelane_b32 v53, s18, 18
	s_sub_i32 s5, 0, s18
	v_readfirstlane_b32 s7, v1
	s_mul_i32 s5, s5, s7
	s_mul_hi_u32 s5, s7, s5
	v_writelane_b32 v53, s19, 19
	s_add_i32 s7, s7, s5
	v_writelane_b32 v53, s8, 20
	s_mul_hi_u32 s5, s8, s7
	v_writelane_b32 v53, s5, 21
	v_cmp_eq_u32_e64 s[20:21], 0, v0
	s_mov_b64 s[18:19], exec
	v_writelane_b32 v53, s20, 22
	v_writelane_b32 v53, s21, 23
	s_and_b64 s[20:21], s[18:19], s[20:21]
	s_mov_b64 exec, s[20:21]
; %bb.2:
	v_mov_b32_e32 v1, 0
	v_mov_b32_e32 v2, s36
	;; [unrolled: 1-line block ×3, first 2 shown]
	ds_write_b96 v1, v[1:3] offset:4096
; %bb.3:
	s_or_b64 exec, exec, s[18:19]
	s_mul_i32 s5, s3, s17
	s_sub_i32 s5, s22, s5
	s_mul_i32 s5, s5, s2
	s_mul_i32 s2, s4, s16
	s_sub_i32 s2, s3, s2
	s_add_i32 s7, s4, 1
	s_sub_i32 s8, s2, s16
	s_cmp_ge_u32 s2, s16
	s_cselect_b32 s4, s7, s4
	s_cselect_b32 s2, s8, s2
	s_add_i32 s7, s4, 1
	s_cmp_ge_u32 s2, s16
	s_cselect_b32 s2, s7, s4
	s_mul_i32 s4, s2, s16
	s_sub_i32 s3, s3, s4
	s_mul_i32 s1, s3, s1
	s_add_i32 s1, s1, s5
	s_mul_i32 s2, s2, s0
	s_add_i32 s56, s1, s2
	s_lshl_b64 s[0:1], s[56:57], 1
	s_add_u32 s33, s10, s0
	s_addc_u32 s56, s11, s1
	s_waitcnt lgkmcnt(0)
	s_barrier
	s_load_dword s0, s[12:13], 0xc
	s_bitcmp1_b32 s38, 0
	v_writelane_b32 v53, s22, 24
	s_cselect_b64 s[2:3], -1, 0
	v_writelane_b32 v53, s2, 25
	v_writelane_b32 v53, s3, 26
	s_xor_b64 s[2:3], s[2:3], -1
	v_mbcnt_lo_u32_b32 v1, -1, 0
	v_writelane_b32 v53, s2, 27
	v_mbcnt_hi_u32_b32 v24, -1, v1
	v_writelane_b32 v53, s3, 28
	s_waitcnt lgkmcnt(0)
	s_and_b32 s8, s0, 0xffff
	v_cmp_gt_u32_e32 vcc, 64, v0
	v_cmp_gt_i32_e64 s[2:3], 4, v24
	s_lshl_b32 s61, s8, 2
	s_bfe_u32 s4, s0, 0xa0006
	s_and_b64 s[2:3], vcc, s[2:3]
	v_writelane_b32 v53, s2, 29
	s_cmpk_gt_u32 s36, 0x600
	v_writelane_b32 v53, s3, 30
	s_cselect_b64 s[2:3], -1, 0
	v_mul_lo_u32 v7, s9, v0
	v_writelane_b32 v53, s2, 31
	v_writelane_b32 v53, s3, 32
	v_cmp_gt_u32_e64 s[2:3], s36, v0
	v_mov_b32_e32 v9, 0
	v_writelane_b32 v53, s2, 33
	s_cmp_gt_u32 s8, 63
	v_mov_b32_e32 v8, v9
	v_writelane_b32 v53, s3, 34
	s_cselect_b64 s[2:3], -1, 0
	v_lshlrev_b64 v[1:2], 1, v[7:8]
	v_writelane_b32 v53, s2, 35
	v_writelane_b32 v53, s3, 36
	v_cmp_gt_u32_e64 s[2:3], 2, v0
	v_mov_b32_e32 v3, s56
	v_add_co_u32_e32 v5, vcc, s33, v1
	v_writelane_b32 v53, s2, 37
	v_addc_co_u32_e32 v6, vcc, v3, v2, vcc
	v_writelane_b32 v53, s3, 38
	s_add_i32 s2, s8, -1
	v_lshlrev_b64 v[2:3], v24, -1
	v_writelane_b32 v53, s2, 39
	s_add_i32 s2, s2, s36
	v_not_b32_e32 v22, v2
	v_lshrrev_b32_e32 v2, 2, v0
	s_cmp_lt_u32 s6, s14
	v_and_b32_e32 v2, 0xf0, v2
	s_cselect_b32 s3, 12, 18
	v_or_b32_e32 v27, 0xc00, v2
	s_add_u32 s6, s12, s3
	v_add_u32_e32 v2, 2, v0
	s_addc_u32 s7, s13, 0
	v_max_u32_e32 v2, s36, v2
	v_writelane_b32 v53, s6, 40
	v_xad_u32 v2, v0, -1, v2
	v_not_b32_e32 v21, v3
	v_writelane_b32 v53, s7, 41
	v_add_u32_e32 v3, -2, v2
	v_cmp_lt_u32_e64 s[6:7], 31, v2
	v_lshrrev_b32_e32 v4, 1, v3
	v_writelane_b32 v53, s6, 42
	v_add_u32_e32 v4, 1, v4
	v_writelane_b32 v53, s7, 43
	v_cmp_lt_u32_e64 s[6:7], 13, v3
	v_and_b32_e32 v12, 7, v4
	v_writelane_b32 v53, s6, 44
	v_writelane_b32 v53, s7, 45
	v_cmp_ne_u32_e64 s[6:7], 0, v12
	v_and_b32_e32 v28, -2, v2
	v_writelane_b32 v53, s6, 46
	v_writelane_b32 v53, s7, 47
	v_cmp_ne_u32_e64 s[6:7], v2, v28
	v_cvt_f32_u32_e32 v2, s61
	s_add_i32 s3, s4, -1
	s_bfe_u32 s5, s8, 0x30006
	s_and_b32 s3, s3, 0xffff
	v_rcp_iflag_f32_e32 v2, v2
	v_writelane_b32 v53, s6, 48
	s_cmp_gt_u32 s3, 6
	v_writelane_b32 v53, s7, 49
	s_cselect_b64 s[6:7], -1, 0
	v_mul_f32_e32 v2, 0x4f7ffffe, v2
	v_writelane_b32 v53, s6, 50
	s_and_b32 s63, s4, 0x3f8
	v_cvt_u32_f32_e32 v2, v2
	v_writelane_b32 v53, s7, 51
	s_cmp_lg_u32 s5, 0
	v_writelane_b32 v53, s5, 52
	s_cselect_b64 s[4:5], -1, 0
	v_writelane_b32 v53, s4, 53
	v_writelane_b32 v53, s5, 54
	s_sub_i32 s3, 0, s61
	v_readfirstlane_b32 s4, v2
	s_mul_i32 s3, s3, s4
	s_mul_hi_u32 s3, s4, s3
	s_add_i32 s3, s4, s3
	v_writelane_b32 v53, s3, 55
	s_mul_hi_u32 s3, s36, s3
	s_mul_i32 s3, s3, s61
	v_cvt_f32_u32_e32 v2, s8
	s_sub_i32 s3, s36, s3
	s_sub_i32 s4, s3, s61
	s_cmp_ge_u32 s3, s61
	v_and_b32_e32 v30, -8, v4
	s_cselect_b32 s3, s4, s3
	v_rcp_iflag_f32_e32 v4, v2
	s_sub_i32 s4, s3, s61
	s_cmp_ge_u32 s3, s61
	s_cselect_b32 s3, s4, s3
	v_lshlrev_b32_e32 v23, 2, v0
	s_sub_i32 s21, s36, s3
	v_mul_f32_e32 v4, 0x4f7ffffe, v4
	v_cmp_gt_u32_e64 s[4:5], s21, v23
	v_cvt_u32_f32_e32 v4, v4
	v_add_u32_e32 v31, s21, v0
	v_writelane_b32 v53, s4, 56
	v_writelane_b32 v53, s5, 57
	v_cmp_gt_u32_e64 s[4:5], s36, v31
	v_writelane_b32 v53, s4, 58
	v_writelane_b32 v53, s5, 59
	s_sub_i32 s4, 0, s8
	v_readfirstlane_b32 s5, v4
	s_mul_i32 s4, s4, s5
	v_mul_lo_u32 v8, v31, s9
	s_mul_hi_u32 s4, s5, s4
	s_add_i32 s4, s5, s4
	v_writelane_b32 v53, s4, 60
	s_mul_hi_u32 s4, s2, s4
	s_mul_i32 s4, s4, s8
	v_lshlrev_b64 v[2:3], 1, v[8:9]
	s_sub_i32 s4, s2, s4
	s_sub_i32 s5, s4, s8
	v_add_co_u32_e32 v10, vcc, s33, v2
	s_cmp_ge_u32 s4, s8
	v_mul_lo_u32 v2, s9, v23
	s_cselect_b32 s4, s5, s4
	s_sub_i32 s5, s4, s8
	s_cmp_ge_u32 s4, s8
	s_cselect_b32 s4, s5, s4
	v_add_u32_e32 v33, s9, v2
	v_or_b32_e32 v2, 2, v23
	s_sub_i32 s22, s2, s4
	v_mul_lo_u32 v34, s9, v2
	v_or_b32_e32 v2, 3, v23
	s_add_i32 s2, s8, s36
	v_mul_lo_u32 v35, s9, v2
	v_add_u32_e32 v2, s2, v0
	v_subrev_u32_e32 v2, s3, v2
	v_mul_lo_u32 v36, s9, v2
	v_cmp_gt_u32_e64 s[4:5], s22, v0
	v_lshlrev_b32_e32 v25, 1, v0
	v_lshlrev_b32_e32 v1, 2, v24
	v_mov_b32_e32 v8, s56
	v_writelane_b32 v53, s4, 61
	s_mul_i32 s60, s9, s8
	v_cmp_eq_u32_e64 s[0:1], 0, v24
	v_add_u32_e32 v26, 0xc00, v25
	v_and_b32_e32 v20, 0x100, v1
	v_add_u32_e32 v29, v0, v28
	s_mov_b32 s62, s9
	v_addc_co_u32_e32 v11, vcc, v8, v3, vcc
	v_writelane_b32 v53, s5, 62
	v_lshlrev_b32_e32 v32, 2, v12
	s_lshl_b32 s23, s60, 2
	s_lshl_b32 s20, s8, 3
	;; [unrolled: 1-line block ×3, first 2 shown]
	v_or_b32_e32 v38, 0xc00, v1
	s_mov_b32 s5, 14
	s_mov_b64 s[70:71], 0
	s_mov_b32 s24, 0x5040100
	v_lshlrev_b32_e32 v39, 2, v7
	v_lshlrev_b32_e32 v40, 3, v0
	v_mov_b32_e32 v47, s37
	v_mov_b32_e32 v41, 0xffff
	;; [unrolled: 1-line block ×3, first 2 shown]
	v_mov_b32_e32 v43, -1
	v_mov_b32_e32 v44, 0x5040100
	v_mov_b32_e32 v46, 0
	;; [unrolled: 1-line block ×4, first 2 shown]
                                        ; implicit-def: $sgpr72_sgpr73
                                        ; implicit-def: $sgpr74_sgpr75
                                        ; implicit-def: $sgpr78_sgpr79
                                        ; implicit-def: $sgpr80_sgpr81
                                        ; implicit-def: $sgpr76_sgpr77
                                        ; implicit-def: $sgpr82_sgpr83
                                        ; implicit-def: $sgpr84_sgpr85
                                        ; implicit-def: $sgpr86_sgpr87
                                        ; implicit-def: $sgpr88_sgpr89
                                        ; implicit-def: $sgpr90_sgpr91
	s_branch .LBB101_6
.LBB101_4:                              ;   in Loop: Header=BB101_6 Depth=1
	s_or_b64 exec, exec, s[14:15]
	s_andn2_b64 s[14:15], s[90:91], exec
	s_and_b64 s[12:13], s[12:13], exec
	s_or_b64 s[90:91], s[14:15], s[12:13]
	s_andn2_b64 s[88:89], s[88:89], exec
	s_andn2_b64 s[86:87], s[86:87], exec
	;; [unrolled: 1-line block ×4, first 2 shown]
	s_orn2_b64 s[6:7], s[6:7], exec
	v_mov_b32_e32 v47, v4
.LBB101_5:                              ;   in Loop: Header=BB101_6 Depth=1
	s_or_b64 exec, exec, s[2:3]
	s_and_b64 s[2:3], exec, s[6:7]
	s_or_b64 s[70:71], s[2:3], s[70:71]
	s_andn2_b64 s[2:3], s[76:77], exec
	s_and_b64 s[6:7], s[90:91], exec
	s_or_b64 s[76:77], s[2:3], s[6:7]
	s_andn2_b64 s[2:3], s[80:81], exec
	s_and_b64 s[6:7], s[88:89], exec
	;; [unrolled: 3-line block ×5, first 2 shown]
	s_or_b64 s[72:73], s[2:3], s[6:7]
	s_andn2_b64 exec, exec, s[70:71]
	s_cbranch_execz .LBB101_423
.LBB101_6:                              ; =>This Loop Header: Depth=1
                                        ;     Child Loop BB101_11 Depth 2
                                        ;     Child Loop BB101_32 Depth 2
	;; [unrolled: 1-line block ×26, first 2 shown]
	ds_read_b64 v[1:2], v9 offset:4096
	s_waitcnt lgkmcnt(0)
	v_readfirstlane_b32 s11, v1
	s_cmp_lg_u32 s11, 0
	s_cbranch_scc1 .LBB101_51
; %bb.7:                                ;   in Loop: Header=BB101_6 Depth=1
	v_readlane_b32 s2, v53, 31
	v_readlane_b32 s3, v53, 32
	s_and_b64 vcc, exec, s[2:3]
	s_cbranch_vccz .LBB101_19
; %bb.8:                                ;   in Loop: Header=BB101_6 Depth=1
	s_movk_i32 s4, 0x601
	v_cmp_gt_u32_e32 vcc, s4, v2
	s_mov_b64 s[2:3], 0
	s_mov_b64 s[6:7], 0
	s_cbranch_vccz .LBB101_20
; %bb.9:                                ;   in Loop: Header=BB101_6 Depth=1
	v_readlane_b32 s6, v53, 40
	v_readlane_b32 s7, v53, 41
	s_nop 4
	global_load_ushort v1, v9, s[6:7]
	global_load_ushort v4, v[5:6], off
	s_mov_b64 s[12:13], 0
	v_mov_b32_e32 v3, v0
	s_waitcnt vmcnt(1)
	v_add_u32_e32 v2, v0, v1
	v_mul_lo_u32 v8, s9, v2
	v_mul_lo_u32 v2, s9, v1
	s_branch .LBB101_11
.LBB101_10:                             ;   in Loop: Header=BB101_11 Depth=2
	s_or_b64 exec, exec, s[6:7]
	v_add_u32_e32 v8, v8, v2
	v_mov_b32_e32 v4, v12
	s_andn2_b64 exec, exec, s[12:13]
	s_cbranch_execz .LBB101_26
.LBB101_11:                             ;   Parent Loop BB101_6 Depth=1
                                        ; =>  This Inner Loop Header: Depth=2
	v_add_u32_e32 v3, v3, v1
	v_cmp_gt_u32_e64 s[6:7], s36, v3
	v_cmp_le_u32_e32 vcc, s36, v3
	s_waitcnt lgkmcnt(0)
	v_mov_b32_e32 v13, 0
	v_mov_b32_e32 v12, 0
	s_and_saveexec_b64 s[14:15], s[6:7]
	s_cbranch_execz .LBB101_13
; %bb.12:                               ;   in Loop: Header=BB101_11 Depth=2
	v_lshlrev_b64 v[14:15], 1, v[8:9]
	v_mov_b32_e32 v12, s56
	v_add_co_u32_e64 v14, s[6:7], s33, v14
	v_addc_co_u32_e64 v15, s[6:7], v12, v15, s[6:7]
	global_load_ushort v12, v[14:15], off
.LBB101_13:                             ;   in Loop: Header=BB101_11 Depth=2
	s_or_b64 exec, exec, s[14:15]
	s_waitcnt vmcnt(0)
	v_cmp_lt_i16_e64 s[6:7], -1, v4
	v_cndmask_b32_e64 v14, v41, v42, s[6:7]
	v_xor_b32_sdwa v14, v14, v4 dst_sel:DWORD dst_unused:UNUSED_PAD src0_sel:DWORD src1_sel:WORD_0
	v_cmp_o_f16_e64 s[6:7], v4, v4
	v_cndmask_b32_e64 v14, v41, v14, s[6:7]
	v_and_b32_e32 v14, v14, v45
	v_cmp_eq_u32_e64 s[26:27], v14, v37
	s_cmp_lg_u64 s[26:27], 0
	s_cselect_b64 s[6:7], -1, 0
	s_and_b64 s[6:7], s[0:1], s[6:7]
	s_and_saveexec_b64 s[14:15], s[6:7]
	s_cbranch_execz .LBB101_17
; %bb.14:                               ;   in Loop: Header=BB101_11 Depth=2
	s_mov_b64 s[18:19], exec
	v_mbcnt_lo_u32_b32 v13, s18, 0
	v_mbcnt_hi_u32_b32 v13, s19, v13
	s_bcnt1_i32_b64 s4, s[26:27]
	v_cmp_eq_u32_e64 s[6:7], 0, v13
                                        ; implicit-def: $vgpr14
	s_and_saveexec_b64 s[16:17], s[6:7]
; %bb.15:                               ;   in Loop: Header=BB101_11 Depth=2
	s_bcnt1_i32_b64 s6, s[18:19]
	s_mul_i32 s6, s4, s6
	v_mov_b32_e32 v14, s6
	ds_add_rtn_u32 v14, v9, v14 offset:4104
; %bb.16:                               ;   in Loop: Header=BB101_11 Depth=2
	s_or_b64 exec, exec, s[16:17]
	s_waitcnt lgkmcnt(0)
	v_readfirstlane_b32 s6, v14
	v_mov_b32_e32 v14, s6
	v_mad_u32_u24 v13, s4, v13, v14
.LBB101_17:                             ;   in Loop: Header=BB101_11 Depth=2
	s_or_b64 exec, exec, s[14:15]
	ds_bpermute_b32 v13, v20, v13
	s_and_b64 s[6:7], exec, vcc
	s_or_b64 s[12:13], s[6:7], s[12:13]
	s_and_saveexec_b64 s[6:7], s[26:27]
	s_cbranch_execz .LBB101_10
; %bb.18:                               ;   in Loop: Header=BB101_11 Depth=2
	v_and_b32_e32 v15, s26, v22
	v_and_b32_e32 v14, s27, v21
	v_bcnt_u32_b32 v15, v15, 0
	v_bcnt_u32_b32 v14, v14, v15
	v_lshlrev_b32_e32 v14, 1, v14
	s_waitcnt lgkmcnt(0)
	v_lshl_add_u32 v13, v13, 1, v14
	ds_write_b16 v13, v4
	s_branch .LBB101_10
.LBB101_19:                             ;   in Loop: Header=BB101_6 Depth=1
	s_mov_b64 s[2:3], -1
	s_mov_b64 s[6:7], 0
.LBB101_20:                             ;   in Loop: Header=BB101_6 Depth=1
	s_and_b64 vcc, exec, s[2:3]
	s_cbranch_vccz .LBB101_49
.LBB101_21:                             ;   in Loop: Header=BB101_6 Depth=1
	s_mov_b64 s[26:27], exec
	v_readlane_b32 s2, v53, 33
	v_readlane_b32 s3, v53, 34
	s_and_b64 s[2:3], s[26:27], s[2:3]
	s_mov_b64 exec, s[2:3]
	s_cbranch_execz .LBB101_46
; %bb.22:                               ;   in Loop: Header=BB101_6 Depth=1
	v_readlane_b32 s2, v53, 40
	v_readlane_b32 s3, v53, 41
	s_nop 4
	global_load_ushort v1, v9, s[2:3]
	global_load_ushort v16, v[5:6], off
	s_waitcnt vmcnt(1)
	v_add_u32_e32 v12, v0, v1
	v_readfirstlane_b32 s4, v1
	v_cmp_gt_u32_e32 vcc, s36, v12
	v_mov_b32_e32 v1, v0
	s_and_saveexec_b64 s[30:31], vcc
	s_cbranch_execz .LBB101_45
; %bb.23:                               ;   in Loop: Header=BB101_6 Depth=1
	s_mov_b64 s[6:7], 0
	s_mul_i32 s11, s9, s4
                                        ; implicit-def: $vgpr1
                                        ; implicit-def: $vgpr3
                                        ; implicit-def: $vgpr2
	s_mov_b64 s[2:3], exec
	v_readlane_b32 s12, v53, 42
	v_readlane_b32 s13, v53, 43
	s_and_b64 s[12:13], s[2:3], s[12:13]
	s_xor_b64 s[34:35], s[12:13], s[2:3]
	s_mov_b64 exec, s[12:13]
	s_cbranch_execnz .LBB101_29
; %bb.24:                               ;   in Loop: Header=BB101_6 Depth=1
	s_andn2_saveexec_b64 s[2:3], s[34:35]
	s_cbranch_execnz .LBB101_40
.LBB101_25:                             ;   in Loop: Header=BB101_6 Depth=1
	s_or_b64 exec, exec, s[2:3]
	s_and_saveexec_b64 s[2:3], s[6:7]
	s_cbranch_execnz .LBB101_41
	s_branch .LBB101_44
.LBB101_26:                             ;   in Loop: Header=BB101_6 Depth=1
	s_or_b64 exec, exec, s[12:13]
	s_waitcnt lgkmcnt(0)
	s_barrier
	s_mov_b64 s[6:7], exec
	v_readlane_b32 s12, v53, 22
	v_readlane_b32 s13, v53, 23
	s_and_b64 s[12:13], s[6:7], s[12:13]
	s_mov_b64 exec, s[12:13]
	s_cbranch_execz .LBB101_28
; %bb.27:                               ;   in Loop: Header=BB101_6 Depth=1
	ds_read_b32 v1, v9 offset:4104
	s_waitcnt lgkmcnt(0)
	ds_write_b32 v9, v1 offset:4096
.LBB101_28:                             ;   in Loop: Header=BB101_6 Depth=1
	s_or_b64 exec, exec, s[6:7]
	s_waitcnt lgkmcnt(0)
	s_barrier
	s_mov_b64 s[6:7], -1
	s_and_b64 vcc, exec, s[2:3]
	s_cbranch_vccnz .LBB101_21
	s_branch .LBB101_49
.LBB101_29:                             ;   in Loop: Header=BB101_6 Depth=1
	v_cvt_f32_u32_e32 v1, s4
	s_sub_i32 s3, 0, s4
	v_add_u32_e32 v2, s4, v12
	v_max_u32_e32 v2, s36, v2
	v_rcp_iflag_f32_e32 v1, v1
	s_lshl_b32 s2, s4, 1
	v_sub_u32_e32 v2, v2, v0
	v_cmp_ne_u32_e32 vcc, s2, v2
	v_mul_f32_e32 v1, 0x4f7ffffe, v1
	v_cvt_u32_f32_e32 v1, v1
	v_cndmask_b32_e64 v8, 0, 1, vcc
	v_or_b32_e32 v8, s2, v8
	v_sub_u32_e32 v2, v2, v8
	v_mul_lo_u32 v3, s3, v1
	s_not_b32 s6, s11
	s_ashr_i32 s14, s6, 31
	s_abs_i32 s12, s11
	v_mul_hi_u32 v3, v1, v3
	v_mul_lo_u32 v4, s9, v12
	s_cmp_eq_u32 s4, 1
	s_mov_b64 s[2:3], -1
	v_add_u32_e32 v1, v1, v3
	v_mul_hi_u32 v3, v2, v1
	v_xor_b32_e32 v4, s14, v4
                                        ; implicit-def: $vgpr1
	v_mul_lo_u32 v8, v3, s4
	v_add_u32_e32 v13, 1, v3
	v_sub_u32_e32 v2, v2, v8
	v_subrev_u32_e32 v8, s4, v2
	v_cmp_le_u32_e64 s[6:7], s4, v2
	v_cndmask_b32_e64 v3, v3, v13, s[6:7]
	v_cndmask_b32_e64 v2, v2, v8, s[6:7]
	v_add_u32_e32 v8, 1, v3
	v_cmp_le_u32_e64 s[6:7], s4, v2
	v_cndmask_b32_e64 v2, v3, v8, s[6:7]
	v_addc_co_u32_e32 v2, vcc, 0, v2, vcc
	v_mul_hi_u32 v3, s12, v2
	v_mul_lo_u32 v2, s12, v2
	s_cselect_b64 s[12:13], -1, 0
	v_cmp_eq_u32_e32 vcc, 0, v3
	v_cmp_le_u32_e64 s[6:7], v2, v4
	s_and_b64 s[12:13], vcc, s[12:13]
	s_and_b64 s[12:13], s[12:13], s[6:7]
	v_mov_b32_e32 v3, v0
	s_and_saveexec_b64 s[6:7], s[12:13]
	s_cbranch_execz .LBB101_39
; %bb.30:                               ;   in Loop: Header=BB101_6 Depth=1
	v_add_u32_e32 v13, 1, v12
	v_mov_b32_e32 v15, v13
	s_waitcnt vmcnt(0)
	v_lshlrev_b32_e32 v17, 16, v16
	v_mov_b32_e32 v1, 0
	v_mov_b32_e32 v14, v12
                                        ; implicit-def: $vgpr16
	s_mov_b64 s[40:41], exec
	v_readlane_b32 s2, v53, 44
	v_readlane_b32 s3, v53, 45
	s_and_b64 s[2:3], s[40:41], s[2:3]
	s_mov_b64 exec, s[2:3]
	s_cbranch_execz .LBB101_34
; %bb.31:                               ;   in Loop: Header=BB101_6 Depth=1
	v_mov_b32_e32 v15, v13
	s_mov_b32 s2, 0
	s_mov_b64 s[42:43], 0
	v_mov_b32_e32 v48, v30
	v_mov_b32_e32 v49, v25
	v_mov_b32_e32 v14, v12
.LBB101_32:                             ;   Parent Loop BB101_6 Depth=1
                                        ; =>  This Inner Loop Header: Depth=2
	v_mul_lo_u32 v8, v14, s9
	v_mul_lo_u32 v1, v15, s62
	v_mov_b32_e32 v13, s56
	v_add_u32_e32 v48, -8, v48
	v_lshlrev_b64 v[2:3], 1, v[8:9]
	s_add_i32 s2, s2, 16
	v_add_co_u32_e32 v18, vcc, s33, v2
	v_mov_b32_e32 v2, v9
	v_lshlrev_b64 v[1:2], 1, v[1:2]
	v_addc_co_u32_e32 v19, vcc, v13, v3, vcc
	v_add_co_u32_e32 v1, vcc, s33, v1
	v_addc_co_u32_e32 v2, vcc, v13, v2, vcc
	global_load_ushort v3, v[18:19], off
	s_nop 0
	global_load_ushort v18, v[1:2], off
	v_add_u32_e32 v2, 2, v15
	v_mul_lo_u32 v2, v2, s62
	s_waitcnt vmcnt(1)
	v_alignbit_b32 v1, v3, v17, 16
	v_add_u32_e32 v3, 2, v14
	v_mul_lo_u32 v8, v3, s9
	v_lshlrev_b64 v[3:4], 1, v[8:9]
	v_add_co_u32_e32 v16, vcc, s33, v3
	v_mov_b32_e32 v3, v9
	v_lshlrev_b64 v[2:3], 1, v[2:3]
	v_addc_co_u32_e32 v17, vcc, v13, v4, vcc
	v_add_co_u32_e32 v2, vcc, s33, v2
	v_addc_co_u32_e32 v3, vcc, v13, v3, vcc
	global_load_ushort v4, v[16:17], off
	global_load_ushort v19, v[2:3], off
	v_add_u32_e32 v3, 4, v15
	v_mul_lo_u32 v3, v3, s62
	s_waitcnt vmcnt(1)
	v_perm_b32 v2, v4, v18, s24
	v_add_u32_e32 v4, 4, v14
	v_mul_lo_u32 v8, v4, s9
	v_mov_b32_e32 v4, v9
	v_lshlrev_b64 v[3:4], 1, v[3:4]
	v_lshlrev_b64 v[16:17], 1, v[8:9]
	v_add_co_u32_e32 v16, vcc, s33, v16
	v_addc_co_u32_e32 v17, vcc, v13, v17, vcc
	v_add_co_u32_e32 v3, vcc, s33, v3
	v_addc_co_u32_e32 v4, vcc, v13, v4, vcc
	global_load_ushort v8, v[16:17], off
	s_nop 0
	global_load_ushort v4, v[3:4], off
	v_add_u32_e32 v16, 6, v15
	v_mul_lo_u32 v16, v16, s62
	s_waitcnt vmcnt(1)
	v_perm_b32 v3, v8, v19, s24
	v_add_u32_e32 v8, 6, v14
	v_mul_lo_u32 v8, v8, s9
	v_lshlrev_b64 v[17:18], 1, v[8:9]
	v_add_co_u32_e32 v50, vcc, s33, v17
	v_mov_b32_e32 v17, v9
	v_lshlrev_b64 v[16:17], 1, v[16:17]
	v_addc_co_u32_e32 v51, vcc, v13, v18, vcc
	v_add_co_u32_e32 v16, vcc, s33, v16
	v_addc_co_u32_e32 v17, vcc, v13, v17, vcc
	global_load_ushort v8, v[50:51], off
	global_load_ushort v18, v[16:17], off
	s_waitcnt vmcnt(1)
	v_perm_b32 v4, v8, v4, s24
	ds_write_b128 v49, v[1:4]
	v_add_u32_e32 v2, 8, v14
	v_mul_lo_u32 v8, v2, s9
	v_add_u32_e32 v1, 8, v15
	v_mul_lo_u32 v1, v1, s62
	v_lshlrev_b64 v[2:3], 1, v[8:9]
	v_add_co_u32_e32 v16, vcc, s33, v2
	v_mov_b32_e32 v2, v9
	v_lshlrev_b64 v[1:2], 1, v[1:2]
	v_addc_co_u32_e32 v17, vcc, v13, v3, vcc
	v_add_co_u32_e32 v1, vcc, s33, v1
	v_addc_co_u32_e32 v2, vcc, v13, v2, vcc
	global_load_ushort v3, v[16:17], off
	global_load_ushort v19, v[1:2], off
	v_add_u32_e32 v2, 10, v15
	v_mul_lo_u32 v2, v2, s62
	s_waitcnt vmcnt(1)
	v_perm_b32 v1, v3, v18, s24
	v_add_u32_e32 v3, 10, v14
	v_mul_lo_u32 v8, v3, s9
	v_lshlrev_b64 v[3:4], 1, v[8:9]
	v_add_co_u32_e32 v16, vcc, s33, v3
	v_mov_b32_e32 v3, v9
	v_lshlrev_b64 v[2:3], 1, v[2:3]
	v_addc_co_u32_e32 v17, vcc, v13, v4, vcc
	v_add_co_u32_e32 v2, vcc, s33, v2
	v_addc_co_u32_e32 v3, vcc, v13, v3, vcc
	global_load_ushort v4, v[16:17], off
	global_load_ushort v18, v[2:3], off
	v_add_u32_e32 v3, 12, v15
	v_mul_lo_u32 v3, v3, s62
	s_waitcnt vmcnt(1)
	v_perm_b32 v2, v4, v19, s24
	v_add_u32_e32 v4, 12, v14
	v_mul_lo_u32 v8, v4, s9
	v_mov_b32_e32 v4, v9
	v_lshlrev_b64 v[3:4], 1, v[3:4]
	v_mov_b32_e32 v19, v9
	v_lshlrev_b64 v[16:17], 1, v[8:9]
	v_add_co_u32_e32 v16, vcc, s33, v16
	v_addc_co_u32_e32 v17, vcc, v13, v17, vcc
	v_add_co_u32_e32 v3, vcc, s33, v3
	v_addc_co_u32_e32 v4, vcc, v13, v4, vcc
	global_load_ushort v8, v[16:17], off
	s_nop 0
	global_load_ushort v4, v[3:4], off
	v_add_u32_e32 v16, 14, v15
	v_add_u32_e32 v15, 16, v15
	s_waitcnt vmcnt(1)
	v_perm_b32 v3, v8, v18, s24
	v_add_u32_e32 v8, 14, v14
	v_mul_lo_u32 v8, v8, s9
	v_mul_lo_u32 v18, v16, s62
	v_add_u32_e32 v14, 16, v14
	v_lshlrev_b64 v[16:17], 1, v[8:9]
	v_lshlrev_b64 v[18:19], 1, v[18:19]
	v_add_co_u32_e32 v16, vcc, s33, v16
	v_addc_co_u32_e32 v17, vcc, v13, v17, vcc
	v_add_co_u32_e32 v18, vcc, s33, v18
	v_addc_co_u32_e32 v19, vcc, v13, v19, vcc
	global_load_ushort v8, v[16:17], off
	s_nop 0
	global_load_ushort v16, v[18:19], off
	v_cmp_eq_u32_e32 vcc, 0, v48
	s_or_b64 s[42:43], vcc, s[42:43]
	s_waitcnt vmcnt(1)
	v_perm_b32 v4, v8, v4, s24
	s_waitcnt vmcnt(0)
	v_perm_b32 v17, v16, v8, s24
	ds_write_b128 v49, v[1:4] offset:16
	v_add_u32_e32 v49, 32, v49
	v_mov_b32_e32 v1, s2
	s_andn2_b64 exec, exec, s[42:43]
	s_cbranch_execnz .LBB101_32
; %bb.33:                               ;   in Loop: Header=BB101_6 Depth=1
	s_or_b64 exec, exec, s[42:43]
.LBB101_34:                             ;   in Loop: Header=BB101_6 Depth=1
	s_or_b64 exec, exec, s[40:41]
	s_mov_b64 s[2:3], exec
	v_readlane_b32 s12, v53, 46
	v_readlane_b32 s13, v53, 47
	s_and_b64 s[12:13], s[2:3], s[12:13]
	s_mov_b64 exec, s[12:13]
	s_cbranch_execz .LBB101_38
; %bb.35:                               ;   in Loop: Header=BB101_6 Depth=1
	v_lshl_add_u32 v1, v1, 1, v25
	s_mov_b64 s[12:13], 0
	v_mov_b32_e32 v2, v32
.LBB101_36:                             ;   Parent Loop BB101_6 Depth=1
                                        ; =>  This Inner Loop Header: Depth=2
	v_mul_lo_u32 v8, v14, s9
	v_mul_lo_u32 v3, v15, s62
	v_mov_b32_e32 v4, v9
	v_mov_b32_e32 v13, s56
	v_lshlrev_b64 v[18:19], 1, v[8:9]
	v_lshlrev_b64 v[3:4], 1, v[3:4]
	v_add_co_u32_e32 v18, vcc, s33, v18
	v_addc_co_u32_e32 v19, vcc, v13, v19, vcc
	v_add_co_u32_e32 v3, vcc, s33, v3
	v_addc_co_u32_e32 v4, vcc, v13, v4, vcc
	global_load_ushort v8, v[18:19], off
	global_load_ushort v16, v[3:4], off
	v_add_u32_e32 v2, -4, v2
	v_cmp_eq_u32_e32 vcc, 0, v2
	v_add_u32_e32 v15, 2, v15
	v_add_u32_e32 v14, 2, v14
	s_or_b64 s[12:13], vcc, s[12:13]
	s_waitcnt vmcnt(1)
	v_alignbit_b32 v4, v8, v17, 16
	s_waitcnt vmcnt(0)
	v_perm_b32 v3, v16, v8, s24
	ds_write_b32 v1, v4
	v_add_u32_e32 v1, 4, v1
	v_mov_b32_e32 v17, v3
	s_andn2_b64 exec, exec, s[12:13]
	s_cbranch_execnz .LBB101_36
; %bb.37:                               ;   in Loop: Header=BB101_6 Depth=1
	s_or_b64 exec, exec, s[12:13]
.LBB101_38:                             ;   in Loop: Header=BB101_6 Depth=1
	s_or_b64 exec, exec, s[2:3]
	v_readlane_b32 s2, v53, 48
	v_add_u32_e32 v12, v12, v28
	v_readlane_b32 s3, v53, 49
	v_add_u32_e32 v1, -1, v12
	s_orn2_b64 s[2:3], s[2:3], exec
	v_mov_b32_e32 v3, v29
.LBB101_39:                             ;   in Loop: Header=BB101_6 Depth=1
	s_or_b64 exec, exec, s[6:7]
	v_mov_b32_e32 v2, s11
	s_and_b64 s[6:7], s[2:3], exec
	s_andn2_saveexec_b64 s[2:3], s[34:35]
	s_cbranch_execz .LBB101_25
.LBB101_40:                             ;   in Loop: Header=BB101_6 Depth=1
	v_mov_b32_e32 v2, s11
	s_or_b64 s[6:7], s[6:7], exec
	v_mov_b32_e32 v3, v0
	s_or_b64 exec, exec, s[2:3]
	s_and_saveexec_b64 s[2:3], s[6:7]
	s_cbranch_execz .LBB101_44
.LBB101_41:                             ;   in Loop: Header=BB101_6 Depth=1
	v_mul_lo_u32 v8, s9, v12
	s_sub_i32 s11, 0, s4
	s_mov_b64 s[6:7], 0
.LBB101_42:                             ;   Parent Loop BB101_6 Depth=1
                                        ; =>  This Inner Loop Header: Depth=2
	v_mov_b32_e32 v4, v12
	v_lshlrev_b64 v[12:13], 1, v[8:9]
	v_mov_b32_e32 v14, s56
	v_add_co_u32_e32 v12, vcc, s33, v12
	v_addc_co_u32_e32 v13, vcc, v14, v13, vcc
	s_waitcnt vmcnt(0)
	v_mov_b32_e32 v1, v16
	global_load_ushort v16, v[12:13], off
	v_add_u32_e32 v12, s4, v4
	v_lshlrev_b32_e32 v3, 1, v3
	v_cmp_le_u32_e32 vcc, s36, v12
	ds_write_b16 v3, v1
	v_add_u32_e32 v8, v8, v2
	s_or_b64 s[6:7], vcc, s[6:7]
	v_mov_b32_e32 v3, v4
	s_andn2_b64 exec, exec, s[6:7]
	s_cbranch_execnz .LBB101_42
; %bb.43:                               ;   in Loop: Header=BB101_6 Depth=1
	s_or_b64 exec, exec, s[6:7]
	v_add_u32_e32 v1, s11, v12
.LBB101_44:                             ;   in Loop: Header=BB101_6 Depth=1
	s_or_b64 exec, exec, s[2:3]
.LBB101_45:                             ;   in Loop: Header=BB101_6 Depth=1
	s_or_b64 exec, exec, s[30:31]
	v_lshlrev_b32_e32 v1, 1, v1
	s_waitcnt vmcnt(0)
	ds_write_b16 v1, v16
.LBB101_46:                             ;   in Loop: Header=BB101_6 Depth=1
	s_or_b64 exec, exec, s[26:27]
	s_waitcnt lgkmcnt(0)
	s_barrier
	s_mov_b64 s[2:3], exec
	v_readlane_b32 s6, v53, 22
	v_readlane_b32 s7, v53, 23
	s_and_b64 s[6:7], s[2:3], s[6:7]
	s_mov_b64 exec, s[6:7]
; %bb.47:                               ;   in Loop: Header=BB101_6 Depth=1
	v_mov_b32_e32 v1, s36
	ds_write_b32 v9, v1 offset:4096
; %bb.48:                               ;   in Loop: Header=BB101_6 Depth=1
	s_or_b64 exec, exec, s[2:3]
	s_mov_b64 s[6:7], -1
	s_waitcnt lgkmcnt(0)
	s_barrier
.LBB101_49:                             ;   in Loop: Header=BB101_6 Depth=1
	s_mov_b32 s11, 0
	s_and_b64 vcc, exec, s[6:7]
	s_cbranch_vccz .LBB101_51
; %bb.50:                               ;   in Loop: Header=BB101_6 Depth=1
	ds_read_b32 v1, v9 offset:4096
	s_waitcnt lgkmcnt(0)
	v_readfirstlane_b32 s11, v1
.LBB101_51:                             ;   in Loop: Header=BB101_6 Depth=1
	s_cmp_lt_i32 s11, 1
	s_mov_b64 s[2:3], -1
                                        ; implicit-def: $vgpr1
	s_cbranch_scc1 .LBB101_61
; %bb.52:                               ;   in Loop: Header=BB101_6 Depth=1
	s_and_b64 vcc, exec, s[2:3]
	s_cbranch_vccnz .LBB101_72
.LBB101_53:                             ;   in Loop: Header=BB101_6 Depth=1
	s_lshl_b32 s4, s57, 6
	s_and_saveexec_b64 s[2:3], s[0:1]
.LBB101_54:                             ;   in Loop: Header=BB101_6 Depth=1
	v_lshl_add_u32 v8, s4, 2, v27
	ds_write_b128 v8, v[1:4]
.LBB101_55:                             ;   in Loop: Header=BB101_6 Depth=1
	s_or_b64 exec, exec, s[2:3]
	s_waitcnt lgkmcnt(0)
	s_barrier
	s_mov_b64 s[2:3], exec
	v_readlane_b32 s6, v53, 29
	v_readlane_b32 s7, v53, 30
	s_and_b64 s[6:7], s[2:3], s[6:7]
	s_mov_b64 exec, s[6:7]
	s_cbranch_execz .LBB101_86
; %bb.56:                               ;   in Loop: Header=BB101_6 Depth=1
	v_readlane_b32 s6, v53, 35
	v_readlane_b32 s7, v53, 36
	s_andn2_b64 vcc, exec, s[6:7]
	v_mov_b32_e32 v1, 0
	s_cbranch_vccnz .LBB101_85
; %bb.57:                               ;   in Loop: Header=BB101_6 Depth=1
	v_readlane_b32 s6, v53, 50
	v_readlane_b32 s7, v53, 51
	s_andn2_b64 vcc, exec, s[6:7]
	s_cbranch_vccnz .LBB101_81
; %bb.58:                               ;   in Loop: Header=BB101_6 Depth=1
	v_lshl_add_u32 v2, s57, 8, v38
	s_mov_b32 s6, 0
	v_mov_b32_e32 v1, 0
.LBB101_59:                             ;   Parent Loop BB101_6 Depth=1
                                        ; =>  This Inner Loop Header: Depth=2
	ds_read2_b32 v[3:4], v2 offset1:4
	ds_read2_b32 v[12:13], v2 offset0:8 offset1:12
	s_add_i32 s6, s6, 8
	s_cmp_eq_u32 s63, s6
	s_waitcnt lgkmcnt(1)
	v_add3_u32 v1, v3, v1, v4
	ds_read2_b32 v[3:4], v2 offset0:16 offset1:20
	s_waitcnt lgkmcnt(1)
	v_add3_u32 v1, v12, v1, v13
	s_waitcnt lgkmcnt(0)
	v_add3_u32 v1, v3, v1, v4
	ds_read2_b32 v[3:4], v2 offset0:24 offset1:28
	v_add_u32_e32 v2, 0x80, v2
	s_waitcnt lgkmcnt(0)
	v_add3_u32 v1, v3, v1, v4
	s_cbranch_scc0 .LBB101_59
; %bb.60:                               ;   in Loop: Header=BB101_6 Depth=1
	s_mov_b32 s6, s63
	s_branch .LBB101_82
.LBB101_61:                             ;   in Loop: Header=BB101_6 Depth=1
	v_mov_b32_e32 v1, 0
	v_mov_b32_e32 v2, 0
	;; [unrolled: 1-line block ×4, first 2 shown]
	s_mov_b64 s[40:41], exec
	v_readlane_b32 s2, v53, 56
	v_readlane_b32 s3, v53, 57
	s_and_b64 s[2:3], s[40:41], s[2:3]
	s_mov_b64 exec, s[2:3]
	s_cbranch_execz .LBB101_65
; %bb.62:                               ;   in Loop: Header=BB101_6 Depth=1
	s_mov_b32 s2, 0
	s_mov_b64 s[42:43], 0
	s_mov_b32 s3, 0
	s_mov_b32 s4, 0
	s_mov_b32 s12, 0
	s_mov_b32 s13, 0
	v_mov_b32_e32 v12, v23
.LBB101_63:                             ;   Parent Loop BB101_6 Depth=1
                                        ; =>  This Inner Loop Header: Depth=2
	v_add_u32_e32 v8, s2, v39
	v_lshlrev_b64 v[1:2], 1, v[8:9]
	v_mov_b32_e32 v3, s56
	v_add_co_u32_e32 v1, vcc, s33, v1
	v_addc_co_u32_e32 v2, vcc, v3, v2, vcc
	v_add_u32_e32 v8, s2, v33
	global_load_ushort v4, v[1:2], off
	v_lshlrev_b64 v[1:2], 1, v[8:9]
	v_add_u32_e32 v8, s2, v34
	v_add_co_u32_e32 v1, vcc, s33, v1
	v_addc_co_u32_e32 v2, vcc, v3, v2, vcc
	global_load_ushort v13, v[1:2], off
	v_lshlrev_b64 v[1:2], 1, v[8:9]
	v_add_u32_e32 v8, s2, v35
	v_add_co_u32_e32 v1, vcc, s33, v1
	v_addc_co_u32_e32 v2, vcc, v3, v2, vcc
	global_load_ushort v14, v[1:2], off
	v_lshlrev_b64 v[1:2], 1, v[8:9]
	v_add_u32_e32 v12, s61, v12
	v_add_co_u32_e32 v1, vcc, s33, v1
	v_addc_co_u32_e32 v2, vcc, v3, v2, vcc
	global_load_ushort v1, v[1:2], off
	s_add_i32 s2, s2, s23
	s_waitcnt vmcnt(3)
	v_cmp_lt_i16_e32 vcc, -1, v4
	v_cndmask_b32_e32 v2, v41, v42, vcc
	v_cmp_o_f16_e32 vcc, v4, v4
	v_xor_b32_sdwa v2, v2, v4 dst_sel:DWORD dst_unused:UNUSED_PAD src0_sel:DWORD src1_sel:WORD_0
	v_cndmask_b32_e32 v2, v41, v2, vcc
	s_waitcnt vmcnt(2)
	v_cmp_lt_i16_e32 vcc, -1, v13
	v_cndmask_b32_e32 v3, v41, v42, vcc
	v_cmp_o_f16_e32 vcc, v13, v13
	v_xor_b32_sdwa v3, v3, v13 dst_sel:DWORD dst_unused:UNUSED_PAD src0_sel:DWORD src1_sel:WORD_0
	v_cndmask_b32_e32 v3, v41, v3, vcc
	;; [unrolled: 6-line block ×3, first 2 shown]
	s_waitcnt vmcnt(0)
	v_cmp_lt_i16_e32 vcc, -1, v1
	v_cndmask_b32_e32 v8, v41, v42, vcc
	v_cmp_o_f16_e32 vcc, v1, v1
	v_xor_b32_sdwa v1, v8, v1 dst_sel:DWORD dst_unused:UNUSED_PAD src0_sel:DWORD src1_sel:WORD_0
	v_and_b32_e32 v8, v2, v45
	v_bfe_u32 v2, v2, s5, 2
	v_cndmask_b32_e32 v1, v41, v1, vcc
	v_cmp_eq_u32_e32 vcc, v8, v37
	v_and_b32_e32 v8, v3, v45
	v_bfe_u32 v3, v3, s5, 2
	v_cmp_eq_u32_e64 s[34:35], 0, v2
	v_cmp_eq_u32_e64 s[6:7], v8, v37
	v_and_b32_e32 v8, v4, v45
	v_bfe_u32 v4, v4, s5, 2
	s_and_b64 s[14:15], vcc, s[34:35]
	v_cmp_eq_u32_e64 s[34:35], 0, v3
	v_cmp_eq_u32_e64 s[26:27], v8, v37
	v_and_b32_e32 v8, v1, v45
	v_bfe_u32 v1, v1, s5, 2
	s_and_b64 s[16:17], s[6:7], s[34:35]
	v_cmp_eq_u32_e64 s[34:35], 0, v4
	v_cmp_eq_u32_e64 s[30:31], v8, v37
	s_and_b64 s[18:19], s[26:27], s[34:35]
	v_cmp_eq_u32_e64 s[34:35], 0, v1
	v_cndmask_b32_e64 v8, 0, 1, s[14:15]
	s_and_b64 s[24:25], s[30:31], s[34:35]
	v_cmp_ne_u32_e64 s[34:35], 0, v8
	v_cndmask_b32_e64 v8, 0, 1, s[16:17]
	s_bcnt1_i32_b64 s14, s[34:35]
	v_cmp_ne_u32_e64 s[34:35], 0, v8
	v_cndmask_b32_e64 v8, 0, 1, s[18:19]
	s_bcnt1_i32_b64 s15, s[34:35]
	;; [unrolled: 3-line block ×3, first 2 shown]
	v_cmp_ne_u32_e64 s[34:35], 0, v8
	s_add_i32 s13, s13, s14
	s_bcnt1_i32_b64 s17, s[34:35]
	s_add_i32 s13, s13, s15
	v_cmp_eq_u32_e64 s[34:35], 1, v2
	s_add_i32 s13, s13, s16
	s_and_b64 s[14:15], vcc, s[34:35]
	v_cmp_eq_u32_e64 s[34:35], 1, v3
	s_add_i32 s13, s13, s17
	s_and_b64 s[16:17], s[6:7], s[34:35]
	v_cmp_eq_u32_e64 s[34:35], 1, v4
	s_and_b64 s[18:19], s[26:27], s[34:35]
	v_cmp_eq_u32_e64 s[34:35], 1, v1
	v_cndmask_b32_e64 v8, 0, 1, s[14:15]
	s_and_b64 s[24:25], s[30:31], s[34:35]
	v_cmp_ne_u32_e64 s[34:35], 0, v8
	v_cndmask_b32_e64 v8, 0, 1, s[16:17]
	s_bcnt1_i32_b64 s14, s[34:35]
	v_cmp_ne_u32_e64 s[34:35], 0, v8
	v_cndmask_b32_e64 v8, 0, 1, s[18:19]
	s_bcnt1_i32_b64 s15, s[34:35]
	;; [unrolled: 3-line block ×3, first 2 shown]
	v_cmp_ne_u32_e64 s[34:35], 0, v8
	s_add_i32 s12, s12, s14
	s_bcnt1_i32_b64 s17, s[34:35]
	s_add_i32 s12, s12, s15
	v_cmp_eq_u32_e64 s[34:35], 2, v2
	s_add_i32 s12, s12, s16
	s_and_b64 s[14:15], vcc, s[34:35]
	v_cmp_eq_u32_e64 s[34:35], 2, v3
	s_add_i32 s12, s12, s17
	s_and_b64 s[16:17], s[6:7], s[34:35]
	v_cmp_eq_u32_e64 s[34:35], 2, v4
	s_and_b64 s[18:19], s[26:27], s[34:35]
	v_cmp_eq_u32_e64 s[34:35], 2, v1
	v_cndmask_b32_e64 v8, 0, 1, s[14:15]
	s_and_b64 s[24:25], s[30:31], s[34:35]
	v_cmp_ne_u32_e64 s[34:35], 0, v8
	v_cndmask_b32_e64 v8, 0, 1, s[16:17]
	s_bcnt1_i32_b64 s14, s[34:35]
	v_cmp_ne_u32_e64 s[34:35], 0, v8
	v_cndmask_b32_e64 v8, 0, 1, s[18:19]
	s_bcnt1_i32_b64 s15, s[34:35]
	;; [unrolled: 3-line block ×3, first 2 shown]
	v_cmp_ne_u32_e64 s[34:35], 0, v8
	s_bcnt1_i32_b64 s17, s[34:35]
	s_add_i32 s4, s4, s14
	v_cmp_eq_u32_e64 s[34:35], 3, v2
	s_add_i32 s4, s4, s15
	s_and_b64 s[14:15], vcc, s[34:35]
	v_cmp_eq_u32_e32 vcc, 3, v3
	s_add_i32 s4, s4, s16
	s_and_b64 s[6:7], s[6:7], vcc
	v_cmp_eq_u32_e32 vcc, 3, v4
	s_add_i32 s4, s4, s17
	s_and_b64 s[16:17], s[26:27], vcc
	v_cmp_eq_u32_e32 vcc, 3, v1
	v_cndmask_b32_e64 v1, 0, 1, s[14:15]
	s_and_b64 s[18:19], s[30:31], vcc
	v_cmp_ne_u32_e32 vcc, 0, v1
	v_cndmask_b32_e64 v1, 0, 1, s[6:7]
	s_bcnt1_i32_b64 s14, vcc
	v_cmp_ne_u32_e32 vcc, 0, v1
	v_cndmask_b32_e64 v1, 0, 1, s[16:17]
	s_bcnt1_i32_b64 s6, vcc
	v_cmp_ne_u32_e32 vcc, 0, v1
	v_cndmask_b32_e64 v1, 0, 1, s[18:19]
	s_add_i32 s3, s3, s14
	s_bcnt1_i32_b64 s7, vcc
	v_cmp_ne_u32_e32 vcc, 0, v1
	s_add_i32 s3, s3, s6
	s_bcnt1_i32_b64 s15, vcc
	s_add_i32 s3, s3, s7
	s_add_i32 s3, s3, s15
	v_cmp_le_u32_e32 vcc, s21, v12
	s_or_b64 s[42:43], vcc, s[42:43]
	v_mov_b32_e32 v1, s13
	v_mov_b32_e32 v2, s12
	;; [unrolled: 1-line block ×4, first 2 shown]
	s_andn2_b64 exec, exec, s[42:43]
	s_cbranch_execnz .LBB101_63
; %bb.64:                               ;   in Loop: Header=BB101_6 Depth=1
	s_or_b64 exec, exec, s[42:43]
.LBB101_65:                             ;   in Loop: Header=BB101_6 Depth=1
	s_or_b64 exec, exec, s[40:41]
	s_mov_b64 s[2:3], exec
	v_readlane_b32 s6, v53, 58
	v_readlane_b32 s7, v53, 59
	s_and_b64 s[6:7], s[2:3], s[6:7]
	s_mov_b64 exec, s[6:7]
	s_cbranch_execz .LBB101_71
; %bb.66:                               ;   in Loop: Header=BB101_6 Depth=1
	global_load_ushort v13, v[10:11], off
	s_mov_b64 s[12:13], 0
	v_mov_b32_e32 v8, v36
	v_mov_b32_e32 v12, v31
	s_branch .LBB101_68
.LBB101_67:                             ;   in Loop: Header=BB101_68 Depth=2
	s_or_b64 exec, exec, s[14:15]
	s_and_b64 s[6:7], exec, vcc
	s_waitcnt vmcnt(0)
	v_cmp_lt_i16_e32 vcc, -1, v13
	v_cndmask_b32_e32 v15, v41, v42, vcc
	v_xor_b32_sdwa v15, v15, v13 dst_sel:DWORD dst_unused:UNUSED_PAD src0_sel:DWORD src1_sel:WORD_0
	v_cmp_o_f16_e32 vcc, v13, v13
	v_cndmask_b32_e32 v13, v41, v15, vcc
	v_and_b32_e32 v15, v13, v45
	v_bfe_u32 v13, v13, s5, 2
	s_or_b64 s[12:13], s[6:7], s[12:13]
	v_cmp_eq_u32_e32 vcc, v15, v37
	v_cmp_eq_u32_e64 s[6:7], 0, v13
	s_and_b64 s[6:7], vcc, s[6:7]
	v_cndmask_b32_e64 v15, 0, 1, s[6:7]
	v_cmp_ne_u32_e64 s[6:7], 0, v15
	s_bcnt1_i32_b64 s4, s[6:7]
	v_cmp_eq_u32_e64 s[6:7], 1, v13
	s_and_b64 s[6:7], vcc, s[6:7]
	v_cndmask_b32_e64 v15, 0, 1, s[6:7]
	v_cmp_ne_u32_e64 s[6:7], 0, v15
	v_add_u32_e32 v1, s4, v1
	s_bcnt1_i32_b64 s4, s[6:7]
	v_cmp_eq_u32_e64 s[6:7], 2, v13
	s_and_b64 s[6:7], vcc, s[6:7]
	v_cndmask_b32_e64 v15, 0, 1, s[6:7]
	v_cmp_ne_u32_e64 s[6:7], 0, v15
	v_add_u32_e32 v2, s4, v2
	s_bcnt1_i32_b64 s4, s[6:7]
	v_cmp_eq_u32_e64 s[6:7], 3, v13
	s_and_b64 s[6:7], vcc, s[6:7]
	v_cndmask_b32_e64 v13, 0, 1, s[6:7]
	v_cmp_ne_u32_e32 vcc, 0, v13
	v_add_u32_e32 v3, s4, v3
	s_bcnt1_i32_b64 s4, vcc
	v_add_u32_e32 v4, s4, v4
	v_add_u32_e32 v8, s60, v8
	v_mov_b32_e32 v13, v14
	s_andn2_b64 exec, exec, s[12:13]
	s_cbranch_execz .LBB101_70
.LBB101_68:                             ;   Parent Loop BB101_6 Depth=1
                                        ; =>  This Inner Loop Header: Depth=2
	v_add_u32_e32 v12, s8, v12
	v_cmp_gt_u32_e64 s[6:7], s36, v12
	v_cmp_le_u32_e32 vcc, s36, v12
	v_mov_b32_e32 v14, 0
	s_and_saveexec_b64 s[14:15], s[6:7]
	s_cbranch_execz .LBB101_67
; %bb.69:                               ;   in Loop: Header=BB101_68 Depth=2
	v_lshlrev_b64 v[14:15], 1, v[8:9]
	v_mov_b32_e32 v16, s56
	v_add_co_u32_e64 v14, s[6:7], s33, v14
	v_addc_co_u32_e64 v15, s[6:7], v16, v15, s[6:7]
	global_load_ushort v14, v[14:15], off
	s_branch .LBB101_67
.LBB101_70:                             ;   in Loop: Header=BB101_6 Depth=1
	s_or_b64 exec, exec, s[12:13]
.LBB101_71:                             ;   in Loop: Header=BB101_6 Depth=1
	s_or_b64 exec, exec, s[2:3]
	s_branch .LBB101_53
.LBB101_72:                             ;   in Loop: Header=BB101_6 Depth=1
	v_readlane_b32 s2, v53, 55
	s_mul_hi_u32 s2, s11, s2
	s_mul_i32 s2, s2, s61
	s_sub_i32 s2, s11, s2
	s_sub_i32 s3, s2, s61
	s_cmp_ge_u32 s2, s61
	s_cselect_b32 s2, s3, s2
	s_sub_i32 s3, s2, s61
	s_cmp_ge_u32 s2, s61
	s_cselect_b32 s2, s3, s2
	s_sub_i32 s2, s11, s2
	v_cmp_gt_u32_e32 vcc, s2, v23
	v_mov_b32_e32 v1, 0
	v_mov_b32_e32 v2, 0
	;; [unrolled: 1-line block ×4, first 2 shown]
	s_and_saveexec_b64 s[40:41], vcc
	s_cbranch_execz .LBB101_76
; %bb.73:                               ;   in Loop: Header=BB101_6 Depth=1
	s_mov_b32 s3, 0
	s_mov_b64 s[42:43], 0
	v_mov_b32_e32 v8, v40
	s_mov_b32 s4, 0
	s_mov_b32 s12, 0
	;; [unrolled: 1-line block ×3, first 2 shown]
	v_mov_b32_e32 v12, v23
.LBB101_74:                             ;   Parent Loop BB101_6 Depth=1
                                        ; =>  This Inner Loop Header: Depth=2
	ds_read_b64 v[1:2], v8
	v_add_u32_e32 v12, s61, v12
	v_add_u32_e32 v8, s20, v8
	s_waitcnt lgkmcnt(0)
	v_cmp_lt_i16_e32 vcc, -1, v1
	v_cndmask_b32_e32 v3, v41, v42, vcc
	v_cmp_o_f16_e32 vcc, v1, v1
	v_xor_b32_sdwa v3, v3, v1 dst_sel:DWORD dst_unused:UNUSED_PAD src0_sel:DWORD src1_sel:WORD_0
	v_cndmask_b32_e32 v3, v41, v3, vcc
	v_cmp_gt_i16_sdwa vcc, v1, v43 src0_sel:WORD_1 src1_sel:DWORD
	v_cndmask_b32_e32 v4, v41, v42, vcc
	v_cmp_o_f16_sdwa vcc, v1, v1 src0_sel:WORD_1 src1_sel:WORD_1
	v_xor_b32_sdwa v1, v4, v1 dst_sel:DWORD dst_unused:UNUSED_PAD src0_sel:DWORD src1_sel:WORD_1
	v_cndmask_b32_e32 v1, v41, v1, vcc
	v_cmp_lt_i16_e32 vcc, -1, v2
	v_cndmask_b32_e32 v4, v41, v42, vcc
	v_cmp_o_f16_e32 vcc, v2, v2
	v_xor_b32_sdwa v4, v4, v2 dst_sel:DWORD dst_unused:UNUSED_PAD src0_sel:DWORD src1_sel:WORD_0
	v_cndmask_b32_e32 v4, v41, v4, vcc
	v_cmp_gt_i16_sdwa vcc, v2, v43 src0_sel:WORD_1 src1_sel:DWORD
	v_cndmask_b32_e32 v13, v41, v42, vcc
	v_cmp_o_f16_sdwa vcc, v2, v2 src0_sel:WORD_1 src1_sel:WORD_1
	v_xor_b32_sdwa v2, v13, v2 dst_sel:DWORD dst_unused:UNUSED_PAD src0_sel:DWORD src1_sel:WORD_1
	v_and_b32_e32 v13, v3, v45
	v_bfe_u32 v3, v3, s5, 2
	v_cndmask_b32_e32 v2, v41, v2, vcc
	v_cmp_eq_u32_e32 vcc, v13, v37
	v_and_b32_e32 v13, v1, v45
	v_bfe_u32 v1, v1, s5, 2
	v_cmp_eq_u32_e64 s[34:35], 0, v3
	v_cmp_eq_u32_e64 s[6:7], v13, v37
	v_and_b32_e32 v13, v4, v45
	v_bfe_u32 v4, v4, s5, 2
	s_and_b64 s[14:15], vcc, s[34:35]
	v_cmp_eq_u32_e64 s[34:35], 0, v1
	v_cmp_eq_u32_e64 s[26:27], v13, v37
	v_and_b32_e32 v13, v2, v45
	v_bfe_u32 v2, v2, s5, 2
	s_and_b64 s[16:17], s[6:7], s[34:35]
	v_cmp_eq_u32_e64 s[34:35], 0, v4
	v_cmp_eq_u32_e64 s[30:31], v13, v37
	s_and_b64 s[18:19], s[26:27], s[34:35]
	v_cmp_eq_u32_e64 s[34:35], 0, v2
	v_cndmask_b32_e64 v13, 0, 1, s[14:15]
	s_and_b64 s[24:25], s[30:31], s[34:35]
	v_cmp_ne_u32_e64 s[34:35], 0, v13
	v_cndmask_b32_e64 v13, 0, 1, s[16:17]
	s_bcnt1_i32_b64 s14, s[34:35]
	v_cmp_ne_u32_e64 s[34:35], 0, v13
	v_cndmask_b32_e64 v13, 0, 1, s[18:19]
	s_bcnt1_i32_b64 s15, s[34:35]
	;; [unrolled: 3-line block ×3, first 2 shown]
	v_cmp_ne_u32_e64 s[34:35], 0, v13
	s_add_i32 s13, s13, s14
	s_bcnt1_i32_b64 s17, s[34:35]
	s_add_i32 s13, s13, s15
	v_cmp_eq_u32_e64 s[34:35], 1, v3
	s_add_i32 s13, s13, s16
	s_and_b64 s[14:15], vcc, s[34:35]
	v_cmp_eq_u32_e64 s[34:35], 1, v1
	s_add_i32 s13, s13, s17
	s_and_b64 s[16:17], s[6:7], s[34:35]
	v_cmp_eq_u32_e64 s[34:35], 1, v4
	s_and_b64 s[18:19], s[26:27], s[34:35]
	v_cmp_eq_u32_e64 s[34:35], 1, v2
	v_cndmask_b32_e64 v13, 0, 1, s[14:15]
	s_and_b64 s[24:25], s[30:31], s[34:35]
	v_cmp_ne_u32_e64 s[34:35], 0, v13
	v_cndmask_b32_e64 v13, 0, 1, s[16:17]
	s_bcnt1_i32_b64 s14, s[34:35]
	v_cmp_ne_u32_e64 s[34:35], 0, v13
	v_cndmask_b32_e64 v13, 0, 1, s[18:19]
	s_bcnt1_i32_b64 s15, s[34:35]
	;; [unrolled: 3-line block ×3, first 2 shown]
	v_cmp_ne_u32_e64 s[34:35], 0, v13
	s_add_i32 s12, s12, s14
	s_bcnt1_i32_b64 s17, s[34:35]
	s_add_i32 s12, s12, s15
	v_cmp_eq_u32_e64 s[34:35], 2, v3
	s_add_i32 s12, s12, s16
	s_and_b64 s[14:15], vcc, s[34:35]
	v_cmp_eq_u32_e64 s[34:35], 2, v1
	s_add_i32 s12, s12, s17
	s_and_b64 s[16:17], s[6:7], s[34:35]
	v_cmp_eq_u32_e64 s[34:35], 2, v4
	s_and_b64 s[18:19], s[26:27], s[34:35]
	v_cmp_eq_u32_e64 s[34:35], 2, v2
	v_cndmask_b32_e64 v13, 0, 1, s[14:15]
	s_and_b64 s[24:25], s[30:31], s[34:35]
	v_cmp_ne_u32_e64 s[34:35], 0, v13
	v_cndmask_b32_e64 v13, 0, 1, s[16:17]
	s_bcnt1_i32_b64 s14, s[34:35]
	v_cmp_ne_u32_e64 s[34:35], 0, v13
	v_cndmask_b32_e64 v13, 0, 1, s[18:19]
	s_bcnt1_i32_b64 s15, s[34:35]
	;; [unrolled: 3-line block ×3, first 2 shown]
	v_cmp_ne_u32_e64 s[34:35], 0, v13
	s_bcnt1_i32_b64 s17, s[34:35]
	s_add_i32 s4, s4, s14
	v_cmp_eq_u32_e64 s[34:35], 3, v3
	s_add_i32 s4, s4, s15
	s_and_b64 s[14:15], vcc, s[34:35]
	v_cmp_eq_u32_e32 vcc, 3, v1
	s_add_i32 s4, s4, s16
	s_and_b64 s[6:7], s[6:7], vcc
	v_cmp_eq_u32_e32 vcc, 3, v4
	s_add_i32 s4, s4, s17
	s_and_b64 s[16:17], s[26:27], vcc
	v_cmp_eq_u32_e32 vcc, 3, v2
	v_cndmask_b32_e64 v1, 0, 1, s[14:15]
	s_and_b64 s[18:19], s[30:31], vcc
	v_cmp_ne_u32_e32 vcc, 0, v1
	v_cndmask_b32_e64 v1, 0, 1, s[6:7]
	s_bcnt1_i32_b64 s14, vcc
	v_cmp_ne_u32_e32 vcc, 0, v1
	v_cndmask_b32_e64 v1, 0, 1, s[16:17]
	s_bcnt1_i32_b64 s6, vcc
	v_cmp_ne_u32_e32 vcc, 0, v1
	v_cndmask_b32_e64 v1, 0, 1, s[18:19]
	s_add_i32 s3, s3, s14
	s_bcnt1_i32_b64 s7, vcc
	v_cmp_ne_u32_e32 vcc, 0, v1
	s_add_i32 s3, s3, s6
	s_bcnt1_i32_b64 s15, vcc
	s_add_i32 s3, s3, s7
	s_add_i32 s3, s3, s15
	v_cmp_le_u32_e32 vcc, s2, v12
	s_or_b64 s[42:43], vcc, s[42:43]
	v_mov_b32_e32 v1, s13
	v_mov_b32_e32 v2, s12
	;; [unrolled: 1-line block ×4, first 2 shown]
	s_andn2_b64 exec, exec, s[42:43]
	s_cbranch_execnz .LBB101_74
; %bb.75:                               ;   in Loop: Header=BB101_6 Depth=1
	s_or_b64 exec, exec, s[42:43]
.LBB101_76:                             ;   in Loop: Header=BB101_6 Depth=1
	s_or_b64 exec, exec, s[40:41]
	v_add_u32_e32 v8, s2, v0
	v_cmp_gt_u32_e32 vcc, s11, v8
	s_and_saveexec_b64 s[14:15], vcc
	s_cbranch_execz .LBB101_80
; %bb.77:                               ;   in Loop: Header=BB101_6 Depth=1
	v_lshlrev_b32_e32 v12, 1, v8
	s_mov_b64 s[12:13], 0
.LBB101_78:                             ;   Parent Loop BB101_6 Depth=1
                                        ; =>  This Inner Loop Header: Depth=2
	ds_read_u16 v13, v12
	v_add_u32_e32 v8, s8, v8
	v_add_u32_e32 v12, s10, v12
	s_waitcnt lgkmcnt(0)
	v_cmp_lt_i16_e32 vcc, -1, v13
	v_cndmask_b32_e32 v14, v41, v42, vcc
	v_cmp_o_f16_e32 vcc, v13, v13
	v_xor_b32_sdwa v13, v14, v13 dst_sel:DWORD dst_unused:UNUSED_PAD src0_sel:DWORD src1_sel:WORD_0
	v_cndmask_b32_e32 v13, v41, v13, vcc
	v_and_b32_e32 v14, v13, v45
	v_bfe_u32 v13, v13, s5, 2
	v_cmp_eq_u32_e32 vcc, v14, v37
	v_cmp_eq_u32_e64 s[6:7], 0, v13
	s_and_b64 s[2:3], vcc, s[6:7]
	v_cndmask_b32_e64 v14, 0, 1, s[2:3]
	v_cmp_ne_u32_e64 s[6:7], 0, v14
	s_bcnt1_i32_b64 s2, s[6:7]
	v_cmp_eq_u32_e64 s[6:7], 1, v13
	v_add_u32_e32 v1, s2, v1
	s_and_b64 s[2:3], vcc, s[6:7]
	v_cndmask_b32_e64 v14, 0, 1, s[2:3]
	v_cmp_ne_u32_e64 s[6:7], 0, v14
	s_bcnt1_i32_b64 s2, s[6:7]
	v_cmp_eq_u32_e64 s[6:7], 2, v13
	v_add_u32_e32 v2, s2, v2
	;; [unrolled: 6-line block ×3, first 2 shown]
	s_and_b64 s[2:3], vcc, s[6:7]
	v_cndmask_b32_e64 v13, 0, 1, s[2:3]
	v_cmp_ne_u32_e32 vcc, 0, v13
	s_bcnt1_i32_b64 s2, vcc
	v_cmp_le_u32_e32 vcc, s11, v8
	v_add_u32_e32 v4, s2, v4
	s_or_b64 s[12:13], vcc, s[12:13]
	s_andn2_b64 exec, exec, s[12:13]
	s_cbranch_execnz .LBB101_78
; %bb.79:                               ;   in Loop: Header=BB101_6 Depth=1
	s_or_b64 exec, exec, s[12:13]
.LBB101_80:                             ;   in Loop: Header=BB101_6 Depth=1
	s_or_b64 exec, exec, s[14:15]
	s_lshl_b32 s4, s57, 6
	s_and_saveexec_b64 s[2:3], s[0:1]
	s_cbranch_execnz .LBB101_54
	s_branch .LBB101_55
.LBB101_81:                             ;   in Loop: Header=BB101_6 Depth=1
	v_mov_b32_e32 v1, 0
	s_mov_b32 s6, 0
.LBB101_82:                             ;   in Loop: Header=BB101_6 Depth=1
	v_readlane_b32 s12, v53, 53
	v_readlane_b32 s13, v53, 54
	s_andn2_b64 vcc, exec, s[12:13]
	s_cbranch_vccnz .LBB101_85
; %bb.83:                               ;   in Loop: Header=BB101_6 Depth=1
	s_lshl_b32 s7, s57, 8
	s_lshl_b32 s6, s6, 4
	s_add_i32 s7, s7, s6
	v_add_u32_e32 v2, s7, v38
	v_readlane_b32 s6, v53, 52
.LBB101_84:                             ;   Parent Loop BB101_6 Depth=1
                                        ; =>  This Inner Loop Header: Depth=2
	ds_read_b32 v3, v2
	s_add_i32 s6, s6, -1
	v_add_u32_e32 v2, 16, v2
	s_cmp_lg_u32 s6, 0
	s_waitcnt lgkmcnt(0)
	v_add_u32_e32 v1, v3, v1
	s_cbranch_scc1 .LBB101_84
.LBB101_85:                             ;   in Loop: Header=BB101_6 Depth=1
	v_add_lshl_u32 v2, s4, v24, 2
	ds_write_b32 v2, v1 offset:3072
.LBB101_86:                             ;   in Loop: Header=BB101_6 Depth=1
	s_or_b64 exec, exec, s[2:3]
	s_lshl_b32 s2, s4, 2
	v_mov_b32_e32 v1, s2
	s_waitcnt lgkmcnt(0)
	s_barrier
	ds_read_b128 v[1:4], v1 offset:3072
	v_readlane_b32 s2, v53, 27
	s_lshl_b32 s38, 3, s5
	v_readlane_b32 s3, v53, 28
	s_not_b32 s39, s38
	s_waitcnt lgkmcnt(0)
	v_readfirstlane_b32 s11, v1
	v_readfirstlane_b32 s58, v2
	;; [unrolled: 1-line block ×4, first 2 shown]
	v_cmp_eq_u32_e64 s[26:27], 1, v47
	s_mov_b64 s[50:51], -1
	s_mov_b64 s[30:31], 0
	s_andn2_b64 vcc, exec, s[2:3]
	s_mov_b64 s[92:93], 0
	s_mov_b64 s[34:35], 0
                                        ; implicit-def: $sgpr94_sgpr95
                                        ; implicit-def: $sgpr48_sgpr49
                                        ; implicit-def: $vgpr4
                                        ; implicit-def: $vgpr1
                                        ; implicit-def: $vgpr3
                                        ; implicit-def: $vgpr2
                                        ; implicit-def: $vgpr8
	s_cbranch_vccnz .LBB101_252
; %bb.87:                               ;   in Loop: Header=BB101_6 Depth=1
	s_cmp_eq_u32 s11, 1
	s_cselect_b64 s[2:3], -1, 0
	s_and_b64 s[6:7], s[2:3], s[26:27]
	s_mov_b64 s[2:3], -1
	v_mov_b32_e32 v3, v37
	v_mov_b32_e32 v2, v45
	;; [unrolled: 1-line block ×3, first 2 shown]
                                        ; implicit-def: $sgpr48_sgpr49
                                        ; implicit-def: $sgpr94_sgpr95
	s_and_saveexec_b64 s[12:13], s[6:7]
	s_cbranch_execz .LBB101_115
; %bb.88:                               ;   in Loop: Header=BB101_6 Depth=1
	ds_read_b32 v1, v9 offset:4096
	s_waitcnt lgkmcnt(0)
	s_barrier
	v_readfirstlane_b32 s34, v1
	s_mov_b64 s[2:3], exec
	v_readlane_b32 s14, v53, 37
	v_readlane_b32 s15, v53, 38
	s_and_b64 s[14:15], s[2:3], s[14:15]
	s_mov_b64 exec, s[14:15]
; %bb.89:                               ;   in Loop: Header=BB101_6 Depth=1
	ds_write_b16 v26, v9
; %bb.90:                               ;   in Loop: Header=BB101_6 Depth=1
	s_or_b64 exec, exec, s[2:3]
	v_and_b32_e32 v3, s39, v37
	v_or_b32_e32 v2, s38, v45
	s_mov_b64 s[94:95], -1
	s_mov_b64 s[48:49], 0
	s_cmp_eq_u32 s34, 0
	s_mov_b64 s[2:3], 0
	s_mov_b64 s[14:15], -1
	s_waitcnt lgkmcnt(0)
	s_barrier
                                        ; implicit-def: $vgpr8
	s_cbranch_scc1 .LBB101_102
; %bb.91:                               ;   in Loop: Header=BB101_6 Depth=1
	v_readlane_b32 s2, v53, 39
	s_add_i32 s2, s34, s2
	v_readlane_b32 s3, v53, 60
	s_mul_hi_u32 s3, s2, s3
	s_mul_i32 s3, s3, s8
	s_sub_i32 s3, s2, s3
	s_sub_i32 s14, s3, s8
	s_cmp_ge_u32 s3, s8
	s_cselect_b32 s3, s14, s3
	s_sub_i32 s14, s3, s8
	s_cmp_ge_u32 s3, s8
	s_cselect_b32 s3, s14, s3
	s_sub_i32 s35, s2, s3
	v_cmp_gt_u32_e32 vcc, s35, v0
	s_mov_b64 s[14:15], 0
	s_mov_b64 s[2:3], 0
                                        ; implicit-def: $vgpr8
	s_and_saveexec_b64 s[16:17], vcc
	s_cbranch_execz .LBB101_101
; %bb.92:                               ;   in Loop: Header=BB101_6 Depth=1
	v_mov_b32_e32 v1, v25
	v_mov_b32_e32 v4, v0
                                        ; implicit-def: $sgpr18_sgpr19
	s_branch .LBB101_96
.LBB101_93:                             ;   in Loop: Header=BB101_96 Depth=2
	s_or_b64 exec, exec, s[24:25]
	s_waitcnt lgkmcnt(0)
	s_barrier
	ds_read_b32 v8, v9 offset:3072
	s_waitcnt lgkmcnt(0)
	s_barrier
	v_cmp_neq_f16_e32 vcc, 0, v8
	s_cbranch_vccnz .LBB101_99
; %bb.94:                               ;   in Loop: Header=BB101_96 Depth=2
	v_add_u32_e32 v4, s8, v4
	v_cmp_le_u32_e32 vcc, s35, v4
	v_add_u32_e32 v1, s10, v1
	s_mov_b64 s[24:25], 0
	s_orn2_b64 s[28:29], vcc, exec
.LBB101_95:                             ;   in Loop: Header=BB101_96 Depth=2
	s_and_b64 s[28:29], exec, s[28:29]
	s_or_b64 s[2:3], s[28:29], s[2:3]
	s_andn2_b64 s[18:19], s[18:19], exec
	s_and_b64 s[24:25], s[24:25], exec
	s_or_b64 s[18:19], s[18:19], s[24:25]
	s_andn2_b64 exec, exec, s[2:3]
	s_cbranch_execz .LBB101_100
.LBB101_96:                             ;   Parent Loop BB101_6 Depth=1
                                        ; =>  This Inner Loop Header: Depth=2
	v_cmp_gt_u32_e32 vcc, s34, v4
	s_and_saveexec_b64 s[24:25], vcc
	s_cbranch_execz .LBB101_93
; %bb.97:                               ;   in Loop: Header=BB101_96 Depth=2
	ds_read_u16 v8, v1
	s_waitcnt lgkmcnt(0)
	v_cmp_lt_i16_e32 vcc, -1, v8
	v_cndmask_b32_e32 v12, v41, v42, vcc
	v_xor_b32_sdwa v12, v12, v8 dst_sel:DWORD dst_unused:UNUSED_PAD src0_sel:DWORD src1_sel:WORD_0
	v_cmp_o_f16_e32 vcc, v8, v8
	v_cndmask_b32_e32 v12, v41, v12, vcc
	v_and_b32_e32 v12, v12, v2
	v_cmp_eq_u32_e32 vcc, v12, v3
	s_and_b64 exec, exec, vcc
	s_cbranch_execz .LBB101_93
; %bb.98:                               ;   in Loop: Header=BB101_96 Depth=2
	s_movk_i32 s28, 0x3c00
	v_perm_b32 v8, v8, s28, v44
	ds_write_b32 v9, v8 offset:3072
	s_branch .LBB101_93
.LBB101_99:                             ;   in Loop: Header=BB101_96 Depth=2
	s_mov_b64 s[28:29], -1
                                        ; implicit-def: $vgpr4
                                        ; implicit-def: $vgpr1
	s_mov_b64 s[24:25], -1
	s_branch .LBB101_95
.LBB101_100:                            ;   in Loop: Header=BB101_6 Depth=1
	s_or_b64 exec, exec, s[2:3]
	v_lshrrev_b32_e32 v8, 16, v8
	s_and_b64 s[2:3], s[18:19], exec
.LBB101_101:                            ;   in Loop: Header=BB101_6 Depth=1
	s_or_b64 exec, exec, s[16:17]
.LBB101_102:                            ;   in Loop: Header=BB101_6 Depth=1
	s_and_b64 vcc, exec, s[14:15]
	s_cbranch_vccz .LBB101_114
; %bb.103:                              ;   in Loop: Header=BB101_6 Depth=1
                                        ; implicit-def: $vgpr8
	s_mov_b64 s[14:15], exec
	v_readlane_b32 s16, v53, 61
	v_readlane_b32 s17, v53, 62
	s_and_b64 s[16:17], s[14:15], s[16:17]
	s_mov_b64 exec, s[16:17]
	s_cbranch_execz .LBB101_113
; %bb.104:                              ;   in Loop: Header=BB101_6 Depth=1
	s_mov_b64 s[16:17], 0
	v_mov_b32_e32 v8, v7
	v_mov_b32_e32 v1, v0
                                        ; implicit-def: $sgpr18_sgpr19
	s_branch .LBB101_108
.LBB101_105:                            ;   in Loop: Header=BB101_108 Depth=2
	s_or_b64 exec, exec, s[28:29]
	s_waitcnt lgkmcnt(0)
	s_barrier
	ds_read_b32 v4, v9 offset:3072
	s_waitcnt lgkmcnt(0)
	s_barrier
	v_cmp_neq_f16_e32 vcc, 0, v4
	s_cbranch_vccnz .LBB101_111
; %bb.106:                              ;   in Loop: Header=BB101_108 Depth=2
	v_add_u32_e32 v1, s8, v1
	v_cmp_le_u32_e32 vcc, s22, v1
	v_add_u32_e32 v8, s60, v8
	s_mov_b64 s[24:25], 0
	s_orn2_b64 s[28:29], vcc, exec
.LBB101_107:                            ;   in Loop: Header=BB101_108 Depth=2
	s_and_b64 s[28:29], exec, s[28:29]
	s_or_b64 s[16:17], s[28:29], s[16:17]
	s_andn2_b64 s[18:19], s[18:19], exec
	s_and_b64 s[24:25], s[24:25], exec
	s_or_b64 s[18:19], s[18:19], s[24:25]
	s_andn2_b64 exec, exec, s[16:17]
	s_cbranch_execz .LBB101_112
.LBB101_108:                            ;   Parent Loop BB101_6 Depth=1
                                        ; =>  This Inner Loop Header: Depth=2
	v_cmp_gt_u32_e32 vcc, s36, v1
	s_and_saveexec_b64 s[28:29], vcc
	s_cbranch_execz .LBB101_105
; %bb.109:                              ;   in Loop: Header=BB101_108 Depth=2
	v_lshlrev_b64 v[12:13], 1, v[8:9]
	v_mov_b32_e32 v4, s56
	v_add_co_u32_e32 v12, vcc, s33, v12
	v_addc_co_u32_e32 v13, vcc, v4, v13, vcc
	global_load_ushort v4, v[12:13], off
	s_waitcnt vmcnt(0)
	v_cmp_lt_i16_e32 vcc, -1, v4
	v_cndmask_b32_e32 v12, v41, v42, vcc
	v_xor_b32_sdwa v12, v12, v4 dst_sel:DWORD dst_unused:UNUSED_PAD src0_sel:DWORD src1_sel:WORD_0
	v_cmp_o_f16_e32 vcc, v4, v4
	v_cndmask_b32_e32 v12, v41, v12, vcc
	v_and_b32_e32 v12, v12, v2
	v_cmp_eq_u32_e32 vcc, v12, v3
	s_and_b64 exec, exec, vcc
	s_cbranch_execz .LBB101_105
; %bb.110:                              ;   in Loop: Header=BB101_108 Depth=2
	s_movk_i32 s24, 0x3c00
	v_perm_b32 v4, v4, s24, v44
	ds_write_b32 v9, v4 offset:3072
	s_branch .LBB101_105
.LBB101_111:                            ;   in Loop: Header=BB101_108 Depth=2
	s_mov_b64 s[28:29], -1
                                        ; implicit-def: $vgpr1
	s_mov_b64 s[24:25], -1
	s_branch .LBB101_107
.LBB101_112:                            ;   in Loop: Header=BB101_6 Depth=1
	s_or_b64 exec, exec, s[16:17]
	s_andn2_b64 s[2:3], s[2:3], exec
	s_and_b64 s[16:17], s[18:19], exec
	v_lshrrev_b32_e32 v8, 16, v4
	s_or_b64 s[2:3], s[2:3], s[16:17]
.LBB101_113:                            ;   in Loop: Header=BB101_6 Depth=1
	s_or_b64 exec, exec, s[14:15]
	s_mov_b64 s[94:95], 0
	s_mov_b64 s[48:49], -1
.LBB101_114:                            ;   in Loop: Header=BB101_6 Depth=1
	s_orn2_b64 s[2:3], s[2:3], exec
.LBB101_115:                            ;   in Loop: Header=BB101_6 Depth=1
	s_or_b64 exec, exec, s[12:13]
	s_mov_b64 s[50:51], 0
	s_mov_b64 s[92:93], 0
	;; [unrolled: 1-line block ×3, first 2 shown]
                                        ; implicit-def: $vgpr4
                                        ; implicit-def: $vgpr1
	s_and_saveexec_b64 s[40:41], s[2:3]
	s_cbranch_execz .LBB101_251
; %bb.116:                              ;   in Loop: Header=BB101_6 Depth=1
	s_xor_b64 s[12:13], s[6:7], -1
	s_mov_b64 s[6:7], 0
	v_mov_b32_e32 v4, 1
	v_mov_b32_e32 v1, 1
	s_and_saveexec_b64 s[2:3], s[12:13]
	s_cbranch_execz .LBB101_125
; %bb.117:                              ;   in Loop: Header=BB101_6 Depth=1
	v_cmp_ge_u32_e32 vcc, s11, v47
	s_and_saveexec_b64 s[6:7], vcc
	s_xor_b64 s[6:7], exec, s[6:7]
	s_cbranch_execz .LBB101_122
; %bb.118:                              ;   in Loop: Header=BB101_6 Depth=1
	ds_read_b32 v1, v9 offset:4096
	v_and_b32_e32 v3, s39, v3
	v_or_b32_e32 v2, s38, v2
	s_waitcnt lgkmcnt(0)
	v_cmp_ne_u32_e32 vcc, 0, v1
	s_cbranch_vccnz .LBB101_122
; %bb.119:                              ;   in Loop: Header=BB101_6 Depth=1
	s_mov_b64 s[12:13], exec
	v_readlane_b32 s14, v53, 22
	v_readlane_b32 s15, v53, 23
	s_and_b64 s[14:15], s[12:13], s[14:15]
	s_mov_b64 exec, s[14:15]
; %bb.120:                              ;   in Loop: Header=BB101_6 Depth=1
	v_mov_b32_e32 v1, s11
	ds_write_b32 v9, v1 offset:4100
; %bb.121:                              ;   in Loop: Header=BB101_6 Depth=1
	s_or_b64 exec, exec, s[12:13]
	s_waitcnt lgkmcnt(0)
	s_barrier
.LBB101_122:                            ;   in Loop: Header=BB101_6 Depth=1
	s_or_saveexec_b64 s[6:7], s[6:7]
	s_mov_b64 s[12:13], 0
	v_mov_b32_e32 v1, 8
	v_mov_b32_e32 v4, v47
	s_xor_b64 exec, exec, s[6:7]
; %bb.123:                              ;   in Loop: Header=BB101_6 Depth=1
	s_mov_b64 s[12:13], exec
	v_subrev_u32_e32 v4, s11, v47
	v_mov_b32_e32 v1, 0
; %bb.124:                              ;   in Loop: Header=BB101_6 Depth=1
	s_or_b64 exec, exec, s[6:7]
	s_and_b64 s[6:7], s[12:13], exec
.LBB101_125:                            ;   in Loop: Header=BB101_6 Depth=1
	s_or_b64 exec, exec, s[2:3]
	s_mov_b64 s[2:3], -1
                                        ; implicit-def: $sgpr34_sgpr35
                                        ; implicit-def: $sgpr42_sgpr43
	s_and_saveexec_b64 s[12:13], s[6:7]
	s_xor_b64 s[6:7], exec, s[12:13]
	s_cbranch_execz .LBB101_248
; %bb.126:                              ;   in Loop: Header=BB101_6 Depth=1
	s_cmp_eq_u32 s58, 1
	s_cselect_b64 s[2:3], -1, 0
	v_cmp_eq_u32_e32 vcc, 1, v4
	s_and_b64 s[14:15], s[2:3], vcc
	s_mov_b64 s[2:3], -1
                                        ; implicit-def: $sgpr42_sgpr43
                                        ; implicit-def: $sgpr34_sgpr35
	s_and_saveexec_b64 s[12:13], s[14:15]
	s_cbranch_execz .LBB101_154
; %bb.127:                              ;   in Loop: Header=BB101_6 Depth=1
	ds_read_b32 v8, v9 offset:4096
	s_waitcnt lgkmcnt(0)
	s_barrier
	v_readfirstlane_b32 s46, v8
	s_mov_b64 s[2:3], exec
	v_readlane_b32 s16, v53, 37
	v_readlane_b32 s17, v53, 38
	s_and_b64 s[16:17], s[2:3], s[16:17]
	s_mov_b64 exec, s[16:17]
; %bb.128:                              ;   in Loop: Header=BB101_6 Depth=1
	ds_write_b16 v26, v9
; %bb.129:                              ;   in Loop: Header=BB101_6 Depth=1
	s_or_b64 exec, exec, s[2:3]
	v_and_b32_e32 v3, s39, v3
	v_lshl_or_b32 v3, 1, s5, v3
	v_or_b32_e32 v2, s38, v2
	s_mov_b64 s[34:35], -1
	s_mov_b64 s[42:43], 0
	s_cmp_eq_u32 s46, 0
	s_mov_b64 s[16:17], 0
	s_mov_b64 s[2:3], -1
	s_waitcnt lgkmcnt(0)
	s_barrier
                                        ; implicit-def: $vgpr8
	s_cbranch_scc1 .LBB101_141
; %bb.130:                              ;   in Loop: Header=BB101_6 Depth=1
	v_readlane_b32 s2, v53, 39
	s_add_i32 s2, s46, s2
	v_readlane_b32 s3, v53, 60
	s_mul_hi_u32 s3, s2, s3
	s_mul_i32 s3, s3, s8
	s_sub_i32 s3, s2, s3
	s_sub_i32 s16, s3, s8
	s_cmp_ge_u32 s3, s8
	s_cselect_b32 s3, s16, s3
	s_sub_i32 s16, s3, s8
	s_cmp_ge_u32 s3, s8
	s_cselect_b32 s3, s16, s3
	s_sub_i32 s47, s2, s3
	v_cmp_gt_u32_e32 vcc, s47, v0
	s_mov_b64 s[2:3], 0
	s_mov_b64 s[16:17], 0
                                        ; implicit-def: $vgpr8
	s_and_saveexec_b64 s[18:19], vcc
	s_cbranch_execz .LBB101_140
; %bb.131:                              ;   in Loop: Header=BB101_6 Depth=1
	v_mov_b32_e32 v8, v25
	v_mov_b32_e32 v12, v0
                                        ; implicit-def: $sgpr28_sgpr29
	s_branch .LBB101_135
.LBB101_132:                            ;   in Loop: Header=BB101_135 Depth=2
	s_or_b64 exec, exec, s[44:45]
	s_waitcnt lgkmcnt(0)
	s_barrier
	ds_read_b32 v13, v9 offset:3072
	s_waitcnt lgkmcnt(0)
	s_barrier
	v_cmp_neq_f16_e32 vcc, 0, v13
	s_cbranch_vccnz .LBB101_138
; %bb.133:                              ;   in Loop: Header=BB101_135 Depth=2
	v_add_u32_e32 v12, s8, v12
	v_cmp_le_u32_e32 vcc, s47, v12
	v_add_u32_e32 v8, s10, v8
	s_mov_b64 s[24:25], 0
	s_orn2_b64 s[44:45], vcc, exec
.LBB101_134:                            ;   in Loop: Header=BB101_135 Depth=2
	s_and_b64 s[44:45], exec, s[44:45]
	s_or_b64 s[16:17], s[44:45], s[16:17]
	s_andn2_b64 s[28:29], s[28:29], exec
	s_and_b64 s[24:25], s[24:25], exec
	s_or_b64 s[28:29], s[28:29], s[24:25]
	s_andn2_b64 exec, exec, s[16:17]
	s_cbranch_execz .LBB101_139
.LBB101_135:                            ;   Parent Loop BB101_6 Depth=1
                                        ; =>  This Inner Loop Header: Depth=2
	v_cmp_gt_u32_e32 vcc, s46, v12
	s_and_saveexec_b64 s[44:45], vcc
	s_cbranch_execz .LBB101_132
; %bb.136:                              ;   in Loop: Header=BB101_135 Depth=2
	ds_read_u16 v13, v8
	s_waitcnt lgkmcnt(0)
	v_cmp_lt_i16_e32 vcc, -1, v13
	v_cndmask_b32_e32 v14, v41, v42, vcc
	v_xor_b32_sdwa v14, v14, v13 dst_sel:DWORD dst_unused:UNUSED_PAD src0_sel:DWORD src1_sel:WORD_0
	v_cmp_o_f16_e32 vcc, v13, v13
	v_cndmask_b32_e32 v14, v41, v14, vcc
	v_and_b32_e32 v14, v14, v2
	v_cmp_eq_u32_e32 vcc, v14, v3
	s_and_b64 exec, exec, vcc
	s_cbranch_execz .LBB101_132
; %bb.137:                              ;   in Loop: Header=BB101_135 Depth=2
	s_movk_i32 s24, 0x3c00
	v_perm_b32 v13, v13, s24, v44
	ds_write_b32 v9, v13 offset:3072
	s_branch .LBB101_132
.LBB101_138:                            ;   in Loop: Header=BB101_135 Depth=2
	s_mov_b64 s[44:45], -1
                                        ; implicit-def: $vgpr12
                                        ; implicit-def: $vgpr8
	s_mov_b64 s[24:25], -1
	s_branch .LBB101_134
.LBB101_139:                            ;   in Loop: Header=BB101_6 Depth=1
	s_or_b64 exec, exec, s[16:17]
	v_lshrrev_b32_e32 v8, 16, v13
	s_and_b64 s[16:17], s[28:29], exec
.LBB101_140:                            ;   in Loop: Header=BB101_6 Depth=1
	s_or_b64 exec, exec, s[18:19]
.LBB101_141:                            ;   in Loop: Header=BB101_6 Depth=1
	s_and_b64 vcc, exec, s[2:3]
	s_cbranch_vccz .LBB101_153
; %bb.142:                              ;   in Loop: Header=BB101_6 Depth=1
                                        ; implicit-def: $vgpr8
	s_mov_b64 s[2:3], exec
	v_readlane_b32 s18, v53, 61
	v_readlane_b32 s19, v53, 62
	s_and_b64 s[18:19], s[2:3], s[18:19]
	s_mov_b64 exec, s[18:19]
	s_cbranch_execz .LBB101_152
; %bb.143:                              ;   in Loop: Header=BB101_6 Depth=1
	s_mov_b64 s[18:19], 0
	v_mov_b32_e32 v8, v7
	v_mov_b32_e32 v12, v0
                                        ; implicit-def: $sgpr28_sgpr29
	s_branch .LBB101_147
.LBB101_144:                            ;   in Loop: Header=BB101_147 Depth=2
	s_or_b64 exec, exec, s[34:35]
	s_waitcnt lgkmcnt(0)
	s_barrier
	ds_read_b32 v13, v9 offset:3072
	s_waitcnt lgkmcnt(0)
	s_barrier
	v_cmp_eq_f16_e32 vcc, 0, v13
	s_cbranch_vccz .LBB101_150
; %bb.145:                              ;   in Loop: Header=BB101_147 Depth=2
	v_add_u32_e32 v12, s8, v12
	v_cmp_le_u32_e32 vcc, s22, v12
	v_add_u32_e32 v8, s60, v8
	s_mov_b64 s[24:25], 0
	s_orn2_b64 s[34:35], vcc, exec
.LBB101_146:                            ;   in Loop: Header=BB101_147 Depth=2
	s_and_b64 s[34:35], exec, s[34:35]
	s_or_b64 s[18:19], s[34:35], s[18:19]
	s_andn2_b64 s[28:29], s[28:29], exec
	s_and_b64 s[24:25], s[24:25], exec
	s_or_b64 s[28:29], s[28:29], s[24:25]
	s_andn2_b64 exec, exec, s[18:19]
	s_cbranch_execz .LBB101_151
.LBB101_147:                            ;   Parent Loop BB101_6 Depth=1
                                        ; =>  This Inner Loop Header: Depth=2
	v_cmp_gt_u32_e32 vcc, s36, v12
	s_and_saveexec_b64 s[34:35], vcc
	s_cbranch_execz .LBB101_144
; %bb.148:                              ;   in Loop: Header=BB101_147 Depth=2
	v_lshlrev_b64 v[13:14], 1, v[8:9]
	v_mov_b32_e32 v15, s56
	v_add_co_u32_e32 v13, vcc, s33, v13
	v_addc_co_u32_e32 v14, vcc, v15, v14, vcc
	global_load_ushort v13, v[13:14], off
	s_waitcnt vmcnt(0)
	v_cmp_lt_i16_e32 vcc, -1, v13
	v_cndmask_b32_e32 v14, v41, v42, vcc
	v_xor_b32_sdwa v14, v14, v13 dst_sel:DWORD dst_unused:UNUSED_PAD src0_sel:DWORD src1_sel:WORD_0
	v_cmp_o_f16_e32 vcc, v13, v13
	v_cndmask_b32_e32 v14, v41, v14, vcc
	v_and_b32_e32 v14, v14, v2
	v_cmp_eq_u32_e32 vcc, v14, v3
	s_and_b64 exec, exec, vcc
	s_cbranch_execz .LBB101_144
; %bb.149:                              ;   in Loop: Header=BB101_147 Depth=2
	s_movk_i32 s24, 0x3c00
	v_perm_b32 v13, v13, s24, v44
	ds_write_b32 v9, v13 offset:3072
	s_branch .LBB101_144
.LBB101_150:                            ;   in Loop: Header=BB101_147 Depth=2
	s_mov_b64 s[34:35], -1
                                        ; implicit-def: $vgpr12
	s_mov_b64 s[24:25], -1
	s_branch .LBB101_146
.LBB101_151:                            ;   in Loop: Header=BB101_6 Depth=1
	s_or_b64 exec, exec, s[18:19]
	s_andn2_b64 s[16:17], s[16:17], exec
	s_and_b64 s[18:19], s[28:29], exec
	v_lshrrev_b32_e32 v8, 16, v13
	s_or_b64 s[16:17], s[16:17], s[18:19]
.LBB101_152:                            ;   in Loop: Header=BB101_6 Depth=1
	s_or_b64 exec, exec, s[2:3]
	s_mov_b64 s[34:35], 0
	s_mov_b64 s[42:43], -1
.LBB101_153:                            ;   in Loop: Header=BB101_6 Depth=1
	s_orn2_b64 s[2:3], s[16:17], exec
.LBB101_154:                            ;   in Loop: Header=BB101_6 Depth=1
	s_or_b64 exec, exec, s[12:13]
	s_mov_b64 s[12:13], 0
	s_and_saveexec_b64 s[92:93], s[2:3]
	s_cbranch_execz .LBB101_247
; %bb.155:                              ;   in Loop: Header=BB101_6 Depth=1
	s_xor_b64 s[14:15], s[14:15], -1
	v_mov_b32_e32 v12, 1
	v_mov_b32_e32 v1, 1
	s_and_saveexec_b64 s[2:3], s[14:15]
	s_cbranch_execz .LBB101_164
; %bb.156:                              ;   in Loop: Header=BB101_6 Depth=1
	v_cmp_ge_u32_e32 vcc, s58, v4
	s_and_saveexec_b64 s[12:13], vcc
	s_xor_b64 s[12:13], exec, s[12:13]
	s_cbranch_execz .LBB101_161
; %bb.157:                              ;   in Loop: Header=BB101_6 Depth=1
	v_and_b32_e32 v1, s39, v3
	v_lshl_or_b32 v3, 1, s5, v1
	ds_read_b32 v1, v9 offset:4096
	v_or_b32_e32 v2, s38, v2
	s_waitcnt lgkmcnt(0)
	v_cmp_ne_u32_e32 vcc, 0, v1
	s_cbranch_vccnz .LBB101_161
; %bb.158:                              ;   in Loop: Header=BB101_6 Depth=1
	s_mov_b64 s[14:15], exec
	v_readlane_b32 s16, v53, 22
	v_readlane_b32 s17, v53, 23
	s_and_b64 s[16:17], s[14:15], s[16:17]
	s_mov_b64 exec, s[16:17]
; %bb.159:                              ;   in Loop: Header=BB101_6 Depth=1
	v_mov_b32_e32 v1, s58
	ds_write_b32 v9, v1 offset:4100
; %bb.160:                              ;   in Loop: Header=BB101_6 Depth=1
	s_or_b64 exec, exec, s[14:15]
	s_waitcnt lgkmcnt(0)
	s_barrier
.LBB101_161:                            ;   in Loop: Header=BB101_6 Depth=1
	s_or_saveexec_b64 s[12:13], s[12:13]
	s_mov_b64 s[14:15], 0
	v_mov_b32_e32 v1, 8
	s_xor_b64 exec, exec, s[12:13]
; %bb.162:                              ;   in Loop: Header=BB101_6 Depth=1
	s_mov_b64 s[14:15], exec
	v_subrev_u32_e32 v4, s58, v4
	v_mov_b32_e32 v1, 0
; %bb.163:                              ;   in Loop: Header=BB101_6 Depth=1
	s_or_b64 exec, exec, s[12:13]
	s_and_b64 s[12:13], s[14:15], exec
	v_mov_b32_e32 v12, v4
.LBB101_164:                            ;   in Loop: Header=BB101_6 Depth=1
	s_or_b64 exec, exec, s[2:3]
	s_mov_b64 s[2:3], -1
                                        ; implicit-def: $sgpr46_sgpr47
                                        ; implicit-def: $sgpr14_sgpr15
	s_and_saveexec_b64 s[44:45], s[12:13]
	s_cbranch_execz .LBB101_246
; %bb.165:                              ;   in Loop: Header=BB101_6 Depth=1
	s_cmp_eq_u32 s59, 1
	s_cselect_b64 s[2:3], -1, 0
	v_cmp_eq_u32_e32 vcc, 1, v12
	s_and_b64 s[18:19], s[2:3], vcc
	s_mov_b64 s[2:3], -1
                                        ; implicit-def: $sgpr14_sgpr15
                                        ; implicit-def: $sgpr46_sgpr47
	s_and_saveexec_b64 s[12:13], s[18:19]
	s_cbranch_execz .LBB101_193
; %bb.166:                              ;   in Loop: Header=BB101_6 Depth=1
	ds_read_b32 v4, v9 offset:4096
	s_waitcnt lgkmcnt(0)
	s_barrier
	v_readfirstlane_b32 s64, v4
	s_mov_b64 s[2:3], exec
	v_readlane_b32 s14, v53, 37
	v_readlane_b32 s15, v53, 38
	s_and_b64 s[14:15], s[2:3], s[14:15]
	s_mov_b64 exec, s[14:15]
; %bb.167:                              ;   in Loop: Header=BB101_6 Depth=1
	ds_write_b16 v26, v9
; %bb.168:                              ;   in Loop: Header=BB101_6 Depth=1
	s_or_b64 exec, exec, s[2:3]
	v_and_b32_e32 v3, s39, v3
	v_lshl_or_b32 v3, 2, s5, v3
	v_or_b32_e32 v2, s38, v2
	s_mov_b64 s[46:47], -1
	s_mov_b64 s[14:15], 0
	s_cmp_eq_u32 s64, 0
	s_mov_b64 s[16:17], 0
	s_mov_b64 s[2:3], -1
	s_waitcnt lgkmcnt(0)
	s_barrier
                                        ; implicit-def: $vgpr8
	s_cbranch_scc1 .LBB101_180
; %bb.169:                              ;   in Loop: Header=BB101_6 Depth=1
	v_readlane_b32 s2, v53, 39
	s_add_i32 s2, s64, s2
	v_readlane_b32 s3, v53, 60
	s_mul_hi_u32 s3, s2, s3
	s_mul_i32 s3, s3, s8
	s_sub_i32 s3, s2, s3
	s_sub_i32 s16, s3, s8
	s_cmp_ge_u32 s3, s8
	s_cselect_b32 s3, s16, s3
	s_sub_i32 s16, s3, s8
	s_cmp_ge_u32 s3, s8
	s_cselect_b32 s3, s16, s3
	s_sub_i32 s65, s2, s3
	v_cmp_gt_u32_e32 vcc, s65, v0
	s_mov_b64 s[2:3], 0
	s_mov_b64 s[16:17], 0
                                        ; implicit-def: $vgpr8
	s_and_saveexec_b64 s[28:29], vcc
	s_cbranch_execz .LBB101_179
; %bb.170:                              ;   in Loop: Header=BB101_6 Depth=1
	v_mov_b32_e32 v4, v25
	v_mov_b32_e32 v8, v0
                                        ; implicit-def: $sgpr52_sgpr53
	s_branch .LBB101_174
.LBB101_171:                            ;   in Loop: Header=BB101_174 Depth=2
	s_or_b64 exec, exec, s[54:55]
	s_waitcnt lgkmcnt(0)
	s_barrier
	ds_read_b32 v13, v9 offset:3072
	s_waitcnt lgkmcnt(0)
	s_barrier
	v_cmp_neq_f16_e32 vcc, 0, v13
	s_cbranch_vccnz .LBB101_177
; %bb.172:                              ;   in Loop: Header=BB101_174 Depth=2
	v_add_u32_e32 v8, s8, v8
	v_cmp_le_u32_e32 vcc, s65, v8
	v_add_u32_e32 v4, s10, v4
	s_mov_b64 s[24:25], 0
	s_orn2_b64 s[54:55], vcc, exec
.LBB101_173:                            ;   in Loop: Header=BB101_174 Depth=2
	s_and_b64 s[54:55], exec, s[54:55]
	s_or_b64 s[16:17], s[54:55], s[16:17]
	s_andn2_b64 s[52:53], s[52:53], exec
	s_and_b64 s[24:25], s[24:25], exec
	s_or_b64 s[52:53], s[52:53], s[24:25]
	s_andn2_b64 exec, exec, s[16:17]
	s_cbranch_execz .LBB101_178
.LBB101_174:                            ;   Parent Loop BB101_6 Depth=1
                                        ; =>  This Inner Loop Header: Depth=2
	v_cmp_gt_u32_e32 vcc, s64, v8
	s_and_saveexec_b64 s[54:55], vcc
	s_cbranch_execz .LBB101_171
; %bb.175:                              ;   in Loop: Header=BB101_174 Depth=2
	ds_read_u16 v13, v4
	s_waitcnt lgkmcnt(0)
	v_cmp_lt_i16_e32 vcc, -1, v13
	v_cndmask_b32_e32 v14, v41, v42, vcc
	v_xor_b32_sdwa v14, v14, v13 dst_sel:DWORD dst_unused:UNUSED_PAD src0_sel:DWORD src1_sel:WORD_0
	v_cmp_o_f16_e32 vcc, v13, v13
	v_cndmask_b32_e32 v14, v41, v14, vcc
	v_and_b32_e32 v14, v14, v2
	v_cmp_eq_u32_e32 vcc, v14, v3
	s_and_b64 exec, exec, vcc
	s_cbranch_execz .LBB101_171
; %bb.176:                              ;   in Loop: Header=BB101_174 Depth=2
	s_movk_i32 s24, 0x3c00
	v_perm_b32 v13, v13, s24, v44
	ds_write_b32 v9, v13 offset:3072
	s_branch .LBB101_171
.LBB101_177:                            ;   in Loop: Header=BB101_174 Depth=2
	s_mov_b64 s[54:55], -1
                                        ; implicit-def: $vgpr8
                                        ; implicit-def: $vgpr4
	s_mov_b64 s[24:25], -1
	s_branch .LBB101_173
.LBB101_178:                            ;   in Loop: Header=BB101_6 Depth=1
	s_or_b64 exec, exec, s[16:17]
	v_lshrrev_b32_e32 v8, 16, v13
	s_and_b64 s[16:17], s[52:53], exec
.LBB101_179:                            ;   in Loop: Header=BB101_6 Depth=1
	s_or_b64 exec, exec, s[28:29]
.LBB101_180:                            ;   in Loop: Header=BB101_6 Depth=1
	s_and_b64 vcc, exec, s[2:3]
	s_cbranch_vccz .LBB101_192
; %bb.181:                              ;   in Loop: Header=BB101_6 Depth=1
                                        ; implicit-def: $vgpr8
	s_mov_b64 s[2:3], exec
	v_readlane_b32 s14, v53, 61
	v_readlane_b32 s15, v53, 62
	s_and_b64 s[14:15], s[2:3], s[14:15]
	s_mov_b64 exec, s[14:15]
	s_cbranch_execz .LBB101_191
; %bb.182:                              ;   in Loop: Header=BB101_6 Depth=1
	s_mov_b64 s[14:15], 0
	v_mov_b32_e32 v8, v7
	v_mov_b32_e32 v4, v0
                                        ; implicit-def: $sgpr28_sgpr29
	s_branch .LBB101_186
.LBB101_183:                            ;   in Loop: Header=BB101_186 Depth=2
	s_or_b64 exec, exec, s[46:47]
	s_waitcnt lgkmcnt(0)
	s_barrier
	ds_read_b32 v13, v9 offset:3072
	s_waitcnt lgkmcnt(0)
	s_barrier
	v_cmp_eq_f16_e32 vcc, 0, v13
	s_cbranch_vccz .LBB101_189
; %bb.184:                              ;   in Loop: Header=BB101_186 Depth=2
	v_add_u32_e32 v4, s8, v4
	v_cmp_le_u32_e32 vcc, s22, v4
	v_add_u32_e32 v8, s60, v8
	s_mov_b64 s[24:25], 0
	s_orn2_b64 s[46:47], vcc, exec
.LBB101_185:                            ;   in Loop: Header=BB101_186 Depth=2
	s_and_b64 s[46:47], exec, s[46:47]
	s_or_b64 s[14:15], s[46:47], s[14:15]
	s_andn2_b64 s[28:29], s[28:29], exec
	s_and_b64 s[24:25], s[24:25], exec
	s_or_b64 s[28:29], s[28:29], s[24:25]
	s_andn2_b64 exec, exec, s[14:15]
	s_cbranch_execz .LBB101_190
.LBB101_186:                            ;   Parent Loop BB101_6 Depth=1
                                        ; =>  This Inner Loop Header: Depth=2
	v_cmp_gt_u32_e32 vcc, s36, v4
	s_and_saveexec_b64 s[46:47], vcc
	s_cbranch_execz .LBB101_183
; %bb.187:                              ;   in Loop: Header=BB101_186 Depth=2
	v_lshlrev_b64 v[13:14], 1, v[8:9]
	v_mov_b32_e32 v15, s56
	v_add_co_u32_e32 v13, vcc, s33, v13
	v_addc_co_u32_e32 v14, vcc, v15, v14, vcc
	global_load_ushort v13, v[13:14], off
	s_waitcnt vmcnt(0)
	v_cmp_lt_i16_e32 vcc, -1, v13
	v_cndmask_b32_e32 v14, v41, v42, vcc
	v_xor_b32_sdwa v14, v14, v13 dst_sel:DWORD dst_unused:UNUSED_PAD src0_sel:DWORD src1_sel:WORD_0
	v_cmp_o_f16_e32 vcc, v13, v13
	v_cndmask_b32_e32 v14, v41, v14, vcc
	v_and_b32_e32 v14, v14, v2
	v_cmp_eq_u32_e32 vcc, v14, v3
	s_and_b64 exec, exec, vcc
	s_cbranch_execz .LBB101_183
; %bb.188:                              ;   in Loop: Header=BB101_186 Depth=2
	s_movk_i32 s24, 0x3c00
	v_perm_b32 v13, v13, s24, v44
	ds_write_b32 v9, v13 offset:3072
	s_branch .LBB101_183
.LBB101_189:                            ;   in Loop: Header=BB101_186 Depth=2
	s_mov_b64 s[46:47], -1
                                        ; implicit-def: $vgpr4
	s_mov_b64 s[24:25], -1
	s_branch .LBB101_185
.LBB101_190:                            ;   in Loop: Header=BB101_6 Depth=1
	s_or_b64 exec, exec, s[14:15]
	s_andn2_b64 s[14:15], s[16:17], exec
	s_and_b64 s[16:17], s[28:29], exec
	v_lshrrev_b32_e32 v8, 16, v13
	s_or_b64 s[16:17], s[14:15], s[16:17]
.LBB101_191:                            ;   in Loop: Header=BB101_6 Depth=1
	s_or_b64 exec, exec, s[2:3]
	s_mov_b64 s[46:47], 0
	s_mov_b64 s[14:15], -1
.LBB101_192:                            ;   in Loop: Header=BB101_6 Depth=1
	s_orn2_b64 s[2:3], s[16:17], exec
.LBB101_193:                            ;   in Loop: Header=BB101_6 Depth=1
	s_or_b64 exec, exec, s[12:13]
	s_mov_b64 s[12:13], 0
	s_and_saveexec_b64 s[16:17], s[2:3]
	s_cbranch_execz .LBB101_245
; %bb.194:                              ;   in Loop: Header=BB101_6 Depth=1
	s_xor_b64 s[12:13], s[18:19], -1
	s_mov_b64 s[28:29], 0
	v_mov_b32_e32 v4, 1
	v_mov_b32_e32 v1, 1
	s_and_saveexec_b64 s[2:3], s[12:13]
	s_cbranch_execz .LBB101_203
; %bb.195:                              ;   in Loop: Header=BB101_6 Depth=1
	v_cmp_ge_u32_e32 vcc, s59, v12
	s_and_saveexec_b64 s[12:13], vcc
	s_xor_b64 s[12:13], exec, s[12:13]
	s_cbranch_execz .LBB101_200
; %bb.196:                              ;   in Loop: Header=BB101_6 Depth=1
	v_and_b32_e32 v1, s39, v3
	v_lshl_or_b32 v3, 2, s5, v1
	ds_read_b32 v1, v9 offset:4096
	v_or_b32_e32 v2, s38, v2
	s_waitcnt lgkmcnt(0)
	v_cmp_ne_u32_e32 vcc, 0, v1
	s_cbranch_vccnz .LBB101_200
; %bb.197:                              ;   in Loop: Header=BB101_6 Depth=1
	s_mov_b64 s[18:19], exec
	v_readlane_b32 s24, v53, 22
	v_readlane_b32 s25, v53, 23
	s_and_b64 s[24:25], s[18:19], s[24:25]
	s_mov_b64 exec, s[24:25]
; %bb.198:                              ;   in Loop: Header=BB101_6 Depth=1
	v_mov_b32_e32 v1, s59
	ds_write_b32 v9, v1 offset:4100
; %bb.199:                              ;   in Loop: Header=BB101_6 Depth=1
	s_or_b64 exec, exec, s[18:19]
	s_waitcnt lgkmcnt(0)
	s_barrier
.LBB101_200:                            ;   in Loop: Header=BB101_6 Depth=1
	s_or_saveexec_b64 s[12:13], s[12:13]
	s_mov_b64 s[18:19], 0
	v_mov_b32_e32 v1, 8
	s_xor_b64 exec, exec, s[12:13]
; %bb.201:                              ;   in Loop: Header=BB101_6 Depth=1
	s_mov_b64 s[18:19], exec
	v_subrev_u32_e32 v12, s59, v12
	v_mov_b32_e32 v1, 0
; %bb.202:                              ;   in Loop: Header=BB101_6 Depth=1
	s_or_b64 exec, exec, s[12:13]
	s_and_b64 s[28:29], s[18:19], exec
	v_mov_b32_e32 v4, v12
.LBB101_203:                            ;   in Loop: Header=BB101_6 Depth=1
	s_or_b64 exec, exec, s[2:3]
	s_mov_b64 s[2:3], -1
                                        ; implicit-def: $sgpr52_sgpr53
                                        ; implicit-def: $sgpr12_sgpr13
	s_and_saveexec_b64 s[18:19], s[28:29]
	s_cbranch_execz .LBB101_244
; %bb.204:                              ;   in Loop: Header=BB101_6 Depth=1
	s_cmp_eq_u32 s4, 1
	s_cselect_b64 s[2:3], -1, 0
	v_cmp_eq_u32_e32 vcc, 1, v4
	s_mov_b64 s[64:65], -1
	s_and_b64 s[2:3], s[2:3], vcc
                                        ; implicit-def: $sgpr52_sgpr53
                                        ; implicit-def: $sgpr12_sgpr13
	s_mov_b64 s[54:55], exec
                                        ; implicit-def: $vgpr52 : SGPR spill to VGPR lane
	v_writelane_b32 v53, s2, 63
	v_writelane_b32 v52, s3, 0
	s_and_b64 s[2:3], s[54:55], s[2:3]
	s_mov_b64 exec, s[2:3]
	s_cbranch_execz .LBB101_232
; %bb.205:                              ;   in Loop: Header=BB101_6 Depth=1
	ds_read_b32 v8, v9 offset:4096
	s_waitcnt lgkmcnt(0)
	s_barrier
	v_readfirstlane_b32 s28, v8
	s_mov_b64 s[2:3], exec
	v_readlane_b32 s12, v53, 37
	v_readlane_b32 s13, v53, 38
	s_and_b64 s[12:13], s[2:3], s[12:13]
	s_mov_b64 exec, s[12:13]
; %bb.206:                              ;   in Loop: Header=BB101_6 Depth=1
	ds_write_b16 v26, v9
; %bb.207:                              ;   in Loop: Header=BB101_6 Depth=1
	s_or_b64 exec, exec, s[2:3]
	v_or_b32_e32 v3, s38, v3
	v_or_b32_e32 v2, s38, v2
	s_mov_b64 s[12:13], -1
	s_mov_b64 s[52:53], 0
	s_cmp_eq_u32 s28, 0
	s_mov_b64 s[2:3], 0
	s_waitcnt lgkmcnt(0)
	s_barrier
                                        ; implicit-def: $vgpr8
	s_cbranch_scc1 .LBB101_219
; %bb.208:                              ;   in Loop: Header=BB101_6 Depth=1
	v_readlane_b32 s2, v53, 39
	s_add_i32 s2, s28, s2
	v_readlane_b32 s3, v53, 60
	s_mul_hi_u32 s3, s2, s3
	s_mul_i32 s3, s3, s8
	s_sub_i32 s3, s2, s3
	s_sub_i32 s24, s3, s8
	s_cmp_ge_u32 s3, s8
	s_cselect_b32 s3, s24, s3
	s_sub_i32 s24, s3, s8
	s_cmp_ge_u32 s3, s8
	s_cselect_b32 s3, s24, s3
	s_sub_i32 s29, s2, s3
	v_cmp_gt_u32_e32 vcc, s29, v0
	s_mov_b64 s[64:65], 0
	s_mov_b64 s[2:3], 0
                                        ; implicit-def: $vgpr8
	s_and_saveexec_b64 s[66:67], vcc
	s_cbranch_execz .LBB101_218
; %bb.209:                              ;   in Loop: Header=BB101_6 Depth=1
	v_mov_b32_e32 v8, v25
	v_mov_b32_e32 v12, v0
                                        ; implicit-def: $sgpr68_sgpr69
	s_branch .LBB101_213
.LBB101_210:                            ;   in Loop: Header=BB101_213 Depth=2
	s_or_b64 exec, exec, s[24:25]
	s_waitcnt lgkmcnt(0)
	s_barrier
	ds_read_b32 v13, v9 offset:3072
	s_waitcnt lgkmcnt(0)
	s_barrier
	v_cmp_neq_f16_e32 vcc, 0, v13
	s_cbranch_vccnz .LBB101_216
; %bb.211:                              ;   in Loop: Header=BB101_213 Depth=2
	v_add_u32_e32 v12, s8, v12
	v_cmp_le_u32_e32 vcc, s29, v12
	v_add_u32_e32 v8, s10, v8
	s_mov_b64 s[24:25], 0
	s_orn2_b64 vcc, vcc, exec
.LBB101_212:                            ;   in Loop: Header=BB101_213 Depth=2
	s_and_b64 vcc, exec, vcc
	s_or_b64 s[2:3], vcc, s[2:3]
	s_andn2_b64 s[68:69], s[68:69], exec
	s_and_b64 s[24:25], s[24:25], exec
	s_or_b64 s[68:69], s[68:69], s[24:25]
	s_andn2_b64 exec, exec, s[2:3]
	s_cbranch_execz .LBB101_217
.LBB101_213:                            ;   Parent Loop BB101_6 Depth=1
                                        ; =>  This Inner Loop Header: Depth=2
	v_cmp_gt_u32_e32 vcc, s28, v12
	s_and_saveexec_b64 s[24:25], vcc
	s_cbranch_execz .LBB101_210
; %bb.214:                              ;   in Loop: Header=BB101_213 Depth=2
	ds_read_u16 v13, v8
	s_waitcnt lgkmcnt(0)
	v_cmp_lt_i16_e32 vcc, -1, v13
	v_cndmask_b32_e32 v14, v41, v42, vcc
	v_xor_b32_sdwa v14, v14, v13 dst_sel:DWORD dst_unused:UNUSED_PAD src0_sel:DWORD src1_sel:WORD_0
	v_cmp_o_f16_e32 vcc, v13, v13
	v_cndmask_b32_e32 v14, v41, v14, vcc
	v_and_b32_e32 v14, v14, v2
	v_cmp_eq_u32_e32 vcc, v14, v3
	s_and_b64 exec, exec, vcc
	s_cbranch_execz .LBB101_210
; %bb.215:                              ;   in Loop: Header=BB101_213 Depth=2
	s_movk_i32 vcc_lo, 0x3c00
	v_perm_b32 v13, v13, vcc_lo, v44
	ds_write_b32 v9, v13 offset:3072
	s_branch .LBB101_210
.LBB101_216:                            ;   in Loop: Header=BB101_213 Depth=2
	s_mov_b64 vcc, -1
                                        ; implicit-def: $vgpr12
                                        ; implicit-def: $vgpr8
	s_mov_b64 s[24:25], -1
	s_branch .LBB101_212
.LBB101_217:                            ;   in Loop: Header=BB101_6 Depth=1
	s_or_b64 exec, exec, s[2:3]
	v_lshrrev_b32_e32 v8, 16, v13
	s_and_b64 s[2:3], s[68:69], exec
.LBB101_218:                            ;   in Loop: Header=BB101_6 Depth=1
	s_or_b64 exec, exec, s[66:67]
.LBB101_219:                            ;   in Loop: Header=BB101_6 Depth=1
	s_and_b64 vcc, exec, s[64:65]
	s_cbranch_vccz .LBB101_231
; %bb.220:                              ;   in Loop: Header=BB101_6 Depth=1
                                        ; implicit-def: $vgpr8
	s_mov_b64 s[12:13], exec
	v_readlane_b32 s24, v53, 61
	v_readlane_b32 s25, v53, 62
	s_and_b64 s[24:25], s[12:13], s[24:25]
	s_mov_b64 exec, s[24:25]
	s_cbranch_execz .LBB101_230
; %bb.221:                              ;   in Loop: Header=BB101_6 Depth=1
	s_mov_b64 s[52:53], 0
	v_mov_b32_e32 v8, v7
	v_mov_b32_e32 v12, v0
                                        ; implicit-def: $sgpr64_sgpr65
	s_branch .LBB101_225
.LBB101_222:                            ;   in Loop: Header=BB101_225 Depth=2
	s_or_b64 exec, exec, s[66:67]
	s_waitcnt lgkmcnt(0)
	s_barrier
	ds_read_b32 v13, v9 offset:3072
	s_waitcnt lgkmcnt(0)
	s_barrier
	v_cmp_eq_f16_e32 vcc, 0, v13
	s_cbranch_vccz .LBB101_228
; %bb.223:                              ;   in Loop: Header=BB101_225 Depth=2
	v_add_u32_e32 v12, s8, v12
	v_cmp_le_u32_e32 vcc, s22, v12
	v_add_u32_e32 v8, s60, v8
	s_mov_b64 s[24:25], 0
	s_orn2_b64 s[66:67], vcc, exec
.LBB101_224:                            ;   in Loop: Header=BB101_225 Depth=2
	s_and_b64 s[28:29], exec, s[66:67]
	s_or_b64 s[52:53], s[28:29], s[52:53]
	s_andn2_b64 s[28:29], s[64:65], exec
	s_and_b64 s[24:25], s[24:25], exec
	s_or_b64 s[64:65], s[28:29], s[24:25]
	s_andn2_b64 exec, exec, s[52:53]
	s_cbranch_execz .LBB101_229
.LBB101_225:                            ;   Parent Loop BB101_6 Depth=1
                                        ; =>  This Inner Loop Header: Depth=2
	v_cmp_gt_u32_e32 vcc, s36, v12
	s_and_saveexec_b64 s[66:67], vcc
	s_cbranch_execz .LBB101_222
; %bb.226:                              ;   in Loop: Header=BB101_225 Depth=2
	v_lshlrev_b64 v[13:14], 1, v[8:9]
	v_mov_b32_e32 v15, s56
	v_add_co_u32_e32 v13, vcc, s33, v13
	v_addc_co_u32_e32 v14, vcc, v15, v14, vcc
	global_load_ushort v13, v[13:14], off
	s_waitcnt vmcnt(0)
	v_cmp_lt_i16_e32 vcc, -1, v13
	v_cndmask_b32_e32 v14, v41, v42, vcc
	v_xor_b32_sdwa v14, v14, v13 dst_sel:DWORD dst_unused:UNUSED_PAD src0_sel:DWORD src1_sel:WORD_0
	v_cmp_o_f16_e32 vcc, v13, v13
	v_cndmask_b32_e32 v14, v41, v14, vcc
	v_and_b32_e32 v14, v14, v2
	v_cmp_eq_u32_e32 vcc, v14, v3
	s_and_b64 exec, exec, vcc
	s_cbranch_execz .LBB101_222
; %bb.227:                              ;   in Loop: Header=BB101_225 Depth=2
	s_movk_i32 s24, 0x3c00
	v_perm_b32 v13, v13, s24, v44
	ds_write_b32 v9, v13 offset:3072
	s_branch .LBB101_222
.LBB101_228:                            ;   in Loop: Header=BB101_225 Depth=2
	s_mov_b64 s[66:67], -1
                                        ; implicit-def: $vgpr12
	s_mov_b64 s[24:25], -1
	s_branch .LBB101_224
.LBB101_229:                            ;   in Loop: Header=BB101_6 Depth=1
	s_or_b64 exec, exec, s[52:53]
	s_andn2_b64 s[2:3], s[2:3], exec
	s_and_b64 s[24:25], s[64:65], exec
	v_lshrrev_b32_e32 v8, 16, v13
	s_or_b64 s[2:3], s[2:3], s[24:25]
.LBB101_230:                            ;   in Loop: Header=BB101_6 Depth=1
	s_or_b64 exec, exec, s[12:13]
	s_mov_b64 s[12:13], 0
	s_mov_b64 s[52:53], -1
.LBB101_231:                            ;   in Loop: Header=BB101_6 Depth=1
	s_orn2_b64 s[64:65], s[2:3], exec
.LBB101_232:                            ;   in Loop: Header=BB101_6 Depth=1
	s_or_b64 exec, exec, s[54:55]
	s_mov_b64 s[24:25], 0
	s_and_saveexec_b64 s[2:3], s[64:65]
	s_cbranch_execz .LBB101_243
; %bb.233:                              ;   in Loop: Header=BB101_6 Depth=1
	v_readlane_b32 s24, v53, 63
	v_readlane_b32 s25, v52, 0
	s_xor_b64 s[24:25], s[24:25], -1
	v_mov_b32_e32 v1, 1
	v_mov_b32_e32 v12, 1
	s_and_saveexec_b64 s[28:29], s[24:25]
	s_cbranch_execz .LBB101_242
; %bb.234:                              ;   in Loop: Header=BB101_6 Depth=1
	v_cmp_ge_u32_e32 vcc, s4, v4
	s_and_saveexec_b64 s[24:25], vcc
	s_xor_b64 s[54:55], exec, s[24:25]
	s_cbranch_execz .LBB101_239
; %bb.235:                              ;   in Loop: Header=BB101_6 Depth=1
	ds_read_b32 v1, v9 offset:4096
	v_or_b32_e32 v3, s38, v3
	v_or_b32_e32 v2, s38, v2
	s_waitcnt lgkmcnt(0)
	v_cmp_ne_u32_e32 vcc, 0, v1
	s_cbranch_vccnz .LBB101_239
; %bb.236:                              ;   in Loop: Header=BB101_6 Depth=1
	s_mov_b64 s[24:25], exec
	v_readlane_b32 s64, v53, 22
	v_readlane_b32 s65, v53, 23
	s_and_b64 s[64:65], s[24:25], s[64:65]
	s_mov_b64 exec, s[64:65]
; %bb.237:                              ;   in Loop: Header=BB101_6 Depth=1
	v_mov_b32_e32 v1, s4
	ds_write_b32 v9, v1 offset:4100
; %bb.238:                              ;   in Loop: Header=BB101_6 Depth=1
	s_or_b64 exec, exec, s[24:25]
	s_waitcnt lgkmcnt(0)
	s_barrier
.LBB101_239:                            ;   in Loop: Header=BB101_6 Depth=1
	s_andn2_saveexec_b64 s[24:25], s[54:55]
; %bb.240:                              ;   in Loop: Header=BB101_6 Depth=1
	v_subrev_u32_e32 v4, s4, v4
; %bb.241:                              ;   in Loop: Header=BB101_6 Depth=1
	s_or_b64 exec, exec, s[24:25]
	v_mov_b32_e32 v1, 8
	v_mov_b32_e32 v12, v4
.LBB101_242:                            ;   in Loop: Header=BB101_6 Depth=1
	s_or_b64 exec, exec, s[28:29]
	s_mov_b64 s[24:25], exec
	v_mov_b32_e32 v4, v12
.LBB101_243:                            ;   in Loop: Header=BB101_6 Depth=1
	s_or_b64 exec, exec, s[2:3]
	s_orn2_b64 s[2:3], s[24:25], exec
.LBB101_244:                            ;   in Loop: Header=BB101_6 Depth=1
	s_or_b64 exec, exec, s[18:19]
	s_andn2_b64 s[14:15], s[14:15], exec
	s_and_b64 s[18:19], s[52:53], exec
	s_or_b64 s[14:15], s[14:15], s[18:19]
	s_andn2_b64 s[18:19], s[46:47], exec
	s_and_b64 s[12:13], s[12:13], exec
	s_or_b64 s[46:47], s[18:19], s[12:13]
	s_and_b64 s[12:13], s[2:3], exec
	v_mov_b32_e32 v12, v4
.LBB101_245:                            ;   in Loop: Header=BB101_6 Depth=1
	s_or_b64 exec, exec, s[16:17]
	s_orn2_b64 s[2:3], s[12:13], exec
.LBB101_246:                            ;   in Loop: Header=BB101_6 Depth=1
	s_or_b64 exec, exec, s[44:45]
	s_andn2_b64 s[12:13], s[42:43], exec
	s_and_b64 s[14:15], s[14:15], exec
	s_or_b64 s[42:43], s[12:13], s[14:15]
	s_andn2_b64 s[12:13], s[34:35], exec
	s_and_b64 s[14:15], s[46:47], exec
	s_or_b64 s[34:35], s[12:13], s[14:15]
	s_and_b64 s[12:13], s[2:3], exec
	v_mov_b32_e32 v4, v12
.LBB101_247:                            ;   in Loop: Header=BB101_6 Depth=1
	s_or_b64 exec, exec, s[92:93]
	s_orn2_b64 s[2:3], s[12:13], exec
.LBB101_248:                            ;   in Loop: Header=BB101_6 Depth=1
	s_or_b64 exec, exec, s[6:7]
	s_mov_b64 s[6:7], 0
	s_mov_b64 s[12:13], 0
	s_and_saveexec_b64 s[14:15], s[2:3]
	s_xor_b64 s[2:3], exec, s[14:15]
; %bb.249:                              ;   in Loop: Header=BB101_6 Depth=1
	v_cmp_eq_u32_e32 vcc, 8, v1
	v_cmp_ne_u32_e64 s[6:7], 8, v1
	s_and_b64 s[12:13], s[6:7], exec
	s_and_b64 s[6:7], vcc, exec
; %bb.250:                              ;   in Loop: Header=BB101_6 Depth=1
	s_or_b64 exec, exec, s[2:3]
	s_andn2_b64 s[2:3], s[48:49], exec
	s_and_b64 s[14:15], s[42:43], exec
	s_or_b64 s[48:49], s[2:3], s[14:15]
	s_andn2_b64 s[2:3], s[94:95], exec
	s_and_b64 s[14:15], s[34:35], exec
	s_or_b64 s[94:95], s[2:3], s[14:15]
	s_and_b64 s[34:35], s[12:13], exec
	s_and_b64 s[92:93], s[6:7], exec
.LBB101_251:                            ;   in Loop: Header=BB101_6 Depth=1
	s_or_b64 exec, exec, s[40:41]
.LBB101_252:                            ;   in Loop: Header=BB101_6 Depth=1
	s_and_b64 vcc, exec, s[50:51]
	s_cbranch_vccz .LBB101_266
; %bb.253:                              ;   in Loop: Header=BB101_6 Depth=1
	s_cmp_eq_u32 s4, 1
	s_cselect_b64 s[2:3], -1, 0
	s_and_b64 s[6:7], s[2:3], s[26:27]
	s_mov_b64 s[2:3], -1
                                        ; implicit-def: $sgpr26_sgpr27
                                        ; implicit-def: $sgpr30_sgpr31
	s_and_saveexec_b64 s[12:13], s[6:7]
	s_cbranch_execz .LBB101_282
; %bb.254:                              ;   in Loop: Header=BB101_6 Depth=1
	ds_read_b32 v1, v9 offset:4096
	s_waitcnt lgkmcnt(0)
	s_barrier
	v_readfirstlane_b32 s40, v1
	s_mov_b64 s[2:3], exec
	v_readlane_b32 s14, v53, 37
	v_readlane_b32 s15, v53, 38
	s_and_b64 s[14:15], s[2:3], s[14:15]
	s_mov_b64 exec, s[14:15]
; %bb.255:                              ;   in Loop: Header=BB101_6 Depth=1
	ds_write_b16 v26, v9
; %bb.256:                              ;   in Loop: Header=BB101_6 Depth=1
	s_or_b64 exec, exec, s[2:3]
	v_or_b32_e32 v37, s38, v37
	v_or_b32_e32 v45, s38, v45
	s_mov_b64 s[30:31], -1
	s_mov_b64 s[26:27], 0
	s_cmp_eq_u32 s40, 0
	s_mov_b64 s[14:15], 0
	s_mov_b64 s[2:3], -1
	s_waitcnt lgkmcnt(0)
	s_barrier
                                        ; implicit-def: $vgpr46
	s_cbranch_scc1 .LBB101_269
; %bb.257:                              ;   in Loop: Header=BB101_6 Depth=1
	v_readlane_b32 s2, v53, 39
	s_add_i32 s2, s40, s2
	v_readlane_b32 s3, v53, 60
	s_mul_hi_u32 s3, s2, s3
	s_mul_i32 s3, s3, s8
	s_sub_i32 s3, s2, s3
	s_sub_i32 s14, s3, s8
	s_cmp_ge_u32 s3, s8
	s_cselect_b32 s3, s14, s3
	s_sub_i32 s14, s3, s8
	s_cmp_ge_u32 s3, s8
	s_cselect_b32 s3, s14, s3
	s_sub_i32 s41, s2, s3
	v_cmp_gt_u32_e32 vcc, s41, v0
	s_mov_b64 s[2:3], 0
	s_mov_b64 s[14:15], 0
                                        ; implicit-def: $vgpr46
	s_and_saveexec_b64 s[16:17], vcc
	s_cbranch_execz .LBB101_268
; %bb.258:                              ;   in Loop: Header=BB101_6 Depth=1
	v_mov_b32_e32 v1, v25
	v_mov_b32_e32 v2, v0
                                        ; implicit-def: $sgpr18_sgpr19
	s_branch .LBB101_262
.LBB101_259:                            ;   in Loop: Header=BB101_262 Depth=2
	s_or_b64 exec, exec, s[28:29]
	s_waitcnt lgkmcnt(0)
	s_barrier
	ds_read_b32 v3, v9 offset:3072
	s_waitcnt lgkmcnt(0)
	s_barrier
	v_cmp_neq_f16_e32 vcc, 0, v3
	s_cbranch_vccnz .LBB101_265
; %bb.260:                              ;   in Loop: Header=BB101_262 Depth=2
	v_add_u32_e32 v2, s8, v2
	v_cmp_le_u32_e32 vcc, s41, v2
	v_add_u32_e32 v1, s10, v1
	s_mov_b64 s[24:25], 0
	s_orn2_b64 s[28:29], vcc, exec
.LBB101_261:                            ;   in Loop: Header=BB101_262 Depth=2
	s_and_b64 s[28:29], exec, s[28:29]
	s_or_b64 s[14:15], s[28:29], s[14:15]
	s_andn2_b64 s[18:19], s[18:19], exec
	s_and_b64 s[24:25], s[24:25], exec
	s_or_b64 s[18:19], s[18:19], s[24:25]
	s_andn2_b64 exec, exec, s[14:15]
	s_cbranch_execz .LBB101_267
.LBB101_262:                            ;   Parent Loop BB101_6 Depth=1
                                        ; =>  This Inner Loop Header: Depth=2
	v_cmp_gt_u32_e32 vcc, s40, v2
	s_and_saveexec_b64 s[28:29], vcc
	s_cbranch_execz .LBB101_259
; %bb.263:                              ;   in Loop: Header=BB101_262 Depth=2
	ds_read_u16 v3, v1
	s_waitcnt lgkmcnt(0)
	v_cmp_lt_i16_e32 vcc, -1, v3
	v_cndmask_b32_e32 v4, v41, v42, vcc
	v_xor_b32_sdwa v4, v4, v3 dst_sel:DWORD dst_unused:UNUSED_PAD src0_sel:DWORD src1_sel:WORD_0
	v_cmp_o_f16_e32 vcc, v3, v3
	v_cndmask_b32_e32 v4, v41, v4, vcc
	v_and_b32_e32 v4, v4, v45
	v_cmp_eq_u32_e32 vcc, v4, v37
	s_and_b64 exec, exec, vcc
	s_cbranch_execz .LBB101_259
; %bb.264:                              ;   in Loop: Header=BB101_262 Depth=2
	s_movk_i32 s24, 0x3c00
	v_perm_b32 v3, v3, s24, v44
	ds_write_b32 v9, v3 offset:3072
	s_branch .LBB101_259
.LBB101_265:                            ;   in Loop: Header=BB101_262 Depth=2
	s_mov_b64 s[28:29], -1
                                        ; implicit-def: $vgpr2
                                        ; implicit-def: $vgpr1
	s_mov_b64 s[24:25], -1
	s_branch .LBB101_261
.LBB101_266:                            ;   in Loop: Header=BB101_6 Depth=1
	s_mov_b64 s[26:27], 0
	v_mov_b32_e32 v37, v3
	v_mov_b32_e32 v45, v2
	;; [unrolled: 1-line block ×3, first 2 shown]
	s_and_saveexec_b64 s[2:3], s[92:93]
	s_cbranch_execnz .LBB101_419
	s_branch .LBB101_420
.LBB101_267:                            ;   in Loop: Header=BB101_6 Depth=1
	s_or_b64 exec, exec, s[14:15]
	v_lshrrev_b32_e32 v46, 16, v3
	s_and_b64 s[14:15], s[18:19], exec
.LBB101_268:                            ;   in Loop: Header=BB101_6 Depth=1
	s_or_b64 exec, exec, s[16:17]
.LBB101_269:                            ;   in Loop: Header=BB101_6 Depth=1
	s_and_b64 vcc, exec, s[2:3]
	s_cbranch_vccz .LBB101_281
; %bb.270:                              ;   in Loop: Header=BB101_6 Depth=1
                                        ; implicit-def: $vgpr46
	s_mov_b64 s[2:3], exec
	v_readlane_b32 s16, v53, 61
	v_readlane_b32 s17, v53, 62
	s_and_b64 s[16:17], s[2:3], s[16:17]
	s_mov_b64 exec, s[16:17]
	s_cbranch_execz .LBB101_280
; %bb.271:                              ;   in Loop: Header=BB101_6 Depth=1
	s_mov_b64 s[16:17], 0
	v_mov_b32_e32 v8, v7
	v_mov_b32_e32 v1, v0
                                        ; implicit-def: $sgpr18_sgpr19
	s_branch .LBB101_275
.LBB101_272:                            ;   in Loop: Header=BB101_275 Depth=2
	s_or_b64 exec, exec, s[26:27]
	s_waitcnt lgkmcnt(0)
	s_barrier
	ds_read_b32 v2, v9 offset:3072
	s_waitcnt lgkmcnt(0)
	s_barrier
	v_cmp_neq_f16_e32 vcc, 0, v2
	s_cbranch_vccnz .LBB101_278
; %bb.273:                              ;   in Loop: Header=BB101_275 Depth=2
	v_add_u32_e32 v1, s8, v1
	v_cmp_le_u32_e32 vcc, s22, v1
	v_add_u32_e32 v8, s60, v8
	s_mov_b64 s[24:25], 0
	s_orn2_b64 s[26:27], vcc, exec
.LBB101_274:                            ;   in Loop: Header=BB101_275 Depth=2
	s_and_b64 s[26:27], exec, s[26:27]
	s_or_b64 s[16:17], s[26:27], s[16:17]
	s_andn2_b64 s[18:19], s[18:19], exec
	s_and_b64 s[24:25], s[24:25], exec
	s_or_b64 s[18:19], s[18:19], s[24:25]
	s_andn2_b64 exec, exec, s[16:17]
	s_cbranch_execz .LBB101_279
.LBB101_275:                            ;   Parent Loop BB101_6 Depth=1
                                        ; =>  This Inner Loop Header: Depth=2
	v_cmp_gt_u32_e32 vcc, s36, v1
	s_and_saveexec_b64 s[26:27], vcc
	s_cbranch_execz .LBB101_272
; %bb.276:                              ;   in Loop: Header=BB101_275 Depth=2
	v_lshlrev_b64 v[2:3], 1, v[8:9]
	v_mov_b32_e32 v4, s56
	v_add_co_u32_e32 v2, vcc, s33, v2
	v_addc_co_u32_e32 v3, vcc, v4, v3, vcc
	global_load_ushort v2, v[2:3], off
	s_waitcnt vmcnt(0)
	v_cmp_lt_i16_e32 vcc, -1, v2
	v_cndmask_b32_e32 v3, v41, v42, vcc
	v_xor_b32_sdwa v3, v3, v2 dst_sel:DWORD dst_unused:UNUSED_PAD src0_sel:DWORD src1_sel:WORD_0
	v_cmp_o_f16_e32 vcc, v2, v2
	v_cndmask_b32_e32 v3, v41, v3, vcc
	v_and_b32_e32 v3, v3, v45
	v_cmp_eq_u32_e32 vcc, v3, v37
	s_and_b64 exec, exec, vcc
	s_cbranch_execz .LBB101_272
; %bb.277:                              ;   in Loop: Header=BB101_275 Depth=2
	s_movk_i32 s24, 0x3c00
	v_perm_b32 v2, v2, s24, v44
	ds_write_b32 v9, v2 offset:3072
	s_branch .LBB101_272
.LBB101_278:                            ;   in Loop: Header=BB101_275 Depth=2
	s_mov_b64 s[26:27], -1
                                        ; implicit-def: $vgpr1
	s_mov_b64 s[24:25], -1
	s_branch .LBB101_274
.LBB101_279:                            ;   in Loop: Header=BB101_6 Depth=1
	s_or_b64 exec, exec, s[16:17]
	s_andn2_b64 s[14:15], s[14:15], exec
	s_and_b64 s[16:17], s[18:19], exec
	v_lshrrev_b32_e32 v46, 16, v2
	s_or_b64 s[14:15], s[14:15], s[16:17]
.LBB101_280:                            ;   in Loop: Header=BB101_6 Depth=1
	s_or_b64 exec, exec, s[2:3]
	s_mov_b64 s[30:31], 0
	s_mov_b64 s[26:27], -1
.LBB101_281:                            ;   in Loop: Header=BB101_6 Depth=1
	s_orn2_b64 s[2:3], s[14:15], exec
.LBB101_282:                            ;   in Loop: Header=BB101_6 Depth=1
	s_or_b64 exec, exec, s[12:13]
                                        ; implicit-def: $vgpr4
                                        ; implicit-def: $vgpr1
	s_and_saveexec_b64 s[48:49], s[2:3]
	s_cbranch_execz .LBB101_418
; %bb.283:                              ;   in Loop: Header=BB101_6 Depth=1
	s_xor_b64 s[12:13], s[6:7], -1
	s_mov_b64 s[6:7], 0
	v_mov_b32_e32 v4, 1
	v_mov_b32_e32 v1, 1
	s_and_saveexec_b64 s[2:3], s[12:13]
	s_cbranch_execz .LBB101_292
; %bb.284:                              ;   in Loop: Header=BB101_6 Depth=1
	v_cmp_ge_u32_e32 vcc, s4, v47
	s_and_saveexec_b64 s[6:7], vcc
	s_xor_b64 s[6:7], exec, s[6:7]
	s_cbranch_execz .LBB101_289
; %bb.285:                              ;   in Loop: Header=BB101_6 Depth=1
	ds_read_b32 v1, v9 offset:4096
	v_or_b32_e32 v37, s38, v37
	v_or_b32_e32 v45, s38, v45
	s_waitcnt lgkmcnt(0)
	v_cmp_ne_u32_e32 vcc, 0, v1
	s_cbranch_vccnz .LBB101_289
; %bb.286:                              ;   in Loop: Header=BB101_6 Depth=1
	s_mov_b64 s[12:13], exec
	v_readlane_b32 s14, v53, 22
	v_readlane_b32 s15, v53, 23
	s_and_b64 s[14:15], s[12:13], s[14:15]
	s_mov_b64 exec, s[14:15]
; %bb.287:                              ;   in Loop: Header=BB101_6 Depth=1
	v_mov_b32_e32 v1, s4
	ds_write_b32 v9, v1 offset:4100
; %bb.288:                              ;   in Loop: Header=BB101_6 Depth=1
	s_or_b64 exec, exec, s[12:13]
	s_waitcnt lgkmcnt(0)
	s_barrier
.LBB101_289:                            ;   in Loop: Header=BB101_6 Depth=1
	s_or_saveexec_b64 s[6:7], s[6:7]
	s_mov_b64 s[12:13], 0
	v_mov_b32_e32 v1, 5
	s_xor_b64 exec, exec, s[6:7]
; %bb.290:                              ;   in Loop: Header=BB101_6 Depth=1
	v_subrev_u32_e32 v47, s4, v47
	v_mov_b32_e32 v1, 0
	s_mov_b64 s[12:13], exec
; %bb.291:                              ;   in Loop: Header=BB101_6 Depth=1
	s_or_b64 exec, exec, s[6:7]
	s_and_b64 s[6:7], s[12:13], exec
	v_mov_b32_e32 v4, v47
.LBB101_292:                            ;   in Loop: Header=BB101_6 Depth=1
	s_or_b64 exec, exec, s[2:3]
	s_mov_b64 s[2:3], -1
                                        ; implicit-def: $sgpr40_sgpr41
                                        ; implicit-def: $sgpr42_sgpr43
	s_and_saveexec_b64 s[12:13], s[6:7]
	s_xor_b64 s[6:7], exec, s[12:13]
	s_cbranch_execz .LBB101_415
; %bb.293:                              ;   in Loop: Header=BB101_6 Depth=1
	s_cmp_eq_u32 s59, 1
	s_cselect_b64 s[2:3], -1, 0
	v_cmp_eq_u32_e32 vcc, 1, v4
	s_and_b64 s[14:15], s[2:3], vcc
	s_mov_b64 s[2:3], -1
                                        ; implicit-def: $sgpr42_sgpr43
                                        ; implicit-def: $sgpr40_sgpr41
	s_and_saveexec_b64 s[12:13], s[14:15]
	s_cbranch_execz .LBB101_321
; %bb.294:                              ;   in Loop: Header=BB101_6 Depth=1
	ds_read_b32 v2, v9 offset:4096
	s_waitcnt lgkmcnt(0)
	s_barrier
	v_readfirstlane_b32 s4, v2
	s_mov_b64 s[2:3], exec
	v_readlane_b32 s16, v53, 37
	v_readlane_b32 s17, v53, 38
	s_and_b64 s[16:17], s[2:3], s[16:17]
	s_mov_b64 exec, s[16:17]
; %bb.295:                              ;   in Loop: Header=BB101_6 Depth=1
	ds_write_b16 v26, v9
; %bb.296:                              ;   in Loop: Header=BB101_6 Depth=1
	s_or_b64 exec, exec, s[2:3]
	v_and_b32_e32 v2, s39, v37
	v_lshl_or_b32 v37, 2, s5, v2
	v_or_b32_e32 v45, s38, v45
	s_mov_b64 s[40:41], -1
	s_mov_b64 s[42:43], 0
	s_cmp_eq_u32 s4, 0
	s_mov_b64 s[16:17], 0
	s_mov_b64 s[2:3], -1
	s_waitcnt lgkmcnt(0)
	s_barrier
                                        ; implicit-def: $vgpr46
	s_cbranch_scc1 .LBB101_308
; %bb.297:                              ;   in Loop: Header=BB101_6 Depth=1
	v_readlane_b32 s2, v53, 39
	s_add_i32 s2, s4, s2
	v_readlane_b32 s3, v53, 60
	s_mul_hi_u32 s3, s2, s3
	s_mul_i32 s3, s3, s8
	s_sub_i32 s3, s2, s3
	s_sub_i32 s16, s3, s8
	s_cmp_ge_u32 s3, s8
	s_cselect_b32 s3, s16, s3
	s_sub_i32 s16, s3, s8
	s_cmp_ge_u32 s3, s8
	s_cselect_b32 s3, s16, s3
	s_sub_i32 s46, s2, s3
	v_cmp_gt_u32_e32 vcc, s46, v0
	s_mov_b64 s[2:3], 0
	s_mov_b64 s[16:17], 0
                                        ; implicit-def: $vgpr46
	s_and_saveexec_b64 s[18:19], vcc
	s_cbranch_execz .LBB101_307
; %bb.298:                              ;   in Loop: Header=BB101_6 Depth=1
	v_mov_b32_e32 v2, v25
	v_mov_b32_e32 v3, v0
                                        ; implicit-def: $sgpr28_sgpr29
	s_branch .LBB101_302
.LBB101_299:                            ;   in Loop: Header=BB101_302 Depth=2
	s_or_b64 exec, exec, s[44:45]
	s_waitcnt lgkmcnt(0)
	s_barrier
	ds_read_b32 v8, v9 offset:3072
	s_waitcnt lgkmcnt(0)
	s_barrier
	v_cmp_neq_f16_e32 vcc, 0, v8
	s_cbranch_vccnz .LBB101_305
; %bb.300:                              ;   in Loop: Header=BB101_302 Depth=2
	v_add_u32_e32 v3, s8, v3
	v_cmp_le_u32_e32 vcc, s46, v3
	v_add_u32_e32 v2, s10, v2
	s_mov_b64 s[24:25], 0
	s_orn2_b64 s[44:45], vcc, exec
.LBB101_301:                            ;   in Loop: Header=BB101_302 Depth=2
	s_and_b64 s[44:45], exec, s[44:45]
	s_or_b64 s[16:17], s[44:45], s[16:17]
	s_andn2_b64 s[28:29], s[28:29], exec
	s_and_b64 s[24:25], s[24:25], exec
	s_or_b64 s[28:29], s[28:29], s[24:25]
	s_andn2_b64 exec, exec, s[16:17]
	s_cbranch_execz .LBB101_306
.LBB101_302:                            ;   Parent Loop BB101_6 Depth=1
                                        ; =>  This Inner Loop Header: Depth=2
	v_cmp_gt_u32_e32 vcc, s4, v3
	s_and_saveexec_b64 s[44:45], vcc
	s_cbranch_execz .LBB101_299
; %bb.303:                              ;   in Loop: Header=BB101_302 Depth=2
	ds_read_u16 v8, v2
	s_waitcnt lgkmcnt(0)
	v_cmp_lt_i16_e32 vcc, -1, v8
	v_cndmask_b32_e32 v12, v41, v42, vcc
	v_xor_b32_sdwa v12, v12, v8 dst_sel:DWORD dst_unused:UNUSED_PAD src0_sel:DWORD src1_sel:WORD_0
	v_cmp_o_f16_e32 vcc, v8, v8
	v_cndmask_b32_e32 v12, v41, v12, vcc
	v_and_b32_e32 v12, v12, v45
	v_cmp_eq_u32_e32 vcc, v12, v37
	s_and_b64 exec, exec, vcc
	s_cbranch_execz .LBB101_299
; %bb.304:                              ;   in Loop: Header=BB101_302 Depth=2
	s_movk_i32 s24, 0x3c00
	v_perm_b32 v8, v8, s24, v44
	ds_write_b32 v9, v8 offset:3072
	s_branch .LBB101_299
.LBB101_305:                            ;   in Loop: Header=BB101_302 Depth=2
	s_mov_b64 s[44:45], -1
                                        ; implicit-def: $vgpr3
                                        ; implicit-def: $vgpr2
	s_mov_b64 s[24:25], -1
	s_branch .LBB101_301
.LBB101_306:                            ;   in Loop: Header=BB101_6 Depth=1
	s_or_b64 exec, exec, s[16:17]
	v_lshrrev_b32_e32 v46, 16, v8
	s_and_b64 s[16:17], s[28:29], exec
.LBB101_307:                            ;   in Loop: Header=BB101_6 Depth=1
	s_or_b64 exec, exec, s[18:19]
.LBB101_308:                            ;   in Loop: Header=BB101_6 Depth=1
	s_and_b64 vcc, exec, s[2:3]
	s_cbranch_vccz .LBB101_320
; %bb.309:                              ;   in Loop: Header=BB101_6 Depth=1
                                        ; implicit-def: $vgpr46
	s_mov_b64 s[2:3], exec
	v_readlane_b32 s18, v53, 61
	v_readlane_b32 s19, v53, 62
	s_and_b64 s[18:19], s[2:3], s[18:19]
	s_mov_b64 exec, s[18:19]
	s_cbranch_execz .LBB101_319
; %bb.310:                              ;   in Loop: Header=BB101_6 Depth=1
	s_mov_b64 s[18:19], 0
	v_mov_b32_e32 v8, v7
	v_mov_b32_e32 v2, v0
                                        ; implicit-def: $sgpr28_sgpr29
	s_branch .LBB101_314
.LBB101_311:                            ;   in Loop: Header=BB101_314 Depth=2
	s_or_b64 exec, exec, s[40:41]
	s_waitcnt lgkmcnt(0)
	s_barrier
	ds_read_b32 v3, v9 offset:3072
	s_waitcnt lgkmcnt(0)
	s_barrier
	v_cmp_eq_f16_e32 vcc, 0, v3
	s_cbranch_vccz .LBB101_317
; %bb.312:                              ;   in Loop: Header=BB101_314 Depth=2
	v_add_u32_e32 v2, s8, v2
	v_cmp_le_u32_e32 vcc, s22, v2
	v_add_u32_e32 v8, s60, v8
	s_mov_b64 s[24:25], 0
	s_orn2_b64 s[40:41], vcc, exec
.LBB101_313:                            ;   in Loop: Header=BB101_314 Depth=2
	s_and_b64 s[40:41], exec, s[40:41]
	s_or_b64 s[18:19], s[40:41], s[18:19]
	s_andn2_b64 s[28:29], s[28:29], exec
	s_and_b64 s[24:25], s[24:25], exec
	s_or_b64 s[28:29], s[28:29], s[24:25]
	s_andn2_b64 exec, exec, s[18:19]
	s_cbranch_execz .LBB101_318
.LBB101_314:                            ;   Parent Loop BB101_6 Depth=1
                                        ; =>  This Inner Loop Header: Depth=2
	v_cmp_gt_u32_e32 vcc, s36, v2
	s_and_saveexec_b64 s[40:41], vcc
	s_cbranch_execz .LBB101_311
; %bb.315:                              ;   in Loop: Header=BB101_314 Depth=2
	v_lshlrev_b64 v[12:13], 1, v[8:9]
	v_mov_b32_e32 v3, s56
	v_add_co_u32_e32 v12, vcc, s33, v12
	v_addc_co_u32_e32 v13, vcc, v3, v13, vcc
	global_load_ushort v3, v[12:13], off
	s_waitcnt vmcnt(0)
	v_cmp_lt_i16_e32 vcc, -1, v3
	v_cndmask_b32_e32 v12, v41, v42, vcc
	v_xor_b32_sdwa v12, v12, v3 dst_sel:DWORD dst_unused:UNUSED_PAD src0_sel:DWORD src1_sel:WORD_0
	v_cmp_o_f16_e32 vcc, v3, v3
	v_cndmask_b32_e32 v12, v41, v12, vcc
	v_and_b32_e32 v12, v12, v45
	v_cmp_eq_u32_e32 vcc, v12, v37
	s_and_b64 exec, exec, vcc
	s_cbranch_execz .LBB101_311
; %bb.316:                              ;   in Loop: Header=BB101_314 Depth=2
	s_movk_i32 s4, 0x3c00
	v_perm_b32 v3, v3, s4, v44
	ds_write_b32 v9, v3 offset:3072
	s_branch .LBB101_311
.LBB101_317:                            ;   in Loop: Header=BB101_314 Depth=2
	s_mov_b64 s[40:41], -1
                                        ; implicit-def: $vgpr2
	s_mov_b64 s[24:25], -1
	s_branch .LBB101_313
.LBB101_318:                            ;   in Loop: Header=BB101_6 Depth=1
	s_or_b64 exec, exec, s[18:19]
	s_andn2_b64 s[16:17], s[16:17], exec
	s_and_b64 s[18:19], s[28:29], exec
	v_lshrrev_b32_e32 v46, 16, v3
	s_or_b64 s[16:17], s[16:17], s[18:19]
.LBB101_319:                            ;   in Loop: Header=BB101_6 Depth=1
	s_or_b64 exec, exec, s[2:3]
	s_mov_b64 s[40:41], 0
	s_mov_b64 s[42:43], -1
.LBB101_320:                            ;   in Loop: Header=BB101_6 Depth=1
	s_orn2_b64 s[2:3], s[16:17], exec
.LBB101_321:                            ;   in Loop: Header=BB101_6 Depth=1
	s_or_b64 exec, exec, s[12:13]
	s_mov_b64 s[12:13], 0
	s_and_saveexec_b64 s[50:51], s[2:3]
	s_cbranch_execz .LBB101_414
; %bb.322:                              ;   in Loop: Header=BB101_6 Depth=1
	s_xor_b64 s[14:15], s[14:15], -1
	v_mov_b32_e32 v2, 1
	v_mov_b32_e32 v1, 1
	s_and_saveexec_b64 s[2:3], s[14:15]
	s_cbranch_execz .LBB101_331
; %bb.323:                              ;   in Loop: Header=BB101_6 Depth=1
	v_cmp_ge_u32_e32 vcc, s59, v4
	s_and_saveexec_b64 s[12:13], vcc
	s_xor_b64 s[12:13], exec, s[12:13]
	s_cbranch_execz .LBB101_328
; %bb.324:                              ;   in Loop: Header=BB101_6 Depth=1
	v_and_b32_e32 v1, s39, v37
	v_lshl_or_b32 v37, 2, s5, v1
	ds_read_b32 v1, v9 offset:4096
	v_or_b32_e32 v45, s38, v45
	s_waitcnt lgkmcnt(0)
	v_cmp_ne_u32_e32 vcc, 0, v1
	s_cbranch_vccnz .LBB101_328
; %bb.325:                              ;   in Loop: Header=BB101_6 Depth=1
	s_mov_b64 s[14:15], exec
	v_readlane_b32 s16, v53, 22
	v_readlane_b32 s17, v53, 23
	s_and_b64 s[16:17], s[14:15], s[16:17]
	s_mov_b64 exec, s[16:17]
; %bb.326:                              ;   in Loop: Header=BB101_6 Depth=1
	v_mov_b32_e32 v1, s59
	ds_write_b32 v9, v1 offset:4100
; %bb.327:                              ;   in Loop: Header=BB101_6 Depth=1
	s_or_b64 exec, exec, s[14:15]
	s_waitcnt lgkmcnt(0)
	s_barrier
.LBB101_328:                            ;   in Loop: Header=BB101_6 Depth=1
	s_or_saveexec_b64 s[12:13], s[12:13]
	s_mov_b64 s[14:15], 0
	v_mov_b32_e32 v1, 5
	s_xor_b64 exec, exec, s[12:13]
; %bb.329:                              ;   in Loop: Header=BB101_6 Depth=1
	v_subrev_u32_e32 v4, s59, v4
	v_mov_b32_e32 v1, 0
	s_mov_b64 s[14:15], exec
; %bb.330:                              ;   in Loop: Header=BB101_6 Depth=1
	s_or_b64 exec, exec, s[12:13]
	s_and_b64 s[12:13], s[14:15], exec
	v_mov_b32_e32 v2, v4
.LBB101_331:                            ;   in Loop: Header=BB101_6 Depth=1
	s_or_b64 exec, exec, s[2:3]
	s_mov_b64 s[2:3], -1
                                        ; implicit-def: $sgpr44_sgpr45
                                        ; implicit-def: $sgpr46_sgpr47
	s_and_saveexec_b64 s[94:95], s[12:13]
	s_cbranch_execz .LBB101_413
; %bb.332:                              ;   in Loop: Header=BB101_6 Depth=1
	s_cmp_eq_u32 s58, 1
	s_cselect_b64 s[2:3], -1, 0
	v_cmp_eq_u32_e32 vcc, 1, v2
	s_and_b64 s[16:17], s[2:3], vcc
	s_mov_b64 s[2:3], -1
                                        ; implicit-def: $sgpr46_sgpr47
                                        ; implicit-def: $sgpr44_sgpr45
	s_and_saveexec_b64 s[12:13], s[16:17]
	s_cbranch_execz .LBB101_360
; %bb.333:                              ;   in Loop: Header=BB101_6 Depth=1
	ds_read_b32 v3, v9 offset:4096
	s_waitcnt lgkmcnt(0)
	s_barrier
	v_readfirstlane_b32 s4, v3
	s_mov_b64 s[2:3], exec
	v_readlane_b32 s14, v53, 37
	v_readlane_b32 s15, v53, 38
	s_and_b64 s[14:15], s[2:3], s[14:15]
	s_mov_b64 exec, s[14:15]
; %bb.334:                              ;   in Loop: Header=BB101_6 Depth=1
	ds_write_b16 v26, v9
; %bb.335:                              ;   in Loop: Header=BB101_6 Depth=1
	s_or_b64 exec, exec, s[2:3]
	v_and_b32_e32 v3, s39, v37
	v_lshl_or_b32 v37, 1, s5, v3
	v_or_b32_e32 v45, s38, v45
	s_mov_b64 s[44:45], -1
	s_mov_b64 s[46:47], 0
	s_cmp_eq_u32 s4, 0
	s_mov_b64 s[14:15], 0
	s_mov_b64 s[2:3], -1
	s_waitcnt lgkmcnt(0)
	s_barrier
                                        ; implicit-def: $vgpr46
	s_cbranch_scc1 .LBB101_347
; %bb.336:                              ;   in Loop: Header=BB101_6 Depth=1
	v_readlane_b32 s2, v53, 39
	s_add_i32 s2, s4, s2
	v_readlane_b32 s3, v53, 60
	s_mul_hi_u32 s3, s2, s3
	s_mul_i32 s3, s3, s8
	s_sub_i32 s3, s2, s3
	s_sub_i32 s14, s3, s8
	s_cmp_ge_u32 s3, s8
	s_cselect_b32 s3, s14, s3
	s_sub_i32 s14, s3, s8
	s_cmp_ge_u32 s3, s8
	s_cselect_b32 s3, s14, s3
	s_sub_i32 s54, s2, s3
	v_cmp_gt_u32_e32 vcc, s54, v0
	s_mov_b64 s[2:3], 0
	s_mov_b64 s[14:15], 0
                                        ; implicit-def: $vgpr46
	s_and_saveexec_b64 s[18:19], vcc
	s_cbranch_execz .LBB101_346
; %bb.337:                              ;   in Loop: Header=BB101_6 Depth=1
	v_mov_b32_e32 v3, v25
	v_mov_b32_e32 v4, v0
                                        ; implicit-def: $sgpr28_sgpr29
	s_branch .LBB101_341
.LBB101_338:                            ;   in Loop: Header=BB101_341 Depth=2
	s_or_b64 exec, exec, s[52:53]
	s_waitcnt lgkmcnt(0)
	s_barrier
	ds_read_b32 v8, v9 offset:3072
	s_waitcnt lgkmcnt(0)
	s_barrier
	v_cmp_neq_f16_e32 vcc, 0, v8
	s_cbranch_vccnz .LBB101_344
; %bb.339:                              ;   in Loop: Header=BB101_341 Depth=2
	v_add_u32_e32 v4, s8, v4
	v_cmp_le_u32_e32 vcc, s54, v4
	v_add_u32_e32 v3, s10, v3
	s_mov_b64 s[24:25], 0
	s_orn2_b64 s[52:53], vcc, exec
.LBB101_340:                            ;   in Loop: Header=BB101_341 Depth=2
	s_and_b64 s[52:53], exec, s[52:53]
	s_or_b64 s[14:15], s[52:53], s[14:15]
	s_andn2_b64 s[28:29], s[28:29], exec
	s_and_b64 s[24:25], s[24:25], exec
	s_or_b64 s[28:29], s[28:29], s[24:25]
	s_andn2_b64 exec, exec, s[14:15]
	s_cbranch_execz .LBB101_345
.LBB101_341:                            ;   Parent Loop BB101_6 Depth=1
                                        ; =>  This Inner Loop Header: Depth=2
	v_cmp_gt_u32_e32 vcc, s4, v4
	s_and_saveexec_b64 s[52:53], vcc
	s_cbranch_execz .LBB101_338
; %bb.342:                              ;   in Loop: Header=BB101_341 Depth=2
	ds_read_u16 v8, v3
	s_waitcnt lgkmcnt(0)
	v_cmp_lt_i16_e32 vcc, -1, v8
	v_cndmask_b32_e32 v12, v41, v42, vcc
	v_xor_b32_sdwa v12, v12, v8 dst_sel:DWORD dst_unused:UNUSED_PAD src0_sel:DWORD src1_sel:WORD_0
	v_cmp_o_f16_e32 vcc, v8, v8
	v_cndmask_b32_e32 v12, v41, v12, vcc
	v_and_b32_e32 v12, v12, v45
	v_cmp_eq_u32_e32 vcc, v12, v37
	s_and_b64 exec, exec, vcc
	s_cbranch_execz .LBB101_338
; %bb.343:                              ;   in Loop: Header=BB101_341 Depth=2
	s_movk_i32 s24, 0x3c00
	v_perm_b32 v8, v8, s24, v44
	ds_write_b32 v9, v8 offset:3072
	s_branch .LBB101_338
.LBB101_344:                            ;   in Loop: Header=BB101_341 Depth=2
	s_mov_b64 s[52:53], -1
                                        ; implicit-def: $vgpr4
                                        ; implicit-def: $vgpr3
	s_mov_b64 s[24:25], -1
	s_branch .LBB101_340
.LBB101_345:                            ;   in Loop: Header=BB101_6 Depth=1
	s_or_b64 exec, exec, s[14:15]
	v_lshrrev_b32_e32 v46, 16, v8
	s_and_b64 s[14:15], s[28:29], exec
.LBB101_346:                            ;   in Loop: Header=BB101_6 Depth=1
	s_or_b64 exec, exec, s[18:19]
.LBB101_347:                            ;   in Loop: Header=BB101_6 Depth=1
	s_and_b64 vcc, exec, s[2:3]
	s_cbranch_vccz .LBB101_359
; %bb.348:                              ;   in Loop: Header=BB101_6 Depth=1
                                        ; implicit-def: $vgpr46
	s_mov_b64 s[2:3], exec
	v_readlane_b32 s18, v53, 61
	v_readlane_b32 s19, v53, 62
	s_and_b64 s[18:19], s[2:3], s[18:19]
	s_mov_b64 exec, s[18:19]
	s_cbranch_execz .LBB101_358
; %bb.349:                              ;   in Loop: Header=BB101_6 Depth=1
	s_mov_b64 s[18:19], 0
	v_mov_b32_e32 v8, v7
	v_mov_b32_e32 v3, v0
                                        ; implicit-def: $sgpr28_sgpr29
	s_branch .LBB101_353
.LBB101_350:                            ;   in Loop: Header=BB101_353 Depth=2
	s_or_b64 exec, exec, s[44:45]
	s_waitcnt lgkmcnt(0)
	s_barrier
	ds_read_b32 v4, v9 offset:3072
	s_waitcnt lgkmcnt(0)
	s_barrier
	v_cmp_eq_f16_e32 vcc, 0, v4
	s_cbranch_vccz .LBB101_356
; %bb.351:                              ;   in Loop: Header=BB101_353 Depth=2
	v_add_u32_e32 v3, s8, v3
	v_cmp_le_u32_e32 vcc, s22, v3
	v_add_u32_e32 v8, s60, v8
	s_mov_b64 s[24:25], 0
	s_orn2_b64 s[44:45], vcc, exec
.LBB101_352:                            ;   in Loop: Header=BB101_353 Depth=2
	s_and_b64 s[44:45], exec, s[44:45]
	s_or_b64 s[18:19], s[44:45], s[18:19]
	s_andn2_b64 s[28:29], s[28:29], exec
	s_and_b64 s[24:25], s[24:25], exec
	s_or_b64 s[28:29], s[28:29], s[24:25]
	s_andn2_b64 exec, exec, s[18:19]
	s_cbranch_execz .LBB101_357
.LBB101_353:                            ;   Parent Loop BB101_6 Depth=1
                                        ; =>  This Inner Loop Header: Depth=2
	v_cmp_gt_u32_e32 vcc, s36, v3
	s_and_saveexec_b64 s[44:45], vcc
	s_cbranch_execz .LBB101_350
; %bb.354:                              ;   in Loop: Header=BB101_353 Depth=2
	v_lshlrev_b64 v[12:13], 1, v[8:9]
	v_mov_b32_e32 v4, s56
	v_add_co_u32_e32 v12, vcc, s33, v12
	v_addc_co_u32_e32 v13, vcc, v4, v13, vcc
	global_load_ushort v4, v[12:13], off
	s_waitcnt vmcnt(0)
	v_cmp_lt_i16_e32 vcc, -1, v4
	v_cndmask_b32_e32 v12, v41, v42, vcc
	v_xor_b32_sdwa v12, v12, v4 dst_sel:DWORD dst_unused:UNUSED_PAD src0_sel:DWORD src1_sel:WORD_0
	v_cmp_o_f16_e32 vcc, v4, v4
	v_cndmask_b32_e32 v12, v41, v12, vcc
	v_and_b32_e32 v12, v12, v45
	v_cmp_eq_u32_e32 vcc, v12, v37
	s_and_b64 exec, exec, vcc
	s_cbranch_execz .LBB101_350
; %bb.355:                              ;   in Loop: Header=BB101_353 Depth=2
	s_movk_i32 s4, 0x3c00
	v_perm_b32 v4, v4, s4, v44
	ds_write_b32 v9, v4 offset:3072
	s_branch .LBB101_350
.LBB101_356:                            ;   in Loop: Header=BB101_353 Depth=2
	s_mov_b64 s[44:45], -1
                                        ; implicit-def: $vgpr3
	s_mov_b64 s[24:25], -1
	s_branch .LBB101_352
.LBB101_357:                            ;   in Loop: Header=BB101_6 Depth=1
	s_or_b64 exec, exec, s[18:19]
	s_andn2_b64 s[14:15], s[14:15], exec
	s_and_b64 s[18:19], s[28:29], exec
	v_lshrrev_b32_e32 v46, 16, v4
	s_or_b64 s[14:15], s[14:15], s[18:19]
.LBB101_358:                            ;   in Loop: Header=BB101_6 Depth=1
	s_or_b64 exec, exec, s[2:3]
	s_mov_b64 s[44:45], 0
	s_mov_b64 s[46:47], -1
.LBB101_359:                            ;   in Loop: Header=BB101_6 Depth=1
	s_orn2_b64 s[2:3], s[14:15], exec
.LBB101_360:                            ;   in Loop: Header=BB101_6 Depth=1
	s_or_b64 exec, exec, s[12:13]
	s_mov_b64 s[12:13], 0
	s_and_saveexec_b64 s[14:15], s[2:3]
	s_cbranch_execz .LBB101_412
; %bb.361:                              ;   in Loop: Header=BB101_6 Depth=1
	s_xor_b64 s[16:17], s[16:17], -1
	v_mov_b32_e32 v3, 1
	v_mov_b32_e32 v1, 1
	s_and_saveexec_b64 s[2:3], s[16:17]
	s_cbranch_execz .LBB101_370
; %bb.362:                              ;   in Loop: Header=BB101_6 Depth=1
	v_cmp_ge_u32_e32 vcc, s58, v2
	s_and_saveexec_b64 s[12:13], vcc
	s_xor_b64 s[12:13], exec, s[12:13]
	s_cbranch_execz .LBB101_367
; %bb.363:                              ;   in Loop: Header=BB101_6 Depth=1
	v_and_b32_e32 v1, s39, v37
	v_lshl_or_b32 v37, 1, s5, v1
	ds_read_b32 v1, v9 offset:4096
	v_or_b32_e32 v45, s38, v45
	s_waitcnt lgkmcnt(0)
	v_cmp_ne_u32_e32 vcc, 0, v1
	s_cbranch_vccnz .LBB101_367
; %bb.364:                              ;   in Loop: Header=BB101_6 Depth=1
	s_mov_b64 s[16:17], exec
	v_readlane_b32 s18, v53, 22
	v_readlane_b32 s19, v53, 23
	s_and_b64 s[18:19], s[16:17], s[18:19]
	s_mov_b64 exec, s[18:19]
; %bb.365:                              ;   in Loop: Header=BB101_6 Depth=1
	v_mov_b32_e32 v1, s58
	ds_write_b32 v9, v1 offset:4100
; %bb.366:                              ;   in Loop: Header=BB101_6 Depth=1
	s_or_b64 exec, exec, s[16:17]
	s_waitcnt lgkmcnt(0)
	s_barrier
.LBB101_367:                            ;   in Loop: Header=BB101_6 Depth=1
	s_or_saveexec_b64 s[12:13], s[12:13]
	s_mov_b64 s[16:17], 0
	v_mov_b32_e32 v1, 5
	s_xor_b64 exec, exec, s[12:13]
; %bb.368:                              ;   in Loop: Header=BB101_6 Depth=1
	v_subrev_u32_e32 v2, s58, v2
	v_mov_b32_e32 v1, 0
	s_mov_b64 s[16:17], exec
; %bb.369:                              ;   in Loop: Header=BB101_6 Depth=1
	s_or_b64 exec, exec, s[12:13]
	s_and_b64 s[12:13], s[16:17], exec
	v_mov_b32_e32 v3, v2
.LBB101_370:                            ;   in Loop: Header=BB101_6 Depth=1
	s_or_b64 exec, exec, s[2:3]
	s_mov_b64 s[2:3], -1
                                        ; implicit-def: $sgpr28_sgpr29
                                        ; implicit-def: $sgpr18_sgpr19
	s_and_saveexec_b64 s[16:17], s[12:13]
	s_cbranch_execz .LBB101_411
; %bb.371:                              ;   in Loop: Header=BB101_6 Depth=1
	s_cmp_eq_u32 s11, 1
	s_cselect_b64 s[2:3], -1, 0
	v_cmp_eq_u32_e32 vcc, 1, v3
	s_and_b64 s[12:13], s[2:3], vcc
	s_mov_b64 s[54:55], -1
                                        ; implicit-def: $sgpr28_sgpr29
                                        ; implicit-def: $sgpr18_sgpr19
	s_and_saveexec_b64 s[52:53], s[12:13]
	s_cbranch_execz .LBB101_399
; %bb.372:                              ;   in Loop: Header=BB101_6 Depth=1
	ds_read_b32 v2, v9 offset:4096
	s_waitcnt lgkmcnt(0)
	s_barrier
	v_readfirstlane_b32 s4, v2
	s_mov_b64 s[2:3], exec
	v_readlane_b32 s18, v53, 37
	v_readlane_b32 s19, v53, 38
	s_and_b64 s[18:19], s[2:3], s[18:19]
	s_mov_b64 exec, s[18:19]
; %bb.373:                              ;   in Loop: Header=BB101_6 Depth=1
	ds_write_b16 v26, v9
; %bb.374:                              ;   in Loop: Header=BB101_6 Depth=1
	s_or_b64 exec, exec, s[2:3]
	v_and_b32_e32 v37, s39, v37
	v_or_b32_e32 v45, s38, v45
	s_mov_b64 s[18:19], -1
	s_mov_b64 s[28:29], 0
	s_cmp_eq_u32 s4, 0
	s_mov_b64 s[54:55], 0
	s_mov_b64 s[2:3], -1
	s_waitcnt lgkmcnt(0)
	s_barrier
                                        ; implicit-def: $vgpr46
	s_cbranch_scc1 .LBB101_386
; %bb.375:                              ;   in Loop: Header=BB101_6 Depth=1
	v_readlane_b32 s2, v53, 39
	s_add_i32 s2, s4, s2
	v_readlane_b32 s3, v53, 60
	s_mul_hi_u32 s3, s2, s3
	s_mul_i32 s3, s3, s8
	s_sub_i32 s3, s2, s3
	s_sub_i32 s24, s3, s8
	s_cmp_ge_u32 s3, s8
	s_cselect_b32 s3, s24, s3
	s_sub_i32 s24, s3, s8
	s_cmp_ge_u32 s3, s8
	s_cselect_b32 s3, s24, s3
	s_sub_i32 s58, s2, s3
	v_cmp_gt_u32_e32 vcc, s58, v0
	s_mov_b64 s[2:3], 0
                                        ; implicit-def: $vgpr46
	s_and_saveexec_b64 s[64:65], vcc
	s_cbranch_execz .LBB101_385
; %bb.376:                              ;   in Loop: Header=BB101_6 Depth=1
	v_mov_b32_e32 v2, v25
	v_mov_b32_e32 v4, v0
                                        ; implicit-def: $sgpr66_sgpr67
	s_branch .LBB101_380
.LBB101_377:                            ;   in Loop: Header=BB101_380 Depth=2
	s_or_b64 exec, exec, s[68:69]
	s_waitcnt lgkmcnt(0)
	s_barrier
	ds_read_b32 v8, v9 offset:3072
	s_waitcnt lgkmcnt(0)
	s_barrier
	v_cmp_neq_f16_e32 vcc, 0, v8
	s_cbranch_vccnz .LBB101_383
; %bb.378:                              ;   in Loop: Header=BB101_380 Depth=2
	v_add_u32_e32 v4, s8, v4
	v_cmp_le_u32_e32 vcc, s58, v4
	v_add_u32_e32 v2, s10, v2
	s_mov_b64 s[24:25], 0
	s_orn2_b64 s[68:69], vcc, exec
.LBB101_379:                            ;   in Loop: Header=BB101_380 Depth=2
	s_and_b64 s[68:69], exec, s[68:69]
	s_or_b64 s[54:55], s[68:69], s[54:55]
	s_andn2_b64 s[66:67], s[66:67], exec
	s_and_b64 s[24:25], s[24:25], exec
	s_or_b64 s[66:67], s[66:67], s[24:25]
	s_andn2_b64 exec, exec, s[54:55]
	s_cbranch_execz .LBB101_384
.LBB101_380:                            ;   Parent Loop BB101_6 Depth=1
                                        ; =>  This Inner Loop Header: Depth=2
	v_cmp_gt_u32_e32 vcc, s4, v4
	s_and_saveexec_b64 s[68:69], vcc
	s_cbranch_execz .LBB101_377
; %bb.381:                              ;   in Loop: Header=BB101_380 Depth=2
	ds_read_u16 v8, v2
	s_waitcnt lgkmcnt(0)
	v_cmp_lt_i16_e32 vcc, -1, v8
	v_cndmask_b32_e32 v12, v41, v42, vcc
	v_xor_b32_sdwa v12, v12, v8 dst_sel:DWORD dst_unused:UNUSED_PAD src0_sel:DWORD src1_sel:WORD_0
	v_cmp_o_f16_e32 vcc, v8, v8
	v_cndmask_b32_e32 v12, v41, v12, vcc
	v_and_b32_e32 v12, v12, v45
	v_cmp_eq_u32_e32 vcc, v12, v37
	s_and_b64 exec, exec, vcc
	s_cbranch_execz .LBB101_377
; %bb.382:                              ;   in Loop: Header=BB101_380 Depth=2
	s_movk_i32 s24, 0x3c00
	v_perm_b32 v8, v8, s24, v44
	ds_write_b32 v9, v8 offset:3072
	s_branch .LBB101_377
.LBB101_383:                            ;   in Loop: Header=BB101_380 Depth=2
	s_mov_b64 s[68:69], -1
                                        ; implicit-def: $vgpr4
                                        ; implicit-def: $vgpr2
	s_mov_b64 s[24:25], -1
	s_branch .LBB101_379
.LBB101_384:                            ;   in Loop: Header=BB101_6 Depth=1
	s_or_b64 exec, exec, s[54:55]
	v_lshrrev_b32_e32 v46, 16, v8
	s_and_b64 s[54:55], s[66:67], exec
.LBB101_385:                            ;   in Loop: Header=BB101_6 Depth=1
	s_or_b64 exec, exec, s[64:65]
.LBB101_386:                            ;   in Loop: Header=BB101_6 Depth=1
	s_and_b64 vcc, exec, s[2:3]
	s_cbranch_vccz .LBB101_398
; %bb.387:                              ;   in Loop: Header=BB101_6 Depth=1
                                        ; implicit-def: $vgpr46
	s_mov_b64 s[2:3], exec
	v_readlane_b32 s18, v53, 61
	v_readlane_b32 s19, v53, 62
	s_and_b64 s[18:19], s[2:3], s[18:19]
	s_mov_b64 exec, s[18:19]
	s_cbranch_execz .LBB101_397
; %bb.388:                              ;   in Loop: Header=BB101_6 Depth=1
	s_mov_b64 s[18:19], 0
	v_mov_b32_e32 v8, v7
	v_mov_b32_e32 v2, v0
                                        ; implicit-def: $sgpr28_sgpr29
	s_branch .LBB101_392
.LBB101_389:                            ;   in Loop: Header=BB101_392 Depth=2
	s_or_b64 exec, exec, s[64:65]
	s_waitcnt lgkmcnt(0)
	s_barrier
	ds_read_b32 v4, v9 offset:3072
	s_waitcnt lgkmcnt(0)
	s_barrier
	v_cmp_eq_f16_e32 vcc, 0, v4
	s_cbranch_vccz .LBB101_395
; %bb.390:                              ;   in Loop: Header=BB101_392 Depth=2
	v_add_u32_e32 v2, s8, v2
	v_cmp_le_u32_e32 vcc, s22, v2
	v_add_u32_e32 v8, s60, v8
	s_mov_b64 s[24:25], 0
	s_orn2_b64 s[64:65], vcc, exec
.LBB101_391:                            ;   in Loop: Header=BB101_392 Depth=2
	s_and_b64 s[58:59], exec, s[64:65]
	s_or_b64 s[18:19], s[58:59], s[18:19]
	s_andn2_b64 s[28:29], s[28:29], exec
	s_and_b64 s[24:25], s[24:25], exec
	s_or_b64 s[28:29], s[28:29], s[24:25]
	s_andn2_b64 exec, exec, s[18:19]
	s_cbranch_execz .LBB101_396
.LBB101_392:                            ;   Parent Loop BB101_6 Depth=1
                                        ; =>  This Inner Loop Header: Depth=2
	v_cmp_gt_u32_e32 vcc, s36, v2
	s_and_saveexec_b64 s[64:65], vcc
	s_cbranch_execz .LBB101_389
; %bb.393:                              ;   in Loop: Header=BB101_392 Depth=2
	v_lshlrev_b64 v[12:13], 1, v[8:9]
	v_mov_b32_e32 v4, s56
	v_add_co_u32_e32 v12, vcc, s33, v12
	v_addc_co_u32_e32 v13, vcc, v4, v13, vcc
	global_load_ushort v4, v[12:13], off
	s_waitcnt vmcnt(0)
	v_cmp_lt_i16_e32 vcc, -1, v4
	v_cndmask_b32_e32 v12, v41, v42, vcc
	v_xor_b32_sdwa v12, v12, v4 dst_sel:DWORD dst_unused:UNUSED_PAD src0_sel:DWORD src1_sel:WORD_0
	v_cmp_o_f16_e32 vcc, v4, v4
	v_cndmask_b32_e32 v12, v41, v12, vcc
	v_and_b32_e32 v12, v12, v45
	v_cmp_eq_u32_e32 vcc, v12, v37
	s_and_b64 exec, exec, vcc
	s_cbranch_execz .LBB101_389
; %bb.394:                              ;   in Loop: Header=BB101_392 Depth=2
	s_movk_i32 s4, 0x3c00
	v_perm_b32 v4, v4, s4, v44
	ds_write_b32 v9, v4 offset:3072
	s_branch .LBB101_389
.LBB101_395:                            ;   in Loop: Header=BB101_392 Depth=2
	s_mov_b64 s[64:65], -1
                                        ; implicit-def: $vgpr2
	s_mov_b64 s[24:25], -1
	s_branch .LBB101_391
.LBB101_396:                            ;   in Loop: Header=BB101_6 Depth=1
	s_or_b64 exec, exec, s[18:19]
	s_andn2_b64 s[18:19], s[54:55], exec
	s_and_b64 s[24:25], s[28:29], exec
	v_lshrrev_b32_e32 v46, 16, v4
	s_or_b64 s[54:55], s[18:19], s[24:25]
.LBB101_397:                            ;   in Loop: Header=BB101_6 Depth=1
	s_or_b64 exec, exec, s[2:3]
	s_mov_b64 s[18:19], 0
	s_mov_b64 s[28:29], -1
.LBB101_398:                            ;   in Loop: Header=BB101_6 Depth=1
	s_orn2_b64 s[54:55], s[54:55], exec
.LBB101_399:                            ;   in Loop: Header=BB101_6 Depth=1
	s_or_b64 exec, exec, s[52:53]
	s_mov_b64 s[24:25], 0
	s_and_saveexec_b64 s[2:3], s[54:55]
	s_cbranch_execz .LBB101_410
; %bb.400:                              ;   in Loop: Header=BB101_6 Depth=1
	s_xor_b64 s[24:25], s[12:13], -1
	v_mov_b32_e32 v1, 1
	v_mov_b32_e32 v2, 1
	s_and_saveexec_b64 s[12:13], s[24:25]
	s_cbranch_execz .LBB101_409
; %bb.401:                              ;   in Loop: Header=BB101_6 Depth=1
	v_cmp_ge_u32_e32 vcc, s11, v3
	s_and_saveexec_b64 s[24:25], vcc
	s_xor_b64 s[52:53], exec, s[24:25]
	s_cbranch_execz .LBB101_406
; %bb.402:                              ;   in Loop: Header=BB101_6 Depth=1
	ds_read_b32 v1, v9 offset:4096
	v_and_b32_e32 v37, s39, v37
	v_or_b32_e32 v45, s38, v45
	s_waitcnt lgkmcnt(0)
	v_cmp_ne_u32_e32 vcc, 0, v1
	s_cbranch_vccnz .LBB101_406
; %bb.403:                              ;   in Loop: Header=BB101_6 Depth=1
	s_mov_b64 s[24:25], exec
	v_readlane_b32 s38, v53, 22
	v_readlane_b32 s39, v53, 23
	s_and_b64 s[38:39], s[24:25], s[38:39]
	s_mov_b64 exec, s[38:39]
; %bb.404:                              ;   in Loop: Header=BB101_6 Depth=1
	v_mov_b32_e32 v1, s11
	ds_write_b32 v9, v1 offset:4100
; %bb.405:                              ;   in Loop: Header=BB101_6 Depth=1
	s_or_b64 exec, exec, s[24:25]
	s_waitcnt lgkmcnt(0)
	s_barrier
.LBB101_406:                            ;   in Loop: Header=BB101_6 Depth=1
	s_andn2_saveexec_b64 s[24:25], s[52:53]
; %bb.407:                              ;   in Loop: Header=BB101_6 Depth=1
	v_subrev_u32_e32 v3, s11, v3
; %bb.408:                              ;   in Loop: Header=BB101_6 Depth=1
	s_or_b64 exec, exec, s[24:25]
	v_mov_b32_e32 v1, 5
	v_mov_b32_e32 v2, v3
.LBB101_409:                            ;   in Loop: Header=BB101_6 Depth=1
	s_or_b64 exec, exec, s[12:13]
	s_mov_b64 s[24:25], exec
	v_mov_b32_e32 v3, v2
.LBB101_410:                            ;   in Loop: Header=BB101_6 Depth=1
	s_or_b64 exec, exec, s[2:3]
	s_orn2_b64 s[2:3], s[24:25], exec
.LBB101_411:                            ;   in Loop: Header=BB101_6 Depth=1
	s_or_b64 exec, exec, s[16:17]
	s_andn2_b64 s[12:13], s[46:47], exec
	s_and_b64 s[16:17], s[28:29], exec
	s_or_b64 s[46:47], s[12:13], s[16:17]
	s_andn2_b64 s[12:13], s[44:45], exec
	s_and_b64 s[16:17], s[18:19], exec
	s_or_b64 s[44:45], s[12:13], s[16:17]
	s_and_b64 s[12:13], s[2:3], exec
	v_mov_b32_e32 v2, v3
.LBB101_412:                            ;   in Loop: Header=BB101_6 Depth=1
	s_or_b64 exec, exec, s[14:15]
	s_orn2_b64 s[2:3], s[12:13], exec
.LBB101_413:                            ;   in Loop: Header=BB101_6 Depth=1
	s_or_b64 exec, exec, s[94:95]
	s_andn2_b64 s[12:13], s[42:43], exec
	s_and_b64 s[14:15], s[46:47], exec
	s_or_b64 s[42:43], s[12:13], s[14:15]
	s_andn2_b64 s[12:13], s[40:41], exec
	s_and_b64 s[14:15], s[44:45], exec
	s_or_b64 s[40:41], s[12:13], s[14:15]
	s_and_b64 s[12:13], s[2:3], exec
	v_mov_b32_e32 v4, v2
.LBB101_414:                            ;   in Loop: Header=BB101_6 Depth=1
	s_or_b64 exec, exec, s[50:51]
	s_orn2_b64 s[2:3], s[12:13], exec
.LBB101_415:                            ;   in Loop: Header=BB101_6 Depth=1
	s_or_b64 exec, exec, s[6:7]
	s_mov_b64 s[6:7], s[92:93]
	s_mov_b64 s[12:13], s[34:35]
	s_and_saveexec_b64 s[14:15], s[2:3]
; %bb.416:                              ;   in Loop: Header=BB101_6 Depth=1
	v_cmp_ne_u32_e64 s[6:7], 5, v1
	v_cmp_eq_u32_e32 vcc, 5, v1
	s_andn2_b64 s[2:3], s[34:35], exec
	s_and_b64 s[6:7], s[6:7], exec
	s_or_b64 s[12:13], s[2:3], s[6:7]
	s_andn2_b64 s[2:3], s[92:93], exec
	s_and_b64 s[6:7], vcc, exec
	s_or_b64 s[6:7], s[2:3], s[6:7]
; %bb.417:                              ;   in Loop: Header=BB101_6 Depth=1
	s_or_b64 exec, exec, s[14:15]
	s_andn2_b64 s[2:3], s[26:27], exec
	s_and_b64 s[14:15], s[42:43], exec
	s_or_b64 s[26:27], s[2:3], s[14:15]
	s_andn2_b64 s[2:3], s[30:31], exec
	s_and_b64 s[14:15], s[40:41], exec
	s_or_b64 s[30:31], s[2:3], s[14:15]
	;; [unrolled: 3-line block ×4, first 2 shown]
.LBB101_418:                            ;   in Loop: Header=BB101_6 Depth=1
	s_or_b64 exec, exec, s[48:49]
	s_mov_b64 s[94:95], 0
	s_mov_b64 s[48:49], 0
	s_and_saveexec_b64 s[2:3], s[92:93]
.LBB101_419:                            ;   in Loop: Header=BB101_6 Depth=1
	v_mov_b32_e32 v1, 0
	s_or_b64 s[34:35], s[34:35], exec
.LBB101_420:                            ;   in Loop: Header=BB101_6 Depth=1
	s_or_b64 exec, exec, s[2:3]
	s_andn2_b64 s[2:3], s[88:89], exec
	s_and_b64 s[12:13], s[26:27], exec
	s_or_b64 s[88:89], s[2:3], s[12:13]
	s_andn2_b64 s[2:3], s[86:87], exec
	s_and_b64 s[12:13], s[30:31], exec
	s_or_b64 s[86:87], s[2:3], s[12:13]
	s_andn2_b64 s[2:3], s[84:85], exec
	s_and_b64 s[12:13], s[48:49], exec
	s_or_b64 s[84:85], s[2:3], s[12:13]
	s_andn2_b64 s[2:3], s[82:83], exec
	s_and_b64 s[12:13], s[94:95], exec
	s_mov_b64 s[6:7], -1
	s_andn2_b64 s[90:91], s[90:91], exec
	s_or_b64 s[82:83], s[2:3], s[12:13]
	v_mov_b32_e32 v47, v4
	s_and_saveexec_b64 s[2:3], s[34:35]
	s_xor_b64 s[2:3], exec, s[2:3]
	s_mov_b32 s24, 0x5040100
	s_cbranch_execz .LBB101_5
; %bb.421:                              ;   in Loop: Header=BB101_6 Depth=1
	v_cmp_eq_u32_e32 vcc, 0, v1
	s_mov_b64 s[12:13], -1
	s_and_saveexec_b64 s[14:15], vcc
	s_cbranch_execz .LBB101_4
; %bb.422:                              ;   in Loop: Header=BB101_6 Depth=1
	s_xor_b32 s57, s57, 1
	s_add_i32 s11, s5, -2
	s_cmp_eq_u32 s5, 0
	s_cselect_b64 s[4:5], -1, 0
	s_xor_b64 s[12:13], exec, -1
	s_orn2_b64 s[6:7], s[4:5], exec
	s_mov_b32 s5, s11
	s_branch .LBB101_4
.LBB101_423:
	s_or_b64 exec, exec, s[70:71]
	s_xor_b64 s[6:7], s[80:81], -1
	s_xor_b64 s[18:19], s[78:79], -1
	;; [unrolled: 1-line block ×5, first 2 shown]
	s_mov_b64 s[12:13], 0
	s_and_saveexec_b64 s[10:11], s[4:5]
	s_xor_b64 s[10:11], exec, s[10:11]
	s_cbranch_execnz .LBB101_428
; %bb.424:
	s_andn2_saveexec_b64 s[0:1], s[10:11]
	s_cbranch_execnz .LBB101_447
.LBB101_425:
	s_or_b64 exec, exec, s[0:1]
	s_and_saveexec_b64 s[0:1], s[12:13]
.LBB101_426:
	; divergent unreachable
.LBB101_427:
	s_endpgm
.LBB101_428:
	s_mov_b64 s[14:15], 0
	s_and_saveexec_b64 s[4:5], s[16:17]
	s_xor_b64 s[12:13], exec, s[4:5]
	s_cbranch_execz .LBB101_445
; %bb.429:
	s_mov_b64 s[16:17], 0
	s_and_saveexec_b64 s[4:5], s[18:19]
	s_xor_b64 s[14:15], exec, s[4:5]
	s_cbranch_execz .LBB101_443
; %bb.430:
	;; [unrolled: 5-line block ×3, first 2 shown]
	s_and_saveexec_b64 s[4:5], s[2:3]
	s_xor_b64 s[2:3], exec, s[4:5]
; %bb.432:
	v_and_b32_e32 v1, 0x8000, v37
	v_mov_b32_e32 v2, 0x8000
	v_mov_b32_e32 v3, 0xffff
	v_cmp_eq_u32_e32 vcc, 0, v1
	v_cndmask_b32_e32 v1, v2, v3, vcc
	v_xor_b32_e32 v46, v1, v37
; %bb.433:
	s_or_b64 exec, exec, s[2:3]
	s_mov_b64 s[2:3], exec
	v_readlane_b32 s4, v53, 22
	v_readlane_b32 s5, v53, 23
	v_readlane_b32 s44, v53, 25
	s_and_b64 s[4:5], s[2:3], s[4:5]
	v_readlane_b32 s45, v53, 26
	v_readlane_b32 s6, v53, 24
	s_mov_b64 exec, s[4:5]
; %bb.434:
	v_mov_b32_e32 v1, 0
	ds_write_b32 v1, v1 offset:4108
; %bb.435:
	s_or_b64 exec, exec, s[2:3]
	v_mov_b32_e32 v4, 0
	s_waitcnt lgkmcnt(0)
	s_barrier
	s_mov_b64 s[2:3], exec
	v_readlane_b32 s4, v53, 33
	v_readlane_b32 s5, v53, 34
	s_and_b64 s[4:5], s[2:3], s[4:5]
	s_mov_b64 exec, s[4:5]
	s_cbranch_execz .LBB101_437
; %bb.436:
	global_load_ushort v4, v[5:6], off
.LBB101_437:
	s_or_b64 exec, exec, s[2:3]
	v_readlane_b32 s18, v53, 14
	v_readlane_b32 s19, v53, 15
	;; [unrolled: 1-line block ×3, first 2 shown]
	s_mul_i32 s2, s7, s19
	v_readlane_b32 s19, v53, 17
	s_mul_i32 s3, s19, s18
	s_add_i32 s34, s36, 63
	s_sub_i32 s3, s7, s3
	s_andn2_b32 s34, s34, 63
	s_sub_i32 s2, s6, s2
	s_add_i32 s4, s19, 1
	s_sub_i32 s5, s3, s18
	s_cmp_ge_u32 s3, s18
	s_cselect_b32 s4, s4, s19
	s_cselect_b32 s3, s5, s3
	s_add_i32 s5, s4, 1
	s_cmp_ge_u32 s3, s18
	s_cselect_b32 s3, s5, s4
	v_readlane_b32 s20, v53, 6
	s_mul_i32 s4, s3, s18
	v_readlane_b32 s21, v53, 7
	v_readlane_b32 s22, v53, 8
	s_sub_i32 s4, s7, s4
	v_readlane_b32 s23, v53, 9
	s_mul_i32 s2, s2, s22
	s_mul_i32 s4, s4, s21
	v_readlane_b32 s18, v53, 18
	s_add_i32 s2, s4, s2
	s_mul_i32 s3, s3, s20
	v_readlane_b32 s19, v53, 19
	v_readlane_b32 s23, v53, 20
	s_add_i32 s2, s2, s3
	s_mul_i32 s3, s23, s19
	s_sub_i32 s3, s6, s3
	v_readlane_b32 s4, v53, 0
	v_readlane_b32 s6, v53, 2
	;; [unrolled: 1-line block ×4, first 2 shown]
	s_mov_b32 s22, s6
	v_readlane_b32 s7, v53, 21
	s_mov_b64 s[20:21], s[4:5]
	s_mul_i32 s4, s7, s18
	s_sub_i32 s4, s23, s4
	s_add_i32 s5, s7, 1
	s_sub_i32 s6, s4, s18
	s_cmp_ge_u32 s4, s18
	s_cselect_b32 s5, s5, s7
	s_cselect_b32 s4, s6, s4
	s_add_i32 s6, s5, 1
	s_cmp_ge_u32 s4, s18
	s_cselect_b32 s4, s6, s5
	s_mul_i32 s5, s4, s18
	s_sub_i32 s5, s23, s5
	s_mul_i32 s3, s3, s22
	s_mul_i32 s5, s5, s21
	s_add_i32 s3, s5, s3
	s_mul_i32 s4, s4, s20
	s_add_i32 s4, s3, s4
	s_mov_b32 s3, 0
	s_lshl_b64 s[6:7], s[2:3], 1
	v_readlane_b32 s18, v53, 10
	v_readlane_b32 s19, v53, 11
	s_add_u32 s35, s18, s6
	s_mov_b32 s5, s3
	s_addc_u32 s38, s19, s7
	s_lshl_b64 s[2:3], s[4:5], 3
	v_readlane_b32 s4, v53, 4
	v_readlane_b32 s5, v53, 5
	s_add_u32 s39, s4, s2
	s_addc_u32 s40, s5, s3
	v_readlane_b32 s2, v53, 12
	v_readlane_b32 s3, v53, 13
	s_load_dword s41, s[2:3], 0x1c8
	s_load_dword s42, s[2:3], 0x2a8
	v_mov_b32_e32 v8, 0xffff
	v_mov_b32_e32 v9, 0x8000
	v_cmp_lt_i16_e32 vcc, -1, v46
	v_cndmask_b32_e32 v1, v8, v9, vcc
	v_xor_b32_sdwa v1, v1, v46 dst_sel:DWORD dst_unused:UNUSED_PAD src0_sel:DWORD src1_sel:WORD_0
	v_cmp_o_f16_e32 vcc, v46, v46
	v_cndmask_b32_e32 v7, v8, v1, vcc
	v_cmp_gt_u32_e32 vcc, s34, v0
	s_mov_b64 s[2:3], -1
	s_mov_b64 s[30:31], 0
	s_mov_b64 s[4:5], 0
	s_and_saveexec_b64 s[18:19], vcc
	s_cbranch_execnz .LBB101_448
; %bb.438:
	s_or_b64 exec, exec, s[18:19]
	s_and_saveexec_b64 s[6:7], s[2:3]
	s_cbranch_execnz .LBB101_465
.LBB101_439:
	s_or_b64 exec, exec, s[6:7]
	s_and_saveexec_b64 s[0:1], s[4:5]
	s_xor_b64 s[0:1], exec, s[0:1]
	s_cbranch_execnz .LBB101_488
.LBB101_440:
	s_or_b64 exec, exec, s[0:1]
	s_and_b64 s[18:19], s[30:31], exec
.LBB101_441:
	s_andn2_saveexec_b64 s[0:1], s[16:17]
	s_cbranch_execnz .LBB101_490
.LBB101_442:
	s_or_b64 exec, exec, s[0:1]
	s_and_b64 s[16:17], s[18:19], exec
.LBB101_443:
	s_andn2_saveexec_b64 s[0:1], s[14:15]
	s_cbranch_execnz .LBB101_489
.LBB101_444:
	s_or_b64 exec, exec, s[0:1]
	s_and_b64 s[14:15], s[16:17], exec
.LBB101_445:
	s_andn2_saveexec_b64 s[0:1], s[12:13]
	s_cbranch_execnz .LBB101_484
.LBB101_446:
	s_or_b64 exec, exec, s[0:1]
	s_and_b64 s[12:13], s[14:15], exec
	s_andn2_saveexec_b64 s[0:1], s[10:11]
	s_cbranch_execz .LBB101_425
.LBB101_447:
	s_or_b64 s[12:13], s[12:13], exec
	s_trap 2
	s_or_b64 exec, exec, s[0:1]
	s_and_saveexec_b64 s[0:1], s[12:13]
	s_cbranch_execnz .LBB101_426
	s_branch .LBB101_427
.LBB101_448:
	v_add_u32_e32 v1, s8, v0
	v_mul_lo_u32 v1, s9, v1
	s_mov_b64 s[20:21], 0
	v_mov_b32_e32 v2, 0
	v_mov_b32_e32 v3, v0
                                        ; implicit-def: $sgpr22_sgpr23
                                        ; implicit-def: $vgpr11
	s_branch .LBB101_450
.LBB101_449:                            ;   in Loop: Header=BB101_450 Depth=1
	s_or_b64 exec, exec, s[24:25]
	s_xor_b64 s[4:5], s[6:7], -1
	s_and_b64 s[2:3], exec, s[2:3]
	s_or_b64 s[20:21], s[2:3], s[20:21]
	s_andn2_b64 s[2:3], s[22:23], exec
	s_and_b64 s[4:5], s[4:5], exec
	s_or_b64 s[22:23], s[2:3], s[4:5]
	v_mov_b32_e32 v3, v10
	s_waitcnt vmcnt(0)
	v_mov_b32_e32 v4, v12
	s_andn2_b64 exec, exec, s[20:21]
	s_cbranch_execz .LBB101_464
.LBB101_450:                            ; =>This Inner Loop Header: Depth=1
	v_add_u32_e32 v10, s8, v3
	v_cmp_gt_u32_e64 s[4:5], s36, v10
	v_mov_b32_e32 v12, 0
	s_and_saveexec_b64 s[2:3], s[4:5]
	s_cbranch_execz .LBB101_452
; %bb.451:                              ;   in Loop: Header=BB101_450 Depth=1
	v_lshlrev_b64 v[12:13], 1, v[1:2]
	v_mov_b32_e32 v14, s56
	v_add_co_u32_e64 v12, s[4:5], s33, v12
	v_addc_co_u32_e64 v13, s[4:5], v14, v13, s[4:5]
	global_load_ushort v12, v[12:13], off
.LBB101_452:                            ;   in Loop: Header=BB101_450 Depth=1
	s_or_b64 exec, exec, s[2:3]
	v_cmp_gt_u32_e64 s[4:5], s36, v3
	s_mov_b64 s[24:25], 0
	s_and_saveexec_b64 s[2:3], s[4:5]
	s_cbranch_execz .LBB101_454
; %bb.453:                              ;   in Loop: Header=BB101_450 Depth=1
	s_waitcnt vmcnt(0)
	v_cmp_lt_i16_e64 s[4:5], -1, v4
	v_cndmask_b32_e64 v13, v8, v9, s[4:5]
	v_xor_b32_sdwa v13, v13, v4 dst_sel:DWORD dst_unused:UNUSED_PAD src0_sel:DWORD src1_sel:WORD_0
	v_cmp_o_f16_e64 s[4:5], v4, v4
	v_cndmask_b32_e64 v13, v8, v13, s[4:5]
	v_cmp_gt_u32_e64 s[4:5], v13, v7
	v_cndmask_b32_e64 v14, 0, 1, s[4:5]
	v_cmp_lt_u32_e64 s[4:5], v13, v7
	v_cndmask_b32_e64 v13, 0, 1, s[4:5]
	v_cndmask_b32_e64 v13, v13, v14, s[44:45]
	v_and_b32_e32 v13, 1, v13
	v_cmp_eq_u32_e64 s[4:5], 1, v13
	s_and_b64 s[24:25], s[4:5], exec
.LBB101_454:                            ;   in Loop: Header=BB101_450 Depth=1
	s_or_b64 exec, exec, s[2:3]
	v_cndmask_b32_e64 v13, 0, 1, s[24:25]
	v_cmp_ne_u32_e64 s[4:5], 0, v13
	s_cmp_lg_u64 s[4:5], 0
	s_cselect_b64 s[2:3], -1, 0
	s_and_b64 s[6:7], s[0:1], s[2:3]
	s_and_saveexec_b64 s[2:3], s[6:7]
	s_cbranch_execz .LBB101_458
; %bb.455:                              ;   in Loop: Header=BB101_450 Depth=1
	s_mov_b64 s[28:29], exec
	s_waitcnt lgkmcnt(0)
	v_mbcnt_lo_u32_b32 v11, s28, 0
	v_mbcnt_hi_u32_b32 v11, s29, v11
	s_bcnt1_i32_b64 s43, s[4:5]
	v_cmp_eq_u32_e64 s[6:7], 0, v11
                                        ; implicit-def: $vgpr13
	s_and_saveexec_b64 s[26:27], s[6:7]
; %bb.456:                              ;   in Loop: Header=BB101_450 Depth=1
	s_bcnt1_i32_b64 s6, s[28:29]
	s_mul_i32 s6, s43, s6
	v_mov_b32_e32 v13, s6
	ds_add_rtn_u32 v13, v2, v13 offset:4108
; %bb.457:                              ;   in Loop: Header=BB101_450 Depth=1
	s_or_b64 exec, exec, s[26:27]
	s_waitcnt lgkmcnt(0)
	v_readfirstlane_b32 s6, v13
	v_mov_b32_e32 v13, s6
	v_mad_u32_u24 v11, s43, v11, v13
.LBB101_458:                            ;   in Loop: Header=BB101_450 Depth=1
	s_or_b64 exec, exec, s[2:3]
	s_waitcnt lgkmcnt(0)
	ds_bpermute_b32 v11, v20, v11
	s_mov_b64 s[2:3], -1
	s_mov_b64 s[26:27], -1
	s_and_saveexec_b64 s[6:7], s[24:25]
	s_cbranch_execz .LBB101_462
; %bb.459:                              ;   in Loop: Header=BB101_450 Depth=1
	v_and_b32_e32 v14, s4, v22
	v_and_b32_e32 v13, s5, v21
	v_bcnt_u32_b32 v14, v14, 0
	v_bcnt_u32_b32 v13, v13, v14
	s_waitcnt lgkmcnt(0)
	v_add_u32_e32 v13, v11, v13
	v_cmp_gt_u32_e64 s[4:5], s37, v13
	s_mov_b64 s[24:25], 0
	s_and_saveexec_b64 s[26:27], s[4:5]
	s_cbranch_execz .LBB101_461
; %bb.460:                              ;   in Loop: Header=BB101_450 Depth=1
	v_mul_lo_u32 v14, v13, s41
	v_mov_b32_e32 v15, v2
	v_mul_lo_u32 v13, v13, s42
	v_mov_b32_e32 v16, s38
	v_lshlrev_b64 v[14:15], 1, v[14:15]
	s_mov_b64 s[24:25], exec
	v_add_co_u32_e64 v14, s[4:5], s35, v14
	v_addc_co_u32_e64 v15, s[4:5], v16, v15, s[4:5]
	s_waitcnt vmcnt(0)
	global_store_short v[14:15], v4, off
	v_mov_b32_e32 v14, v2
	v_lshlrev_b64 v[13:14], 3, v[13:14]
	v_mov_b32_e32 v15, s40
	v_add_co_u32_e64 v13, s[4:5], s39, v13
	v_mov_b32_e32 v4, v2
	v_addc_co_u32_e64 v14, s[4:5], v15, v14, s[4:5]
	global_store_dwordx2 v[13:14], v[3:4], off
.LBB101_461:                            ;   in Loop: Header=BB101_450 Depth=1
	s_or_b64 exec, exec, s[26:27]
	s_orn2_b64 s[26:27], s[24:25], exec
.LBB101_462:                            ;   in Loop: Header=BB101_450 Depth=1
	s_or_b64 exec, exec, s[6:7]
	s_mov_b64 s[6:7], -1
	s_and_saveexec_b64 s[24:25], s[26:27]
	s_cbranch_execz .LBB101_449
; %bb.463:                              ;   in Loop: Header=BB101_450 Depth=1
	v_cmp_le_u32_e64 s[4:5], s34, v10
	v_add_u32_e32 v1, s60, v1
	s_xor_b64 s[6:7], exec, -1
	s_orn2_b64 s[2:3], s[4:5], exec
	s_branch .LBB101_449
.LBB101_464:
	s_or_b64 exec, exec, s[20:21]
	s_mov_b64 s[4:5], exec
	s_orn2_b64 s[2:3], s[22:23], exec
	s_or_b64 exec, exec, s[18:19]
	s_and_saveexec_b64 s[6:7], s[2:3]
	s_cbranch_execz .LBB101_439
.LBB101_465:
	v_mov_b32_e32 v1, 0
	s_waitcnt vmcnt(0) lgkmcnt(0)
	s_barrier
	s_mov_b64 s[2:3], exec
	v_readlane_b32 s18, v53, 33
	v_readlane_b32 s19, v53, 34
	s_and_b64 s[18:19], s[2:3], s[18:19]
	s_mov_b64 exec, s[18:19]
	s_cbranch_execz .LBB101_467
; %bb.466:
	global_load_ushort v1, v[5:6], off
.LBB101_467:
	s_or_b64 exec, exec, s[2:3]
	s_mov_b64 s[2:3], 0
	s_and_saveexec_b64 s[30:31], vcc
	s_cbranch_execz .LBB101_487
; %bb.468:
	v_add_u32_e32 v2, s8, v0
	v_mul_lo_u32 v2, s9, v2
	s_mov_b64 s[18:19], 0
	v_mov_b32_e32 v3, 0
	v_mov_b32_e32 v4, 0xffff
	;; [unrolled: 1-line block ×3, first 2 shown]
                                        ; implicit-def: $sgpr20_sgpr21
                                        ; implicit-def: $vgpr8
	s_branch .LBB101_471
.LBB101_469:                            ;   in Loop: Header=BB101_471 Depth=1
	s_or_b64 exec, exec, s[24:25]
	s_orn2_b64 s[26:27], s[28:29], exec
	s_orn2_b64 s[24:25], s[22:23], exec
.LBB101_470:                            ;   in Loop: Header=BB101_471 Depth=1
	s_or_b64 exec, exec, s[2:3]
	s_xor_b64 s[2:3], s[26:27], -1
	s_and_b64 s[22:23], exec, s[24:25]
	s_or_b64 s[18:19], s[22:23], s[18:19]
	s_andn2_b64 s[20:21], s[20:21], exec
	s_and_b64 s[2:3], s[2:3], exec
	s_or_b64 s[20:21], s[20:21], s[2:3]
	v_mov_b32_e32 v0, v6
	v_mov_b32_e32 v1, v9
	s_andn2_b64 exec, exec, s[18:19]
	s_cbranch_execz .LBB101_485
.LBB101_471:                            ; =>This Inner Loop Header: Depth=1
	v_add_u32_e32 v6, s8, v0
	v_cmp_gt_u32_e32 vcc, s36, v6
	v_mov_b32_e32 v9, 0
	s_and_saveexec_b64 s[2:3], vcc
	s_cbranch_execz .LBB101_473
; %bb.472:                              ;   in Loop: Header=BB101_471 Depth=1
	v_lshlrev_b64 v[9:10], 1, v[2:3]
	v_mov_b32_e32 v11, s56
	v_add_co_u32_e32 v9, vcc, s33, v9
	v_addc_co_u32_e32 v10, vcc, v11, v10, vcc
	global_load_ushort v9, v[9:10], off
.LBB101_473:                            ;   in Loop: Header=BB101_471 Depth=1
	s_or_b64 exec, exec, s[2:3]
	s_waitcnt vmcnt(0)
	v_cmp_lt_i16_e64 s[2:3], -1, v1
	v_cndmask_b32_e64 v10, v4, v5, s[2:3]
	v_xor_b32_sdwa v10, v10, v1 dst_sel:DWORD dst_unused:UNUSED_PAD src0_sel:DWORD src1_sel:WORD_0
	v_cmp_o_f16_e64 s[2:3], v1, v1
	v_cndmask_b32_e64 v10, v4, v10, s[2:3]
	v_cmp_gt_u32_e32 vcc, s36, v0
	v_cmp_eq_u32_e64 s[2:3], v10, v7
	s_and_b64 s[22:23], vcc, s[2:3]
	v_cndmask_b32_e64 v10, 0, 1, s[22:23]
	v_cmp_ne_u32_e32 vcc, 0, v10
	s_cmp_lg_u64 vcc, 0
	s_cselect_b64 s[2:3], -1, 0
	s_and_b64 s[2:3], s[0:1], s[2:3]
	s_and_saveexec_b64 s[24:25], s[2:3]
	s_cbranch_execz .LBB101_477
; %bb.474:                              ;   in Loop: Header=BB101_471 Depth=1
	s_mov_b64 s[28:29], exec
	v_mbcnt_lo_u32_b32 v8, s28, 0
	v_mbcnt_hi_u32_b32 v8, s29, v8
	s_bcnt1_i32_b64 s9, vcc
	v_cmp_eq_u32_e64 s[2:3], 0, v8
                                        ; implicit-def: $vgpr10
	s_and_saveexec_b64 s[26:27], s[2:3]
; %bb.475:                              ;   in Loop: Header=BB101_471 Depth=1
	s_bcnt1_i32_b64 s2, s[28:29]
	s_mul_i32 s2, s9, s2
	v_mov_b32_e32 v10, s2
	ds_add_rtn_u32 v10, v3, v10 offset:4108
; %bb.476:                              ;   in Loop: Header=BB101_471 Depth=1
	s_or_b64 exec, exec, s[26:27]
	s_waitcnt lgkmcnt(0)
	v_readfirstlane_b32 s2, v10
	v_mov_b32_e32 v10, s2
	v_mad_u32_u24 v8, s9, v8, v10
.LBB101_477:                            ;   in Loop: Header=BB101_471 Depth=1
	s_or_b64 exec, exec, s[24:25]
	ds_bpermute_b32 v8, v20, v8
	s_cmp_eq_u64 vcc, 0
	s_cselect_b64 s[26:27], -1, 0
	s_mov_b64 s[24:25], -1
	s_waitcnt lgkmcnt(0)
	v_cmp_gt_u32_e64 s[2:3], s37, v8
	s_or_b64 s[28:29], s[26:27], s[2:3]
	s_mov_b64 s[26:27], -1
	s_and_saveexec_b64 s[2:3], s[28:29]
	s_cbranch_execz .LBB101_470
; %bb.478:                              ;   in Loop: Header=BB101_471 Depth=1
	v_and_b32_e32 v11, vcc_lo, v22
	v_and_b32_e32 v10, vcc_hi, v21
	v_bcnt_u32_b32 v11, v11, 0
	v_bcnt_u32_b32 v10, v10, v11
	v_sub_u32_e32 v11, s37, v8
	v_cmp_gt_u32_e32 vcc, v11, v10
	s_and_b64 s[44:45], s[22:23], vcc
	s_mov_b64 s[22:23], -1
	s_mov_b64 s[28:29], -1
	s_and_saveexec_b64 s[24:25], s[44:45]
	s_cbranch_execz .LBB101_482
; %bb.479:                              ;   in Loop: Header=BB101_471 Depth=1
	v_add_u32_e32 v10, v8, v10
	v_cmp_gt_u32_e32 vcc, s37, v10
	s_mov_b64 s[26:27], 0
	s_and_saveexec_b64 s[28:29], vcc
; %bb.480:                              ;   in Loop: Header=BB101_471 Depth=1
	v_mul_lo_u32 v11, v10, s41
	v_mov_b32_e32 v12, v3
	v_mul_lo_u32 v10, v10, s42
	v_mov_b32_e32 v13, s38
	v_lshlrev_b64 v[11:12], 1, v[11:12]
	s_mov_b64 s[26:27], exec
	v_add_co_u32_e32 v11, vcc, s35, v11
	v_addc_co_u32_e32 v12, vcc, v13, v12, vcc
	global_store_short v[11:12], v1, off
	v_mov_b32_e32 v11, v3
	v_lshlrev_b64 v[10:11], 3, v[10:11]
	v_mov_b32_e32 v12, s40
	v_add_co_u32_e32 v10, vcc, s39, v10
	v_mov_b32_e32 v1, v3
	v_addc_co_u32_e32 v11, vcc, v12, v11, vcc
	global_store_dwordx2 v[10:11], v[0:1], off
; %bb.481:                              ;   in Loop: Header=BB101_471 Depth=1
	s_or_b64 exec, exec, s[28:29]
	s_xor_b64 s[28:29], exec, -1
	s_orn2_b64 s[26:27], s[26:27], exec
.LBB101_482:                            ;   in Loop: Header=BB101_471 Depth=1
	s_or_b64 exec, exec, s[24:25]
	s_and_saveexec_b64 s[24:25], s[26:27]
	s_cbranch_execz .LBB101_469
; %bb.483:                              ;   in Loop: Header=BB101_471 Depth=1
	v_cmp_le_u32_e32 vcc, s34, v6
	v_add_u32_e32 v2, s60, v2
	s_or_b64 s[28:29], s[28:29], exec
	s_orn2_b64 s[22:23], vcc, exec
	s_branch .LBB101_469
.LBB101_484:
	s_or_b64 s[14:15], s[14:15], exec
	s_trap 2
	s_branch .LBB101_446
.LBB101_485:
	s_or_b64 exec, exec, s[18:19]
	s_mov_b64 s[0:1], 0
	s_and_saveexec_b64 s[2:3], s[20:21]
	s_xor_b64 s[2:3], exec, s[2:3]
	s_cbranch_execnz .LBB101_491
.LBB101_486:
	s_or_b64 exec, exec, s[2:3]
	s_and_b64 s[2:3], s[0:1], exec
.LBB101_487:
	s_or_b64 exec, exec, s[30:31]
	s_and_b64 s[30:31], s[2:3], exec
	s_andn2_b64 s[4:5], s[4:5], exec
	s_or_b64 exec, exec, s[6:7]
	s_and_saveexec_b64 s[0:1], s[4:5]
	s_xor_b64 s[0:1], exec, s[0:1]
	s_cbranch_execz .LBB101_440
.LBB101_488:
	s_trap 2
	s_or_b64 s[30:31], s[30:31], exec
	s_branch .LBB101_440
.LBB101_489:
	s_or_b64 s[16:17], s[16:17], exec
	s_trap 2
	s_branch .LBB101_444
.LBB101_490:
	s_trap 2
	s_or_b64 s[18:19], s[18:19], exec
	s_branch .LBB101_442
.LBB101_491:
	s_mov_b64 s[0:1], exec
	s_trap 2
	s_branch .LBB101_486
	.section	.rodata,"a",@progbits
	.p2align	6, 0x0
	.amdhsa_kernel _ZN2at6native6sbtopk10gatherTopKIN3c104HalfEjLi3ELb0EEEvNS_4cuda6detail10TensorInfoIKT_T0_EESA_SA_bSA_SA_NS7_IS8_SA_EESA_NS7_IlSA_EESA_PS8_
		.amdhsa_group_segment_fixed_size 4112
		.amdhsa_private_segment_fixed_size 0
		.amdhsa_kernarg_size 952
		.amdhsa_user_sgpr_count 6
		.amdhsa_user_sgpr_private_segment_buffer 1
		.amdhsa_user_sgpr_dispatch_ptr 0
		.amdhsa_user_sgpr_queue_ptr 0
		.amdhsa_user_sgpr_kernarg_segment_ptr 1
		.amdhsa_user_sgpr_dispatch_id 0
		.amdhsa_user_sgpr_flat_scratch_init 0
		.amdhsa_user_sgpr_private_segment_size 0
		.amdhsa_uses_dynamic_stack 0
		.amdhsa_system_sgpr_private_segment_wavefront_offset 0
		.amdhsa_system_sgpr_workgroup_id_x 1
		.amdhsa_system_sgpr_workgroup_id_y 1
		.amdhsa_system_sgpr_workgroup_id_z 1
		.amdhsa_system_sgpr_workgroup_info 0
		.amdhsa_system_vgpr_workitem_id 0
		.amdhsa_next_free_vgpr 54
		.amdhsa_next_free_sgpr 96
		.amdhsa_reserve_vcc 1
		.amdhsa_reserve_flat_scratch 0
		.amdhsa_float_round_mode_32 0
		.amdhsa_float_round_mode_16_64 0
		.amdhsa_float_denorm_mode_32 3
		.amdhsa_float_denorm_mode_16_64 3
		.amdhsa_dx10_clamp 1
		.amdhsa_ieee_mode 1
		.amdhsa_fp16_overflow 0
		.amdhsa_exception_fp_ieee_invalid_op 0
		.amdhsa_exception_fp_denorm_src 0
		.amdhsa_exception_fp_ieee_div_zero 0
		.amdhsa_exception_fp_ieee_overflow 0
		.amdhsa_exception_fp_ieee_underflow 0
		.amdhsa_exception_fp_ieee_inexact 0
		.amdhsa_exception_int_div_zero 0
	.end_amdhsa_kernel
	.section	.text._ZN2at6native6sbtopk10gatherTopKIN3c104HalfEjLi3ELb0EEEvNS_4cuda6detail10TensorInfoIKT_T0_EESA_SA_bSA_SA_NS7_IS8_SA_EESA_NS7_IlSA_EESA_PS8_,"axG",@progbits,_ZN2at6native6sbtopk10gatherTopKIN3c104HalfEjLi3ELb0EEEvNS_4cuda6detail10TensorInfoIKT_T0_EESA_SA_bSA_SA_NS7_IS8_SA_EESA_NS7_IlSA_EESA_PS8_,comdat
.Lfunc_end101:
	.size	_ZN2at6native6sbtopk10gatherTopKIN3c104HalfEjLi3ELb0EEEvNS_4cuda6detail10TensorInfoIKT_T0_EESA_SA_bSA_SA_NS7_IS8_SA_EESA_NS7_IlSA_EESA_PS8_, .Lfunc_end101-_ZN2at6native6sbtopk10gatherTopKIN3c104HalfEjLi3ELb0EEEvNS_4cuda6detail10TensorInfoIKT_T0_EESA_SA_bSA_SA_NS7_IS8_SA_EESA_NS7_IlSA_EESA_PS8_
                                        ; -- End function
	.set _ZN2at6native6sbtopk10gatherTopKIN3c104HalfEjLi3ELb0EEEvNS_4cuda6detail10TensorInfoIKT_T0_EESA_SA_bSA_SA_NS7_IS8_SA_EESA_NS7_IlSA_EESA_PS8_.num_vgpr, 54
	.set _ZN2at6native6sbtopk10gatherTopKIN3c104HalfEjLi3ELb0EEEvNS_4cuda6detail10TensorInfoIKT_T0_EESA_SA_bSA_SA_NS7_IS8_SA_EESA_NS7_IlSA_EESA_PS8_.num_agpr, 0
	.set _ZN2at6native6sbtopk10gatherTopKIN3c104HalfEjLi3ELb0EEEvNS_4cuda6detail10TensorInfoIKT_T0_EESA_SA_bSA_SA_NS7_IS8_SA_EESA_NS7_IlSA_EESA_PS8_.numbered_sgpr, 96
	.set _ZN2at6native6sbtopk10gatherTopKIN3c104HalfEjLi3ELb0EEEvNS_4cuda6detail10TensorInfoIKT_T0_EESA_SA_bSA_SA_NS7_IS8_SA_EESA_NS7_IlSA_EESA_PS8_.num_named_barrier, 0
	.set _ZN2at6native6sbtopk10gatherTopKIN3c104HalfEjLi3ELb0EEEvNS_4cuda6detail10TensorInfoIKT_T0_EESA_SA_bSA_SA_NS7_IS8_SA_EESA_NS7_IlSA_EESA_PS8_.private_seg_size, 0
	.set _ZN2at6native6sbtopk10gatherTopKIN3c104HalfEjLi3ELb0EEEvNS_4cuda6detail10TensorInfoIKT_T0_EESA_SA_bSA_SA_NS7_IS8_SA_EESA_NS7_IlSA_EESA_PS8_.uses_vcc, 1
	.set _ZN2at6native6sbtopk10gatherTopKIN3c104HalfEjLi3ELb0EEEvNS_4cuda6detail10TensorInfoIKT_T0_EESA_SA_bSA_SA_NS7_IS8_SA_EESA_NS7_IlSA_EESA_PS8_.uses_flat_scratch, 0
	.set _ZN2at6native6sbtopk10gatherTopKIN3c104HalfEjLi3ELb0EEEvNS_4cuda6detail10TensorInfoIKT_T0_EESA_SA_bSA_SA_NS7_IS8_SA_EESA_NS7_IlSA_EESA_PS8_.has_dyn_sized_stack, 0
	.set _ZN2at6native6sbtopk10gatherTopKIN3c104HalfEjLi3ELb0EEEvNS_4cuda6detail10TensorInfoIKT_T0_EESA_SA_bSA_SA_NS7_IS8_SA_EESA_NS7_IlSA_EESA_PS8_.has_recursion, 0
	.set _ZN2at6native6sbtopk10gatherTopKIN3c104HalfEjLi3ELb0EEEvNS_4cuda6detail10TensorInfoIKT_T0_EESA_SA_bSA_SA_NS7_IS8_SA_EESA_NS7_IlSA_EESA_PS8_.has_indirect_call, 0
	.section	.AMDGPU.csdata,"",@progbits
; Kernel info:
; codeLenInByte = 17488
; TotalNumSgprs: 100
; NumVgprs: 54
; ScratchSize: 0
; MemoryBound: 0
; FloatMode: 240
; IeeeMode: 1
; LDSByteSize: 4112 bytes/workgroup (compile time only)
; SGPRBlocks: 12
; VGPRBlocks: 13
; NumSGPRsForWavesPerEU: 100
; NumVGPRsForWavesPerEU: 54
; Occupancy: 4
; WaveLimiterHint : 1
; COMPUTE_PGM_RSRC2:SCRATCH_EN: 0
; COMPUTE_PGM_RSRC2:USER_SGPR: 6
; COMPUTE_PGM_RSRC2:TRAP_HANDLER: 0
; COMPUTE_PGM_RSRC2:TGID_X_EN: 1
; COMPUTE_PGM_RSRC2:TGID_Y_EN: 1
; COMPUTE_PGM_RSRC2:TGID_Z_EN: 1
; COMPUTE_PGM_RSRC2:TIDIG_COMP_CNT: 0
	.section	.text._ZN2at6native6mbtopk23computeBlockDigitCountsIN3c104HalfEjjLin1EEEvNS_4cuda6detail10TensorInfoIKT_T0_EEjPjjSA_iijT1_PSD_Ps,"axG",@progbits,_ZN2at6native6mbtopk23computeBlockDigitCountsIN3c104HalfEjjLin1EEEvNS_4cuda6detail10TensorInfoIKT_T0_EEjPjjSA_iijT1_PSD_Ps,comdat
	.protected	_ZN2at6native6mbtopk23computeBlockDigitCountsIN3c104HalfEjjLin1EEEvNS_4cuda6detail10TensorInfoIKT_T0_EEjPjjSA_iijT1_PSD_Ps ; -- Begin function _ZN2at6native6mbtopk23computeBlockDigitCountsIN3c104HalfEjjLin1EEEvNS_4cuda6detail10TensorInfoIKT_T0_EEjPjjSA_iijT1_PSD_Ps
	.globl	_ZN2at6native6mbtopk23computeBlockDigitCountsIN3c104HalfEjjLin1EEEvNS_4cuda6detail10TensorInfoIKT_T0_EEjPjjSA_iijT1_PSD_Ps
	.p2align	8
	.type	_ZN2at6native6mbtopk23computeBlockDigitCountsIN3c104HalfEjjLin1EEEvNS_4cuda6detail10TensorInfoIKT_T0_EEjPjjSA_iijT1_PSD_Ps,@function
_ZN2at6native6mbtopk23computeBlockDigitCountsIN3c104HalfEjjLin1EEEvNS_4cuda6detail10TensorInfoIKT_T0_EEjPjjSA_iijT1_PSD_Ps: ; @_ZN2at6native6mbtopk23computeBlockDigitCountsIN3c104HalfEjjLin1EEEvNS_4cuda6detail10TensorInfoIKT_T0_EEjPjjSA_iijT1_PSD_Ps
; %bb.0:
	s_load_dwordx2 s[10:11], s[4:5], 0xf8
	s_load_dwordx4 s[12:15], s[4:5], 0xe8
	s_load_dwordx2 s[0:1], s[4:5], 0x110
	s_mov_b32 s9, 0
	s_waitcnt lgkmcnt(0)
	v_cvt_f32_u32_e32 v1, s10
	s_sub_i32 s2, 0, s10
	s_mul_i32 s1, s1, s8
	s_add_i32 s1, s1, s7
	v_rcp_iflag_f32_e32 v1, v1
	s_mul_i32 s16, s1, s0
	s_add_i32 s16, s16, s6
	v_mul_f32_e32 v1, 0x4f7ffffe, v1
	v_cvt_u32_f32_e32 v1, v1
	v_readfirstlane_b32 s0, v1
	s_mul_i32 s2, s2, s0
	s_mul_hi_u32 s1, s0, s2
	s_add_i32 s0, s0, s1
	s_mul_hi_u32 s0, s16, s0
	s_mul_i32 s1, s0, s10
	s_sub_i32 s1, s16, s1
	s_add_i32 s2, s0, 1
	s_sub_i32 s3, s1, s10
	s_cmp_ge_u32 s1, s10
	s_cselect_b32 s0, s2, s0
	s_cselect_b32 s1, s3, s1
	s_add_i32 s2, s0, 1
	s_cmp_ge_u32 s1, s10
	s_cselect_b32 s8, s2, s0
	s_cmp_ge_u32 s8, s12
	s_cbranch_scc1 .LBB102_30
; %bb.1:
	s_load_dwordx4 s[0:3], s[4:5], 0x100
	s_load_dword s6, s[4:5], 0xd0
	s_lshl_b64 s[18:19], s[8:9], 2
	s_waitcnt lgkmcnt(0)
	s_add_u32 s0, s0, s18
	s_addc_u32 s1, s1, s19
	s_cmp_lt_i32 s6, 2
	s_mov_b32 s19, s8
	s_cbranch_scc1 .LBB102_4
; %bb.2:
	s_add_i32 s20, s6, -1
	s_mov_b32 s21, 0
	s_add_i32 s12, s6, 1
	s_lshl_b64 s[6:7], s[20:21], 2
	s_add_u32 s6, s4, s6
	s_addc_u32 s7, s5, s7
	s_add_u32 s6, s6, 8
	s_addc_u32 s7, s7, 0
	s_mov_b32 s19, s8
	s_mov_b32 s9, s21
.LBB102_3:                              ; =>This Inner Loop Header: Depth=1
	s_load_dword s17, s[6:7], 0x0
	s_load_dword s20, s[6:7], 0x64
	s_mov_b32 s18, s19
	s_waitcnt lgkmcnt(0)
	v_cvt_f32_u32_e32 v1, s17
	s_sub_i32 s19, 0, s17
	v_rcp_iflag_f32_e32 v1, v1
	v_mul_f32_e32 v1, 0x4f7ffffe, v1
	v_cvt_u32_f32_e32 v1, v1
	v_readfirstlane_b32 s21, v1
	s_mul_i32 s19, s19, s21
	s_mul_hi_u32 s19, s21, s19
	s_add_i32 s21, s21, s19
	s_mul_hi_u32 s19, s18, s21
	s_mul_i32 s21, s19, s17
	s_sub_i32 s21, s18, s21
	s_add_i32 s22, s19, 1
	s_sub_i32 s23, s21, s17
	s_cmp_ge_u32 s21, s17
	s_cselect_b32 s19, s22, s19
	s_cselect_b32 s21, s23, s21
	s_add_i32 s22, s19, 1
	s_cmp_ge_u32 s21, s17
	s_cselect_b32 s19, s22, s19
	s_mul_i32 s17, s19, s17
	s_sub_i32 s17, s18, s17
	s_mul_i32 s17, s20, s17
	s_add_i32 s12, s12, -1
	s_add_i32 s9, s17, s9
	s_add_u32 s6, s6, -4
	s_addc_u32 s7, s7, -1
	s_cmp_gt_u32 s12, 2
	s_cbranch_scc1 .LBB102_3
.LBB102_4:
	s_load_dword s12, s[0:1], 0x0
	s_movk_i32 s0, 0x100
	v_cmp_gt_u32_e32 vcc, s0, v0
	v_lshlrev_b32_e32 v3, 2, v0
	s_and_saveexec_b64 s[0:1], vcc
; %bb.5:
	v_mov_b32_e32 v1, 0
	ds_write_b32 v3, v1
; %bb.6:
	s_or_b64 exec, exec, s[0:1]
	s_load_dword s17, s[4:5], 0xd8
	s_mul_i32 s0, s8, s10
	s_sub_i32 s0, s16, s0
	s_add_i32 s6, s0, 1
	s_mul_i32 s0, s15, s0
	s_lshl_b32 s18, s0, 8
	s_waitcnt lgkmcnt(0)
	s_sub_i32 s0, s17, s18
	s_add_u32 s0, s0, 0xff
	s_addc_u32 s1, 0, 0
	s_lshr_b64 s[0:1], s[0:1], 8
	s_cmp_lt_u32 s6, s10
	s_cselect_b32 s10, s15, s0
	s_cmp_lt_i32 s10, 1
	s_mov_b32 s7, 0
	s_barrier
	s_cbranch_scc1 .LBB102_28
; %bb.7:
	s_load_dword s6, s[4:5], 0x6c
	s_load_dwordx2 s[0:1], s[4:5], 0x0
	s_waitcnt lgkmcnt(0)
	s_mul_i32 s4, s6, s19
	s_add_i32 s6, s4, s9
	s_lshl_b64 s[4:5], s[6:7], 1
	s_add_u32 s6, s0, s4
	s_addc_u32 s8, s1, s5
	s_and_b32 s9, s14, 0xff
	s_cmp_lt_u32 s10, 4
	s_cbranch_scc1 .LBB102_22
; %bb.8:
	v_add_u32_e32 v1, s18, v0
	v_add_u32_e32 v2, 0x200, v1
	;; [unrolled: 1-line block ×3, first 2 shown]
	v_mul_lo_u32 v6, s13, v2
	v_add_u32_e32 v2, 0x100, v1
	v_mul_lo_u32 v5, s13, v4
	v_mul_lo_u32 v7, s13, v2
	;; [unrolled: 1-line block ×3, first 2 shown]
	s_and_b32 s7, s10, 0x7ffffffc
	s_lshl_b32 s14, s13, 10
	s_mov_b32 s15, 0
	v_mov_b32_e32 v2, 0
	v_mov_b32_e32 v9, 1
	;; [unrolled: 1-line block ×4, first 2 shown]
	s_mov_b32 s19, 0
	s_branch .LBB102_10
.LBB102_9:                              ;   in Loop: Header=BB102_10 Depth=1
	s_or_b64 exec, exec, s[4:5]
	s_add_i32 s19, s19, 4
	s_add_i32 s15, s15, s14
	s_cmp_eq_u32 s7, s19
	v_add_u32_e32 v4, 0x400, v4
	s_cbranch_scc1 .LBB102_22
.LBB102_10:                             ; =>This Inner Loop Header: Depth=1
	v_add_u32_e32 v1, 0xfffffd00, v4
	v_cmp_gt_u32_e64 s[0:1], s17, v1
	s_and_saveexec_b64 s[4:5], s[0:1]
	s_cbranch_execz .LBB102_13
; %bb.11:                               ;   in Loop: Header=BB102_10 Depth=1
	v_add_u32_e32 v1, s15, v8
	v_lshlrev_b64 v[12:13], 1, v[1:2]
	v_mov_b32_e32 v1, s8
	v_add_co_u32_e64 v12, s[0:1], s6, v12
	v_addc_co_u32_e64 v13, s[0:1], v1, v13, s[0:1]
	global_load_ushort v1, v[12:13], off
	s_waitcnt vmcnt(0)
	v_cmp_lt_i16_e64 s[0:1], -1, v1
	v_cndmask_b32_e64 v12, v10, v11, s[0:1]
	v_xor_b32_sdwa v12, v12, v1 dst_sel:DWORD dst_unused:UNUSED_PAD src0_sel:DWORD src1_sel:WORD_0
	v_cmp_o_f16_e64 s[0:1], v1, v1
	v_cndmask_b32_e64 v1, v10, v12, s[0:1]
	v_xor_b32_e32 v12, s12, v1
	v_and_b32_e32 v12, s11, v12
	v_cmp_eq_u32_e64 s[0:1], 0, v12
	s_and_b64 exec, exec, s[0:1]
; %bb.12:                               ;   in Loop: Header=BB102_10 Depth=1
	v_bfe_u32 v1, v1, s9, 8
	v_lshlrev_b32_e32 v1, 2, v1
	ds_add_u32 v1, v9
.LBB102_13:                             ;   in Loop: Header=BB102_10 Depth=1
	s_or_b64 exec, exec, s[4:5]
	v_add_u32_e32 v1, 0xfffffe00, v4
	v_cmp_gt_u32_e64 s[0:1], s17, v1
	s_and_saveexec_b64 s[4:5], s[0:1]
	s_cbranch_execz .LBB102_16
; %bb.14:                               ;   in Loop: Header=BB102_10 Depth=1
	v_add_u32_e32 v1, s15, v7
	v_lshlrev_b64 v[12:13], 1, v[1:2]
	v_mov_b32_e32 v1, s8
	v_add_co_u32_e64 v12, s[0:1], s6, v12
	v_addc_co_u32_e64 v13, s[0:1], v1, v13, s[0:1]
	global_load_ushort v1, v[12:13], off
	s_waitcnt vmcnt(0)
	v_cmp_lt_i16_e64 s[0:1], -1, v1
	v_cndmask_b32_e64 v12, v10, v11, s[0:1]
	v_xor_b32_sdwa v12, v12, v1 dst_sel:DWORD dst_unused:UNUSED_PAD src0_sel:DWORD src1_sel:WORD_0
	v_cmp_o_f16_e64 s[0:1], v1, v1
	v_cndmask_b32_e64 v1, v10, v12, s[0:1]
	v_xor_b32_e32 v12, s12, v1
	v_and_b32_e32 v12, s11, v12
	v_cmp_eq_u32_e64 s[0:1], 0, v12
	s_and_b64 exec, exec, s[0:1]
; %bb.15:                               ;   in Loop: Header=BB102_10 Depth=1
	v_bfe_u32 v1, v1, s9, 8
	v_lshlrev_b32_e32 v1, 2, v1
	ds_add_u32 v1, v9
.LBB102_16:                             ;   in Loop: Header=BB102_10 Depth=1
	s_or_b64 exec, exec, s[4:5]
	;; [unrolled: 27-line block ×3, first 2 shown]
	v_cmp_gt_u32_e64 s[0:1], s17, v4
	s_and_saveexec_b64 s[4:5], s[0:1]
	s_cbranch_execz .LBB102_9
; %bb.20:                               ;   in Loop: Header=BB102_10 Depth=1
	v_add_u32_e32 v1, s15, v5
	v_lshlrev_b64 v[12:13], 1, v[1:2]
	v_mov_b32_e32 v1, s8
	v_add_co_u32_e64 v12, s[0:1], s6, v12
	v_addc_co_u32_e64 v13, s[0:1], v1, v13, s[0:1]
	global_load_ushort v1, v[12:13], off
	s_waitcnt vmcnt(0)
	v_cmp_lt_i16_e64 s[0:1], -1, v1
	v_cndmask_b32_e64 v12, v10, v11, s[0:1]
	v_xor_b32_sdwa v12, v12, v1 dst_sel:DWORD dst_unused:UNUSED_PAD src0_sel:DWORD src1_sel:WORD_0
	v_cmp_o_f16_e64 s[0:1], v1, v1
	v_cndmask_b32_e64 v1, v10, v12, s[0:1]
	v_xor_b32_e32 v12, s12, v1
	v_and_b32_e32 v12, s11, v12
	v_cmp_eq_u32_e64 s[0:1], 0, v12
	s_and_b64 exec, exec, s[0:1]
	s_cbranch_execz .LBB102_9
; %bb.21:                               ;   in Loop: Header=BB102_10 Depth=1
	v_bfe_u32 v1, v1, s9, 8
	v_lshlrev_b32_e32 v1, 2, v1
	ds_add_u32 v1, v9
	s_branch .LBB102_9
.LBB102_22:
	s_and_b32 s10, s10, 3
	s_cmp_eq_u32 s10, 0
	s_cbranch_scc1 .LBB102_28
; %bb.23:
	s_lshl_b32 s0, s7, 8
	s_add_i32 s0, s0, s18
	v_add_u32_e32 v4, s0, v0
	v_mul_lo_u32 v1, s13, v4
	s_lshl_b32 s7, s13, 8
	v_mov_b32_e32 v2, 0
	v_mov_b32_e32 v5, 1
	;; [unrolled: 1-line block ×4, first 2 shown]
	s_branch .LBB102_25
.LBB102_24:                             ;   in Loop: Header=BB102_25 Depth=1
	s_or_b64 exec, exec, s[4:5]
	s_add_i32 s10, s10, -1
	v_add_u32_e32 v1, s7, v1
	s_cmp_lg_u32 s10, 0
	v_add_u32_e32 v4, 0x100, v4
	s_cbranch_scc0 .LBB102_28
.LBB102_25:                             ; =>This Inner Loop Header: Depth=1
	v_cmp_gt_u32_e64 s[0:1], s17, v4
	s_and_saveexec_b64 s[4:5], s[0:1]
	s_cbranch_execz .LBB102_24
; %bb.26:                               ;   in Loop: Header=BB102_25 Depth=1
	v_lshlrev_b64 v[8:9], 1, v[1:2]
	v_mov_b32_e32 v10, s8
	v_add_co_u32_e64 v8, s[0:1], s6, v8
	v_addc_co_u32_e64 v9, s[0:1], v10, v9, s[0:1]
	global_load_ushort v8, v[8:9], off
	s_waitcnt vmcnt(0)
	v_cmp_lt_i16_e64 s[0:1], -1, v8
	v_cndmask_b32_e64 v9, v6, v7, s[0:1]
	v_xor_b32_sdwa v9, v9, v8 dst_sel:DWORD dst_unused:UNUSED_PAD src0_sel:DWORD src1_sel:WORD_0
	v_cmp_o_f16_e64 s[0:1], v8, v8
	v_cndmask_b32_e64 v8, v6, v9, s[0:1]
	v_xor_b32_e32 v9, s12, v8
	v_and_b32_e32 v9, s11, v9
	v_cmp_eq_u32_e64 s[0:1], 0, v9
	s_and_b64 exec, exec, s[0:1]
	s_cbranch_execz .LBB102_24
; %bb.27:                               ;   in Loop: Header=BB102_25 Depth=1
	v_bfe_u32 v8, v8, s9, 8
	v_lshlrev_b32_e32 v8, 2, v8
	ds_add_u32 v8, v5
	s_branch .LBB102_24
.LBB102_28:
	s_waitcnt lgkmcnt(0)
	s_barrier
	s_and_saveexec_b64 s[0:1], vcc
	s_cbranch_execz .LBB102_30
; %bb.29:
	v_lshl_or_b32 v0, s16, 8, v0
	v_mov_b32_e32 v1, 0
	ds_read_b32 v3, v3
	v_lshlrev_b64 v[0:1], 1, v[0:1]
	v_mov_b32_e32 v2, s3
	v_add_co_u32_e32 v0, vcc, s2, v0
	v_addc_co_u32_e32 v1, vcc, v2, v1, vcc
	s_waitcnt lgkmcnt(0)
	global_store_short v[0:1], v3, off
.LBB102_30:
	s_endpgm
	.section	.rodata,"a",@progbits
	.p2align	6, 0x0
	.amdhsa_kernel _ZN2at6native6mbtopk23computeBlockDigitCountsIN3c104HalfEjjLin1EEEvNS_4cuda6detail10TensorInfoIKT_T0_EEjPjjSA_iijT1_PSD_Ps
		.amdhsa_group_segment_fixed_size 1024
		.amdhsa_private_segment_fixed_size 0
		.amdhsa_kernarg_size 528
		.amdhsa_user_sgpr_count 6
		.amdhsa_user_sgpr_private_segment_buffer 1
		.amdhsa_user_sgpr_dispatch_ptr 0
		.amdhsa_user_sgpr_queue_ptr 0
		.amdhsa_user_sgpr_kernarg_segment_ptr 1
		.amdhsa_user_sgpr_dispatch_id 0
		.amdhsa_user_sgpr_flat_scratch_init 0
		.amdhsa_user_sgpr_private_segment_size 0
		.amdhsa_uses_dynamic_stack 0
		.amdhsa_system_sgpr_private_segment_wavefront_offset 0
		.amdhsa_system_sgpr_workgroup_id_x 1
		.amdhsa_system_sgpr_workgroup_id_y 1
		.amdhsa_system_sgpr_workgroup_id_z 1
		.amdhsa_system_sgpr_workgroup_info 0
		.amdhsa_system_vgpr_workitem_id 0
		.amdhsa_next_free_vgpr 14
		.amdhsa_next_free_sgpr 24
		.amdhsa_reserve_vcc 1
		.amdhsa_reserve_flat_scratch 0
		.amdhsa_float_round_mode_32 0
		.amdhsa_float_round_mode_16_64 0
		.amdhsa_float_denorm_mode_32 3
		.amdhsa_float_denorm_mode_16_64 3
		.amdhsa_dx10_clamp 1
		.amdhsa_ieee_mode 1
		.amdhsa_fp16_overflow 0
		.amdhsa_exception_fp_ieee_invalid_op 0
		.amdhsa_exception_fp_denorm_src 0
		.amdhsa_exception_fp_ieee_div_zero 0
		.amdhsa_exception_fp_ieee_overflow 0
		.amdhsa_exception_fp_ieee_underflow 0
		.amdhsa_exception_fp_ieee_inexact 0
		.amdhsa_exception_int_div_zero 0
	.end_amdhsa_kernel
	.section	.text._ZN2at6native6mbtopk23computeBlockDigitCountsIN3c104HalfEjjLin1EEEvNS_4cuda6detail10TensorInfoIKT_T0_EEjPjjSA_iijT1_PSD_Ps,"axG",@progbits,_ZN2at6native6mbtopk23computeBlockDigitCountsIN3c104HalfEjjLin1EEEvNS_4cuda6detail10TensorInfoIKT_T0_EEjPjjSA_iijT1_PSD_Ps,comdat
.Lfunc_end102:
	.size	_ZN2at6native6mbtopk23computeBlockDigitCountsIN3c104HalfEjjLin1EEEvNS_4cuda6detail10TensorInfoIKT_T0_EEjPjjSA_iijT1_PSD_Ps, .Lfunc_end102-_ZN2at6native6mbtopk23computeBlockDigitCountsIN3c104HalfEjjLin1EEEvNS_4cuda6detail10TensorInfoIKT_T0_EEjPjjSA_iijT1_PSD_Ps
                                        ; -- End function
	.set _ZN2at6native6mbtopk23computeBlockDigitCountsIN3c104HalfEjjLin1EEEvNS_4cuda6detail10TensorInfoIKT_T0_EEjPjjSA_iijT1_PSD_Ps.num_vgpr, 14
	.set _ZN2at6native6mbtopk23computeBlockDigitCountsIN3c104HalfEjjLin1EEEvNS_4cuda6detail10TensorInfoIKT_T0_EEjPjjSA_iijT1_PSD_Ps.num_agpr, 0
	.set _ZN2at6native6mbtopk23computeBlockDigitCountsIN3c104HalfEjjLin1EEEvNS_4cuda6detail10TensorInfoIKT_T0_EEjPjjSA_iijT1_PSD_Ps.numbered_sgpr, 24
	.set _ZN2at6native6mbtopk23computeBlockDigitCountsIN3c104HalfEjjLin1EEEvNS_4cuda6detail10TensorInfoIKT_T0_EEjPjjSA_iijT1_PSD_Ps.num_named_barrier, 0
	.set _ZN2at6native6mbtopk23computeBlockDigitCountsIN3c104HalfEjjLin1EEEvNS_4cuda6detail10TensorInfoIKT_T0_EEjPjjSA_iijT1_PSD_Ps.private_seg_size, 0
	.set _ZN2at6native6mbtopk23computeBlockDigitCountsIN3c104HalfEjjLin1EEEvNS_4cuda6detail10TensorInfoIKT_T0_EEjPjjSA_iijT1_PSD_Ps.uses_vcc, 1
	.set _ZN2at6native6mbtopk23computeBlockDigitCountsIN3c104HalfEjjLin1EEEvNS_4cuda6detail10TensorInfoIKT_T0_EEjPjjSA_iijT1_PSD_Ps.uses_flat_scratch, 0
	.set _ZN2at6native6mbtopk23computeBlockDigitCountsIN3c104HalfEjjLin1EEEvNS_4cuda6detail10TensorInfoIKT_T0_EEjPjjSA_iijT1_PSD_Ps.has_dyn_sized_stack, 0
	.set _ZN2at6native6mbtopk23computeBlockDigitCountsIN3c104HalfEjjLin1EEEvNS_4cuda6detail10TensorInfoIKT_T0_EEjPjjSA_iijT1_PSD_Ps.has_recursion, 0
	.set _ZN2at6native6mbtopk23computeBlockDigitCountsIN3c104HalfEjjLin1EEEvNS_4cuda6detail10TensorInfoIKT_T0_EEjPjjSA_iijT1_PSD_Ps.has_indirect_call, 0
	.section	.AMDGPU.csdata,"",@progbits
; Kernel info:
; codeLenInByte = 1588
; TotalNumSgprs: 28
; NumVgprs: 14
; ScratchSize: 0
; MemoryBound: 0
; FloatMode: 240
; IeeeMode: 1
; LDSByteSize: 1024 bytes/workgroup (compile time only)
; SGPRBlocks: 3
; VGPRBlocks: 3
; NumSGPRsForWavesPerEU: 28
; NumVGPRsForWavesPerEU: 14
; Occupancy: 10
; WaveLimiterHint : 1
; COMPUTE_PGM_RSRC2:SCRATCH_EN: 0
; COMPUTE_PGM_RSRC2:USER_SGPR: 6
; COMPUTE_PGM_RSRC2:TRAP_HANDLER: 0
; COMPUTE_PGM_RSRC2:TGID_X_EN: 1
; COMPUTE_PGM_RSRC2:TGID_Y_EN: 1
; COMPUTE_PGM_RSRC2:TGID_Z_EN: 1
; COMPUTE_PGM_RSRC2:TIDIG_COMP_CNT: 0
	.section	.text._ZN2at6native6mbtopk10gatherTopKIN3c104HalfEjLin1EEEvNS_4cuda6detail10TensorInfoIKT_T0_EESA_SA_bjSA_NS7_IS8_SA_EESA_NS7_IlSA_EESA_jjPS8_PjSF_j,"axG",@progbits,_ZN2at6native6mbtopk10gatherTopKIN3c104HalfEjLin1EEEvNS_4cuda6detail10TensorInfoIKT_T0_EESA_SA_bjSA_NS7_IS8_SA_EESA_NS7_IlSA_EESA_jjPS8_PjSF_j,comdat
	.protected	_ZN2at6native6mbtopk10gatherTopKIN3c104HalfEjLin1EEEvNS_4cuda6detail10TensorInfoIKT_T0_EESA_SA_bjSA_NS7_IS8_SA_EESA_NS7_IlSA_EESA_jjPS8_PjSF_j ; -- Begin function _ZN2at6native6mbtopk10gatherTopKIN3c104HalfEjLin1EEEvNS_4cuda6detail10TensorInfoIKT_T0_EESA_SA_bjSA_NS7_IS8_SA_EESA_NS7_IlSA_EESA_jjPS8_PjSF_j
	.globl	_ZN2at6native6mbtopk10gatherTopKIN3c104HalfEjLin1EEEvNS_4cuda6detail10TensorInfoIKT_T0_EESA_SA_bjSA_NS7_IS8_SA_EESA_NS7_IlSA_EESA_jjPS8_PjSF_j
	.p2align	8
	.type	_ZN2at6native6mbtopk10gatherTopKIN3c104HalfEjLin1EEEvNS_4cuda6detail10TensorInfoIKT_T0_EESA_SA_bjSA_NS7_IS8_SA_EESA_NS7_IlSA_EESA_jjPS8_PjSF_j,@function
_ZN2at6native6mbtopk10gatherTopKIN3c104HalfEjLin1EEEvNS_4cuda6detail10TensorInfoIKT_T0_EESA_SA_bjSA_NS7_IS8_SA_EESA_NS7_IlSA_EESA_jjPS8_PjSF_j: ; @_ZN2at6native6mbtopk10gatherTopKIN3c104HalfEjLin1EEEvNS_4cuda6detail10TensorInfoIKT_T0_EESA_SA_bjSA_NS7_IS8_SA_EESA_NS7_IlSA_EESA_jjPS8_PjSF_j
; %bb.0:
	s_load_dwordx2 s[0:1], s[4:5], 0x2d8
	s_load_dword s2, s[4:5], 0x2d0
	s_waitcnt lgkmcnt(0)
	s_mul_i32 s1, s1, s8
	s_add_i32 s1, s1, s7
	s_mul_i32 s17, s1, s0
	s_add_i32 s17, s17, s6
	s_cmp_ge_u32 s17, s2
	s_cbranch_scc1 .LBB103_49
; %bb.1:
	s_load_dwordx4 s[8:11], s[4:5], 0x2a8
	s_load_dword s0, s[4:5], 0xd0
	s_mov_b32 s7, 0
	s_waitcnt lgkmcnt(0)
	v_cvt_f32_u32_e32 v1, s10
	s_sub_i32 s1, 0, s10
	v_rcp_iflag_f32_e32 v1, v1
	v_mul_f32_e32 v1, 0x4f7ffffe, v1
	v_cvt_u32_f32_e32 v1, v1
	v_readfirstlane_b32 s2, v1
	s_mul_i32 s1, s1, s2
	s_mul_hi_u32 s1, s2, s1
	s_add_i32 s2, s2, s1
	s_mul_hi_u32 s1, s17, s2
	s_mul_i32 s2, s1, s10
	s_sub_i32 s2, s17, s2
	s_add_i32 s3, s1, 1
	s_sub_i32 s6, s2, s10
	s_cmp_ge_u32 s2, s10
	s_cselect_b32 s1, s3, s1
	s_cselect_b32 s2, s6, s2
	s_add_i32 s3, s1, 1
	s_cmp_ge_u32 s2, s10
	s_cselect_b32 s20, s3, s1
	s_cmp_lt_i32 s0, 2
	s_mov_b32 s6, s20
	s_cbranch_scc1 .LBB103_4
; %bb.2:
	s_add_i32 s6, s0, -1
	s_add_i32 s2, s0, 1
	s_lshl_b64 s[0:1], s[6:7], 2
	s_add_u32 s0, s4, s0
	s_addc_u32 s1, s5, s1
	s_add_u32 s0, s0, 8
	s_addc_u32 s1, s1, 0
	s_mov_b32 s6, s20
.LBB103_3:                              ; =>This Inner Loop Header: Depth=1
	s_load_dword s3, s[0:1], 0x0
	s_load_dword s12, s[0:1], 0x64
	s_mov_b32 s11, s6
	s_waitcnt lgkmcnt(0)
	v_cvt_f32_u32_e32 v1, s3
	s_sub_i32 s6, 0, s3
	v_rcp_iflag_f32_e32 v1, v1
	v_mul_f32_e32 v1, 0x4f7ffffe, v1
	v_cvt_u32_f32_e32 v1, v1
	v_readfirstlane_b32 s13, v1
	s_mul_i32 s6, s6, s13
	s_mul_hi_u32 s6, s13, s6
	s_add_i32 s13, s13, s6
	s_mul_hi_u32 s6, s11, s13
	s_mul_i32 s13, s6, s3
	s_sub_i32 s13, s11, s13
	s_add_i32 s14, s6, 1
	s_sub_i32 s15, s13, s3
	s_cmp_ge_u32 s13, s3
	s_cselect_b32 s6, s14, s6
	s_cselect_b32 s13, s15, s13
	s_add_i32 s14, s6, 1
	s_cmp_ge_u32 s13, s3
	s_cselect_b32 s6, s14, s6
	s_mul_i32 s3, s6, s3
	s_sub_i32 s3, s11, s3
	s_mul_i32 s3, s12, s3
	s_add_i32 s2, s2, -1
	s_add_i32 s7, s3, s7
	s_add_u32 s0, s0, -4
	s_addc_u32 s1, s1, -1
	s_cmp_gt_u32 s2, 2
	s_cbranch_scc1 .LBB103_3
.LBB103_4:
	s_load_dword s2, s[4:5], 0x1c0
	s_add_u32 s0, s4, 0xf0
	s_addc_u32 s1, s5, 0
	s_mov_b32 s23, 0
	s_mov_b32 s22, s20
	s_waitcnt lgkmcnt(0)
	s_cmp_lt_i32 s2, 2
	s_cbranch_scc1 .LBB103_7
; %bb.5:
	s_add_i32 s22, s2, -1
	s_add_i32 s11, s2, 1
	s_lshl_b64 s[2:3], s[22:23], 2
	s_add_u32 s2, s0, s2
	s_addc_u32 s3, s1, s3
	s_add_u32 s2, s2, 8
	s_addc_u32 s3, s3, 0
	s_mov_b32 s22, s20
.LBB103_6:                              ; =>This Inner Loop Header: Depth=1
	s_load_dword s12, s[2:3], 0x0
	s_load_dword s14, s[2:3], 0x64
	s_mov_b32 s13, s22
	s_waitcnt lgkmcnt(0)
	v_cvt_f32_u32_e32 v1, s12
	s_sub_i32 s15, 0, s12
	v_rcp_iflag_f32_e32 v1, v1
	v_mul_f32_e32 v1, 0x4f7ffffe, v1
	v_cvt_u32_f32_e32 v1, v1
	v_readfirstlane_b32 s16, v1
	s_mul_i32 s15, s15, s16
	s_mul_hi_u32 s15, s16, s15
	s_add_i32 s16, s16, s15
	s_mul_hi_u32 s15, s22, s16
	s_mul_i32 s16, s15, s12
	s_sub_i32 s16, s22, s16
	s_add_i32 s18, s15, 1
	s_sub_i32 s19, s16, s12
	s_cmp_ge_u32 s16, s12
	s_cselect_b32 s15, s18, s15
	s_cselect_b32 s16, s19, s16
	s_add_i32 s18, s15, 1
	s_cmp_ge_u32 s16, s12
	s_cselect_b32 s22, s18, s15
	s_mul_i32 s12, s22, s12
	s_sub_i32 s12, s13, s12
	s_mul_i32 s12, s14, s12
	s_add_i32 s11, s11, -1
	s_add_i32 s23, s12, s23
	s_add_u32 s2, s2, -4
	s_addc_u32 s3, s3, -1
	s_cmp_gt_u32 s11, 2
	s_cbranch_scc1 .LBB103_6
.LBB103_7:
	s_load_dword s33, s[4:5], 0x6c
	s_load_dword s12, s[4:5], 0x2a0
	s_add_u32 s2, s4, 0x1d0
	s_addc_u32 s3, s5, 0
	s_mov_b32 s25, 0
	s_mov_b32 s24, s20
	s_waitcnt lgkmcnt(0)
	s_cmp_lt_i32 s12, 2
	s_cbranch_scc1 .LBB103_10
; %bb.8:
	s_add_i32 s24, s12, -1
	s_add_i32 s11, s12, 1
	s_lshl_b64 s[12:13], s[24:25], 2
	s_add_u32 s2, s2, s12
	s_addc_u32 s3, s3, s13
	s_add_u32 s2, s2, 8
	s_addc_u32 s3, s3, 0
	s_mov_b32 s24, s20
.LBB103_9:                              ; =>This Inner Loop Header: Depth=1
	s_load_dword s12, s[2:3], 0x0
	s_load_dword s14, s[2:3], 0x64
	s_mov_b32 s13, s24
	s_waitcnt lgkmcnt(0)
	v_cvt_f32_u32_e32 v1, s12
	s_sub_i32 s15, 0, s12
	v_rcp_iflag_f32_e32 v1, v1
	v_mul_f32_e32 v1, 0x4f7ffffe, v1
	v_cvt_u32_f32_e32 v1, v1
	v_readfirstlane_b32 s16, v1
	s_mul_i32 s15, s15, s16
	s_mul_hi_u32 s15, s16, s15
	s_add_i32 s16, s16, s15
	s_mul_hi_u32 s15, s24, s16
	s_mul_i32 s16, s15, s12
	s_sub_i32 s16, s24, s16
	s_add_i32 s18, s15, 1
	s_sub_i32 s19, s16, s12
	s_cmp_ge_u32 s16, s12
	s_cselect_b32 s15, s18, s15
	s_cselect_b32 s16, s19, s16
	s_add_i32 s18, s15, 1
	s_cmp_ge_u32 s16, s12
	s_cselect_b32 s24, s18, s15
	s_mul_i32 s12, s24, s12
	s_sub_i32 s12, s13, s12
	s_mul_i32 s12, s14, s12
	s_add_i32 s11, s11, -1
	s_add_i32 s25, s12, s25
	s_add_u32 s2, s2, -4
	s_addc_u32 s3, s3, -1
	s_cmp_gt_u32 s11, 2
	s_cbranch_scc1 .LBB103_9
.LBB103_10:
	s_load_dword s41, s[0:1], 0x6c
	s_load_dwordx4 s[12:15], s[4:5], 0x2b8
	s_mul_i32 s16, s20, s10
	s_mov_b32 s21, 0
	s_sub_i32 s11, s17, s16
	s_lshl_b64 s[0:1], s[20:21], 1
	s_waitcnt lgkmcnt(0)
	s_add_u32 s0, s12, s0
	s_addc_u32 s1, s13, s1
	v_mov_b32_e32 v1, 0
	global_load_ushort v1, v1, s[0:1]
	s_load_dwordx2 s[30:31], s[4:5], 0x0
	s_load_dwordx2 s[28:29], s[4:5], 0xf0
	;; [unrolled: 1-line block ×3, first 2 shown]
	v_cmp_ne_u32_e64 s[0:1], 0, v0
	v_cmp_eq_u32_e64 s[2:3], 0, v0
	s_waitcnt vmcnt(0)
	v_readfirstlane_b32 s40, v1
	s_and_saveexec_b64 s[12:13], s[2:3]
	s_cbranch_execz .LBB103_26
; %bb.11:
	s_load_dwordx2 s[34:35], s[4:5], 0x2c8
	s_mov_b32 s17, s21
	s_lshl_b64 s[36:37], s[16:17], 2
	s_add_u32 s16, s14, s36
	s_addc_u32 s17, s15, s37
	s_waitcnt lgkmcnt(0)
	s_add_u32 s18, s34, s36
	s_addc_u32 s19, s35, s37
	s_mov_b32 s20, 0
	s_mov_b32 s42, 0
	s_cmp_lt_u32 s10, 4
	s_cbranch_scc1 .LBB103_23
; %bb.12:
	s_mov_b32 s43, 0
.LBB103_13:                             ; =>This Inner Loop Header: Depth=1
	s_add_u32 s38, s14, s36
	s_addc_u32 s39, s15, s37
	s_load_dwordx4 s[16:19], s[38:39], 0x0
	s_add_u32 s38, s34, s36
	s_addc_u32 s39, s35, s37
	s_cmp_ge_u32 s43, s11
	s_cbranch_scc0 .LBB103_20
; %bb.14:                               ;   in Loop: Header=BB103_13 Depth=1
	s_add_i32 s44, s43, 1
	s_cmp_ge_u32 s44, s11
	s_cbranch_scc0 .LBB103_21
.LBB103_15:                             ;   in Loop: Header=BB103_13 Depth=1
	s_add_i32 s44, s44, 1
	s_cmp_ge_u32 s44, s11
	s_cbranch_scc0 .LBB103_22
.LBB103_16:                             ;   in Loop: Header=BB103_13 Depth=1
	s_add_i32 s44, s44, 1
	s_cmp_ge_u32 s44, s11
	s_cbranch_scc1 .LBB103_18
.LBB103_17:                             ;   in Loop: Header=BB103_13 Depth=1
	s_load_dword s38, s[38:39], 0xc
	s_waitcnt lgkmcnt(0)
	s_add_i32 s21, s21, s19
	s_add_i32 s20, s38, s20
.LBB103_18:                             ;   in Loop: Header=BB103_13 Depth=1
	s_waitcnt lgkmcnt(0)
	s_add_i32 s16, s16, s42
	s_add_i32 s16, s16, s17
	;; [unrolled: 1-line block ×4, first 2 shown]
	s_add_u32 s14, s14, 16
	s_addc_u32 s15, s15, 0
	s_add_u32 s34, s34, 16
	s_addc_u32 s35, s35, 0
	s_add_i32 s39, s44, 4
	s_add_u32 s18, s34, s36
	s_addc_u32 s19, s35, s37
	s_add_u32 s16, s14, s36
	s_addc_u32 s17, s15, s37
	s_add_i32 s38, s44, 1
	s_cmp_ge_u32 s39, s10
	s_cbranch_scc1 .LBB103_24
; %bb.19:                               ;   in Loop: Header=BB103_13 Depth=1
	s_mov_b32 s43, s38
	s_branch .LBB103_13
.LBB103_20:                             ;   in Loop: Header=BB103_13 Depth=1
	s_load_dword s44, s[38:39], 0x0
	s_waitcnt lgkmcnt(0)
	s_add_i32 s21, s16, s21
	s_add_i32 s20, s44, s20
	;; [unrolled: 1-line block ×3, first 2 shown]
	s_cmp_ge_u32 s44, s11
	s_cbranch_scc1 .LBB103_15
.LBB103_21:                             ;   in Loop: Header=BB103_13 Depth=1
	s_load_dword s45, s[38:39], 0x4
	s_waitcnt lgkmcnt(0)
	s_add_i32 s21, s21, s17
	s_add_i32 s20, s45, s20
	;; [unrolled: 1-line block ×3, first 2 shown]
	s_cmp_ge_u32 s44, s11
	s_cbranch_scc1 .LBB103_16
.LBB103_22:                             ;   in Loop: Header=BB103_13 Depth=1
	s_load_dword s45, s[38:39], 0x8
	s_waitcnt lgkmcnt(0)
	s_add_i32 s21, s21, s18
	s_add_i32 s20, s45, s20
	;; [unrolled: 1-line block ×3, first 2 shown]
	s_cmp_ge_u32 s44, s11
	s_cbranch_scc0 .LBB103_17
	s_branch .LBB103_18
.LBB103_23:
	s_mov_b32 s14, 0
	s_cmp_ge_u32 s14, s10
	s_cbranch_scc0 .LBB103_47
	s_branch .LBB103_25
.LBB103_24:
	s_add_i32 s14, s43, 4
	s_cmp_ge_u32 s14, s10
	s_cbranch_scc0 .LBB103_47
.LBB103_25:
	v_mov_b32_e32 v1, s20
	v_mov_b32_e32 v2, s42
	;; [unrolled: 1-line block ×4, first 2 shown]
	ds_write_b96 v4, v[1:3] offset:1056
.LBB103_26:
	s_or_b64 exec, exec, s[12:13]
	s_load_dword s16, s[4:5], 0x23c
	s_load_dwordx4 s[12:15], s[4:5], 0xd8
	s_mul_i32 s17, s9, s11
	s_lshl_b32 s34, s17, 8
	s_waitcnt lgkmcnt(0)
	s_add_i32 s15, s11, 1
	s_mov_b32 s11, 0
	s_sub_i32 s17, s12, s34
	s_add_u32 s18, s17, 0xff
	s_addc_u32 s19, 0, 0
	s_lshr_b64 s[18:19], s[18:19], 8
	s_cmp_lt_u32 s15, s10
	s_cselect_b32 s9, s9, s18
	s_cmp_eq_u32 s9, 0
	s_barrier
	s_cbranch_scc1 .LBB103_49
; %bb.27:
	s_mul_i32 s10, s41, s22
	s_mul_i32 s6, s33, s6
	s_add_i32 s18, s10, s23
	s_add_i32 s10, s6, s7
	s_mul_i32 s6, s16, s24
	s_add_i32 s6, s6, s25
	s_lshl_b64 s[16:17], s[10:11], 1
	s_add_u32 s15, s30, s16
	s_mov_b32 s19, s11
	s_addc_u32 s16, s31, s17
	s_lshl_b64 s[18:19], s[18:19], 1
	s_add_u32 s17, s28, s18
	s_mov_b32 s7, s11
	v_mov_b32_e32 v5, 0
	s_addc_u32 s18, s29, s19
	s_lshl_b64 s[6:7], s[6:7], 3
	ds_read_b96 v[1:3], v5 offset:1056
	s_add_u32 s19, s26, s6
	s_addc_u32 s20, s27, s7
	s_and_b32 s10, 0xffff, s40
	s_sext_i32_i16 s6, s40
	s_cmp_gt_i32 s6, -1
	s_mov_b32 s6, 0x8000
	s_cselect_b32 s11, s6, 0xffff
	v_cmp_o_f16_e64 s[6:7], s40, s40
	s_xor_b32 s10, s11, s10
	s_waitcnt lgkmcnt(0)
	v_add_u32_e32 v2, v1, v2
	v_lshrrev_b32_e32 v1, 3, v0
	s_and_b64 s[6:7], s[6:7], exec
	v_and_b32_e32 v1, 28, v1
	s_cselect_b32 s21, s10, 0xffff
	s_bitcmp1_b32 s14, 0
	s_load_dword s10, s[4:5], 0xe8
	s_load_dword s14, s[4:5], 0x1c8
	v_lshl_add_u32 v6, v0, 2, v1
	v_lshrrev_b32_e32 v1, 1, v0
	v_and_b32_e32 v7, 0x7c, v1
	v_add_u32_e32 v1, -1, v0
	v_lshrrev_b32_e32 v4, 3, v1
	v_cmp_gt_u32_e64 s[4:5], 64, v0
	v_lshlrev_b32_e32 v8, 4, v0
	v_and_b32_e32 v4, 0x1ffffffc, v4
	v_add_u32_e32 v0, s34, v0
	v_lshl_add_u32 v9, v1, 2, v4
	s_waitcnt lgkmcnt(0)
	v_mul_lo_u32 v4, s10, v0
	v_mbcnt_lo_u32_b32 v1, -1, 0
	s_cselect_b64 s[6:7], -1, 0
	s_lshl_b32 s22, s10, 8
	v_mov_b32_e32 v10, 0xffff
	v_mov_b32_e32 v11, 0x8000
	v_mbcnt_hi_u32_b32 v12, -1, v1
                                        ; implicit-def: $vgpr13
	s_branch .LBB103_30
.LBB103_28:                             ;   in Loop: Header=BB103_30 Depth=1
	s_or_b64 exec, exec, s[10:11]
	v_add_u32_e32 v2, v16, v2
.LBB103_29:                             ;   in Loop: Header=BB103_30 Depth=1
	s_add_i32 s9, s9, -1
	v_add_u32_e32 v3, v15, v3
	v_add_u32_e32 v4, s22, v4
	s_cmp_lg_u32 s9, 0
	v_add_u32_e32 v0, 0x100, v0
	s_cbranch_scc0 .LBB103_49
.LBB103_30:                             ; =>This Inner Loop Header: Depth=1
	v_cmp_gt_u32_e32 vcc, s12, v0
	v_mov_b32_e32 v1, 0
	v_mov_b32_e32 v14, 0
	s_and_saveexec_b64 s[10:11], vcc
	s_cbranch_execz .LBB103_32
; %bb.31:                               ;   in Loop: Header=BB103_30 Depth=1
	v_lshlrev_b64 v[13:14], 1, v[4:5]
	v_mov_b32_e32 v1, s16
	v_add_co_u32_e32 v13, vcc, s15, v13
	v_addc_co_u32_e32 v14, vcc, v1, v14, vcc
	global_load_ushort v13, v[13:14], off
	s_waitcnt vmcnt(0)
	v_cmp_lt_i16_e32 vcc, -1, v13
	v_cndmask_b32_e32 v1, v10, v11, vcc
	v_xor_b32_sdwa v1, v1, v13 dst_sel:DWORD dst_unused:UNUSED_PAD src0_sel:DWORD src1_sel:WORD_0
	v_cmp_o_f16_e32 vcc, v13, v13
	v_cndmask_b32_e32 v14, v10, v1, vcc
	v_cmp_lt_u32_e32 vcc, s21, v14
	v_cndmask_b32_e64 v1, 0, 1, vcc
	v_cmp_gt_u32_e32 vcc, s21, v14
	v_cndmask_b32_e64 v15, 0, 1, vcc
	v_cndmask_b32_e64 v1, v15, v1, s[6:7]
	v_cmp_eq_u32_e32 vcc, s21, v14
	v_and_b32_e32 v1, 1, v1
	v_cndmask_b32_e64 v14, 0, 1, vcc
.LBB103_32:                             ;   in Loop: Header=BB103_30 Depth=1
	s_or_b64 exec, exec, s[10:11]
	ds_write_b32 v6, v1
	s_waitcnt vmcnt(0) lgkmcnt(0)
	s_barrier
	s_and_saveexec_b64 s[10:11], s[4:5]
	s_cbranch_execz .LBB103_34
; %bb.33:                               ;   in Loop: Header=BB103_30 Depth=1
	v_add_u32_e32 v19, v7, v8
	ds_read2_b32 v[15:16], v19 offset1:1
	ds_read2_b32 v[17:18], v19 offset0:2 offset1:3
	v_and_b32_e32 v20, 15, v12
	v_cmp_ne_u32_e32 vcc, 0, v20
	s_waitcnt lgkmcnt(1)
	v_add_u32_e32 v16, v16, v15
	s_waitcnt lgkmcnt(0)
	v_add3_u32 v16, v16, v17, v18
	v_bfe_i32 v18, v12, 4, 1
	; wave barrier
	s_nop 0
	v_mov_b32_dpp v17, v16 row_shr:1 row_mask:0xf bank_mask:0xf
	v_cndmask_b32_e32 v17, 0, v17, vcc
	v_add_u32_e32 v16, v17, v16
	v_cmp_lt_u32_e32 vcc, 1, v20
	s_nop 0
	v_mov_b32_dpp v17, v16 row_shr:2 row_mask:0xf bank_mask:0xf
	v_cndmask_b32_e32 v17, 0, v17, vcc
	v_add_u32_e32 v16, v16, v17
	v_cmp_lt_u32_e32 vcc, 3, v20
	;; [unrolled: 5-line block ×4, first 2 shown]
	s_nop 0
	v_mov_b32_dpp v17, v16 row_bcast:15 row_mask:0xf bank_mask:0xf
	v_and_b32_e32 v17, v18, v17
	v_add_u32_e32 v16, v16, v17
	v_and_b32_e32 v18, 64, v12
	s_nop 0
	v_mov_b32_dpp v17, v16 row_bcast:31 row_mask:0xf bank_mask:0xf
	v_cndmask_b32_e32 v17, 0, v17, vcc
	v_add_u32_e32 v16, v16, v17
	v_add_u32_e32 v17, -1, v12
	v_cmp_lt_i32_e32 vcc, v17, v18
	v_cndmask_b32_e32 v17, v17, v12, vcc
	v_lshlrev_b32_e32 v17, 2, v17
	ds_bpermute_b32 v16, v17, v16
	s_waitcnt lgkmcnt(0)
	v_add_u32_e32 v15, v16, v15
	v_cndmask_b32_e64 v17, v15, v1, s[2:3]
	ds_write_b32 v19, v17
	; wave barrier
	ds_read2_b32 v[15:16], v19 offset0:1 offset1:2
	ds_read_b32 v18, v19 offset:12
	s_waitcnt lgkmcnt(1)
	v_add_u32_e32 v15, v15, v17
	v_add_u32_e32 v16, v16, v15
	ds_write2_b32 v19, v15, v16 offset0:1 offset1:2
	s_waitcnt lgkmcnt(1)
	v_add_u32_e32 v15, v18, v16
	ds_write_b32 v19, v15 offset:12
.LBB103_34:                             ;   in Loop: Header=BB103_30 Depth=1
	s_or_b64 exec, exec, s[10:11]
	v_mov_b32_e32 v16, 0
	s_waitcnt lgkmcnt(0)
	s_barrier
	s_and_saveexec_b64 s[10:11], s[0:1]
; %bb.35:                               ;   in Loop: Header=BB103_30 Depth=1
	ds_read_b32 v16, v9
; %bb.36:                               ;   in Loop: Header=BB103_30 Depth=1
	s_or_b64 exec, exec, s[10:11]
	ds_read_b32 v15, v5 offset:1048
	v_cmp_ne_u32_e32 vcc, 0, v1
	s_waitcnt lgkmcnt(0)
	s_barrier
	s_and_saveexec_b64 s[10:11], vcc
	s_cbranch_execz .LBB103_38
; %bb.37:                               ;   in Loop: Header=BB103_30 Depth=1
	v_add_u32_e32 v1, v16, v3
	v_mul_lo_u32 v16, v1, s14
	v_mov_b32_e32 v17, v5
	v_mov_b32_e32 v18, s18
	v_mov_b32_e32 v19, v5
	v_lshlrev_b64 v[16:17], 1, v[16:17]
	v_add_co_u32_e32 v16, vcc, s17, v16
	v_addc_co_u32_e32 v17, vcc, v18, v17, vcc
	v_mul_lo_u32 v18, v1, s8
	global_store_short v[16:17], v13, off
	v_mov_b32_e32 v1, v5
	v_lshlrev_b64 v[16:17], 3, v[18:19]
	v_mov_b32_e32 v18, s20
	v_add_co_u32_e32 v16, vcc, s19, v16
	v_addc_co_u32_e32 v17, vcc, v18, v17, vcc
	global_store_dwordx2 v[16:17], v[0:1], off
.LBB103_38:                             ;   in Loop: Header=BB103_30 Depth=1
	s_or_b64 exec, exec, s[10:11]
	v_cmp_le_u32_e32 vcc, s13, v2
	s_cbranch_vccnz .LBB103_29
; %bb.39:                               ;   in Loop: Header=BB103_30 Depth=1
	ds_write_b32 v6, v14
	s_waitcnt vmcnt(0) lgkmcnt(0)
	s_barrier
	s_and_saveexec_b64 s[10:11], s[4:5]
	s_cbranch_execz .LBB103_41
; %bb.40:                               ;   in Loop: Header=BB103_30 Depth=1
	v_add_u32_e32 v1, v7, v8
	ds_read2_b32 v[16:17], v1 offset1:1
	ds_read2_b32 v[18:19], v1 offset0:2 offset1:3
	v_and_b32_e32 v20, 15, v12
	v_cmp_ne_u32_e32 vcc, 0, v20
	s_waitcnt lgkmcnt(1)
	v_add_u32_e32 v17, v17, v16
	s_waitcnt lgkmcnt(0)
	v_add3_u32 v17, v17, v18, v19
	v_bfe_i32 v19, v12, 4, 1
	; wave barrier
	s_nop 0
	v_mov_b32_dpp v18, v17 row_shr:1 row_mask:0xf bank_mask:0xf
	v_cndmask_b32_e32 v18, 0, v18, vcc
	v_add_u32_e32 v17, v18, v17
	v_cmp_lt_u32_e32 vcc, 1, v20
	s_nop 0
	v_mov_b32_dpp v18, v17 row_shr:2 row_mask:0xf bank_mask:0xf
	v_cndmask_b32_e32 v18, 0, v18, vcc
	v_add_u32_e32 v17, v17, v18
	v_cmp_lt_u32_e32 vcc, 3, v20
	s_nop 0
	v_mov_b32_dpp v18, v17 row_shr:4 row_mask:0xf bank_mask:0xf
	v_cndmask_b32_e32 v18, 0, v18, vcc
	v_add_u32_e32 v17, v17, v18
	v_cmp_lt_u32_e32 vcc, 7, v20
	s_nop 0
	v_mov_b32_dpp v18, v17 row_shr:8 row_mask:0xf bank_mask:0xf
	v_cndmask_b32_e32 v18, 0, v18, vcc
	v_add_u32_e32 v17, v17, v18
	v_cmp_lt_u32_e32 vcc, 31, v12
	s_nop 0
	v_mov_b32_dpp v18, v17 row_bcast:15 row_mask:0xf bank_mask:0xf
	v_and_b32_e32 v18, v19, v18
	v_add_u32_e32 v17, v17, v18
	v_and_b32_e32 v19, 64, v12
	s_nop 0
	v_mov_b32_dpp v18, v17 row_bcast:31 row_mask:0xf bank_mask:0xf
	v_cndmask_b32_e32 v18, 0, v18, vcc
	v_add_u32_e32 v17, v17, v18
	v_add_u32_e32 v18, -1, v12
	v_cmp_lt_i32_e32 vcc, v18, v19
	v_cndmask_b32_e32 v18, v18, v12, vcc
	v_lshlrev_b32_e32 v18, 2, v18
	ds_bpermute_b32 v17, v18, v17
	s_waitcnt lgkmcnt(0)
	v_add_u32_e32 v16, v17, v16
	v_cndmask_b32_e64 v18, v16, v14, s[2:3]
	ds_write_b32 v1, v18
	; wave barrier
	ds_read2_b32 v[16:17], v1 offset0:1 offset1:2
	ds_read_b32 v19, v1 offset:12
	s_waitcnt lgkmcnt(1)
	v_add_u32_e32 v16, v16, v18
	v_add_u32_e32 v17, v17, v16
	ds_write2_b32 v1, v16, v17 offset0:1 offset1:2
	s_waitcnt lgkmcnt(1)
	v_add_u32_e32 v16, v19, v17
	ds_write_b32 v1, v16 offset:12
.LBB103_41:                             ;   in Loop: Header=BB103_30 Depth=1
	s_or_b64 exec, exec, s[10:11]
	v_mov_b32_e32 v1, 0
	s_waitcnt lgkmcnt(0)
	s_barrier
	s_and_saveexec_b64 s[10:11], s[0:1]
; %bb.42:                               ;   in Loop: Header=BB103_30 Depth=1
	ds_read_b32 v1, v9
; %bb.43:                               ;   in Loop: Header=BB103_30 Depth=1
	s_or_b64 exec, exec, s[10:11]
	ds_read_b32 v16, v5 offset:1048
	v_cmp_ne_u32_e32 vcc, 0, v14
	s_waitcnt lgkmcnt(0)
	s_barrier
	s_and_saveexec_b64 s[10:11], vcc
	s_cbranch_execz .LBB103_28
; %bb.44:                               ;   in Loop: Header=BB103_30 Depth=1
	v_add_u32_e32 v1, v1, v2
	v_cmp_gt_u32_e32 vcc, s13, v1
	s_and_b64 exec, exec, vcc
	s_cbranch_execz .LBB103_28
; %bb.45:                               ;   in Loop: Header=BB103_30 Depth=1
	v_mul_lo_u32 v17, v1, s14
	v_mov_b32_e32 v18, v5
	v_mul_lo_u32 v19, v1, s8
	v_mov_b32_e32 v14, s18
	v_lshlrev_b64 v[17:18], 1, v[17:18]
	v_mov_b32_e32 v20, v5
	v_add_co_u32_e32 v17, vcc, s17, v17
	v_addc_co_u32_e32 v18, vcc, v14, v18, vcc
	global_store_short v[17:18], v13, off
	v_lshlrev_b64 v[17:18], 3, v[19:20]
	v_mov_b32_e32 v14, s20
	v_add_co_u32_e32 v17, vcc, s19, v17
	v_mov_b32_e32 v1, v5
	v_addc_co_u32_e32 v18, vcc, v14, v18, vcc
	global_store_dwordx2 v[17:18], v[0:1], off
	s_branch .LBB103_28
.LBB103_46:                             ;   in Loop: Header=BB103_47 Depth=1
	s_add_u32 s16, s16, 4
	s_addc_u32 s17, s17, 0
	s_waitcnt lgkmcnt(0)
	s_add_i32 s42, s15, s42
	s_add_u32 s18, s18, 4
	s_addc_u32 s19, s19, 0
	s_add_i32 s14, s14, 1
	s_cmp_lt_u32 s14, s10
	s_cbranch_scc0 .LBB103_25
.LBB103_47:                             ; =>This Inner Loop Header: Depth=1
	s_load_dword s15, s[16:17], 0x0
	s_cmp_ge_u32 s14, s11
	s_cbranch_scc1 .LBB103_46
; %bb.48:                               ;   in Loop: Header=BB103_47 Depth=1
	s_load_dword s34, s[18:19], 0x0
	s_waitcnt lgkmcnt(0)
	s_add_i32 s21, s15, s21
	s_add_i32 s20, s34, s20
	s_branch .LBB103_46
.LBB103_49:
	s_endpgm
	.section	.rodata,"a",@progbits
	.p2align	6, 0x0
	.amdhsa_kernel _ZN2at6native6mbtopk10gatherTopKIN3c104HalfEjLin1EEEvNS_4cuda6detail10TensorInfoIKT_T0_EESA_SA_bjSA_NS7_IS8_SA_EESA_NS7_IlSA_EESA_jjPS8_PjSF_j
		.amdhsa_group_segment_fixed_size 1068
		.amdhsa_private_segment_fixed_size 0
		.amdhsa_kernarg_size 984
		.amdhsa_user_sgpr_count 6
		.amdhsa_user_sgpr_private_segment_buffer 1
		.amdhsa_user_sgpr_dispatch_ptr 0
		.amdhsa_user_sgpr_queue_ptr 0
		.amdhsa_user_sgpr_kernarg_segment_ptr 1
		.amdhsa_user_sgpr_dispatch_id 0
		.amdhsa_user_sgpr_flat_scratch_init 0
		.amdhsa_user_sgpr_private_segment_size 0
		.amdhsa_uses_dynamic_stack 0
		.amdhsa_system_sgpr_private_segment_wavefront_offset 0
		.amdhsa_system_sgpr_workgroup_id_x 1
		.amdhsa_system_sgpr_workgroup_id_y 1
		.amdhsa_system_sgpr_workgroup_id_z 1
		.amdhsa_system_sgpr_workgroup_info 0
		.amdhsa_system_vgpr_workitem_id 0
		.amdhsa_next_free_vgpr 21
		.amdhsa_next_free_sgpr 46
		.amdhsa_reserve_vcc 1
		.amdhsa_reserve_flat_scratch 0
		.amdhsa_float_round_mode_32 0
		.amdhsa_float_round_mode_16_64 0
		.amdhsa_float_denorm_mode_32 3
		.amdhsa_float_denorm_mode_16_64 3
		.amdhsa_dx10_clamp 1
		.amdhsa_ieee_mode 1
		.amdhsa_fp16_overflow 0
		.amdhsa_exception_fp_ieee_invalid_op 0
		.amdhsa_exception_fp_denorm_src 0
		.amdhsa_exception_fp_ieee_div_zero 0
		.amdhsa_exception_fp_ieee_overflow 0
		.amdhsa_exception_fp_ieee_underflow 0
		.amdhsa_exception_fp_ieee_inexact 0
		.amdhsa_exception_int_div_zero 0
	.end_amdhsa_kernel
	.section	.text._ZN2at6native6mbtopk10gatherTopKIN3c104HalfEjLin1EEEvNS_4cuda6detail10TensorInfoIKT_T0_EESA_SA_bjSA_NS7_IS8_SA_EESA_NS7_IlSA_EESA_jjPS8_PjSF_j,"axG",@progbits,_ZN2at6native6mbtopk10gatherTopKIN3c104HalfEjLin1EEEvNS_4cuda6detail10TensorInfoIKT_T0_EESA_SA_bjSA_NS7_IS8_SA_EESA_NS7_IlSA_EESA_jjPS8_PjSF_j,comdat
.Lfunc_end103:
	.size	_ZN2at6native6mbtopk10gatherTopKIN3c104HalfEjLin1EEEvNS_4cuda6detail10TensorInfoIKT_T0_EESA_SA_bjSA_NS7_IS8_SA_EESA_NS7_IlSA_EESA_jjPS8_PjSF_j, .Lfunc_end103-_ZN2at6native6mbtopk10gatherTopKIN3c104HalfEjLin1EEEvNS_4cuda6detail10TensorInfoIKT_T0_EESA_SA_bjSA_NS7_IS8_SA_EESA_NS7_IlSA_EESA_jjPS8_PjSF_j
                                        ; -- End function
	.set _ZN2at6native6mbtopk10gatherTopKIN3c104HalfEjLin1EEEvNS_4cuda6detail10TensorInfoIKT_T0_EESA_SA_bjSA_NS7_IS8_SA_EESA_NS7_IlSA_EESA_jjPS8_PjSF_j.num_vgpr, 21
	.set _ZN2at6native6mbtopk10gatherTopKIN3c104HalfEjLin1EEEvNS_4cuda6detail10TensorInfoIKT_T0_EESA_SA_bjSA_NS7_IS8_SA_EESA_NS7_IlSA_EESA_jjPS8_PjSF_j.num_agpr, 0
	.set _ZN2at6native6mbtopk10gatherTopKIN3c104HalfEjLin1EEEvNS_4cuda6detail10TensorInfoIKT_T0_EESA_SA_bjSA_NS7_IS8_SA_EESA_NS7_IlSA_EESA_jjPS8_PjSF_j.numbered_sgpr, 46
	.set _ZN2at6native6mbtopk10gatherTopKIN3c104HalfEjLin1EEEvNS_4cuda6detail10TensorInfoIKT_T0_EESA_SA_bjSA_NS7_IS8_SA_EESA_NS7_IlSA_EESA_jjPS8_PjSF_j.num_named_barrier, 0
	.set _ZN2at6native6mbtopk10gatherTopKIN3c104HalfEjLin1EEEvNS_4cuda6detail10TensorInfoIKT_T0_EESA_SA_bjSA_NS7_IS8_SA_EESA_NS7_IlSA_EESA_jjPS8_PjSF_j.private_seg_size, 0
	.set _ZN2at6native6mbtopk10gatherTopKIN3c104HalfEjLin1EEEvNS_4cuda6detail10TensorInfoIKT_T0_EESA_SA_bjSA_NS7_IS8_SA_EESA_NS7_IlSA_EESA_jjPS8_PjSF_j.uses_vcc, 1
	.set _ZN2at6native6mbtopk10gatherTopKIN3c104HalfEjLin1EEEvNS_4cuda6detail10TensorInfoIKT_T0_EESA_SA_bjSA_NS7_IS8_SA_EESA_NS7_IlSA_EESA_jjPS8_PjSF_j.uses_flat_scratch, 0
	.set _ZN2at6native6mbtopk10gatherTopKIN3c104HalfEjLin1EEEvNS_4cuda6detail10TensorInfoIKT_T0_EESA_SA_bjSA_NS7_IS8_SA_EESA_NS7_IlSA_EESA_jjPS8_PjSF_j.has_dyn_sized_stack, 0
	.set _ZN2at6native6mbtopk10gatherTopKIN3c104HalfEjLin1EEEvNS_4cuda6detail10TensorInfoIKT_T0_EESA_SA_bjSA_NS7_IS8_SA_EESA_NS7_IlSA_EESA_jjPS8_PjSF_j.has_recursion, 0
	.set _ZN2at6native6mbtopk10gatherTopKIN3c104HalfEjLin1EEEvNS_4cuda6detail10TensorInfoIKT_T0_EESA_SA_bjSA_NS7_IS8_SA_EESA_NS7_IlSA_EESA_jjPS8_PjSF_j.has_indirect_call, 0
	.section	.AMDGPU.csdata,"",@progbits
; Kernel info:
; codeLenInByte = 2840
; TotalNumSgprs: 50
; NumVgprs: 21
; ScratchSize: 0
; MemoryBound: 0
; FloatMode: 240
; IeeeMode: 1
; LDSByteSize: 1068 bytes/workgroup (compile time only)
; SGPRBlocks: 6
; VGPRBlocks: 5
; NumSGPRsForWavesPerEU: 50
; NumVGPRsForWavesPerEU: 21
; Occupancy: 10
; WaveLimiterHint : 1
; COMPUTE_PGM_RSRC2:SCRATCH_EN: 0
; COMPUTE_PGM_RSRC2:USER_SGPR: 6
; COMPUTE_PGM_RSRC2:TRAP_HANDLER: 0
; COMPUTE_PGM_RSRC2:TGID_X_EN: 1
; COMPUTE_PGM_RSRC2:TGID_Y_EN: 1
; COMPUTE_PGM_RSRC2:TGID_Z_EN: 1
; COMPUTE_PGM_RSRC2:TIDIG_COMP_CNT: 0
	.section	.text._ZN2at6native6sbtopk10gatherTopKIN3c104HalfEjLin1ELb0EEEvNS_4cuda6detail10TensorInfoIKT_T0_EESA_SA_bSA_SA_NS7_IS8_SA_EESA_NS7_IlSA_EESA_PS8_,"axG",@progbits,_ZN2at6native6sbtopk10gatherTopKIN3c104HalfEjLin1ELb0EEEvNS_4cuda6detail10TensorInfoIKT_T0_EESA_SA_bSA_SA_NS7_IS8_SA_EESA_NS7_IlSA_EESA_PS8_,comdat
	.protected	_ZN2at6native6sbtopk10gatherTopKIN3c104HalfEjLin1ELb0EEEvNS_4cuda6detail10TensorInfoIKT_T0_EESA_SA_bSA_SA_NS7_IS8_SA_EESA_NS7_IlSA_EESA_PS8_ ; -- Begin function _ZN2at6native6sbtopk10gatherTopKIN3c104HalfEjLin1ELb0EEEvNS_4cuda6detail10TensorInfoIKT_T0_EESA_SA_bSA_SA_NS7_IS8_SA_EESA_NS7_IlSA_EESA_PS8_
	.globl	_ZN2at6native6sbtopk10gatherTopKIN3c104HalfEjLin1ELb0EEEvNS_4cuda6detail10TensorInfoIKT_T0_EESA_SA_bSA_SA_NS7_IS8_SA_EESA_NS7_IlSA_EESA_PS8_
	.p2align	8
	.type	_ZN2at6native6sbtopk10gatherTopKIN3c104HalfEjLin1ELb0EEEvNS_4cuda6detail10TensorInfoIKT_T0_EESA_SA_bSA_SA_NS7_IS8_SA_EESA_NS7_IlSA_EESA_PS8_,@function
_ZN2at6native6sbtopk10gatherTopKIN3c104HalfEjLin1ELb0EEEvNS_4cuda6detail10TensorInfoIKT_T0_EESA_SA_bSA_SA_NS7_IS8_SA_EESA_NS7_IlSA_EESA_PS8_: ; @_ZN2at6native6sbtopk10gatherTopKIN3c104HalfEjLin1ELb0EEEvNS_4cuda6detail10TensorInfoIKT_T0_EESA_SA_bSA_SA_NS7_IS8_SA_EESA_NS7_IlSA_EESA_PS8_
; %bb.0:
	s_load_dwordx2 s[14:15], s[4:5], 0x2b8
	s_load_dwordx4 s[36:39], s[4:5], 0xd8
	s_mov_b64 s[22:23], s[4:5]
	s_add_u32 s12, s22, 0x2b8
	s_addc_u32 s13, s23, 0
	s_waitcnt lgkmcnt(0)
	s_mul_i32 s0, s15, s8
	s_add_i32 s0, s0, s7
	s_mul_i32 s0, s0, s14
	s_add_i32 s55, s0, s6
	s_cmp_ge_u32 s55, s39
	s_cbranch_scc1 .LBB104_437
; %bb.1:
	s_load_dword s2, s[22:23], 0xd0
	s_load_dword s33, s[22:23], 0xe8
	s_mov_b32 s1, 0
	s_mov_b32 s0, s55
	s_waitcnt lgkmcnt(0)
	s_cmp_lt_i32 s2, 2
	s_cbranch_scc1 .LBB104_4
; %bb.2:
	s_add_i32 s0, s2, -1
	s_add_i32 s4, s2, 1
	s_lshl_b64 s[2:3], s[0:1], 2
	s_add_u32 s0, s22, s2
	s_addc_u32 s3, s23, s3
	s_add_u32 s2, s0, 8
	s_addc_u32 s3, s3, 0
	s_mov_b32 s0, s55
.LBB104_3:                              ; =>This Inner Loop Header: Depth=1
	s_load_dword s5, s[2:3], 0x0
	s_load_dword s8, s[2:3], 0x64
	s_mov_b32 s7, s0
	s_waitcnt lgkmcnt(0)
	v_cvt_f32_u32_e32 v1, s5
	s_sub_i32 s0, 0, s5
	v_rcp_iflag_f32_e32 v1, v1
	v_mul_f32_e32 v1, 0x4f7ffffe, v1
	v_cvt_u32_f32_e32 v1, v1
	v_readfirstlane_b32 s9, v1
	s_mul_i32 s0, s0, s9
	s_mul_hi_u32 s0, s9, s0
	s_add_i32 s9, s9, s0
	s_mul_hi_u32 s0, s7, s9
	s_mul_i32 s9, s0, s5
	s_sub_i32 s9, s7, s9
	s_add_i32 s10, s0, 1
	s_sub_i32 s11, s9, s5
	s_cmp_ge_u32 s9, s5
	s_cselect_b32 s0, s10, s0
	s_cselect_b32 s9, s11, s9
	s_add_i32 s10, s0, 1
	s_cmp_ge_u32 s9, s5
	s_cselect_b32 s0, s10, s0
	s_mul_i32 s5, s0, s5
	s_sub_i32 s5, s7, s5
	s_mul_i32 s5, s8, s5
	s_add_i32 s4, s4, -1
	s_add_i32 s1, s5, s1
	s_add_u32 s2, s2, -4
	s_addc_u32 s3, s3, -1
	s_cmp_gt_u32 s4, 2
	s_cbranch_scc1 .LBB104_3
.LBB104_4:
	s_load_dword s5, s[22:23], 0x1c0
	s_add_u32 s2, s22, 0xf0
	s_addc_u32 s3, s23, 0
	s_mov_b32 s41, 0
	s_mov_b32 s20, s55
	s_waitcnt lgkmcnt(0)
	s_cmp_lt_i32 s5, 2
	s_cbranch_scc1 .LBB104_7
; %bb.5:
	s_add_i32 s40, s5, -1
	s_add_i32 s4, s5, 1
	s_lshl_b64 s[8:9], s[40:41], 2
	s_add_u32 s5, s2, s8
	s_addc_u32 s7, s3, s9
	s_add_u32 s8, s5, 8
	s_addc_u32 s9, s7, 0
	s_mov_b32 s20, s55
.LBB104_6:                              ; =>This Inner Loop Header: Depth=1
	s_load_dword s5, s[8:9], 0x0
	s_load_dword s10, s[8:9], 0x64
	s_mov_b32 s7, s20
	s_waitcnt lgkmcnt(0)
	v_cvt_f32_u32_e32 v1, s5
	s_sub_i32 s11, 0, s5
	v_rcp_iflag_f32_e32 v1, v1
	v_mul_f32_e32 v1, 0x4f7ffffe, v1
	v_cvt_u32_f32_e32 v1, v1
	v_readfirstlane_b32 s15, v1
	s_mul_i32 s11, s11, s15
	s_mul_hi_u32 s11, s15, s11
	s_add_i32 s15, s15, s11
	s_mul_hi_u32 s11, s20, s15
	s_mul_i32 s15, s11, s5
	s_sub_i32 s15, s20, s15
	s_add_i32 s16, s11, 1
	s_sub_i32 s17, s15, s5
	s_cmp_ge_u32 s15, s5
	s_cselect_b32 s11, s16, s11
	s_cselect_b32 s15, s17, s15
	s_add_i32 s16, s11, 1
	s_cmp_ge_u32 s15, s5
	s_cselect_b32 s20, s16, s11
	s_mul_i32 s5, s20, s5
	s_sub_i32 s5, s7, s5
	s_mul_i32 s5, s10, s5
	s_add_i32 s4, s4, -1
	s_add_i32 s41, s5, s41
	s_add_u32 s8, s8, -4
	s_addc_u32 s9, s9, -1
	s_cmp_gt_u32 s4, 2
	s_cbranch_scc1 .LBB104_6
.LBB104_7:
	s_load_dword s4, s[22:23], 0x6c
	s_load_dword s9, s[22:23], 0x2a0
	s_add_u32 s7, s22, 0x1d0
	s_addc_u32 s8, s23, 0
	s_mov_b32 s43, 0
	s_waitcnt lgkmcnt(0)
	s_cmp_lt_i32 s9, 2
	s_cbranch_scc1 .LBB104_10
; %bb.8:
	s_add_i32 s42, s9, -1
	s_add_i32 s5, s9, 1
	s_lshl_b64 s[10:11], s[42:43], 2
	s_add_u32 s7, s7, s10
	s_addc_u32 s9, s8, s11
	s_add_u32 s8, s7, 8
	s_addc_u32 s9, s9, 0
.LBB104_9:                              ; =>This Inner Loop Header: Depth=1
	s_load_dword s7, s[8:9], 0x0
	s_load_dword s11, s[8:9], 0x64
	s_mov_b32 s10, s55
	s_waitcnt lgkmcnt(0)
	v_cvt_f32_u32_e32 v1, s7
	s_sub_i32 s15, 0, s7
	v_rcp_iflag_f32_e32 v1, v1
	v_mul_f32_e32 v1, 0x4f7ffffe, v1
	v_cvt_u32_f32_e32 v1, v1
	v_readfirstlane_b32 s16, v1
	s_mul_i32 s15, s15, s16
	s_mul_hi_u32 s15, s16, s15
	s_add_i32 s16, s16, s15
	s_mul_hi_u32 s15, s55, s16
	s_mul_i32 s16, s15, s7
	s_sub_i32 s16, s55, s16
	s_add_i32 s17, s15, 1
	s_sub_i32 s18, s16, s7
	s_cmp_ge_u32 s16, s7
	s_cselect_b32 s15, s17, s15
	s_cselect_b32 s16, s18, s16
	s_add_i32 s17, s15, 1
	s_cmp_ge_u32 s16, s7
	s_cselect_b32 s55, s17, s15
	s_mul_i32 s7, s55, s7
	s_sub_i32 s7, s10, s7
	s_mul_i32 s7, s11, s7
	s_add_i32 s5, s5, -1
	s_add_i32 s43, s7, s43
	s_add_u32 s8, s8, -4
	s_addc_u32 s9, s9, -1
	s_cmp_gt_u32 s5, 2
	s_cbranch_scc1 .LBB104_9
.LBB104_10:
	s_load_dword s2, s[2:3], 0x6c
                                        ; implicit-def: $vgpr52 : SGPR spill to VGPR lane
	s_mov_b32 s49, 0
	v_cmp_eq_u32_e64 s[10:11], 0, v0
	s_waitcnt lgkmcnt(0)
	v_writelane_b32 v52, s2, 0
	s_load_dwordx2 s[2:3], s[22:23], 0x0
	s_load_dwordx2 s[8:9], s[22:23], 0xf0
	s_waitcnt lgkmcnt(0)
	v_writelane_b32 v52, s8, 1
	v_writelane_b32 v52, s9, 2
	;; [unrolled: 1-line block ×3, first 2 shown]
	s_load_dwordx2 s[8:9], s[22:23], 0x1d0
	v_writelane_b32 v52, s23, 4
	s_waitcnt lgkmcnt(0)
	v_writelane_b32 v52, s8, 5
	v_writelane_b32 v52, s9, 6
	s_mov_b64 s[8:9], exec
	v_writelane_b32 v52, s10, 7
	v_writelane_b32 v52, s11, 8
	s_and_b64 s[10:11], s[8:9], s[10:11]
	s_mov_b64 exec, s[10:11]
; %bb.11:
	v_mov_b32_e32 v1, 0
	v_mov_b32_e32 v2, s36
	;; [unrolled: 1-line block ×3, first 2 shown]
	ds_write_b96 v1, v[1:3] offset:4096
; %bb.12:
	s_or_b64 exec, exec, s[8:9]
	s_mul_i32 s0, s4, s0
	s_add_i32 s48, s0, s1
	s_lshl_b64 s[0:1], s[48:49], 1
	s_add_u32 s40, s2, s0
	s_addc_u32 s42, s3, s1
	s_waitcnt lgkmcnt(0)
	s_barrier
	s_load_dword s0, s[12:13], 0xc
	s_bitcmp1_b32 s38, 0
	s_cselect_b64 s[2:3], -1, 0
	v_writelane_b32 v52, s2, 9
	v_writelane_b32 v52, s3, 10
	s_xor_b64 s[2:3], s[2:3], -1
	v_mbcnt_lo_u32_b32 v1, -1, 0
	v_writelane_b32 v52, s2, 11
	v_mbcnt_hi_u32_b32 v24, -1, v1
	v_writelane_b32 v52, s3, 12
	s_waitcnt lgkmcnt(0)
	s_and_b32 s48, s0, 0xffff
	v_cmp_gt_u32_e32 vcc, 64, v0
	v_cmp_gt_i32_e64 s[2:3], 4, v24
	s_lshl_b32 s21, s48, 2
	s_bfe_u32 s4, s0, 0xa0006
	s_and_b64 s[2:3], vcc, s[2:3]
	v_writelane_b32 v52, s2, 13
	s_cmpk_gt_u32 s36, 0x600
	v_mul_lo_u32 v7, s33, v0
	v_writelane_b32 v52, s3, 14
	s_cselect_b64 s[2:3], -1, 0
	v_writelane_b32 v52, s2, 15
	v_mov_b32_e32 v9, 0
	s_cmp_gt_u32 s48, 63
	v_writelane_b32 v52, s3, 16
	v_mov_b32_e32 v8, v9
	s_cselect_b64 s[2:3], -1, 0
	v_lshlrev_b64 v[1:2], 1, v[7:8]
	v_writelane_b32 v52, s2, 17
	v_writelane_b32 v52, s3, 18
	v_cmp_gt_u32_e64 s[2:3], 2, v0
	v_mov_b32_e32 v3, s42
	v_add_co_u32_e32 v5, vcc, s40, v1
	v_writelane_b32 v52, s2, 19
	v_addc_co_u32_e32 v6, vcc, v3, v2, vcc
	v_writelane_b32 v52, s3, 20
	s_add_i32 s2, s48, -1
	v_lshlrev_b64 v[2:3], v24, -1
	v_writelane_b32 v52, s2, 21
	s_add_i32 s2, s2, s36
	v_not_b32_e32 v22, v2
	v_lshrrev_b32_e32 v2, 2, v0
	s_cmp_lt_u32 s6, s14
	v_and_b32_e32 v2, 0xf0, v2
	s_cselect_b32 s3, 12, 18
	v_or_b32_e32 v27, 0xc00, v2
	s_add_u32 s6, s12, s3
	v_add_u32_e32 v2, 2, v0
	s_addc_u32 s7, s13, 0
	v_max_u32_e32 v2, s36, v2
	v_writelane_b32 v52, s6, 22
	v_xad_u32 v2, v0, -1, v2
	v_not_b32_e32 v21, v3
	v_writelane_b32 v52, s7, 23
	v_add_u32_e32 v3, -2, v2
	v_cmp_lt_u32_e64 s[6:7], 31, v2
	v_lshrrev_b32_e32 v4, 1, v3
	v_writelane_b32 v52, s6, 24
	v_add_u32_e32 v4, 1, v4
	v_writelane_b32 v52, s7, 25
	v_cmp_lt_u32_e64 s[6:7], 13, v3
	v_and_b32_e32 v12, 7, v4
	v_writelane_b32 v52, s6, 26
	v_writelane_b32 v52, s7, 27
	v_cmp_ne_u32_e64 s[6:7], 0, v12
	v_and_b32_e32 v28, -2, v2
	v_writelane_b32 v52, s6, 28
	v_writelane_b32 v52, s7, 29
	v_cmp_ne_u32_e64 s[6:7], v2, v28
	v_cvt_f32_u32_e32 v2, s21
	s_add_i32 s3, s4, -1
	s_bfe_u32 s5, s48, 0x30006
	s_and_b32 s3, s3, 0xffff
	v_rcp_iflag_f32_e32 v2, v2
	v_writelane_b32 v52, s6, 30
	s_cmp_gt_u32 s3, 6
	v_writelane_b32 v52, s7, 31
	s_cselect_b64 s[6:7], -1, 0
	v_mul_f32_e32 v2, 0x4f7ffffe, v2
	v_writelane_b32 v52, s6, 32
	s_and_b32 s23, s4, 0x3f8
	v_cvt_u32_f32_e32 v2, v2
	v_writelane_b32 v52, s7, 33
	s_cmp_lg_u32 s5, 0
	v_writelane_b32 v52, s5, 34
	s_cselect_b64 s[4:5], -1, 0
	v_writelane_b32 v52, s4, 35
	v_writelane_b32 v52, s5, 36
	s_sub_i32 s3, 0, s21
	v_readfirstlane_b32 s4, v2
	s_mul_i32 s3, s3, s4
	s_mul_hi_u32 s3, s4, s3
	s_add_i32 s3, s4, s3
	v_writelane_b32 v52, s3, 37
	s_mul_hi_u32 s3, s36, s3
	s_mul_i32 s3, s3, s21
	v_cvt_f32_u32_e32 v2, s48
	s_sub_i32 s3, s36, s3
	s_sub_i32 s4, s3, s21
	s_cmp_ge_u32 s3, s21
	v_and_b32_e32 v30, -8, v4
	s_cselect_b32 s3, s4, s3
	v_rcp_iflag_f32_e32 v4, v2
	s_sub_i32 s4, s3, s21
	s_cmp_ge_u32 s3, s21
	s_cselect_b32 s3, s4, s3
	v_lshlrev_b32_e32 v23, 2, v0
	s_sub_i32 s60, s36, s3
	v_mul_f32_e32 v4, 0x4f7ffffe, v4
	v_cmp_gt_u32_e64 s[4:5], s60, v23
	v_cvt_u32_f32_e32 v4, v4
	v_add_u32_e32 v31, s60, v0
	v_writelane_b32 v52, s4, 38
	v_writelane_b32 v52, s5, 39
	v_cmp_gt_u32_e64 s[4:5], s36, v31
	v_writelane_b32 v52, s4, 40
	v_writelane_b32 v52, s5, 41
	s_sub_i32 s4, 0, s48
	v_readfirstlane_b32 s5, v4
	s_mul_i32 s4, s4, s5
	v_mul_lo_u32 v8, v31, s33
	s_mul_hi_u32 s4, s5, s4
	s_add_i32 s4, s5, s4
	v_writelane_b32 v52, s4, 42
	s_mul_hi_u32 s4, s2, s4
	s_mul_i32 s4, s4, s48
	v_lshlrev_b64 v[2:3], 1, v[8:9]
	s_sub_i32 s4, s2, s4
	s_sub_i32 s5, s4, s48
	v_add_co_u32_e32 v10, vcc, s40, v2
	s_cmp_ge_u32 s4, s48
	v_mul_lo_u32 v2, s33, v23
	s_cselect_b32 s4, s5, s4
	s_sub_i32 s5, s4, s48
	s_cmp_ge_u32 s4, s48
	s_cselect_b32 s4, s5, s4
	v_add_u32_e32 v33, s33, v2
	v_or_b32_e32 v2, 2, v23
	s_sub_i32 s61, s2, s4
	v_mul_lo_u32 v34, s33, v2
	v_or_b32_e32 v2, 3, v23
	s_add_i32 s2, s48, s36
	v_mul_lo_u32 v35, s33, v2
	v_add_u32_e32 v2, s2, v0
	v_subrev_u32_e32 v2, s3, v2
	v_cmp_gt_u32_e64 s[4:5], s61, v0
	v_mul_lo_u32 v36, s33, v2
	v_writelane_b32 v52, s4, 43
	v_cmp_gt_u32_e64 s[52:53], s36, v0
	v_lshlrev_b32_e32 v25, 1, v0
	v_lshlrev_b32_e32 v1, 2, v24
	v_mov_b32_e32 v8, s42
	v_writelane_b32 v52, s5, 44
	s_mul_i32 s54, s33, s48
	v_cmp_eq_u32_e64 s[0:1], 0, v24
	v_add_u32_e32 v26, 0xc00, v25
	v_and_b32_e32 v20, 0x100, v1
	v_add_u32_e32 v29, v0, v28
	s_mov_b32 s22, s33
	v_addc_co_u32_e32 v11, vcc, v8, v3, vcc
	v_lshlrev_b32_e32 v32, 2, v12
	s_lshl_b32 s10, s54, 2
	s_lshl_b32 s11, s48, 3
	;; [unrolled: 1-line block ×3, first 2 shown]
	v_or_b32_e32 v38, 0xc00, v1
	s_mov_b32 s38, 14
	s_mov_b64 s[62:63], 0
	v_lshlrev_b32_e32 v39, 2, v7
	v_lshlrev_b32_e32 v40, 3, v0
	v_mov_b32_e32 v47, s37
	v_mov_b32_e32 v41, 0xffff
	;; [unrolled: 1-line block ×3, first 2 shown]
	v_mov_b32_e32 v43, -1
	v_mov_b32_e32 v44, 0x5040100
	v_mov_b32_e32 v46, 0
	;; [unrolled: 1-line block ×4, first 2 shown]
	v_writelane_b32 v52, s52, 45
                                        ; implicit-def: $sgpr64_sgpr65
                                        ; implicit-def: $sgpr66_sgpr67
                                        ; implicit-def: $sgpr68_sgpr69
                                        ; implicit-def: $sgpr72_sgpr73
                                        ; implicit-def: $sgpr70_sgpr71
                                        ; implicit-def: $sgpr74_sgpr75
                                        ; implicit-def: $sgpr76_sgpr77
                                        ; implicit-def: $sgpr78_sgpr79
                                        ; implicit-def: $sgpr80_sgpr81
                                        ; implicit-def: $sgpr82_sgpr83
	v_writelane_b32 v52, s53, 46
	s_branch .LBB104_15
.LBB104_13:                             ;   in Loop: Header=BB104_15 Depth=1
	s_or_b64 exec, exec, s[12:13]
	s_andn2_b64 s[12:13], s[82:83], exec
	s_and_b64 s[8:9], s[8:9], exec
	s_or_b64 s[82:83], s[12:13], s[8:9]
	s_andn2_b64 s[80:81], s[80:81], exec
	s_andn2_b64 s[78:79], s[78:79], exec
	;; [unrolled: 1-line block ×4, first 2 shown]
	s_orn2_b64 s[6:7], s[6:7], exec
	v_mov_b32_e32 v47, v4
.LBB104_14:                             ;   in Loop: Header=BB104_15 Depth=1
	s_or_b64 exec, exec, s[2:3]
	s_and_b64 s[2:3], exec, s[6:7]
	s_or_b64 s[62:63], s[2:3], s[62:63]
	s_andn2_b64 s[2:3], s[70:71], exec
	s_and_b64 s[6:7], s[82:83], exec
	s_or_b64 s[70:71], s[2:3], s[6:7]
	s_andn2_b64 s[2:3], s[72:73], exec
	s_and_b64 s[6:7], s[80:81], exec
	;; [unrolled: 3-line block ×5, first 2 shown]
	s_or_b64 s[64:65], s[2:3], s[6:7]
	s_andn2_b64 exec, exec, s[62:63]
	s_cbranch_execz .LBB104_433
.LBB104_15:                             ; =>This Loop Header: Depth=1
                                        ;     Child Loop BB104_20 Depth 2
                                        ;     Child Loop BB104_41 Depth 2
	;; [unrolled: 1-line block ×26, first 2 shown]
	ds_read_b64 v[1:2], v9 offset:4096
	s_waitcnt lgkmcnt(0)
	v_readfirstlane_b32 s16, v1
	s_cmp_lg_u32 s16, 0
	s_cbranch_scc1 .LBB104_60
; %bb.16:                               ;   in Loop: Header=BB104_15 Depth=1
	v_readlane_b32 s2, v52, 15
	v_readlane_b32 s3, v52, 16
	s_and_b64 vcc, exec, s[2:3]
	s_cbranch_vccz .LBB104_28
; %bb.17:                               ;   in Loop: Header=BB104_15 Depth=1
	s_movk_i32 s5, 0x601
	v_cmp_gt_u32_e32 vcc, s5, v2
	s_mov_b64 s[2:3], 0
	s_mov_b64 s[6:7], 0
	s_cbranch_vccz .LBB104_29
; %bb.18:                               ;   in Loop: Header=BB104_15 Depth=1
	v_readlane_b32 s6, v52, 22
	v_readlane_b32 s7, v52, 23
	s_nop 4
	global_load_ushort v1, v9, s[6:7]
	global_load_ushort v4, v[5:6], off
	s_mov_b64 s[12:13], 0
	v_mov_b32_e32 v3, v0
	s_waitcnt vmcnt(1)
	v_add_u32_e32 v2, v0, v1
	v_mul_lo_u32 v8, s33, v2
	v_mul_lo_u32 v2, s33, v1
	s_branch .LBB104_20
.LBB104_19:                             ;   in Loop: Header=BB104_20 Depth=2
	s_or_b64 exec, exec, s[6:7]
	v_add_u32_e32 v8, v8, v2
	v_mov_b32_e32 v4, v12
	s_andn2_b64 exec, exec, s[12:13]
	s_cbranch_execz .LBB104_35
.LBB104_20:                             ;   Parent Loop BB104_15 Depth=1
                                        ; =>  This Inner Loop Header: Depth=2
	v_add_u32_e32 v3, v3, v1
	v_cmp_gt_u32_e64 s[6:7], s36, v3
	v_cmp_le_u32_e32 vcc, s36, v3
	s_waitcnt lgkmcnt(0)
	v_mov_b32_e32 v13, 0
	v_mov_b32_e32 v12, 0
	s_and_saveexec_b64 s[8:9], s[6:7]
	s_cbranch_execz .LBB104_22
; %bb.21:                               ;   in Loop: Header=BB104_20 Depth=2
	v_lshlrev_b64 v[14:15], 1, v[8:9]
	v_mov_b32_e32 v12, s42
	v_add_co_u32_e64 v14, s[6:7], s40, v14
	v_addc_co_u32_e64 v15, s[6:7], v12, v15, s[6:7]
	global_load_ushort v12, v[14:15], off
.LBB104_22:                             ;   in Loop: Header=BB104_20 Depth=2
	s_or_b64 exec, exec, s[8:9]
	s_waitcnt vmcnt(0)
	v_cmp_lt_i16_e64 s[6:7], -1, v4
	v_cndmask_b32_e64 v14, v41, v42, s[6:7]
	v_xor_b32_sdwa v14, v14, v4 dst_sel:DWORD dst_unused:UNUSED_PAD src0_sel:DWORD src1_sel:WORD_0
	v_cmp_o_f16_e64 s[6:7], v4, v4
	v_cndmask_b32_e64 v14, v41, v14, s[6:7]
	v_and_b32_e32 v14, v14, v45
	v_cmp_eq_u32_e64 s[26:27], v14, v37
	s_cmp_lg_u64 s[26:27], 0
	s_cselect_b64 s[6:7], -1, 0
	s_and_b64 s[6:7], s[0:1], s[6:7]
	s_and_saveexec_b64 s[8:9], s[6:7]
	s_cbranch_execz .LBB104_26
; %bb.23:                               ;   in Loop: Header=BB104_20 Depth=2
	s_mov_b64 s[16:17], exec
	v_mbcnt_lo_u32_b32 v13, s16, 0
	v_mbcnt_hi_u32_b32 v13, s17, v13
	s_bcnt1_i32_b64 s5, s[26:27]
	v_cmp_eq_u32_e64 s[6:7], 0, v13
                                        ; implicit-def: $vgpr14
	s_and_saveexec_b64 s[14:15], s[6:7]
; %bb.24:                               ;   in Loop: Header=BB104_20 Depth=2
	s_bcnt1_i32_b64 s6, s[16:17]
	s_mul_i32 s6, s5, s6
	v_mov_b32_e32 v14, s6
	ds_add_rtn_u32 v14, v9, v14 offset:4104
; %bb.25:                               ;   in Loop: Header=BB104_20 Depth=2
	s_or_b64 exec, exec, s[14:15]
	s_waitcnt lgkmcnt(0)
	v_readfirstlane_b32 s6, v14
	v_mov_b32_e32 v14, s6
	v_mad_u32_u24 v13, s5, v13, v14
.LBB104_26:                             ;   in Loop: Header=BB104_20 Depth=2
	s_or_b64 exec, exec, s[8:9]
	ds_bpermute_b32 v13, v20, v13
	s_and_b64 s[6:7], exec, vcc
	s_or_b64 s[12:13], s[6:7], s[12:13]
	s_and_saveexec_b64 s[6:7], s[26:27]
	s_cbranch_execz .LBB104_19
; %bb.27:                               ;   in Loop: Header=BB104_20 Depth=2
	v_and_b32_e32 v15, s26, v22
	v_and_b32_e32 v14, s27, v21
	v_bcnt_u32_b32 v15, v15, 0
	v_bcnt_u32_b32 v14, v14, v15
	v_lshlrev_b32_e32 v14, 1, v14
	s_waitcnt lgkmcnt(0)
	v_lshl_add_u32 v13, v13, 1, v14
	ds_write_b16 v13, v4
	s_branch .LBB104_19
.LBB104_28:                             ;   in Loop: Header=BB104_15 Depth=1
	s_mov_b64 s[2:3], -1
	s_mov_b64 s[6:7], 0
.LBB104_29:                             ;   in Loop: Header=BB104_15 Depth=1
	s_and_b64 vcc, exec, s[2:3]
	s_cbranch_vccz .LBB104_58
.LBB104_30:                             ;   in Loop: Header=BB104_15 Depth=1
	s_and_saveexec_b64 s[26:27], s[52:53]
	s_cbranch_execz .LBB104_55
; %bb.31:                               ;   in Loop: Header=BB104_15 Depth=1
	v_readlane_b32 s2, v52, 22
	v_readlane_b32 s3, v52, 23
	s_nop 4
	global_load_ushort v1, v9, s[2:3]
	global_load_ushort v16, v[5:6], off
	s_waitcnt vmcnt(1)
	v_add_u32_e32 v12, v0, v1
	v_readfirstlane_b32 s5, v1
	v_cmp_gt_u32_e32 vcc, s36, v12
	v_mov_b32_e32 v1, v0
	s_and_saveexec_b64 s[30:31], vcc
	s_cbranch_execz .LBB104_54
; %bb.32:                               ;   in Loop: Header=BB104_15 Depth=1
	s_mov_b64 s[6:7], 0
	s_mul_i32 s12, s33, s5
                                        ; implicit-def: $vgpr1
                                        ; implicit-def: $vgpr3
                                        ; implicit-def: $vgpr2
	s_mov_b64 s[2:3], exec
	v_readlane_b32 s8, v52, 24
	v_readlane_b32 s9, v52, 25
	s_and_b64 s[8:9], s[2:3], s[8:9]
	s_xor_b64 s[34:35], s[8:9], s[2:3]
	s_mov_b64 exec, s[8:9]
	s_cbranch_execnz .LBB104_38
; %bb.33:                               ;   in Loop: Header=BB104_15 Depth=1
	s_andn2_saveexec_b64 s[2:3], s[34:35]
	s_cbranch_execnz .LBB104_49
.LBB104_34:                             ;   in Loop: Header=BB104_15 Depth=1
	s_or_b64 exec, exec, s[2:3]
	s_and_saveexec_b64 s[2:3], s[6:7]
	s_cbranch_execnz .LBB104_50
	s_branch .LBB104_53
.LBB104_35:                             ;   in Loop: Header=BB104_15 Depth=1
	s_or_b64 exec, exec, s[12:13]
	s_waitcnt lgkmcnt(0)
	s_barrier
	s_mov_b64 s[6:7], exec
	v_readlane_b32 s8, v52, 7
	v_readlane_b32 s9, v52, 8
	s_and_b64 s[8:9], s[6:7], s[8:9]
	s_mov_b64 exec, s[8:9]
	s_cbranch_execz .LBB104_37
; %bb.36:                               ;   in Loop: Header=BB104_15 Depth=1
	ds_read_b32 v1, v9 offset:4104
	s_waitcnt lgkmcnt(0)
	ds_write_b32 v9, v1 offset:4096
.LBB104_37:                             ;   in Loop: Header=BB104_15 Depth=1
	s_or_b64 exec, exec, s[6:7]
	s_waitcnt lgkmcnt(0)
	s_barrier
	s_mov_b64 s[6:7], -1
	s_and_b64 vcc, exec, s[2:3]
	s_cbranch_vccnz .LBB104_30
	s_branch .LBB104_58
.LBB104_38:                             ;   in Loop: Header=BB104_15 Depth=1
	v_cvt_f32_u32_e32 v1, s5
	s_sub_i32 s3, 0, s5
	v_add_u32_e32 v2, s5, v12
	v_max_u32_e32 v2, s36, v2
	v_rcp_iflag_f32_e32 v1, v1
	s_lshl_b32 s2, s5, 1
	v_sub_u32_e32 v2, v2, v0
	v_cmp_ne_u32_e32 vcc, s2, v2
	v_mul_f32_e32 v1, 0x4f7ffffe, v1
	v_cvt_u32_f32_e32 v1, v1
	v_cndmask_b32_e64 v8, 0, 1, vcc
	v_or_b32_e32 v8, s2, v8
	v_sub_u32_e32 v2, v2, v8
	v_mul_lo_u32 v3, s3, v1
	s_not_b32 s6, s12
	s_ashr_i32 s13, s6, 31
	s_abs_i32 s8, s12
	v_mul_hi_u32 v3, v1, v3
	v_mul_lo_u32 v4, s33, v12
	s_cmp_eq_u32 s5, 1
	s_mov_b64 s[2:3], -1
	v_add_u32_e32 v1, v1, v3
	v_mul_hi_u32 v3, v2, v1
	v_xor_b32_e32 v4, s13, v4
                                        ; implicit-def: $vgpr1
	v_mul_lo_u32 v8, v3, s5
	v_add_u32_e32 v13, 1, v3
	v_sub_u32_e32 v2, v2, v8
	v_subrev_u32_e32 v8, s5, v2
	v_cmp_le_u32_e64 s[6:7], s5, v2
	v_cndmask_b32_e64 v3, v3, v13, s[6:7]
	v_cndmask_b32_e64 v2, v2, v8, s[6:7]
	v_add_u32_e32 v8, 1, v3
	v_cmp_le_u32_e64 s[6:7], s5, v2
	v_cndmask_b32_e64 v2, v3, v8, s[6:7]
	v_addc_co_u32_e32 v2, vcc, 0, v2, vcc
	v_mul_hi_u32 v3, s8, v2
	v_mul_lo_u32 v2, s8, v2
	s_cselect_b64 s[8:9], -1, 0
	v_cmp_eq_u32_e32 vcc, 0, v3
	v_cmp_le_u32_e64 s[6:7], v2, v4
	s_and_b64 s[8:9], vcc, s[8:9]
	s_and_b64 s[8:9], s[8:9], s[6:7]
	v_mov_b32_e32 v3, v0
	s_and_saveexec_b64 s[6:7], s[8:9]
	s_cbranch_execz .LBB104_48
; %bb.39:                               ;   in Loop: Header=BB104_15 Depth=1
	v_add_u32_e32 v13, 1, v12
	v_mov_b32_e32 v15, v13
	s_waitcnt vmcnt(0)
	v_lshlrev_b32_e32 v17, 16, v16
	v_mov_b32_e32 v1, 0
	v_mov_b32_e32 v14, v12
                                        ; implicit-def: $vgpr16
	s_mov_b64 s[44:45], exec
	v_readlane_b32 s2, v52, 26
	v_readlane_b32 s3, v52, 27
	s_and_b64 s[2:3], s[44:45], s[2:3]
	s_mov_b64 exec, s[2:3]
	s_cbranch_execz .LBB104_43
; %bb.40:                               ;   in Loop: Header=BB104_15 Depth=1
	v_mov_b32_e32 v15, v13
	s_mov_b32 s2, 0
	s_mov_b64 s[84:85], 0
	v_mov_b32_e32 v48, v30
	v_mov_b32_e32 v49, v25
	;; [unrolled: 1-line block ×3, first 2 shown]
	s_mov_b32 s3, 0x5040100
.LBB104_41:                             ;   Parent Loop BB104_15 Depth=1
                                        ; =>  This Inner Loop Header: Depth=2
	v_mul_lo_u32 v8, v14, s33
	v_mul_lo_u32 v1, v15, s22
	v_mov_b32_e32 v13, s42
	v_add_u32_e32 v48, -8, v48
	v_lshlrev_b64 v[2:3], 1, v[8:9]
	s_add_i32 s2, s2, 16
	v_add_co_u32_e32 v18, vcc, s40, v2
	v_mov_b32_e32 v2, v9
	v_lshlrev_b64 v[1:2], 1, v[1:2]
	v_addc_co_u32_e32 v19, vcc, v13, v3, vcc
	v_add_co_u32_e32 v1, vcc, s40, v1
	v_addc_co_u32_e32 v2, vcc, v13, v2, vcc
	global_load_ushort v3, v[18:19], off
	s_nop 0
	global_load_ushort v18, v[1:2], off
	v_add_u32_e32 v2, 2, v15
	v_mul_lo_u32 v2, v2, s22
	s_waitcnt vmcnt(1)
	v_alignbit_b32 v1, v3, v17, 16
	v_add_u32_e32 v3, 2, v14
	v_mul_lo_u32 v8, v3, s33
	v_lshlrev_b64 v[3:4], 1, v[8:9]
	v_add_co_u32_e32 v16, vcc, s40, v3
	v_mov_b32_e32 v3, v9
	v_lshlrev_b64 v[2:3], 1, v[2:3]
	v_addc_co_u32_e32 v17, vcc, v13, v4, vcc
	v_add_co_u32_e32 v2, vcc, s40, v2
	v_addc_co_u32_e32 v3, vcc, v13, v3, vcc
	global_load_ushort v4, v[16:17], off
	global_load_ushort v19, v[2:3], off
	v_add_u32_e32 v3, 4, v15
	v_mul_lo_u32 v3, v3, s22
	s_waitcnt vmcnt(1)
	v_perm_b32 v2, v4, v18, s3
	v_add_u32_e32 v4, 4, v14
	v_mul_lo_u32 v8, v4, s33
	v_mov_b32_e32 v4, v9
	v_lshlrev_b64 v[3:4], 1, v[3:4]
	v_lshlrev_b64 v[16:17], 1, v[8:9]
	v_add_co_u32_e32 v16, vcc, s40, v16
	v_addc_co_u32_e32 v17, vcc, v13, v17, vcc
	v_add_co_u32_e32 v3, vcc, s40, v3
	v_addc_co_u32_e32 v4, vcc, v13, v4, vcc
	global_load_ushort v8, v[16:17], off
	s_nop 0
	global_load_ushort v4, v[3:4], off
	v_add_u32_e32 v16, 6, v15
	v_mul_lo_u32 v16, v16, s22
	s_waitcnt vmcnt(1)
	v_perm_b32 v3, v8, v19, s3
	v_add_u32_e32 v8, 6, v14
	v_mul_lo_u32 v8, v8, s33
	v_lshlrev_b64 v[17:18], 1, v[8:9]
	v_add_co_u32_e32 v50, vcc, s40, v17
	v_mov_b32_e32 v17, v9
	v_lshlrev_b64 v[16:17], 1, v[16:17]
	v_addc_co_u32_e32 v51, vcc, v13, v18, vcc
	v_add_co_u32_e32 v16, vcc, s40, v16
	v_addc_co_u32_e32 v17, vcc, v13, v17, vcc
	global_load_ushort v8, v[50:51], off
	global_load_ushort v18, v[16:17], off
	s_waitcnt vmcnt(1)
	v_perm_b32 v4, v8, v4, s3
	ds_write_b128 v49, v[1:4]
	v_add_u32_e32 v2, 8, v14
	v_mul_lo_u32 v8, v2, s33
	v_add_u32_e32 v1, 8, v15
	v_mul_lo_u32 v1, v1, s22
	v_lshlrev_b64 v[2:3], 1, v[8:9]
	v_add_co_u32_e32 v16, vcc, s40, v2
	v_mov_b32_e32 v2, v9
	v_lshlrev_b64 v[1:2], 1, v[1:2]
	v_addc_co_u32_e32 v17, vcc, v13, v3, vcc
	v_add_co_u32_e32 v1, vcc, s40, v1
	v_addc_co_u32_e32 v2, vcc, v13, v2, vcc
	global_load_ushort v3, v[16:17], off
	global_load_ushort v19, v[1:2], off
	v_add_u32_e32 v2, 10, v15
	v_mul_lo_u32 v2, v2, s22
	s_waitcnt vmcnt(1)
	v_perm_b32 v1, v3, v18, s3
	v_add_u32_e32 v3, 10, v14
	v_mul_lo_u32 v8, v3, s33
	v_lshlrev_b64 v[3:4], 1, v[8:9]
	v_add_co_u32_e32 v16, vcc, s40, v3
	v_mov_b32_e32 v3, v9
	v_lshlrev_b64 v[2:3], 1, v[2:3]
	v_addc_co_u32_e32 v17, vcc, v13, v4, vcc
	v_add_co_u32_e32 v2, vcc, s40, v2
	v_addc_co_u32_e32 v3, vcc, v13, v3, vcc
	global_load_ushort v4, v[16:17], off
	global_load_ushort v18, v[2:3], off
	v_add_u32_e32 v3, 12, v15
	v_mul_lo_u32 v3, v3, s22
	s_waitcnt vmcnt(1)
	v_perm_b32 v2, v4, v19, s3
	v_add_u32_e32 v4, 12, v14
	v_mul_lo_u32 v8, v4, s33
	v_mov_b32_e32 v4, v9
	v_lshlrev_b64 v[3:4], 1, v[3:4]
	v_mov_b32_e32 v19, v9
	v_lshlrev_b64 v[16:17], 1, v[8:9]
	v_add_co_u32_e32 v16, vcc, s40, v16
	v_addc_co_u32_e32 v17, vcc, v13, v17, vcc
	v_add_co_u32_e32 v3, vcc, s40, v3
	v_addc_co_u32_e32 v4, vcc, v13, v4, vcc
	global_load_ushort v8, v[16:17], off
	s_nop 0
	global_load_ushort v4, v[3:4], off
	v_add_u32_e32 v16, 14, v15
	v_add_u32_e32 v15, 16, v15
	s_waitcnt vmcnt(1)
	v_perm_b32 v3, v8, v18, s3
	v_add_u32_e32 v8, 14, v14
	v_mul_lo_u32 v8, v8, s33
	v_mul_lo_u32 v18, v16, s22
	v_add_u32_e32 v14, 16, v14
	v_lshlrev_b64 v[16:17], 1, v[8:9]
	v_lshlrev_b64 v[18:19], 1, v[18:19]
	v_add_co_u32_e32 v16, vcc, s40, v16
	v_addc_co_u32_e32 v17, vcc, v13, v17, vcc
	v_add_co_u32_e32 v18, vcc, s40, v18
	v_addc_co_u32_e32 v19, vcc, v13, v19, vcc
	global_load_ushort v8, v[16:17], off
	s_nop 0
	global_load_ushort v16, v[18:19], off
	v_cmp_eq_u32_e32 vcc, 0, v48
	s_or_b64 s[84:85], vcc, s[84:85]
	s_waitcnt vmcnt(1)
	v_perm_b32 v4, v8, v4, s3
	s_waitcnt vmcnt(0)
	v_perm_b32 v17, v16, v8, s3
	ds_write_b128 v49, v[1:4] offset:16
	v_add_u32_e32 v49, 32, v49
	v_mov_b32_e32 v1, s2
	s_andn2_b64 exec, exec, s[84:85]
	s_cbranch_execnz .LBB104_41
; %bb.42:                               ;   in Loop: Header=BB104_15 Depth=1
	s_or_b64 exec, exec, s[84:85]
.LBB104_43:                             ;   in Loop: Header=BB104_15 Depth=1
	s_or_b64 exec, exec, s[44:45]
	s_mov_b64 s[2:3], exec
	v_readlane_b32 s8, v52, 28
	v_readlane_b32 s9, v52, 29
	s_and_b64 s[8:9], s[2:3], s[8:9]
	s_mov_b64 exec, s[8:9]
	s_cbranch_execz .LBB104_47
; %bb.44:                               ;   in Loop: Header=BB104_15 Depth=1
	v_lshl_add_u32 v1, v1, 1, v25
	s_mov_b64 s[8:9], 0
	v_mov_b32_e32 v2, v32
	s_mov_b32 s13, 0x5040100
.LBB104_45:                             ;   Parent Loop BB104_15 Depth=1
                                        ; =>  This Inner Loop Header: Depth=2
	v_mul_lo_u32 v8, v14, s33
	v_mul_lo_u32 v3, v15, s22
	v_mov_b32_e32 v4, v9
	v_mov_b32_e32 v13, s42
	v_lshlrev_b64 v[18:19], 1, v[8:9]
	v_lshlrev_b64 v[3:4], 1, v[3:4]
	v_add_co_u32_e32 v18, vcc, s40, v18
	v_addc_co_u32_e32 v19, vcc, v13, v19, vcc
	v_add_co_u32_e32 v3, vcc, s40, v3
	v_addc_co_u32_e32 v4, vcc, v13, v4, vcc
	global_load_ushort v8, v[18:19], off
	global_load_ushort v16, v[3:4], off
	v_add_u32_e32 v2, -4, v2
	v_cmp_eq_u32_e32 vcc, 0, v2
	v_add_u32_e32 v15, 2, v15
	v_add_u32_e32 v14, 2, v14
	s_or_b64 s[8:9], vcc, s[8:9]
	s_waitcnt vmcnt(1)
	v_alignbit_b32 v4, v8, v17, 16
	s_waitcnt vmcnt(0)
	v_perm_b32 v3, v16, v8, s13
	ds_write_b32 v1, v4
	v_add_u32_e32 v1, 4, v1
	v_mov_b32_e32 v17, v3
	s_andn2_b64 exec, exec, s[8:9]
	s_cbranch_execnz .LBB104_45
; %bb.46:                               ;   in Loop: Header=BB104_15 Depth=1
	s_or_b64 exec, exec, s[8:9]
.LBB104_47:                             ;   in Loop: Header=BB104_15 Depth=1
	s_or_b64 exec, exec, s[2:3]
	v_readlane_b32 s2, v52, 30
	v_add_u32_e32 v12, v12, v28
	v_readlane_b32 s3, v52, 31
	v_add_u32_e32 v1, -1, v12
	s_orn2_b64 s[2:3], s[2:3], exec
	v_mov_b32_e32 v3, v29
.LBB104_48:                             ;   in Loop: Header=BB104_15 Depth=1
	s_or_b64 exec, exec, s[6:7]
	v_mov_b32_e32 v2, s12
	s_and_b64 s[6:7], s[2:3], exec
	s_andn2_saveexec_b64 s[2:3], s[34:35]
	s_cbranch_execz .LBB104_34
.LBB104_49:                             ;   in Loop: Header=BB104_15 Depth=1
	v_mov_b32_e32 v2, s12
	s_or_b64 s[6:7], s[6:7], exec
	v_mov_b32_e32 v3, v0
	s_or_b64 exec, exec, s[2:3]
	s_and_saveexec_b64 s[2:3], s[6:7]
	s_cbranch_execz .LBB104_53
.LBB104_50:                             ;   in Loop: Header=BB104_15 Depth=1
	v_mul_lo_u32 v8, s33, v12
	s_sub_i32 s8, 0, s5
	s_mov_b64 s[6:7], 0
.LBB104_51:                             ;   Parent Loop BB104_15 Depth=1
                                        ; =>  This Inner Loop Header: Depth=2
	v_mov_b32_e32 v4, v12
	v_lshlrev_b64 v[12:13], 1, v[8:9]
	v_mov_b32_e32 v14, s42
	v_add_co_u32_e32 v12, vcc, s40, v12
	v_addc_co_u32_e32 v13, vcc, v14, v13, vcc
	s_waitcnt vmcnt(0)
	v_mov_b32_e32 v1, v16
	global_load_ushort v16, v[12:13], off
	v_add_u32_e32 v12, s5, v4
	v_lshlrev_b32_e32 v3, 1, v3
	v_cmp_le_u32_e32 vcc, s36, v12
	ds_write_b16 v3, v1
	v_add_u32_e32 v8, v8, v2
	s_or_b64 s[6:7], vcc, s[6:7]
	v_mov_b32_e32 v3, v4
	s_andn2_b64 exec, exec, s[6:7]
	s_cbranch_execnz .LBB104_51
; %bb.52:                               ;   in Loop: Header=BB104_15 Depth=1
	s_or_b64 exec, exec, s[6:7]
	v_add_u32_e32 v1, s8, v12
.LBB104_53:                             ;   in Loop: Header=BB104_15 Depth=1
	s_or_b64 exec, exec, s[2:3]
.LBB104_54:                             ;   in Loop: Header=BB104_15 Depth=1
	s_or_b64 exec, exec, s[30:31]
	v_lshlrev_b32_e32 v1, 1, v1
	s_waitcnt vmcnt(0)
	ds_write_b16 v1, v16
.LBB104_55:                             ;   in Loop: Header=BB104_15 Depth=1
	s_or_b64 exec, exec, s[26:27]
	s_waitcnt lgkmcnt(0)
	s_barrier
	s_mov_b64 s[2:3], exec
	v_readlane_b32 s6, v52, 7
	v_readlane_b32 s7, v52, 8
	s_and_b64 s[6:7], s[2:3], s[6:7]
	s_mov_b64 exec, s[6:7]
; %bb.56:                               ;   in Loop: Header=BB104_15 Depth=1
	v_mov_b32_e32 v1, s36
	ds_write_b32 v9, v1 offset:4096
; %bb.57:                               ;   in Loop: Header=BB104_15 Depth=1
	s_or_b64 exec, exec, s[2:3]
	s_mov_b64 s[6:7], -1
	s_waitcnt lgkmcnt(0)
	s_barrier
.LBB104_58:                             ;   in Loop: Header=BB104_15 Depth=1
	s_mov_b32 s16, 0
	s_and_b64 vcc, exec, s[6:7]
	s_cbranch_vccz .LBB104_60
; %bb.59:                               ;   in Loop: Header=BB104_15 Depth=1
	ds_read_b32 v1, v9 offset:4096
	s_waitcnt lgkmcnt(0)
	v_readfirstlane_b32 s16, v1
.LBB104_60:                             ;   in Loop: Header=BB104_15 Depth=1
	s_cmp_lt_i32 s16, 1
	s_mov_b64 s[2:3], -1
                                        ; implicit-def: $vgpr1
	s_cbranch_scc1 .LBB104_70
; %bb.61:                               ;   in Loop: Header=BB104_15 Depth=1
	s_and_b64 vcc, exec, s[2:3]
	s_cbranch_vccnz .LBB104_81
.LBB104_62:                             ;   in Loop: Header=BB104_15 Depth=1
	s_lshl_b32 s5, s49, 6
	s_and_saveexec_b64 s[2:3], s[0:1]
.LBB104_63:                             ;   in Loop: Header=BB104_15 Depth=1
	v_lshl_add_u32 v8, s5, 2, v27
	ds_write_b128 v8, v[1:4]
.LBB104_64:                             ;   in Loop: Header=BB104_15 Depth=1
	s_or_b64 exec, exec, s[2:3]
	s_waitcnt lgkmcnt(0)
	s_barrier
	s_mov_b64 s[2:3], exec
	v_readlane_b32 s6, v52, 13
	v_readlane_b32 s7, v52, 14
	s_and_b64 s[6:7], s[2:3], s[6:7]
	s_mov_b64 exec, s[6:7]
	s_cbranch_execz .LBB104_95
; %bb.65:                               ;   in Loop: Header=BB104_15 Depth=1
	v_readlane_b32 s6, v52, 17
	v_readlane_b32 s7, v52, 18
	s_andn2_b64 vcc, exec, s[6:7]
	v_mov_b32_e32 v1, 0
	s_cbranch_vccnz .LBB104_94
; %bb.66:                               ;   in Loop: Header=BB104_15 Depth=1
	v_readlane_b32 s6, v52, 32
	v_readlane_b32 s7, v52, 33
	s_andn2_b64 vcc, exec, s[6:7]
	s_cbranch_vccnz .LBB104_90
; %bb.67:                               ;   in Loop: Header=BB104_15 Depth=1
	v_lshl_add_u32 v2, s49, 8, v38
	s_mov_b32 s6, 0
	v_mov_b32_e32 v1, 0
.LBB104_68:                             ;   Parent Loop BB104_15 Depth=1
                                        ; =>  This Inner Loop Header: Depth=2
	ds_read2_b32 v[3:4], v2 offset1:4
	ds_read2_b32 v[12:13], v2 offset0:8 offset1:12
	ds_read2_b32 v[14:15], v2 offset0:16 offset1:20
	;; [unrolled: 1-line block ×3, first 2 shown]
	s_add_i32 s6, s6, 8
	s_waitcnt lgkmcnt(3)
	v_add3_u32 v1, v3, v1, v4
	s_waitcnt lgkmcnt(2)
	v_add3_u32 v1, v12, v1, v13
	;; [unrolled: 2-line block ×3, first 2 shown]
	v_add_u32_e32 v2, 0x80, v2
	s_cmp_eq_u32 s23, s6
	s_waitcnt lgkmcnt(0)
	v_add3_u32 v1, v16, v1, v17
	s_cbranch_scc0 .LBB104_68
; %bb.69:                               ;   in Loop: Header=BB104_15 Depth=1
	s_mov_b32 s6, s23
	s_branch .LBB104_91
.LBB104_70:                             ;   in Loop: Header=BB104_15 Depth=1
	v_mov_b32_e32 v1, 0
	v_mov_b32_e32 v2, 0
	;; [unrolled: 1-line block ×4, first 2 shown]
	s_mov_b64 s[84:85], exec
	v_readlane_b32 s2, v52, 38
	v_readlane_b32 s3, v52, 39
	s_and_b64 s[2:3], s[84:85], s[2:3]
	s_mov_b64 exec, s[2:3]
	s_cbranch_execz .LBB104_74
; %bb.71:                               ;   in Loop: Header=BB104_15 Depth=1
	s_mov_b32 s2, 0
	s_mov_b64 s[86:87], 0
	s_mov_b32 s3, 0
	s_mov_b32 s5, 0
	;; [unrolled: 1-line block ×4, first 2 shown]
	v_mov_b32_e32 v12, v23
.LBB104_72:                             ;   Parent Loop BB104_15 Depth=1
                                        ; =>  This Inner Loop Header: Depth=2
	v_add_u32_e32 v8, s2, v39
	v_lshlrev_b64 v[1:2], 1, v[8:9]
	v_mov_b32_e32 v3, s42
	v_add_co_u32_e32 v1, vcc, s40, v1
	v_addc_co_u32_e32 v2, vcc, v3, v2, vcc
	v_add_u32_e32 v8, s2, v33
	global_load_ushort v4, v[1:2], off
	v_lshlrev_b64 v[1:2], 1, v[8:9]
	v_add_u32_e32 v8, s2, v34
	v_add_co_u32_e32 v1, vcc, s40, v1
	v_addc_co_u32_e32 v2, vcc, v3, v2, vcc
	global_load_ushort v13, v[1:2], off
	v_lshlrev_b64 v[1:2], 1, v[8:9]
	v_add_u32_e32 v8, s2, v35
	v_add_co_u32_e32 v1, vcc, s40, v1
	v_addc_co_u32_e32 v2, vcc, v3, v2, vcc
	;; [unrolled: 5-line block ×3, first 2 shown]
	global_load_ushort v1, v[1:2], off
	s_add_i32 s2, s2, s10
	s_waitcnt vmcnt(3)
	v_cmp_lt_i16_e32 vcc, -1, v4
	v_cndmask_b32_e32 v2, v41, v42, vcc
	v_cmp_o_f16_e32 vcc, v4, v4
	v_xor_b32_sdwa v2, v2, v4 dst_sel:DWORD dst_unused:UNUSED_PAD src0_sel:DWORD src1_sel:WORD_0
	v_cndmask_b32_e32 v2, v41, v2, vcc
	s_waitcnt vmcnt(2)
	v_cmp_lt_i16_e32 vcc, -1, v13
	v_cndmask_b32_e32 v3, v41, v42, vcc
	v_cmp_o_f16_e32 vcc, v13, v13
	v_xor_b32_sdwa v3, v3, v13 dst_sel:DWORD dst_unused:UNUSED_PAD src0_sel:DWORD src1_sel:WORD_0
	v_cndmask_b32_e32 v3, v41, v3, vcc
	;; [unrolled: 6-line block ×3, first 2 shown]
	s_waitcnt vmcnt(0)
	v_cmp_lt_i16_e32 vcc, -1, v1
	v_cndmask_b32_e32 v8, v41, v42, vcc
	v_cmp_o_f16_e32 vcc, v1, v1
	v_xor_b32_sdwa v1, v8, v1 dst_sel:DWORD dst_unused:UNUSED_PAD src0_sel:DWORD src1_sel:WORD_0
	v_and_b32_e32 v8, v2, v45
	v_bfe_u32 v2, v2, s38, 2
	v_cndmask_b32_e32 v1, v41, v1, vcc
	v_cmp_eq_u32_e32 vcc, v8, v37
	v_and_b32_e32 v8, v3, v45
	v_bfe_u32 v3, v3, s38, 2
	v_cmp_eq_u32_e64 s[34:35], 0, v2
	v_cmp_eq_u32_e64 s[6:7], v8, v37
	v_and_b32_e32 v8, v4, v45
	v_bfe_u32 v4, v4, s38, 2
	s_and_b64 s[12:13], vcc, s[34:35]
	v_cmp_eq_u32_e64 s[34:35], 0, v3
	v_cmp_eq_u32_e64 s[26:27], v8, v37
	v_and_b32_e32 v8, v1, v45
	v_bfe_u32 v1, v1, s38, 2
	s_and_b64 s[14:15], s[6:7], s[34:35]
	v_cmp_eq_u32_e64 s[34:35], 0, v4
	v_cmp_eq_u32_e64 s[30:31], v8, v37
	s_and_b64 s[18:19], s[26:27], s[34:35]
	v_cmp_eq_u32_e64 s[34:35], 0, v1
	v_cndmask_b32_e64 v8, 0, 1, s[12:13]
	s_and_b64 s[24:25], s[30:31], s[34:35]
	v_cmp_ne_u32_e64 s[34:35], 0, v8
	v_cndmask_b32_e64 v8, 0, 1, s[14:15]
	s_bcnt1_i32_b64 s12, s[34:35]
	v_cmp_ne_u32_e64 s[34:35], 0, v8
	v_cndmask_b32_e64 v8, 0, 1, s[18:19]
	s_bcnt1_i32_b64 s13, s[34:35]
	;; [unrolled: 3-line block ×3, first 2 shown]
	v_cmp_ne_u32_e64 s[34:35], 0, v8
	s_add_i32 s9, s9, s12
	s_bcnt1_i32_b64 s15, s[34:35]
	s_add_i32 s9, s9, s13
	v_cmp_eq_u32_e64 s[34:35], 1, v2
	s_add_i32 s9, s9, s14
	s_and_b64 s[12:13], vcc, s[34:35]
	v_cmp_eq_u32_e64 s[34:35], 1, v3
	s_add_i32 s9, s9, s15
	s_and_b64 s[14:15], s[6:7], s[34:35]
	v_cmp_eq_u32_e64 s[34:35], 1, v4
	s_and_b64 s[18:19], s[26:27], s[34:35]
	v_cmp_eq_u32_e64 s[34:35], 1, v1
	v_cndmask_b32_e64 v8, 0, 1, s[12:13]
	s_and_b64 s[24:25], s[30:31], s[34:35]
	v_cmp_ne_u32_e64 s[34:35], 0, v8
	v_cndmask_b32_e64 v8, 0, 1, s[14:15]
	s_bcnt1_i32_b64 s12, s[34:35]
	v_cmp_ne_u32_e64 s[34:35], 0, v8
	v_cndmask_b32_e64 v8, 0, 1, s[18:19]
	s_bcnt1_i32_b64 s13, s[34:35]
	;; [unrolled: 3-line block ×3, first 2 shown]
	v_cmp_ne_u32_e64 s[34:35], 0, v8
	s_add_i32 s8, s8, s12
	s_bcnt1_i32_b64 s15, s[34:35]
	s_add_i32 s8, s8, s13
	v_cmp_eq_u32_e64 s[34:35], 2, v2
	s_add_i32 s8, s8, s14
	s_and_b64 s[12:13], vcc, s[34:35]
	v_cmp_eq_u32_e64 s[34:35], 2, v3
	s_add_i32 s8, s8, s15
	s_and_b64 s[14:15], s[6:7], s[34:35]
	v_cmp_eq_u32_e64 s[34:35], 2, v4
	s_and_b64 s[18:19], s[26:27], s[34:35]
	v_cmp_eq_u32_e64 s[34:35], 2, v1
	v_cndmask_b32_e64 v8, 0, 1, s[12:13]
	s_and_b64 s[24:25], s[30:31], s[34:35]
	v_cmp_ne_u32_e64 s[34:35], 0, v8
	v_cndmask_b32_e64 v8, 0, 1, s[14:15]
	s_bcnt1_i32_b64 s12, s[34:35]
	v_cmp_ne_u32_e64 s[34:35], 0, v8
	v_cndmask_b32_e64 v8, 0, 1, s[18:19]
	s_bcnt1_i32_b64 s13, s[34:35]
	;; [unrolled: 3-line block ×3, first 2 shown]
	v_cmp_ne_u32_e64 s[34:35], 0, v8
	s_bcnt1_i32_b64 s15, s[34:35]
	s_add_i32 s5, s5, s12
	v_cmp_eq_u32_e64 s[34:35], 3, v2
	s_add_i32 s5, s5, s13
	s_and_b64 s[12:13], vcc, s[34:35]
	v_cmp_eq_u32_e32 vcc, 3, v3
	s_add_i32 s5, s5, s14
	s_and_b64 s[6:7], s[6:7], vcc
	v_cmp_eq_u32_e32 vcc, 3, v4
	s_add_i32 s5, s5, s15
	s_and_b64 s[14:15], s[26:27], vcc
	v_cmp_eq_u32_e32 vcc, 3, v1
	v_cndmask_b32_e64 v1, 0, 1, s[12:13]
	s_and_b64 s[18:19], s[30:31], vcc
	v_cmp_ne_u32_e32 vcc, 0, v1
	v_cndmask_b32_e64 v1, 0, 1, s[6:7]
	s_bcnt1_i32_b64 s12, vcc
	v_cmp_ne_u32_e32 vcc, 0, v1
	v_cndmask_b32_e64 v1, 0, 1, s[14:15]
	s_bcnt1_i32_b64 s6, vcc
	v_cmp_ne_u32_e32 vcc, 0, v1
	v_cndmask_b32_e64 v1, 0, 1, s[18:19]
	s_add_i32 s3, s3, s12
	s_bcnt1_i32_b64 s7, vcc
	v_cmp_ne_u32_e32 vcc, 0, v1
	s_add_i32 s3, s3, s6
	s_bcnt1_i32_b64 s13, vcc
	s_add_i32 s3, s3, s7
	s_add_i32 s3, s3, s13
	v_cmp_le_u32_e32 vcc, s60, v12
	s_or_b64 s[86:87], vcc, s[86:87]
	v_mov_b32_e32 v1, s9
	v_mov_b32_e32 v2, s8
	;; [unrolled: 1-line block ×4, first 2 shown]
	s_andn2_b64 exec, exec, s[86:87]
	s_cbranch_execnz .LBB104_72
; %bb.73:                               ;   in Loop: Header=BB104_15 Depth=1
	s_or_b64 exec, exec, s[86:87]
.LBB104_74:                             ;   in Loop: Header=BB104_15 Depth=1
	s_or_b64 exec, exec, s[84:85]
	s_mov_b64 s[2:3], exec
	v_readlane_b32 s6, v52, 40
	v_readlane_b32 s7, v52, 41
	s_and_b64 s[6:7], s[2:3], s[6:7]
	s_mov_b64 exec, s[6:7]
	s_cbranch_execz .LBB104_80
; %bb.75:                               ;   in Loop: Header=BB104_15 Depth=1
	global_load_ushort v13, v[10:11], off
	s_mov_b64 s[12:13], 0
	v_mov_b32_e32 v8, v36
	v_mov_b32_e32 v12, v31
	s_branch .LBB104_77
.LBB104_76:                             ;   in Loop: Header=BB104_77 Depth=2
	s_or_b64 exec, exec, s[8:9]
	s_and_b64 s[6:7], exec, vcc
	s_waitcnt vmcnt(0)
	v_cmp_lt_i16_e32 vcc, -1, v13
	v_cndmask_b32_e32 v15, v41, v42, vcc
	v_xor_b32_sdwa v15, v15, v13 dst_sel:DWORD dst_unused:UNUSED_PAD src0_sel:DWORD src1_sel:WORD_0
	v_cmp_o_f16_e32 vcc, v13, v13
	v_cndmask_b32_e32 v13, v41, v15, vcc
	v_and_b32_e32 v15, v13, v45
	v_bfe_u32 v13, v13, s38, 2
	s_or_b64 s[12:13], s[6:7], s[12:13]
	v_cmp_eq_u32_e32 vcc, v15, v37
	v_cmp_eq_u32_e64 s[6:7], 0, v13
	s_and_b64 s[6:7], vcc, s[6:7]
	v_cndmask_b32_e64 v15, 0, 1, s[6:7]
	v_cmp_ne_u32_e64 s[6:7], 0, v15
	s_bcnt1_i32_b64 s5, s[6:7]
	v_cmp_eq_u32_e64 s[6:7], 1, v13
	s_and_b64 s[6:7], vcc, s[6:7]
	v_cndmask_b32_e64 v15, 0, 1, s[6:7]
	v_cmp_ne_u32_e64 s[6:7], 0, v15
	v_add_u32_e32 v1, s5, v1
	s_bcnt1_i32_b64 s5, s[6:7]
	v_cmp_eq_u32_e64 s[6:7], 2, v13
	s_and_b64 s[6:7], vcc, s[6:7]
	v_cndmask_b32_e64 v15, 0, 1, s[6:7]
	v_cmp_ne_u32_e64 s[6:7], 0, v15
	v_add_u32_e32 v2, s5, v2
	s_bcnt1_i32_b64 s5, s[6:7]
	v_cmp_eq_u32_e64 s[6:7], 3, v13
	s_and_b64 s[6:7], vcc, s[6:7]
	v_cndmask_b32_e64 v13, 0, 1, s[6:7]
	v_cmp_ne_u32_e32 vcc, 0, v13
	v_add_u32_e32 v3, s5, v3
	s_bcnt1_i32_b64 s5, vcc
	v_add_u32_e32 v4, s5, v4
	v_add_u32_e32 v8, s54, v8
	v_mov_b32_e32 v13, v14
	s_andn2_b64 exec, exec, s[12:13]
	s_cbranch_execz .LBB104_79
.LBB104_77:                             ;   Parent Loop BB104_15 Depth=1
                                        ; =>  This Inner Loop Header: Depth=2
	v_add_u32_e32 v12, s48, v12
	v_cmp_gt_u32_e64 s[6:7], s36, v12
	v_cmp_le_u32_e32 vcc, s36, v12
	v_mov_b32_e32 v14, 0
	s_and_saveexec_b64 s[8:9], s[6:7]
	s_cbranch_execz .LBB104_76
; %bb.78:                               ;   in Loop: Header=BB104_77 Depth=2
	v_lshlrev_b64 v[14:15], 1, v[8:9]
	v_mov_b32_e32 v16, s42
	v_add_co_u32_e64 v14, s[6:7], s40, v14
	v_addc_co_u32_e64 v15, s[6:7], v16, v15, s[6:7]
	global_load_ushort v14, v[14:15], off
	s_branch .LBB104_76
.LBB104_79:                             ;   in Loop: Header=BB104_15 Depth=1
	s_or_b64 exec, exec, s[12:13]
.LBB104_80:                             ;   in Loop: Header=BB104_15 Depth=1
	s_or_b64 exec, exec, s[2:3]
	s_branch .LBB104_62
.LBB104_81:                             ;   in Loop: Header=BB104_15 Depth=1
	v_readlane_b32 s2, v52, 37
	s_mul_hi_u32 s2, s16, s2
	s_mul_i32 s2, s2, s21
	s_sub_i32 s2, s16, s2
	s_sub_i32 s3, s2, s21
	s_cmp_ge_u32 s2, s21
	s_cselect_b32 s2, s3, s2
	s_sub_i32 s3, s2, s21
	s_cmp_ge_u32 s2, s21
	s_cselect_b32 s2, s3, s2
	s_sub_i32 s2, s16, s2
	v_cmp_gt_u32_e32 vcc, s2, v23
	v_mov_b32_e32 v1, 0
	v_mov_b32_e32 v2, 0
	v_mov_b32_e32 v3, 0
	v_mov_b32_e32 v4, 0
	s_and_saveexec_b64 s[84:85], vcc
	s_cbranch_execz .LBB104_85
; %bb.82:                               ;   in Loop: Header=BB104_15 Depth=1
	s_mov_b32 s3, 0
	s_mov_b64 s[86:87], 0
	v_mov_b32_e32 v8, v40
	s_mov_b32 s5, 0
	s_mov_b32 s8, 0
	;; [unrolled: 1-line block ×3, first 2 shown]
	v_mov_b32_e32 v12, v23
.LBB104_83:                             ;   Parent Loop BB104_15 Depth=1
                                        ; =>  This Inner Loop Header: Depth=2
	ds_read_b64 v[1:2], v8
	v_add_u32_e32 v12, s21, v12
	v_add_u32_e32 v8, s11, v8
	s_waitcnt lgkmcnt(0)
	v_cmp_lt_i16_e32 vcc, -1, v1
	v_cndmask_b32_e32 v3, v41, v42, vcc
	v_cmp_o_f16_e32 vcc, v1, v1
	v_xor_b32_sdwa v3, v3, v1 dst_sel:DWORD dst_unused:UNUSED_PAD src0_sel:DWORD src1_sel:WORD_0
	v_cndmask_b32_e32 v3, v41, v3, vcc
	v_cmp_gt_i16_sdwa vcc, v1, v43 src0_sel:WORD_1 src1_sel:DWORD
	v_cndmask_b32_e32 v4, v41, v42, vcc
	v_cmp_o_f16_sdwa vcc, v1, v1 src0_sel:WORD_1 src1_sel:WORD_1
	v_xor_b32_sdwa v1, v4, v1 dst_sel:DWORD dst_unused:UNUSED_PAD src0_sel:DWORD src1_sel:WORD_1
	v_cndmask_b32_e32 v1, v41, v1, vcc
	v_cmp_lt_i16_e32 vcc, -1, v2
	v_cndmask_b32_e32 v4, v41, v42, vcc
	v_cmp_o_f16_e32 vcc, v2, v2
	v_xor_b32_sdwa v4, v4, v2 dst_sel:DWORD dst_unused:UNUSED_PAD src0_sel:DWORD src1_sel:WORD_0
	v_cndmask_b32_e32 v4, v41, v4, vcc
	v_cmp_gt_i16_sdwa vcc, v2, v43 src0_sel:WORD_1 src1_sel:DWORD
	v_cndmask_b32_e32 v13, v41, v42, vcc
	v_cmp_o_f16_sdwa vcc, v2, v2 src0_sel:WORD_1 src1_sel:WORD_1
	v_xor_b32_sdwa v2, v13, v2 dst_sel:DWORD dst_unused:UNUSED_PAD src0_sel:DWORD src1_sel:WORD_1
	v_and_b32_e32 v13, v3, v45
	v_bfe_u32 v3, v3, s38, 2
	v_cndmask_b32_e32 v2, v41, v2, vcc
	v_cmp_eq_u32_e32 vcc, v13, v37
	v_and_b32_e32 v13, v1, v45
	v_bfe_u32 v1, v1, s38, 2
	v_cmp_eq_u32_e64 s[34:35], 0, v3
	v_cmp_eq_u32_e64 s[6:7], v13, v37
	v_and_b32_e32 v13, v4, v45
	v_bfe_u32 v4, v4, s38, 2
	s_and_b64 s[12:13], vcc, s[34:35]
	v_cmp_eq_u32_e64 s[34:35], 0, v1
	v_cmp_eq_u32_e64 s[26:27], v13, v37
	v_and_b32_e32 v13, v2, v45
	v_bfe_u32 v2, v2, s38, 2
	s_and_b64 s[14:15], s[6:7], s[34:35]
	v_cmp_eq_u32_e64 s[34:35], 0, v4
	v_cmp_eq_u32_e64 s[30:31], v13, v37
	s_and_b64 s[18:19], s[26:27], s[34:35]
	v_cmp_eq_u32_e64 s[34:35], 0, v2
	v_cndmask_b32_e64 v13, 0, 1, s[12:13]
	s_and_b64 s[24:25], s[30:31], s[34:35]
	v_cmp_ne_u32_e64 s[34:35], 0, v13
	v_cndmask_b32_e64 v13, 0, 1, s[14:15]
	s_bcnt1_i32_b64 s12, s[34:35]
	v_cmp_ne_u32_e64 s[34:35], 0, v13
	v_cndmask_b32_e64 v13, 0, 1, s[18:19]
	s_bcnt1_i32_b64 s13, s[34:35]
	;; [unrolled: 3-line block ×3, first 2 shown]
	v_cmp_ne_u32_e64 s[34:35], 0, v13
	s_add_i32 s9, s9, s12
	s_bcnt1_i32_b64 s15, s[34:35]
	s_add_i32 s9, s9, s13
	v_cmp_eq_u32_e64 s[34:35], 1, v3
	s_add_i32 s9, s9, s14
	s_and_b64 s[12:13], vcc, s[34:35]
	v_cmp_eq_u32_e64 s[34:35], 1, v1
	s_add_i32 s9, s9, s15
	s_and_b64 s[14:15], s[6:7], s[34:35]
	v_cmp_eq_u32_e64 s[34:35], 1, v4
	s_and_b64 s[18:19], s[26:27], s[34:35]
	v_cmp_eq_u32_e64 s[34:35], 1, v2
	v_cndmask_b32_e64 v13, 0, 1, s[12:13]
	s_and_b64 s[24:25], s[30:31], s[34:35]
	v_cmp_ne_u32_e64 s[34:35], 0, v13
	v_cndmask_b32_e64 v13, 0, 1, s[14:15]
	s_bcnt1_i32_b64 s12, s[34:35]
	v_cmp_ne_u32_e64 s[34:35], 0, v13
	v_cndmask_b32_e64 v13, 0, 1, s[18:19]
	s_bcnt1_i32_b64 s13, s[34:35]
	;; [unrolled: 3-line block ×3, first 2 shown]
	v_cmp_ne_u32_e64 s[34:35], 0, v13
	s_add_i32 s8, s8, s12
	s_bcnt1_i32_b64 s15, s[34:35]
	s_add_i32 s8, s8, s13
	v_cmp_eq_u32_e64 s[34:35], 2, v3
	s_add_i32 s8, s8, s14
	s_and_b64 s[12:13], vcc, s[34:35]
	v_cmp_eq_u32_e64 s[34:35], 2, v1
	s_add_i32 s8, s8, s15
	s_and_b64 s[14:15], s[6:7], s[34:35]
	v_cmp_eq_u32_e64 s[34:35], 2, v4
	s_and_b64 s[18:19], s[26:27], s[34:35]
	v_cmp_eq_u32_e64 s[34:35], 2, v2
	v_cndmask_b32_e64 v13, 0, 1, s[12:13]
	s_and_b64 s[24:25], s[30:31], s[34:35]
	v_cmp_ne_u32_e64 s[34:35], 0, v13
	v_cndmask_b32_e64 v13, 0, 1, s[14:15]
	s_bcnt1_i32_b64 s12, s[34:35]
	v_cmp_ne_u32_e64 s[34:35], 0, v13
	v_cndmask_b32_e64 v13, 0, 1, s[18:19]
	s_bcnt1_i32_b64 s13, s[34:35]
	;; [unrolled: 3-line block ×3, first 2 shown]
	v_cmp_ne_u32_e64 s[34:35], 0, v13
	s_bcnt1_i32_b64 s15, s[34:35]
	s_add_i32 s5, s5, s12
	v_cmp_eq_u32_e64 s[34:35], 3, v3
	s_add_i32 s5, s5, s13
	s_and_b64 s[12:13], vcc, s[34:35]
	v_cmp_eq_u32_e32 vcc, 3, v1
	s_add_i32 s5, s5, s14
	s_and_b64 s[6:7], s[6:7], vcc
	v_cmp_eq_u32_e32 vcc, 3, v4
	s_add_i32 s5, s5, s15
	s_and_b64 s[14:15], s[26:27], vcc
	v_cmp_eq_u32_e32 vcc, 3, v2
	v_cndmask_b32_e64 v1, 0, 1, s[12:13]
	s_and_b64 s[18:19], s[30:31], vcc
	v_cmp_ne_u32_e32 vcc, 0, v1
	v_cndmask_b32_e64 v1, 0, 1, s[6:7]
	s_bcnt1_i32_b64 s12, vcc
	v_cmp_ne_u32_e32 vcc, 0, v1
	v_cndmask_b32_e64 v1, 0, 1, s[14:15]
	s_bcnt1_i32_b64 s6, vcc
	v_cmp_ne_u32_e32 vcc, 0, v1
	v_cndmask_b32_e64 v1, 0, 1, s[18:19]
	s_add_i32 s3, s3, s12
	s_bcnt1_i32_b64 s7, vcc
	v_cmp_ne_u32_e32 vcc, 0, v1
	s_add_i32 s3, s3, s6
	s_bcnt1_i32_b64 s13, vcc
	s_add_i32 s3, s3, s7
	s_add_i32 s3, s3, s13
	v_cmp_le_u32_e32 vcc, s2, v12
	s_or_b64 s[86:87], vcc, s[86:87]
	v_mov_b32_e32 v1, s9
	v_mov_b32_e32 v2, s8
	;; [unrolled: 1-line block ×4, first 2 shown]
	s_andn2_b64 exec, exec, s[86:87]
	s_cbranch_execnz .LBB104_83
; %bb.84:                               ;   in Loop: Header=BB104_15 Depth=1
	s_or_b64 exec, exec, s[86:87]
.LBB104_85:                             ;   in Loop: Header=BB104_15 Depth=1
	s_or_b64 exec, exec, s[84:85]
	v_add_u32_e32 v8, s2, v0
	v_cmp_gt_u32_e32 vcc, s16, v8
	s_and_saveexec_b64 s[14:15], vcc
	s_cbranch_execz .LBB104_89
; %bb.86:                               ;   in Loop: Header=BB104_15 Depth=1
	v_lshlrev_b32_e32 v12, 1, v8
	s_mov_b64 s[2:3], 0
.LBB104_87:                             ;   Parent Loop BB104_15 Depth=1
                                        ; =>  This Inner Loop Header: Depth=2
	ds_read_u16 v13, v12
	v_add_u32_e32 v8, s48, v8
	v_add_u32_e32 v12, s4, v12
	s_waitcnt lgkmcnt(0)
	v_cmp_lt_i16_e32 vcc, -1, v13
	v_cndmask_b32_e32 v14, v41, v42, vcc
	v_cmp_o_f16_e32 vcc, v13, v13
	v_xor_b32_sdwa v13, v14, v13 dst_sel:DWORD dst_unused:UNUSED_PAD src0_sel:DWORD src1_sel:WORD_0
	v_cndmask_b32_e32 v13, v41, v13, vcc
	v_and_b32_e32 v14, v13, v45
	v_bfe_u32 v13, v13, s38, 2
	v_cmp_eq_u32_e32 vcc, v14, v37
	v_cmp_eq_u32_e64 s[6:7], 0, v13
	s_and_b64 s[6:7], vcc, s[6:7]
	v_cndmask_b32_e64 v14, 0, 1, s[6:7]
	v_cmp_ne_u32_e64 s[6:7], 0, v14
	s_bcnt1_i32_b64 s5, s[6:7]
	v_cmp_eq_u32_e64 s[6:7], 1, v13
	s_and_b64 s[6:7], vcc, s[6:7]
	v_cndmask_b32_e64 v14, 0, 1, s[6:7]
	v_cmp_ne_u32_e64 s[6:7], 0, v14
	v_add_u32_e32 v1, s5, v1
	s_bcnt1_i32_b64 s5, s[6:7]
	v_cmp_eq_u32_e64 s[6:7], 2, v13
	s_and_b64 s[6:7], vcc, s[6:7]
	v_cndmask_b32_e64 v14, 0, 1, s[6:7]
	v_cmp_ne_u32_e64 s[6:7], 0, v14
	v_add_u32_e32 v2, s5, v2
	s_bcnt1_i32_b64 s5, s[6:7]
	v_cmp_eq_u32_e64 s[6:7], 3, v13
	s_and_b64 s[6:7], vcc, s[6:7]
	v_cndmask_b32_e64 v13, 0, 1, s[6:7]
	v_cmp_ne_u32_e32 vcc, 0, v13
	v_add_u32_e32 v3, s5, v3
	s_bcnt1_i32_b64 s5, vcc
	v_cmp_le_u32_e32 vcc, s16, v8
	v_add_u32_e32 v4, s5, v4
	s_or_b64 s[2:3], vcc, s[2:3]
	s_andn2_b64 exec, exec, s[2:3]
	s_cbranch_execnz .LBB104_87
; %bb.88:                               ;   in Loop: Header=BB104_15 Depth=1
	s_or_b64 exec, exec, s[2:3]
.LBB104_89:                             ;   in Loop: Header=BB104_15 Depth=1
	s_or_b64 exec, exec, s[14:15]
	s_lshl_b32 s5, s49, 6
	s_and_saveexec_b64 s[2:3], s[0:1]
	s_cbranch_execnz .LBB104_63
	s_branch .LBB104_64
.LBB104_90:                             ;   in Loop: Header=BB104_15 Depth=1
	v_mov_b32_e32 v1, 0
	s_mov_b32 s6, 0
.LBB104_91:                             ;   in Loop: Header=BB104_15 Depth=1
	v_readlane_b32 s8, v52, 35
	v_readlane_b32 s9, v52, 36
	s_andn2_b64 vcc, exec, s[8:9]
	s_cbranch_vccnz .LBB104_94
; %bb.92:                               ;   in Loop: Header=BB104_15 Depth=1
	s_lshl_b32 s7, s49, 8
	s_lshl_b32 s6, s6, 4
	s_add_i32 s7, s7, s6
	v_add_u32_e32 v2, s7, v38
	v_readlane_b32 s6, v52, 34
.LBB104_93:                             ;   Parent Loop BB104_15 Depth=1
                                        ; =>  This Inner Loop Header: Depth=2
	ds_read_b32 v3, v2
	s_add_i32 s6, s6, -1
	v_add_u32_e32 v2, 16, v2
	s_cmp_lg_u32 s6, 0
	s_waitcnt lgkmcnt(0)
	v_add_u32_e32 v1, v3, v1
	s_cbranch_scc1 .LBB104_93
.LBB104_94:                             ;   in Loop: Header=BB104_15 Depth=1
	v_add_lshl_u32 v2, s5, v24, 2
	ds_write_b32 v2, v1 offset:3072
.LBB104_95:                             ;   in Loop: Header=BB104_15 Depth=1
	s_or_b64 exec, exec, s[2:3]
	s_lshl_b32 s2, s5, 2
	v_mov_b32_e32 v1, s2
	s_waitcnt lgkmcnt(0)
	s_barrier
	ds_read_b128 v[1:4], v1 offset:3072
	v_readlane_b32 s2, v52, 11
	s_lshl_b32 s50, 3, s38
	v_readlane_b32 s3, v52, 12
	s_not_b32 s51, s50
	s_waitcnt lgkmcnt(0)
	v_readfirstlane_b32 s39, v1
	v_readfirstlane_b32 s46, v2
	;; [unrolled: 1-line block ×4, first 2 shown]
	v_cmp_eq_u32_e64 s[26:27], 1, v47
	s_mov_b64 s[90:91], -1
	s_mov_b64 s[30:31], 0
	s_andn2_b64 vcc, exec, s[2:3]
	s_mov_b64 s[84:85], 0
	s_mov_b64 s[34:35], 0
                                        ; implicit-def: $sgpr86_sgpr87
                                        ; implicit-def: $sgpr88_sgpr89
                                        ; implicit-def: $vgpr4
                                        ; implicit-def: $vgpr1
                                        ; implicit-def: $vgpr3
                                        ; implicit-def: $vgpr2
                                        ; implicit-def: $vgpr8
	s_cbranch_vccnz .LBB104_261
; %bb.96:                               ;   in Loop: Header=BB104_15 Depth=1
	s_cmp_eq_u32 s39, 1
	s_cselect_b64 s[2:3], -1, 0
	s_and_b64 s[6:7], s[2:3], s[26:27]
	s_mov_b64 s[8:9], -1
	v_mov_b32_e32 v3, v37
	v_mov_b32_e32 v2, v45
	v_mov_b32_e32 v8, v46
                                        ; implicit-def: $sgpr88_sgpr89
                                        ; implicit-def: $sgpr86_sgpr87
	s_and_saveexec_b64 s[2:3], s[6:7]
	s_cbranch_execz .LBB104_124
; %bb.97:                               ;   in Loop: Header=BB104_15 Depth=1
	ds_read_b32 v1, v9 offset:4096
	s_waitcnt lgkmcnt(0)
	s_barrier
	v_readfirstlane_b32 s28, v1
	s_mov_b64 s[8:9], exec
	v_readlane_b32 s12, v52, 19
	v_readlane_b32 s13, v52, 20
	s_and_b64 s[12:13], s[8:9], s[12:13]
	s_mov_b64 exec, s[12:13]
; %bb.98:                               ;   in Loop: Header=BB104_15 Depth=1
	ds_write_b16 v26, v9
; %bb.99:                               ;   in Loop: Header=BB104_15 Depth=1
	s_or_b64 exec, exec, s[8:9]
	v_and_b32_e32 v3, s51, v37
	v_or_b32_e32 v2, s50, v45
	s_mov_b64 s[86:87], -1
	s_mov_b64 s[88:89], 0
	s_cmp_eq_u32 s28, 0
	s_mov_b64 s[12:13], 0
	s_mov_b64 s[14:15], -1
	s_waitcnt lgkmcnt(0)
	s_barrier
                                        ; implicit-def: $vgpr8
	s_cbranch_scc1 .LBB104_111
; %bb.100:                              ;   in Loop: Header=BB104_15 Depth=1
	v_readlane_b32 s8, v52, 21
	s_add_i32 s8, s28, s8
	v_readlane_b32 s9, v52, 42
	s_mul_hi_u32 s9, s8, s9
	s_mul_i32 s9, s9, s48
	s_sub_i32 s9, s8, s9
	s_sub_i32 s12, s9, s48
	s_cmp_ge_u32 s9, s48
	s_cselect_b32 s9, s12, s9
	s_sub_i32 s12, s9, s48
	s_cmp_ge_u32 s9, s48
	s_cselect_b32 s9, s12, s9
	s_sub_i32 s29, s8, s9
	v_cmp_gt_u32_e32 vcc, s29, v0
	s_mov_b64 s[14:15], 0
	s_mov_b64 s[12:13], 0
                                        ; implicit-def: $vgpr8
	s_and_saveexec_b64 s[16:17], vcc
	s_cbranch_execz .LBB104_110
; %bb.101:                              ;   in Loop: Header=BB104_15 Depth=1
	v_mov_b32_e32 v1, v25
	v_mov_b32_e32 v4, v0
                                        ; implicit-def: $sgpr8_sgpr9
	s_branch .LBB104_105
.LBB104_102:                            ;   in Loop: Header=BB104_105 Depth=2
	s_or_b64 exec, exec, s[18:19]
	s_waitcnt lgkmcnt(0)
	s_barrier
	ds_read_b32 v8, v9 offset:3072
	s_waitcnt lgkmcnt(0)
	s_barrier
	v_cmp_neq_f16_e32 vcc, 0, v8
	s_cbranch_vccnz .LBB104_108
; %bb.103:                              ;   in Loop: Header=BB104_105 Depth=2
	v_add_u32_e32 v4, s48, v4
	v_cmp_le_u32_e32 vcc, s29, v4
	v_add_u32_e32 v1, s4, v1
	s_mov_b64 s[18:19], 0
	s_orn2_b64 s[24:25], vcc, exec
.LBB104_104:                            ;   in Loop: Header=BB104_105 Depth=2
	s_and_b64 s[24:25], exec, s[24:25]
	s_or_b64 s[12:13], s[24:25], s[12:13]
	s_andn2_b64 s[8:9], s[8:9], exec
	s_and_b64 s[18:19], s[18:19], exec
	s_or_b64 s[8:9], s[8:9], s[18:19]
	s_andn2_b64 exec, exec, s[12:13]
	s_cbranch_execz .LBB104_109
.LBB104_105:                            ;   Parent Loop BB104_15 Depth=1
                                        ; =>  This Inner Loop Header: Depth=2
	v_cmp_gt_u32_e32 vcc, s28, v4
	s_and_saveexec_b64 s[18:19], vcc
	s_cbranch_execz .LBB104_102
; %bb.106:                              ;   in Loop: Header=BB104_105 Depth=2
	ds_read_u16 v8, v1
	s_waitcnt lgkmcnt(0)
	v_cmp_lt_i16_e32 vcc, -1, v8
	v_cndmask_b32_e32 v12, v41, v42, vcc
	v_xor_b32_sdwa v12, v12, v8 dst_sel:DWORD dst_unused:UNUSED_PAD src0_sel:DWORD src1_sel:WORD_0
	v_cmp_o_f16_e32 vcc, v8, v8
	v_cndmask_b32_e32 v12, v41, v12, vcc
	v_and_b32_e32 v12, v12, v2
	v_cmp_eq_u32_e32 vcc, v12, v3
	s_and_b64 exec, exec, vcc
	s_cbranch_execz .LBB104_102
; %bb.107:                              ;   in Loop: Header=BB104_105 Depth=2
	s_movk_i32 s24, 0x3c00
	v_perm_b32 v8, v8, s24, v44
	ds_write_b32 v9, v8 offset:3072
	s_branch .LBB104_102
.LBB104_108:                            ;   in Loop: Header=BB104_105 Depth=2
	s_mov_b64 s[24:25], -1
                                        ; implicit-def: $vgpr4
                                        ; implicit-def: $vgpr1
	s_mov_b64 s[18:19], -1
	s_branch .LBB104_104
.LBB104_109:                            ;   in Loop: Header=BB104_15 Depth=1
	s_or_b64 exec, exec, s[12:13]
	v_lshrrev_b32_e32 v8, 16, v8
	s_and_b64 s[12:13], s[8:9], exec
.LBB104_110:                            ;   in Loop: Header=BB104_15 Depth=1
	s_or_b64 exec, exec, s[16:17]
.LBB104_111:                            ;   in Loop: Header=BB104_15 Depth=1
	s_and_b64 vcc, exec, s[14:15]
	s_cbranch_vccz .LBB104_123
; %bb.112:                              ;   in Loop: Header=BB104_15 Depth=1
                                        ; implicit-def: $vgpr8
	s_mov_b64 s[14:15], exec
	v_readlane_b32 s8, v52, 43
	v_readlane_b32 s9, v52, 44
	s_and_b64 s[8:9], s[14:15], s[8:9]
	s_mov_b64 exec, s[8:9]
	s_cbranch_execz .LBB104_122
; %bb.113:                              ;   in Loop: Header=BB104_15 Depth=1
	s_mov_b64 s[16:17], 0
	v_mov_b32_e32 v8, v7
	v_mov_b32_e32 v1, v0
                                        ; implicit-def: $sgpr18_sgpr19
	s_branch .LBB104_117
.LBB104_114:                            ;   in Loop: Header=BB104_117 Depth=2
	s_or_b64 exec, exec, s[8:9]
	s_waitcnt lgkmcnt(0)
	s_barrier
	ds_read_b32 v4, v9 offset:3072
	s_waitcnt lgkmcnt(0)
	s_barrier
	v_cmp_neq_f16_e32 vcc, 0, v4
	s_cbranch_vccnz .LBB104_120
; %bb.115:                              ;   in Loop: Header=BB104_117 Depth=2
	v_add_u32_e32 v1, s48, v1
	v_cmp_le_u32_e32 vcc, s61, v1
	v_add_u32_e32 v8, s54, v8
	s_mov_b64 s[8:9], 0
	s_orn2_b64 s[24:25], vcc, exec
.LBB104_116:                            ;   in Loop: Header=BB104_117 Depth=2
	s_and_b64 s[24:25], exec, s[24:25]
	s_or_b64 s[16:17], s[24:25], s[16:17]
	s_andn2_b64 s[18:19], s[18:19], exec
	s_and_b64 s[8:9], s[8:9], exec
	s_or_b64 s[18:19], s[18:19], s[8:9]
	s_andn2_b64 exec, exec, s[16:17]
	s_cbranch_execz .LBB104_121
.LBB104_117:                            ;   Parent Loop BB104_15 Depth=1
                                        ; =>  This Inner Loop Header: Depth=2
	v_cmp_gt_u32_e32 vcc, s36, v1
	s_and_saveexec_b64 s[8:9], vcc
	s_cbranch_execz .LBB104_114
; %bb.118:                              ;   in Loop: Header=BB104_117 Depth=2
	v_lshlrev_b64 v[12:13], 1, v[8:9]
	v_mov_b32_e32 v4, s42
	v_add_co_u32_e32 v12, vcc, s40, v12
	v_addc_co_u32_e32 v13, vcc, v4, v13, vcc
	global_load_ushort v4, v[12:13], off
	s_waitcnt vmcnt(0)
	v_cmp_lt_i16_e32 vcc, -1, v4
	v_cndmask_b32_e32 v12, v41, v42, vcc
	v_xor_b32_sdwa v12, v12, v4 dst_sel:DWORD dst_unused:UNUSED_PAD src0_sel:DWORD src1_sel:WORD_0
	v_cmp_o_f16_e32 vcc, v4, v4
	v_cndmask_b32_e32 v12, v41, v12, vcc
	v_and_b32_e32 v12, v12, v2
	v_cmp_eq_u32_e32 vcc, v12, v3
	s_and_b64 exec, exec, vcc
	s_cbranch_execz .LBB104_114
; %bb.119:                              ;   in Loop: Header=BB104_117 Depth=2
	s_movk_i32 s24, 0x3c00
	v_perm_b32 v4, v4, s24, v44
	ds_write_b32 v9, v4 offset:3072
	s_branch .LBB104_114
.LBB104_120:                            ;   in Loop: Header=BB104_117 Depth=2
	s_mov_b64 s[24:25], -1
                                        ; implicit-def: $vgpr1
	s_mov_b64 s[8:9], -1
	s_branch .LBB104_116
.LBB104_121:                            ;   in Loop: Header=BB104_15 Depth=1
	s_or_b64 exec, exec, s[16:17]
	s_andn2_b64 s[8:9], s[12:13], exec
	s_and_b64 s[12:13], s[18:19], exec
	v_lshrrev_b32_e32 v8, 16, v4
	s_or_b64 s[12:13], s[8:9], s[12:13]
.LBB104_122:                            ;   in Loop: Header=BB104_15 Depth=1
	s_or_b64 exec, exec, s[14:15]
	s_mov_b64 s[86:87], 0
	s_mov_b64 s[88:89], -1
.LBB104_123:                            ;   in Loop: Header=BB104_15 Depth=1
	s_orn2_b64 s[8:9], s[12:13], exec
.LBB104_124:                            ;   in Loop: Header=BB104_15 Depth=1
	s_or_b64 exec, exec, s[2:3]
	s_mov_b64 s[90:91], 0
	s_mov_b64 s[84:85], 0
	s_mov_b64 s[34:35], 0
                                        ; implicit-def: $vgpr4
                                        ; implicit-def: $vgpr1
	s_and_saveexec_b64 s[92:93], s[8:9]
	s_cbranch_execz .LBB104_260
; %bb.125:                              ;   in Loop: Header=BB104_15 Depth=1
	s_xor_b64 s[8:9], s[6:7], -1
	s_mov_b64 s[6:7], 0
	v_mov_b32_e32 v4, 1
	v_mov_b32_e32 v1, 1
	s_and_saveexec_b64 s[2:3], s[8:9]
	s_cbranch_execz .LBB104_134
; %bb.126:                              ;   in Loop: Header=BB104_15 Depth=1
	v_cmp_ge_u32_e32 vcc, s39, v47
	s_and_saveexec_b64 s[6:7], vcc
	s_xor_b64 s[6:7], exec, s[6:7]
	s_cbranch_execz .LBB104_131
; %bb.127:                              ;   in Loop: Header=BB104_15 Depth=1
	ds_read_b32 v1, v9 offset:4096
	v_and_b32_e32 v3, s51, v3
	v_or_b32_e32 v2, s50, v2
	s_waitcnt lgkmcnt(0)
	v_cmp_ne_u32_e32 vcc, 0, v1
	s_cbranch_vccnz .LBB104_131
; %bb.128:                              ;   in Loop: Header=BB104_15 Depth=1
	s_mov_b64 s[8:9], exec
	v_readlane_b32 s12, v52, 7
	v_readlane_b32 s13, v52, 8
	s_and_b64 s[12:13], s[8:9], s[12:13]
	s_mov_b64 exec, s[12:13]
; %bb.129:                              ;   in Loop: Header=BB104_15 Depth=1
	v_mov_b32_e32 v1, s39
	ds_write_b32 v9, v1 offset:4100
; %bb.130:                              ;   in Loop: Header=BB104_15 Depth=1
	s_or_b64 exec, exec, s[8:9]
	s_waitcnt lgkmcnt(0)
	s_barrier
.LBB104_131:                            ;   in Loop: Header=BB104_15 Depth=1
	s_or_saveexec_b64 s[6:7], s[6:7]
	s_mov_b64 s[8:9], 0
	v_mov_b32_e32 v1, 8
	v_mov_b32_e32 v4, v47
	s_xor_b64 exec, exec, s[6:7]
; %bb.132:                              ;   in Loop: Header=BB104_15 Depth=1
	s_mov_b64 s[8:9], exec
	v_subrev_u32_e32 v4, s39, v47
	v_mov_b32_e32 v1, 0
; %bb.133:                              ;   in Loop: Header=BB104_15 Depth=1
	s_or_b64 exec, exec, s[6:7]
	s_and_b64 s[6:7], s[8:9], exec
.LBB104_134:                            ;   in Loop: Header=BB104_15 Depth=1
	s_or_b64 exec, exec, s[2:3]
	s_mov_b64 s[2:3], -1
                                        ; implicit-def: $sgpr34_sgpr35
                                        ; implicit-def: $sgpr84_sgpr85
	s_and_saveexec_b64 s[8:9], s[6:7]
	s_xor_b64 s[6:7], exec, s[8:9]
	s_cbranch_execz .LBB104_257
; %bb.135:                              ;   in Loop: Header=BB104_15 Depth=1
	s_cmp_eq_u32 s46, 1
	s_cselect_b64 s[2:3], -1, 0
	v_cmp_eq_u32_e32 vcc, 1, v4
	s_and_b64 s[14:15], s[2:3], vcc
	s_mov_b64 s[8:9], -1
                                        ; implicit-def: $sgpr84_sgpr85
                                        ; implicit-def: $sgpr34_sgpr35
	s_and_saveexec_b64 s[2:3], s[14:15]
	s_cbranch_execz .LBB104_163
; %bb.136:                              ;   in Loop: Header=BB104_15 Depth=1
	ds_read_b32 v8, v9 offset:4096
	s_waitcnt lgkmcnt(0)
	s_barrier
	v_readfirstlane_b32 s44, v8
	s_mov_b64 s[8:9], exec
	v_readlane_b32 s12, v52, 19
	v_readlane_b32 s13, v52, 20
	s_and_b64 s[12:13], s[8:9], s[12:13]
	s_mov_b64 exec, s[12:13]
; %bb.137:                              ;   in Loop: Header=BB104_15 Depth=1
	ds_write_b16 v26, v9
; %bb.138:                              ;   in Loop: Header=BB104_15 Depth=1
	s_or_b64 exec, exec, s[8:9]
	v_and_b32_e32 v3, s51, v3
	v_lshl_or_b32 v3, 1, s38, v3
	v_or_b32_e32 v2, s50, v2
	s_mov_b64 s[34:35], -1
	s_mov_b64 s[84:85], 0
	s_cmp_eq_u32 s44, 0
	s_mov_b64 s[12:13], 0
	s_mov_b64 s[16:17], -1
	s_waitcnt lgkmcnt(0)
	s_barrier
                                        ; implicit-def: $vgpr8
	s_cbranch_scc1 .LBB104_150
; %bb.139:                              ;   in Loop: Header=BB104_15 Depth=1
	v_readlane_b32 s8, v52, 21
	s_add_i32 s8, s44, s8
	v_readlane_b32 s9, v52, 42
	s_mul_hi_u32 s9, s8, s9
	s_mul_i32 s9, s9, s48
	s_sub_i32 s9, s8, s9
	s_sub_i32 s12, s9, s48
	s_cmp_ge_u32 s9, s48
	s_cselect_b32 s9, s12, s9
	s_sub_i32 s12, s9, s48
	s_cmp_ge_u32 s9, s48
	s_cselect_b32 s9, s12, s9
	s_sub_i32 s45, s8, s9
	v_cmp_gt_u32_e32 vcc, s45, v0
	s_mov_b64 s[16:17], 0
	s_mov_b64 s[12:13], 0
                                        ; implicit-def: $vgpr8
	s_and_saveexec_b64 s[18:19], vcc
	s_cbranch_execz .LBB104_149
; %bb.140:                              ;   in Loop: Header=BB104_15 Depth=1
	v_mov_b32_e32 v8, v25
	v_mov_b32_e32 v12, v0
                                        ; implicit-def: $sgpr24_sgpr25
	s_branch .LBB104_144
.LBB104_141:                            ;   in Loop: Header=BB104_144 Depth=2
	s_or_b64 exec, exec, s[8:9]
	s_waitcnt lgkmcnt(0)
	s_barrier
	ds_read_b32 v13, v9 offset:3072
	s_waitcnt lgkmcnt(0)
	s_barrier
	v_cmp_neq_f16_e32 vcc, 0, v13
	s_cbranch_vccnz .LBB104_147
; %bb.142:                              ;   in Loop: Header=BB104_144 Depth=2
	v_add_u32_e32 v12, s48, v12
	v_cmp_le_u32_e32 vcc, s45, v12
	v_add_u32_e32 v8, s4, v8
	s_mov_b64 s[8:9], 0
	s_orn2_b64 s[28:29], vcc, exec
.LBB104_143:                            ;   in Loop: Header=BB104_144 Depth=2
	s_and_b64 s[28:29], exec, s[28:29]
	s_or_b64 s[12:13], s[28:29], s[12:13]
	s_andn2_b64 s[24:25], s[24:25], exec
	s_and_b64 s[8:9], s[8:9], exec
	s_or_b64 s[24:25], s[24:25], s[8:9]
	s_andn2_b64 exec, exec, s[12:13]
	s_cbranch_execz .LBB104_148
.LBB104_144:                            ;   Parent Loop BB104_15 Depth=1
                                        ; =>  This Inner Loop Header: Depth=2
	v_cmp_gt_u32_e32 vcc, s44, v12
	s_and_saveexec_b64 s[8:9], vcc
	s_cbranch_execz .LBB104_141
; %bb.145:                              ;   in Loop: Header=BB104_144 Depth=2
	ds_read_u16 v13, v8
	s_waitcnt lgkmcnt(0)
	v_cmp_lt_i16_e32 vcc, -1, v13
	v_cndmask_b32_e32 v14, v41, v42, vcc
	v_xor_b32_sdwa v14, v14, v13 dst_sel:DWORD dst_unused:UNUSED_PAD src0_sel:DWORD src1_sel:WORD_0
	v_cmp_o_f16_e32 vcc, v13, v13
	v_cndmask_b32_e32 v14, v41, v14, vcc
	v_and_b32_e32 v14, v14, v2
	v_cmp_eq_u32_e32 vcc, v14, v3
	s_and_b64 exec, exec, vcc
	s_cbranch_execz .LBB104_141
; %bb.146:                              ;   in Loop: Header=BB104_144 Depth=2
	s_movk_i32 s28, 0x3c00
	v_perm_b32 v13, v13, s28, v44
	ds_write_b32 v9, v13 offset:3072
	s_branch .LBB104_141
.LBB104_147:                            ;   in Loop: Header=BB104_144 Depth=2
	s_mov_b64 s[28:29], -1
                                        ; implicit-def: $vgpr12
                                        ; implicit-def: $vgpr8
	s_mov_b64 s[8:9], -1
	s_branch .LBB104_143
.LBB104_148:                            ;   in Loop: Header=BB104_15 Depth=1
	s_or_b64 exec, exec, s[12:13]
	v_lshrrev_b32_e32 v8, 16, v13
	s_and_b64 s[12:13], s[24:25], exec
.LBB104_149:                            ;   in Loop: Header=BB104_15 Depth=1
	s_or_b64 exec, exec, s[18:19]
.LBB104_150:                            ;   in Loop: Header=BB104_15 Depth=1
	s_and_b64 vcc, exec, s[16:17]
	s_cbranch_vccz .LBB104_162
; %bb.151:                              ;   in Loop: Header=BB104_15 Depth=1
                                        ; implicit-def: $vgpr8
	s_mov_b64 s[16:17], exec
	v_readlane_b32 s8, v52, 43
	v_readlane_b32 s9, v52, 44
	s_and_b64 s[8:9], s[16:17], s[8:9]
	s_mov_b64 exec, s[8:9]
	s_cbranch_execz .LBB104_161
; %bb.152:                              ;   in Loop: Header=BB104_15 Depth=1
	s_mov_b64 s[18:19], 0
	v_mov_b32_e32 v8, v7
	v_mov_b32_e32 v12, v0
                                        ; implicit-def: $sgpr24_sgpr25
	s_branch .LBB104_156
.LBB104_153:                            ;   in Loop: Header=BB104_156 Depth=2
	s_or_b64 exec, exec, s[8:9]
	s_waitcnt lgkmcnt(0)
	s_barrier
	ds_read_b32 v13, v9 offset:3072
	s_waitcnt lgkmcnt(0)
	s_barrier
	v_cmp_eq_f16_e32 vcc, 0, v13
	s_cbranch_vccz .LBB104_159
; %bb.154:                              ;   in Loop: Header=BB104_156 Depth=2
	v_add_u32_e32 v12, s48, v12
	v_cmp_le_u32_e32 vcc, s61, v12
	v_add_u32_e32 v8, s54, v8
	s_mov_b64 s[8:9], 0
	s_orn2_b64 s[28:29], vcc, exec
.LBB104_155:                            ;   in Loop: Header=BB104_156 Depth=2
	s_and_b64 s[28:29], exec, s[28:29]
	s_or_b64 s[18:19], s[28:29], s[18:19]
	s_andn2_b64 s[24:25], s[24:25], exec
	s_and_b64 s[8:9], s[8:9], exec
	s_or_b64 s[24:25], s[24:25], s[8:9]
	s_andn2_b64 exec, exec, s[18:19]
	s_cbranch_execz .LBB104_160
.LBB104_156:                            ;   Parent Loop BB104_15 Depth=1
                                        ; =>  This Inner Loop Header: Depth=2
	v_cmp_gt_u32_e32 vcc, s36, v12
	s_and_saveexec_b64 s[8:9], vcc
	s_cbranch_execz .LBB104_153
; %bb.157:                              ;   in Loop: Header=BB104_156 Depth=2
	v_lshlrev_b64 v[13:14], 1, v[8:9]
	v_mov_b32_e32 v15, s42
	v_add_co_u32_e32 v13, vcc, s40, v13
	v_addc_co_u32_e32 v14, vcc, v15, v14, vcc
	global_load_ushort v13, v[13:14], off
	s_waitcnt vmcnt(0)
	v_cmp_lt_i16_e32 vcc, -1, v13
	v_cndmask_b32_e32 v14, v41, v42, vcc
	v_xor_b32_sdwa v14, v14, v13 dst_sel:DWORD dst_unused:UNUSED_PAD src0_sel:DWORD src1_sel:WORD_0
	v_cmp_o_f16_e32 vcc, v13, v13
	v_cndmask_b32_e32 v14, v41, v14, vcc
	v_and_b32_e32 v14, v14, v2
	v_cmp_eq_u32_e32 vcc, v14, v3
	s_and_b64 exec, exec, vcc
	s_cbranch_execz .LBB104_153
; %bb.158:                              ;   in Loop: Header=BB104_156 Depth=2
	s_movk_i32 s28, 0x3c00
	v_perm_b32 v13, v13, s28, v44
	ds_write_b32 v9, v13 offset:3072
	s_branch .LBB104_153
.LBB104_159:                            ;   in Loop: Header=BB104_156 Depth=2
	s_mov_b64 s[28:29], -1
                                        ; implicit-def: $vgpr12
	s_mov_b64 s[8:9], -1
	s_branch .LBB104_155
.LBB104_160:                            ;   in Loop: Header=BB104_15 Depth=1
	s_or_b64 exec, exec, s[18:19]
	s_andn2_b64 s[8:9], s[12:13], exec
	s_and_b64 s[12:13], s[24:25], exec
	v_lshrrev_b32_e32 v8, 16, v13
	s_or_b64 s[12:13], s[8:9], s[12:13]
.LBB104_161:                            ;   in Loop: Header=BB104_15 Depth=1
	s_or_b64 exec, exec, s[16:17]
	s_mov_b64 s[34:35], 0
	s_mov_b64 s[84:85], -1
.LBB104_162:                            ;   in Loop: Header=BB104_15 Depth=1
	s_orn2_b64 s[8:9], s[12:13], exec
.LBB104_163:                            ;   in Loop: Header=BB104_15 Depth=1
	s_or_b64 exec, exec, s[2:3]
	s_mov_b64 s[2:3], 0
	s_and_saveexec_b64 s[94:95], s[8:9]
	s_cbranch_execz .LBB104_256
; %bb.164:                              ;   in Loop: Header=BB104_15 Depth=1
	s_xor_b64 s[12:13], s[14:15], -1
	s_mov_b64 s[8:9], 0
	v_mov_b32_e32 v12, 1
	v_mov_b32_e32 v1, 1
	s_and_saveexec_b64 s[2:3], s[12:13]
	s_cbranch_execz .LBB104_173
; %bb.165:                              ;   in Loop: Header=BB104_15 Depth=1
	v_cmp_ge_u32_e32 vcc, s46, v4
	s_and_saveexec_b64 s[8:9], vcc
	s_xor_b64 s[8:9], exec, s[8:9]
	s_cbranch_execz .LBB104_170
; %bb.166:                              ;   in Loop: Header=BB104_15 Depth=1
	v_and_b32_e32 v1, s51, v3
	v_lshl_or_b32 v3, 1, s38, v1
	ds_read_b32 v1, v9 offset:4096
	v_or_b32_e32 v2, s50, v2
	s_waitcnt lgkmcnt(0)
	v_cmp_ne_u32_e32 vcc, 0, v1
	s_cbranch_vccnz .LBB104_170
; %bb.167:                              ;   in Loop: Header=BB104_15 Depth=1
	s_mov_b64 s[12:13], exec
	v_readlane_b32 s14, v52, 7
	v_readlane_b32 s15, v52, 8
	s_and_b64 s[14:15], s[12:13], s[14:15]
	s_mov_b64 exec, s[14:15]
; %bb.168:                              ;   in Loop: Header=BB104_15 Depth=1
	v_mov_b32_e32 v1, s46
	ds_write_b32 v9, v1 offset:4100
; %bb.169:                              ;   in Loop: Header=BB104_15 Depth=1
	s_or_b64 exec, exec, s[12:13]
	s_waitcnt lgkmcnt(0)
	s_barrier
.LBB104_170:                            ;   in Loop: Header=BB104_15 Depth=1
	s_or_saveexec_b64 s[8:9], s[8:9]
	s_mov_b64 s[12:13], 0
	v_mov_b32_e32 v1, 8
	s_xor_b64 exec, exec, s[8:9]
; %bb.171:                              ;   in Loop: Header=BB104_15 Depth=1
	s_mov_b64 s[12:13], exec
	v_subrev_u32_e32 v4, s46, v4
	v_mov_b32_e32 v1, 0
; %bb.172:                              ;   in Loop: Header=BB104_15 Depth=1
	s_or_b64 exec, exec, s[8:9]
	s_and_b64 s[8:9], s[12:13], exec
	v_mov_b32_e32 v12, v4
.LBB104_173:                            ;   in Loop: Header=BB104_15 Depth=1
	s_or_b64 exec, exec, s[2:3]
	s_mov_b64 s[2:3], -1
                                        ; implicit-def: $sgpr12_sgpr13
                                        ; kill: killed $sgpr12_sgpr13
                                        ; implicit-def: $sgpr14_sgpr15
	s_and_saveexec_b64 s[44:45], s[8:9]
	s_cbranch_execz .LBB104_255
; %bb.174:                              ;   in Loop: Header=BB104_15 Depth=1
	s_cmp_eq_u32 s47, 1
	s_cselect_b64 s[2:3], -1, 0
	v_cmp_eq_u32_e32 vcc, 1, v12
	s_and_b64 s[18:19], s[2:3], vcc
	s_mov_b64 s[8:9], -1
                                        ; implicit-def: $sgpr14_sgpr15
                                        ; implicit-def: $sgpr2_sgpr3
                                        ; kill: killed $sgpr2_sgpr3
	s_and_saveexec_b64 s[2:3], s[18:19]
	s_cbranch_execz .LBB104_202
; %bb.175:                              ;   in Loop: Header=BB104_15 Depth=1
	ds_read_b32 v4, v9 offset:4096
	s_waitcnt lgkmcnt(0)
	s_barrier
	v_readfirstlane_b32 s56, v4
	s_mov_b64 s[8:9], exec
	v_readlane_b32 s12, v52, 19
	v_readlane_b32 s13, v52, 20
	s_and_b64 s[12:13], s[8:9], s[12:13]
	s_mov_b64 exec, s[12:13]
; %bb.176:                              ;   in Loop: Header=BB104_15 Depth=1
	ds_write_b16 v26, v9
; %bb.177:                              ;   in Loop: Header=BB104_15 Depth=1
	s_or_b64 exec, exec, s[8:9]
	v_and_b32_e32 v3, s51, v3
	s_mov_b64 s[8:9], -1
	v_lshl_or_b32 v3, 2, s38, v3
	v_or_b32_e32 v2, s50, v2
	v_writelane_b32 v52, s8, 47
	s_mov_b64 s[14:15], 0
	s_cmp_eq_u32 s56, 0
	s_mov_b64 s[12:13], 0
	s_mov_b64 s[16:17], -1
	s_waitcnt lgkmcnt(0)
	s_barrier
	v_writelane_b32 v52, s9, 48
                                        ; implicit-def: $vgpr8
	s_cbranch_scc1 .LBB104_189
; %bb.178:                              ;   in Loop: Header=BB104_15 Depth=1
	v_readlane_b32 s8, v52, 21
	s_add_i32 s8, s56, s8
	v_readlane_b32 s9, v52, 42
	s_mul_hi_u32 s9, s8, s9
	s_mul_i32 s9, s9, s48
	s_sub_i32 s9, s8, s9
	s_sub_i32 s12, s9, s48
	s_cmp_ge_u32 s9, s48
	s_cselect_b32 s9, s12, s9
	s_sub_i32 s12, s9, s48
	s_cmp_ge_u32 s9, s48
	s_cselect_b32 s9, s12, s9
	s_sub_i32 s57, s8, s9
	v_cmp_gt_u32_e32 vcc, s57, v0
	s_mov_b64 s[16:17], 0
	s_mov_b64 s[12:13], 0
                                        ; implicit-def: $vgpr8
	s_and_saveexec_b64 s[28:29], vcc
	s_cbranch_execz .LBB104_188
; %bb.179:                              ;   in Loop: Header=BB104_15 Depth=1
	v_mov_b32_e32 v4, v25
	v_mov_b32_e32 v8, v0
                                        ; implicit-def: $sgpr24_sgpr25
	s_branch .LBB104_183
.LBB104_180:                            ;   in Loop: Header=BB104_183 Depth=2
	s_or_b64 exec, exec, s[8:9]
	s_waitcnt lgkmcnt(0)
	s_barrier
	ds_read_b32 v13, v9 offset:3072
	s_waitcnt lgkmcnt(0)
	s_barrier
	v_cmp_neq_f16_e32 vcc, 0, v13
	s_cbranch_vccnz .LBB104_186
; %bb.181:                              ;   in Loop: Header=BB104_183 Depth=2
	v_add_u32_e32 v8, s48, v8
	v_cmp_le_u32_e32 vcc, s57, v8
	v_add_u32_e32 v4, s4, v4
	s_mov_b64 s[8:9], 0
	s_orn2_b64 s[52:53], vcc, exec
.LBB104_182:                            ;   in Loop: Header=BB104_183 Depth=2
	s_and_b64 s[52:53], exec, s[52:53]
	s_or_b64 s[12:13], s[52:53], s[12:13]
	s_andn2_b64 s[24:25], s[24:25], exec
	s_and_b64 s[8:9], s[8:9], exec
	s_or_b64 s[24:25], s[24:25], s[8:9]
	s_andn2_b64 exec, exec, s[12:13]
	s_cbranch_execz .LBB104_187
.LBB104_183:                            ;   Parent Loop BB104_15 Depth=1
                                        ; =>  This Inner Loop Header: Depth=2
	v_cmp_gt_u32_e32 vcc, s56, v8
	s_and_saveexec_b64 s[8:9], vcc
	s_cbranch_execz .LBB104_180
; %bb.184:                              ;   in Loop: Header=BB104_183 Depth=2
	ds_read_u16 v13, v4
	s_waitcnt lgkmcnt(0)
	v_cmp_lt_i16_e32 vcc, -1, v13
	v_cndmask_b32_e32 v14, v41, v42, vcc
	v_xor_b32_sdwa v14, v14, v13 dst_sel:DWORD dst_unused:UNUSED_PAD src0_sel:DWORD src1_sel:WORD_0
	v_cmp_o_f16_e32 vcc, v13, v13
	v_cndmask_b32_e32 v14, v41, v14, vcc
	v_and_b32_e32 v14, v14, v2
	v_cmp_eq_u32_e32 vcc, v14, v3
	s_and_b64 exec, exec, vcc
	s_cbranch_execz .LBB104_180
; %bb.185:                              ;   in Loop: Header=BB104_183 Depth=2
	s_movk_i32 s52, 0x3c00
	v_perm_b32 v13, v13, s52, v44
	ds_write_b32 v9, v13 offset:3072
	s_branch .LBB104_180
.LBB104_186:                            ;   in Loop: Header=BB104_183 Depth=2
	s_mov_b64 s[52:53], -1
                                        ; implicit-def: $vgpr8
                                        ; implicit-def: $vgpr4
	s_mov_b64 s[8:9], -1
	s_branch .LBB104_182
.LBB104_187:                            ;   in Loop: Header=BB104_15 Depth=1
	s_or_b64 exec, exec, s[12:13]
	v_readlane_b32 s52, v52, 45
	v_lshrrev_b32_e32 v8, 16, v13
	s_and_b64 s[12:13], s[24:25], exec
	v_readlane_b32 s53, v52, 46
.LBB104_188:                            ;   in Loop: Header=BB104_15 Depth=1
	s_or_b64 exec, exec, s[28:29]
.LBB104_189:                            ;   in Loop: Header=BB104_15 Depth=1
	s_and_b64 vcc, exec, s[16:17]
	s_cbranch_vccz .LBB104_201
; %bb.190:                              ;   in Loop: Header=BB104_15 Depth=1
                                        ; implicit-def: $vgpr8
	s_mov_b64 s[14:15], exec
	v_readlane_b32 s8, v52, 43
	v_readlane_b32 s9, v52, 44
	s_and_b64 s[8:9], s[14:15], s[8:9]
	s_mov_b64 exec, s[8:9]
	s_cbranch_execz .LBB104_200
; %bb.191:                              ;   in Loop: Header=BB104_15 Depth=1
	s_mov_b64 s[16:17], 0
	v_mov_b32_e32 v8, v7
	v_mov_b32_e32 v4, v0
                                        ; implicit-def: $sgpr24_sgpr25
	s_branch .LBB104_195
.LBB104_192:                            ;   in Loop: Header=BB104_195 Depth=2
	s_or_b64 exec, exec, s[8:9]
	s_waitcnt lgkmcnt(0)
	s_barrier
	ds_read_b32 v13, v9 offset:3072
	s_waitcnt lgkmcnt(0)
	s_barrier
	v_cmp_eq_f16_e32 vcc, 0, v13
	s_cbranch_vccz .LBB104_198
; %bb.193:                              ;   in Loop: Header=BB104_195 Depth=2
	v_add_u32_e32 v4, s48, v4
	v_cmp_le_u32_e32 vcc, s61, v4
	v_add_u32_e32 v8, s54, v8
	s_mov_b64 s[8:9], 0
	s_orn2_b64 s[28:29], vcc, exec
.LBB104_194:                            ;   in Loop: Header=BB104_195 Depth=2
	s_and_b64 s[28:29], exec, s[28:29]
	s_or_b64 s[16:17], s[28:29], s[16:17]
	s_andn2_b64 s[24:25], s[24:25], exec
	s_and_b64 s[8:9], s[8:9], exec
	s_or_b64 s[24:25], s[24:25], s[8:9]
	s_andn2_b64 exec, exec, s[16:17]
	s_cbranch_execz .LBB104_199
.LBB104_195:                            ;   Parent Loop BB104_15 Depth=1
                                        ; =>  This Inner Loop Header: Depth=2
	v_cmp_gt_u32_e32 vcc, s36, v4
	s_and_saveexec_b64 s[8:9], vcc
	s_cbranch_execz .LBB104_192
; %bb.196:                              ;   in Loop: Header=BB104_195 Depth=2
	v_lshlrev_b64 v[13:14], 1, v[8:9]
	v_mov_b32_e32 v15, s42
	v_add_co_u32_e32 v13, vcc, s40, v13
	v_addc_co_u32_e32 v14, vcc, v15, v14, vcc
	global_load_ushort v13, v[13:14], off
	s_waitcnt vmcnt(0)
	v_cmp_lt_i16_e32 vcc, -1, v13
	v_cndmask_b32_e32 v14, v41, v42, vcc
	v_xor_b32_sdwa v14, v14, v13 dst_sel:DWORD dst_unused:UNUSED_PAD src0_sel:DWORD src1_sel:WORD_0
	v_cmp_o_f16_e32 vcc, v13, v13
	v_cndmask_b32_e32 v14, v41, v14, vcc
	v_and_b32_e32 v14, v14, v2
	v_cmp_eq_u32_e32 vcc, v14, v3
	s_and_b64 exec, exec, vcc
	s_cbranch_execz .LBB104_192
; %bb.197:                              ;   in Loop: Header=BB104_195 Depth=2
	s_movk_i32 s28, 0x3c00
	v_perm_b32 v13, v13, s28, v44
	ds_write_b32 v9, v13 offset:3072
	s_branch .LBB104_192
.LBB104_198:                            ;   in Loop: Header=BB104_195 Depth=2
	s_mov_b64 s[28:29], -1
                                        ; implicit-def: $vgpr4
	s_mov_b64 s[8:9], -1
	s_branch .LBB104_194
.LBB104_199:                            ;   in Loop: Header=BB104_15 Depth=1
	s_or_b64 exec, exec, s[16:17]
	s_andn2_b64 s[8:9], s[12:13], exec
	s_and_b64 s[12:13], s[24:25], exec
	v_lshrrev_b32_e32 v8, 16, v13
	s_or_b64 s[12:13], s[8:9], s[12:13]
.LBB104_200:                            ;   in Loop: Header=BB104_15 Depth=1
	s_or_b64 exec, exec, s[14:15]
	s_mov_b64 s[8:9], 0
	v_writelane_b32 v52, s8, 47
	v_writelane_b32 v52, s9, 48
	s_mov_b64 s[14:15], -1
.LBB104_201:                            ;   in Loop: Header=BB104_15 Depth=1
	s_orn2_b64 s[8:9], s[12:13], exec
.LBB104_202:                            ;   in Loop: Header=BB104_15 Depth=1
	s_or_b64 exec, exec, s[2:3]
	s_mov_b64 s[2:3], 0
	s_and_saveexec_b64 s[16:17], s[8:9]
	s_cbranch_execz .LBB104_254
; %bb.203:                              ;   in Loop: Header=BB104_15 Depth=1
	s_xor_b64 s[8:9], s[18:19], -1
	s_mov_b64 s[24:25], 0
	v_mov_b32_e32 v4, 1
	v_mov_b32_e32 v1, 1
	s_and_saveexec_b64 s[2:3], s[8:9]
	s_cbranch_execz .LBB104_212
; %bb.204:                              ;   in Loop: Header=BB104_15 Depth=1
	v_cmp_ge_u32_e32 vcc, s47, v12
	s_and_saveexec_b64 s[8:9], vcc
	s_xor_b64 s[8:9], exec, s[8:9]
	s_cbranch_execz .LBB104_209
; %bb.205:                              ;   in Loop: Header=BB104_15 Depth=1
	v_and_b32_e32 v1, s51, v3
	v_lshl_or_b32 v3, 2, s38, v1
	ds_read_b32 v1, v9 offset:4096
	v_or_b32_e32 v2, s50, v2
	s_waitcnt lgkmcnt(0)
	v_cmp_ne_u32_e32 vcc, 0, v1
	s_cbranch_vccnz .LBB104_209
; %bb.206:                              ;   in Loop: Header=BB104_15 Depth=1
	s_mov_b64 s[12:13], exec
	v_readlane_b32 s18, v52, 7
	v_readlane_b32 s19, v52, 8
	s_and_b64 s[18:19], s[12:13], s[18:19]
	s_mov_b64 exec, s[18:19]
; %bb.207:                              ;   in Loop: Header=BB104_15 Depth=1
	v_mov_b32_e32 v1, s47
	ds_write_b32 v9, v1 offset:4100
; %bb.208:                              ;   in Loop: Header=BB104_15 Depth=1
	s_or_b64 exec, exec, s[12:13]
	s_waitcnt lgkmcnt(0)
	s_barrier
.LBB104_209:                            ;   in Loop: Header=BB104_15 Depth=1
	s_or_saveexec_b64 s[8:9], s[8:9]
	s_mov_b64 s[12:13], 0
	v_mov_b32_e32 v1, 8
	s_xor_b64 exec, exec, s[8:9]
; %bb.210:                              ;   in Loop: Header=BB104_15 Depth=1
	s_mov_b64 s[12:13], exec
	v_subrev_u32_e32 v12, s47, v12
	v_mov_b32_e32 v1, 0
; %bb.211:                              ;   in Loop: Header=BB104_15 Depth=1
	s_or_b64 exec, exec, s[8:9]
	s_and_b64 s[24:25], s[12:13], exec
	v_mov_b32_e32 v4, v12
.LBB104_212:                            ;   in Loop: Header=BB104_15 Depth=1
	s_or_b64 exec, exec, s[2:3]
	s_mov_b64 s[8:9], -1
                                        ; implicit-def: $sgpr2_sgpr3
                                        ; implicit-def: $sgpr12_sgpr13
	s_and_saveexec_b64 s[18:19], s[24:25]
	s_cbranch_execz .LBB104_253
; %bb.213:                              ;   in Loop: Header=BB104_15 Depth=1
	s_cmp_eq_u32 s5, 1
	s_cselect_b64 s[2:3], -1, 0
	v_cmp_eq_u32_e32 vcc, 1, v4
	s_and_b64 s[24:25], s[2:3], vcc
                                        ; implicit-def: $sgpr2_sgpr3
                                        ; implicit-def: $sgpr12_sgpr13
	s_mov_b64 s[56:57], exec
	v_writelane_b32 v52, s24, 49
	v_writelane_b32 v52, s25, 50
	s_and_b64 s[24:25], s[56:57], s[24:25]
	s_mov_b64 exec, s[24:25]
	s_cbranch_execz .LBB104_241
; %bb.214:                              ;   in Loop: Header=BB104_15 Depth=1
	ds_read_b32 v8, v9 offset:4096
	s_waitcnt lgkmcnt(0)
	s_barrier
	v_readfirstlane_b32 s24, v8
	s_mov_b64 s[2:3], exec
	v_readlane_b32 s8, v52, 19
	v_readlane_b32 s9, v52, 20
	s_and_b64 s[8:9], s[2:3], s[8:9]
	s_mov_b64 exec, s[8:9]
; %bb.215:                              ;   in Loop: Header=BB104_15 Depth=1
	ds_write_b16 v26, v9
; %bb.216:                              ;   in Loop: Header=BB104_15 Depth=1
	s_or_b64 exec, exec, s[2:3]
	v_or_b32_e32 v3, s50, v3
	v_or_b32_e32 v2, s50, v2
	s_mov_b64 s[12:13], -1
	s_mov_b64 s[2:3], 0
	s_cmp_eq_u32 s24, 0
	s_mov_b64 s[58:59], 0
	s_mov_b64 s[28:29], -1
	s_waitcnt lgkmcnt(0)
	s_barrier
                                        ; implicit-def: $vgpr8
	s_cbranch_scc1 .LBB104_228
; %bb.217:                              ;   in Loop: Header=BB104_15 Depth=1
	v_readlane_b32 s8, v52, 21
	s_add_i32 s8, s24, s8
	v_readlane_b32 s9, v52, 42
	s_mul_hi_u32 s9, s8, s9
	s_mul_i32 s9, s9, s48
	s_sub_i32 s9, s8, s9
	s_sub_i32 s25, s9, s48
	s_cmp_ge_u32 s9, s48
	s_cselect_b32 s9, s25, s9
	s_sub_i32 s25, s9, s48
	s_cmp_ge_u32 s9, s48
	s_cselect_b32 s9, s25, s9
	s_sub_i32 s25, s8, s9
	s_mov_b64 s[28:29], 0
	v_cmp_gt_u32_e32 vcc, s25, v0
                                        ; implicit-def: $vgpr8
	s_mov_b64 s[8:9], exec
	v_writelane_b32 v52, s8, 51
	v_writelane_b32 v52, s9, 52
	s_and_b64 s[8:9], s[8:9], vcc
	s_mov_b64 exec, s[8:9]
	s_cbranch_execz .LBB104_227
; %bb.218:                              ;   in Loop: Header=BB104_15 Depth=1
	v_mov_b32_e32 v8, v25
	v_mov_b32_e32 v12, v0
                                        ; implicit-def: $sgpr8_sgpr9
	s_branch .LBB104_222
.LBB104_219:                            ;   in Loop: Header=BB104_222 Depth=2
	s_or_b64 exec, exec, s[52:53]
	s_waitcnt lgkmcnt(0)
	s_barrier
	ds_read_b32 v13, v9 offset:3072
	s_waitcnt lgkmcnt(0)
	s_barrier
	v_cmp_neq_f16_e32 vcc, 0, v13
	s_cbranch_vccnz .LBB104_225
; %bb.220:                              ;   in Loop: Header=BB104_222 Depth=2
	v_add_u32_e32 v12, s48, v12
	v_cmp_le_u32_e32 vcc, s25, v12
	v_add_u32_e32 v8, s4, v8
	s_mov_b64 s[52:53], 0
	s_orn2_b64 vcc, vcc, exec
.LBB104_221:                            ;   in Loop: Header=BB104_222 Depth=2
	s_and_b64 vcc, exec, vcc
	s_or_b64 s[58:59], vcc, s[58:59]
	s_andn2_b64 s[8:9], s[8:9], exec
	s_and_b64 s[52:53], s[52:53], exec
	s_or_b64 s[8:9], s[8:9], s[52:53]
	s_andn2_b64 exec, exec, s[58:59]
	s_cbranch_execz .LBB104_226
.LBB104_222:                            ;   Parent Loop BB104_15 Depth=1
                                        ; =>  This Inner Loop Header: Depth=2
	v_cmp_gt_u32_e32 vcc, s24, v12
	s_and_saveexec_b64 s[52:53], vcc
	s_cbranch_execz .LBB104_219
; %bb.223:                              ;   in Loop: Header=BB104_222 Depth=2
	ds_read_u16 v13, v8
	s_waitcnt lgkmcnt(0)
	v_cmp_lt_i16_e32 vcc, -1, v13
	v_cndmask_b32_e32 v14, v41, v42, vcc
	v_xor_b32_sdwa v14, v14, v13 dst_sel:DWORD dst_unused:UNUSED_PAD src0_sel:DWORD src1_sel:WORD_0
	v_cmp_o_f16_e32 vcc, v13, v13
	v_cndmask_b32_e32 v14, v41, v14, vcc
	v_and_b32_e32 v14, v14, v2
	v_cmp_eq_u32_e32 vcc, v14, v3
	s_and_b64 exec, exec, vcc
	s_cbranch_execz .LBB104_219
; %bb.224:                              ;   in Loop: Header=BB104_222 Depth=2
	s_movk_i32 vcc_lo, 0x3c00
	v_perm_b32 v13, v13, vcc_lo, v44
	ds_write_b32 v9, v13 offset:3072
	s_branch .LBB104_219
.LBB104_225:                            ;   in Loop: Header=BB104_222 Depth=2
	s_mov_b64 vcc, -1
                                        ; implicit-def: $vgpr12
                                        ; implicit-def: $vgpr8
	s_mov_b64 s[52:53], -1
	s_branch .LBB104_221
.LBB104_226:                            ;   in Loop: Header=BB104_15 Depth=1
	s_or_b64 exec, exec, s[58:59]
	v_readlane_b32 s52, v52, 45
	v_lshrrev_b32_e32 v8, 16, v13
	s_and_b64 s[58:59], s[8:9], exec
	v_readlane_b32 s53, v52, 46
.LBB104_227:                            ;   in Loop: Header=BB104_15 Depth=1
	v_readlane_b32 s8, v52, 51
	v_readlane_b32 s9, v52, 52
	s_or_b64 exec, exec, s[8:9]
.LBB104_228:                            ;   in Loop: Header=BB104_15 Depth=1
	s_and_b64 vcc, exec, s[28:29]
	s_cbranch_vccz .LBB104_240
; %bb.229:                              ;   in Loop: Header=BB104_15 Depth=1
                                        ; implicit-def: $vgpr8
	s_mov_b64 s[2:3], exec
	v_readlane_b32 s8, v52, 43
	v_readlane_b32 s9, v52, 44
	s_and_b64 s[8:9], s[2:3], s[8:9]
	s_mov_b64 exec, s[8:9]
	s_cbranch_execz .LBB104_239
; %bb.230:                              ;   in Loop: Header=BB104_15 Depth=1
	s_mov_b64 s[12:13], 0
	v_mov_b32_e32 v8, v7
	v_mov_b32_e32 v12, v0
                                        ; implicit-def: $sgpr24_sgpr25
	s_branch .LBB104_234
.LBB104_231:                            ;   in Loop: Header=BB104_234 Depth=2
	s_or_b64 exec, exec, s[8:9]
	s_waitcnt lgkmcnt(0)
	s_barrier
	ds_read_b32 v13, v9 offset:3072
	s_waitcnt lgkmcnt(0)
	s_barrier
	v_cmp_eq_f16_e32 vcc, 0, v13
	s_cbranch_vccz .LBB104_237
; %bb.232:                              ;   in Loop: Header=BB104_234 Depth=2
	v_add_u32_e32 v12, s48, v12
	v_cmp_le_u32_e32 vcc, s61, v12
	v_add_u32_e32 v8, s54, v8
	s_mov_b64 s[8:9], 0
	s_orn2_b64 s[52:53], vcc, exec
.LBB104_233:                            ;   in Loop: Header=BB104_234 Depth=2
	s_and_b64 s[28:29], exec, s[52:53]
	s_or_b64 s[12:13], s[28:29], s[12:13]
	s_andn2_b64 s[24:25], s[24:25], exec
	s_and_b64 s[8:9], s[8:9], exec
	v_readlane_b32 s52, v52, 45
	s_or_b64 s[24:25], s[24:25], s[8:9]
	v_readlane_b32 s53, v52, 46
	s_andn2_b64 exec, exec, s[12:13]
	s_cbranch_execz .LBB104_238
.LBB104_234:                            ;   Parent Loop BB104_15 Depth=1
                                        ; =>  This Inner Loop Header: Depth=2
	v_cmp_gt_u32_e32 vcc, s36, v12
	s_and_saveexec_b64 s[8:9], vcc
	s_cbranch_execz .LBB104_231
; %bb.235:                              ;   in Loop: Header=BB104_234 Depth=2
	v_lshlrev_b64 v[13:14], 1, v[8:9]
	v_mov_b32_e32 v15, s42
	v_add_co_u32_e32 v13, vcc, s40, v13
	v_addc_co_u32_e32 v14, vcc, v15, v14, vcc
	global_load_ushort v13, v[13:14], off
	s_waitcnt vmcnt(0)
	v_cmp_lt_i16_e32 vcc, -1, v13
	v_cndmask_b32_e32 v14, v41, v42, vcc
	v_xor_b32_sdwa v14, v14, v13 dst_sel:DWORD dst_unused:UNUSED_PAD src0_sel:DWORD src1_sel:WORD_0
	v_cmp_o_f16_e32 vcc, v13, v13
	v_cndmask_b32_e32 v14, v41, v14, vcc
	v_and_b32_e32 v14, v14, v2
	v_cmp_eq_u32_e32 vcc, v14, v3
	s_and_b64 exec, exec, vcc
	s_cbranch_execz .LBB104_231
; %bb.236:                              ;   in Loop: Header=BB104_234 Depth=2
	s_movk_i32 s28, 0x3c00
	v_perm_b32 v13, v13, s28, v44
	ds_write_b32 v9, v13 offset:3072
	s_branch .LBB104_231
.LBB104_237:                            ;   in Loop: Header=BB104_234 Depth=2
	s_mov_b64 s[52:53], -1
                                        ; implicit-def: $vgpr12
	s_mov_b64 s[8:9], -1
	s_branch .LBB104_233
.LBB104_238:                            ;   in Loop: Header=BB104_15 Depth=1
	s_or_b64 exec, exec, s[12:13]
	s_andn2_b64 s[8:9], s[58:59], exec
	s_and_b64 s[12:13], s[24:25], exec
	v_lshrrev_b32_e32 v8, 16, v13
	s_or_b64 s[58:59], s[8:9], s[12:13]
.LBB104_239:                            ;   in Loop: Header=BB104_15 Depth=1
	s_or_b64 exec, exec, s[2:3]
	s_mov_b64 s[12:13], 0
	s_mov_b64 s[2:3], -1
.LBB104_240:                            ;   in Loop: Header=BB104_15 Depth=1
	s_orn2_b64 s[8:9], s[58:59], exec
.LBB104_241:                            ;   in Loop: Header=BB104_15 Depth=1
	s_or_b64 exec, exec, s[56:57]
	s_mov_b64 s[24:25], 0
	s_and_saveexec_b64 s[56:57], s[8:9]
	s_cbranch_execz .LBB104_252
; %bb.242:                              ;   in Loop: Header=BB104_15 Depth=1
	v_readlane_b32 s8, v52, 49
	v_readlane_b32 s9, v52, 50
	s_xor_b64 s[24:25], s[8:9], -1
	v_mov_b32_e32 v1, 1
	v_mov_b32_e32 v12, 1
	s_and_saveexec_b64 s[8:9], s[24:25]
	s_cbranch_execz .LBB104_251
; %bb.243:                              ;   in Loop: Header=BB104_15 Depth=1
	v_cmp_ge_u32_e32 vcc, s5, v4
	s_and_saveexec_b64 s[24:25], vcc
	s_xor_b64 s[24:25], exec, s[24:25]
	s_cbranch_execz .LBB104_248
; %bb.244:                              ;   in Loop: Header=BB104_15 Depth=1
	ds_read_b32 v1, v9 offset:4096
	v_or_b32_e32 v3, s50, v3
	v_or_b32_e32 v2, s50, v2
	s_waitcnt lgkmcnt(0)
	v_cmp_ne_u32_e32 vcc, 0, v1
	s_cbranch_vccnz .LBB104_248
; %bb.245:                              ;   in Loop: Header=BB104_15 Depth=1
	s_mov_b64 s[28:29], exec
	v_readlane_b32 s52, v52, 7
	v_readlane_b32 s53, v52, 8
	s_and_b64 s[52:53], s[28:29], s[52:53]
	s_mov_b64 exec, s[52:53]
; %bb.246:                              ;   in Loop: Header=BB104_15 Depth=1
	v_mov_b32_e32 v1, s5
	ds_write_b32 v9, v1 offset:4100
; %bb.247:                              ;   in Loop: Header=BB104_15 Depth=1
	s_or_b64 exec, exec, s[28:29]
	v_readlane_b32 s52, v52, 45
	v_readlane_b32 s53, v52, 46
	s_waitcnt lgkmcnt(0)
	s_barrier
.LBB104_248:                            ;   in Loop: Header=BB104_15 Depth=1
	s_andn2_saveexec_b64 s[24:25], s[24:25]
; %bb.249:                              ;   in Loop: Header=BB104_15 Depth=1
	v_subrev_u32_e32 v4, s5, v4
; %bb.250:                              ;   in Loop: Header=BB104_15 Depth=1
	s_or_b64 exec, exec, s[24:25]
	v_mov_b32_e32 v1, 8
	v_mov_b32_e32 v12, v4
.LBB104_251:                            ;   in Loop: Header=BB104_15 Depth=1
	s_or_b64 exec, exec, s[8:9]
	s_mov_b64 s[24:25], exec
	v_mov_b32_e32 v4, v12
.LBB104_252:                            ;   in Loop: Header=BB104_15 Depth=1
	s_or_b64 exec, exec, s[56:57]
	s_orn2_b64 s[8:9], s[24:25], exec
.LBB104_253:                            ;   in Loop: Header=BB104_15 Depth=1
	s_or_b64 exec, exec, s[18:19]
	s_andn2_b64 s[14:15], s[14:15], exec
	s_and_b64 s[2:3], s[2:3], exec
	s_or_b64 s[14:15], s[14:15], s[2:3]
	v_readlane_b32 s2, v52, 47
	v_readlane_b32 s3, v52, 48
	s_andn2_b64 s[2:3], s[2:3], exec
	s_and_b64 s[12:13], s[12:13], exec
	s_or_b64 s[2:3], s[2:3], s[12:13]
	v_writelane_b32 v52, s2, 47
	v_writelane_b32 v52, s3, 48
	s_and_b64 s[2:3], s[8:9], exec
	v_mov_b32_e32 v12, v4
.LBB104_254:                            ;   in Loop: Header=BB104_15 Depth=1
	s_or_b64 exec, exec, s[16:17]
	s_orn2_b64 s[2:3], s[2:3], exec
.LBB104_255:                            ;   in Loop: Header=BB104_15 Depth=1
	s_or_b64 exec, exec, s[44:45]
	s_andn2_b64 s[8:9], s[84:85], exec
	s_and_b64 s[12:13], s[14:15], exec
	s_or_b64 s[84:85], s[8:9], s[12:13]
	v_readlane_b32 s12, v52, 47
	v_readlane_b32 s13, v52, 48
	s_andn2_b64 s[8:9], s[34:35], exec
	s_and_b64 s[12:13], s[12:13], exec
	s_or_b64 s[34:35], s[8:9], s[12:13]
	s_and_b64 s[2:3], s[2:3], exec
	v_mov_b32_e32 v4, v12
.LBB104_256:                            ;   in Loop: Header=BB104_15 Depth=1
	s_or_b64 exec, exec, s[94:95]
	s_orn2_b64 s[2:3], s[2:3], exec
.LBB104_257:                            ;   in Loop: Header=BB104_15 Depth=1
	s_or_b64 exec, exec, s[6:7]
	s_mov_b64 s[6:7], 0
	s_mov_b64 s[8:9], 0
	s_and_saveexec_b64 s[12:13], s[2:3]
	s_xor_b64 s[2:3], exec, s[12:13]
; %bb.258:                              ;   in Loop: Header=BB104_15 Depth=1
	v_cmp_eq_u32_e32 vcc, 8, v1
	v_cmp_ne_u32_e64 s[6:7], 8, v1
	s_and_b64 s[8:9], s[6:7], exec
	s_and_b64 s[6:7], vcc, exec
; %bb.259:                              ;   in Loop: Header=BB104_15 Depth=1
	s_or_b64 exec, exec, s[2:3]
	s_andn2_b64 s[2:3], s[88:89], exec
	s_and_b64 s[12:13], s[84:85], exec
	s_or_b64 s[88:89], s[2:3], s[12:13]
	s_andn2_b64 s[2:3], s[86:87], exec
	s_and_b64 s[12:13], s[34:35], exec
	s_or_b64 s[86:87], s[2:3], s[12:13]
	s_and_b64 s[34:35], s[8:9], exec
	s_and_b64 s[84:85], s[6:7], exec
.LBB104_260:                            ;   in Loop: Header=BB104_15 Depth=1
	s_or_b64 exec, exec, s[92:93]
.LBB104_261:                            ;   in Loop: Header=BB104_15 Depth=1
	s_and_b64 vcc, exec, s[90:91]
	s_cbranch_vccz .LBB104_275
; %bb.262:                              ;   in Loop: Header=BB104_15 Depth=1
	s_cmp_eq_u32 s5, 1
	s_cselect_b64 s[2:3], -1, 0
	s_and_b64 s[6:7], s[2:3], s[26:27]
	s_mov_b64 s[8:9], -1
                                        ; implicit-def: $sgpr26_sgpr27
                                        ; implicit-def: $sgpr30_sgpr31
	s_and_saveexec_b64 s[2:3], s[6:7]
	s_cbranch_execz .LBB104_291
; %bb.263:                              ;   in Loop: Header=BB104_15 Depth=1
	ds_read_b32 v1, v9 offset:4096
	s_waitcnt lgkmcnt(0)
	s_barrier
	v_readfirstlane_b32 s28, v1
	s_mov_b64 s[8:9], exec
	v_readlane_b32 s12, v52, 19
	v_readlane_b32 s13, v52, 20
	s_and_b64 s[12:13], s[8:9], s[12:13]
	s_mov_b64 exec, s[12:13]
; %bb.264:                              ;   in Loop: Header=BB104_15 Depth=1
	ds_write_b16 v26, v9
; %bb.265:                              ;   in Loop: Header=BB104_15 Depth=1
	s_or_b64 exec, exec, s[8:9]
	v_or_b32_e32 v37, s50, v37
	v_or_b32_e32 v45, s50, v45
	s_mov_b64 s[30:31], -1
	s_mov_b64 s[26:27], 0
	s_cmp_eq_u32 s28, 0
	s_mov_b64 s[12:13], 0
	s_mov_b64 s[14:15], -1
	s_waitcnt lgkmcnt(0)
	s_barrier
                                        ; implicit-def: $vgpr46
	s_cbranch_scc1 .LBB104_278
; %bb.266:                              ;   in Loop: Header=BB104_15 Depth=1
	v_readlane_b32 s8, v52, 21
	s_add_i32 s8, s28, s8
	v_readlane_b32 s9, v52, 42
	s_mul_hi_u32 s9, s8, s9
	s_mul_i32 s9, s9, s48
	s_sub_i32 s9, s8, s9
	s_sub_i32 s12, s9, s48
	s_cmp_ge_u32 s9, s48
	s_cselect_b32 s9, s12, s9
	s_sub_i32 s12, s9, s48
	s_cmp_ge_u32 s9, s48
	s_cselect_b32 s9, s12, s9
	s_sub_i32 s29, s8, s9
	v_cmp_gt_u32_e32 vcc, s29, v0
	s_mov_b64 s[14:15], 0
	s_mov_b64 s[12:13], 0
                                        ; implicit-def: $vgpr46
	s_and_saveexec_b64 s[16:17], vcc
	s_cbranch_execz .LBB104_277
; %bb.267:                              ;   in Loop: Header=BB104_15 Depth=1
	v_mov_b32_e32 v1, v25
	v_mov_b32_e32 v2, v0
                                        ; implicit-def: $sgpr18_sgpr19
	s_branch .LBB104_271
.LBB104_268:                            ;   in Loop: Header=BB104_271 Depth=2
	s_or_b64 exec, exec, s[8:9]
	s_waitcnt lgkmcnt(0)
	s_barrier
	ds_read_b32 v3, v9 offset:3072
	s_waitcnt lgkmcnt(0)
	s_barrier
	v_cmp_neq_f16_e32 vcc, 0, v3
	s_cbranch_vccnz .LBB104_274
; %bb.269:                              ;   in Loop: Header=BB104_271 Depth=2
	v_add_u32_e32 v2, s48, v2
	v_cmp_le_u32_e32 vcc, s29, v2
	v_add_u32_e32 v1, s4, v1
	s_mov_b64 s[8:9], 0
	s_orn2_b64 s[24:25], vcc, exec
.LBB104_270:                            ;   in Loop: Header=BB104_271 Depth=2
	s_and_b64 s[24:25], exec, s[24:25]
	s_or_b64 s[12:13], s[24:25], s[12:13]
	s_andn2_b64 s[18:19], s[18:19], exec
	s_and_b64 s[8:9], s[8:9], exec
	s_or_b64 s[18:19], s[18:19], s[8:9]
	s_andn2_b64 exec, exec, s[12:13]
	s_cbranch_execz .LBB104_276
.LBB104_271:                            ;   Parent Loop BB104_15 Depth=1
                                        ; =>  This Inner Loop Header: Depth=2
	v_cmp_gt_u32_e32 vcc, s28, v2
	s_and_saveexec_b64 s[8:9], vcc
	s_cbranch_execz .LBB104_268
; %bb.272:                              ;   in Loop: Header=BB104_271 Depth=2
	ds_read_u16 v3, v1
	s_waitcnt lgkmcnt(0)
	v_cmp_lt_i16_e32 vcc, -1, v3
	v_cndmask_b32_e32 v4, v41, v42, vcc
	v_xor_b32_sdwa v4, v4, v3 dst_sel:DWORD dst_unused:UNUSED_PAD src0_sel:DWORD src1_sel:WORD_0
	v_cmp_o_f16_e32 vcc, v3, v3
	v_cndmask_b32_e32 v4, v41, v4, vcc
	v_and_b32_e32 v4, v4, v45
	v_cmp_eq_u32_e32 vcc, v4, v37
	s_and_b64 exec, exec, vcc
	s_cbranch_execz .LBB104_268
; %bb.273:                              ;   in Loop: Header=BB104_271 Depth=2
	s_movk_i32 s24, 0x3c00
	v_perm_b32 v3, v3, s24, v44
	ds_write_b32 v9, v3 offset:3072
	s_branch .LBB104_268
.LBB104_274:                            ;   in Loop: Header=BB104_271 Depth=2
	s_mov_b64 s[24:25], -1
                                        ; implicit-def: $vgpr2
                                        ; implicit-def: $vgpr1
	s_mov_b64 s[8:9], -1
	s_branch .LBB104_270
.LBB104_275:                            ;   in Loop: Header=BB104_15 Depth=1
	s_mov_b64 s[26:27], 0
	v_mov_b32_e32 v37, v3
	v_mov_b32_e32 v45, v2
	;; [unrolled: 1-line block ×3, first 2 shown]
	s_and_saveexec_b64 s[2:3], s[84:85]
	s_cbranch_execnz .LBB104_429
	s_branch .LBB104_430
.LBB104_276:                            ;   in Loop: Header=BB104_15 Depth=1
	s_or_b64 exec, exec, s[12:13]
	v_lshrrev_b32_e32 v46, 16, v3
	s_and_b64 s[12:13], s[18:19], exec
.LBB104_277:                            ;   in Loop: Header=BB104_15 Depth=1
	s_or_b64 exec, exec, s[16:17]
.LBB104_278:                            ;   in Loop: Header=BB104_15 Depth=1
	s_and_b64 vcc, exec, s[14:15]
	s_cbranch_vccz .LBB104_290
; %bb.279:                              ;   in Loop: Header=BB104_15 Depth=1
                                        ; implicit-def: $vgpr46
	s_mov_b64 s[14:15], exec
	v_readlane_b32 s8, v52, 43
	v_readlane_b32 s9, v52, 44
	s_and_b64 s[8:9], s[14:15], s[8:9]
	s_mov_b64 exec, s[8:9]
	s_cbranch_execz .LBB104_289
; %bb.280:                              ;   in Loop: Header=BB104_15 Depth=1
	s_mov_b64 s[16:17], 0
	v_mov_b32_e32 v8, v7
	v_mov_b32_e32 v1, v0
                                        ; implicit-def: $sgpr18_sgpr19
	s_branch .LBB104_284
.LBB104_281:                            ;   in Loop: Header=BB104_284 Depth=2
	s_or_b64 exec, exec, s[8:9]
	s_waitcnt lgkmcnt(0)
	s_barrier
	ds_read_b32 v2, v9 offset:3072
	s_waitcnt lgkmcnt(0)
	s_barrier
	v_cmp_neq_f16_e32 vcc, 0, v2
	s_cbranch_vccnz .LBB104_287
; %bb.282:                              ;   in Loop: Header=BB104_284 Depth=2
	v_add_u32_e32 v1, s48, v1
	v_cmp_le_u32_e32 vcc, s61, v1
	v_add_u32_e32 v8, s54, v8
	s_mov_b64 s[8:9], 0
	s_orn2_b64 s[24:25], vcc, exec
.LBB104_283:                            ;   in Loop: Header=BB104_284 Depth=2
	s_and_b64 s[24:25], exec, s[24:25]
	s_or_b64 s[16:17], s[24:25], s[16:17]
	s_andn2_b64 s[18:19], s[18:19], exec
	s_and_b64 s[8:9], s[8:9], exec
	s_or_b64 s[18:19], s[18:19], s[8:9]
	s_andn2_b64 exec, exec, s[16:17]
	s_cbranch_execz .LBB104_288
.LBB104_284:                            ;   Parent Loop BB104_15 Depth=1
                                        ; =>  This Inner Loop Header: Depth=2
	v_cmp_gt_u32_e32 vcc, s36, v1
	s_and_saveexec_b64 s[8:9], vcc
	s_cbranch_execz .LBB104_281
; %bb.285:                              ;   in Loop: Header=BB104_284 Depth=2
	v_lshlrev_b64 v[2:3], 1, v[8:9]
	v_mov_b32_e32 v4, s42
	v_add_co_u32_e32 v2, vcc, s40, v2
	v_addc_co_u32_e32 v3, vcc, v4, v3, vcc
	global_load_ushort v2, v[2:3], off
	s_waitcnt vmcnt(0)
	v_cmp_lt_i16_e32 vcc, -1, v2
	v_cndmask_b32_e32 v3, v41, v42, vcc
	v_xor_b32_sdwa v3, v3, v2 dst_sel:DWORD dst_unused:UNUSED_PAD src0_sel:DWORD src1_sel:WORD_0
	v_cmp_o_f16_e32 vcc, v2, v2
	v_cndmask_b32_e32 v3, v41, v3, vcc
	v_and_b32_e32 v3, v3, v45
	v_cmp_eq_u32_e32 vcc, v3, v37
	s_and_b64 exec, exec, vcc
	s_cbranch_execz .LBB104_281
; %bb.286:                              ;   in Loop: Header=BB104_284 Depth=2
	s_movk_i32 s24, 0x3c00
	v_perm_b32 v2, v2, s24, v44
	ds_write_b32 v9, v2 offset:3072
	s_branch .LBB104_281
.LBB104_287:                            ;   in Loop: Header=BB104_284 Depth=2
	s_mov_b64 s[24:25], -1
                                        ; implicit-def: $vgpr1
	s_mov_b64 s[8:9], -1
	s_branch .LBB104_283
.LBB104_288:                            ;   in Loop: Header=BB104_15 Depth=1
	s_or_b64 exec, exec, s[16:17]
	s_andn2_b64 s[8:9], s[12:13], exec
	s_and_b64 s[12:13], s[18:19], exec
	v_lshrrev_b32_e32 v46, 16, v2
	s_or_b64 s[12:13], s[8:9], s[12:13]
.LBB104_289:                            ;   in Loop: Header=BB104_15 Depth=1
	s_or_b64 exec, exec, s[14:15]
	s_mov_b64 s[30:31], 0
	s_mov_b64 s[26:27], -1
.LBB104_290:                            ;   in Loop: Header=BB104_15 Depth=1
	s_orn2_b64 s[8:9], s[12:13], exec
.LBB104_291:                            ;   in Loop: Header=BB104_15 Depth=1
	s_or_b64 exec, exec, s[2:3]
                                        ; implicit-def: $vgpr4
                                        ; implicit-def: $vgpr1
	s_and_saveexec_b64 s[86:87], s[8:9]
	s_cbranch_execz .LBB104_428
; %bb.292:                              ;   in Loop: Header=BB104_15 Depth=1
	s_xor_b64 s[8:9], s[6:7], -1
	s_mov_b64 s[6:7], 0
	v_mov_b32_e32 v4, 1
	v_mov_b32_e32 v1, 1
	s_and_saveexec_b64 s[2:3], s[8:9]
	s_cbranch_execz .LBB104_301
; %bb.293:                              ;   in Loop: Header=BB104_15 Depth=1
	v_cmp_ge_u32_e32 vcc, s5, v47
	s_and_saveexec_b64 s[6:7], vcc
	s_xor_b64 s[6:7], exec, s[6:7]
	s_cbranch_execz .LBB104_298
; %bb.294:                              ;   in Loop: Header=BB104_15 Depth=1
	ds_read_b32 v1, v9 offset:4096
	v_or_b32_e32 v37, s50, v37
	v_or_b32_e32 v45, s50, v45
	s_waitcnt lgkmcnt(0)
	v_cmp_ne_u32_e32 vcc, 0, v1
	s_cbranch_vccnz .LBB104_298
; %bb.295:                              ;   in Loop: Header=BB104_15 Depth=1
	s_mov_b64 s[8:9], exec
	v_readlane_b32 s12, v52, 7
	v_readlane_b32 s13, v52, 8
	s_and_b64 s[12:13], s[8:9], s[12:13]
	s_mov_b64 exec, s[12:13]
; %bb.296:                              ;   in Loop: Header=BB104_15 Depth=1
	v_mov_b32_e32 v1, s5
	ds_write_b32 v9, v1 offset:4100
; %bb.297:                              ;   in Loop: Header=BB104_15 Depth=1
	s_or_b64 exec, exec, s[8:9]
	s_waitcnt lgkmcnt(0)
	s_barrier
.LBB104_298:                            ;   in Loop: Header=BB104_15 Depth=1
	s_or_saveexec_b64 s[6:7], s[6:7]
	s_mov_b64 s[8:9], 0
	v_mov_b32_e32 v1, 5
	s_xor_b64 exec, exec, s[6:7]
; %bb.299:                              ;   in Loop: Header=BB104_15 Depth=1
	v_subrev_u32_e32 v47, s5, v47
	v_mov_b32_e32 v1, 0
	s_mov_b64 s[8:9], exec
; %bb.300:                              ;   in Loop: Header=BB104_15 Depth=1
	s_or_b64 exec, exec, s[6:7]
	s_and_b64 s[6:7], s[8:9], exec
	v_mov_b32_e32 v4, v47
.LBB104_301:                            ;   in Loop: Header=BB104_15 Depth=1
	s_or_b64 exec, exec, s[2:3]
	s_mov_b64 s[2:3], -1
                                        ; implicit-def: $sgpr88_sgpr89
                                        ; implicit-def: $sgpr90_sgpr91
	s_and_saveexec_b64 s[8:9], s[6:7]
	s_xor_b64 s[6:7], exec, s[8:9]
	s_cbranch_execz .LBB104_425
; %bb.302:                              ;   in Loop: Header=BB104_15 Depth=1
	s_cmp_eq_u32 s47, 1
	s_cselect_b64 s[2:3], -1, 0
	v_cmp_eq_u32_e32 vcc, 1, v4
	s_and_b64 s[14:15], s[2:3], vcc
	s_mov_b64 s[8:9], -1
                                        ; implicit-def: $sgpr90_sgpr91
                                        ; implicit-def: $sgpr88_sgpr89
	s_and_saveexec_b64 s[2:3], s[14:15]
	s_cbranch_execz .LBB104_330
; %bb.303:                              ;   in Loop: Header=BB104_15 Depth=1
	ds_read_b32 v2, v9 offset:4096
	s_waitcnt lgkmcnt(0)
	s_barrier
	v_readfirstlane_b32 s5, v2
	s_mov_b64 s[8:9], exec
	v_readlane_b32 s12, v52, 19
	v_readlane_b32 s13, v52, 20
	s_and_b64 s[12:13], s[8:9], s[12:13]
	s_mov_b64 exec, s[12:13]
; %bb.304:                              ;   in Loop: Header=BB104_15 Depth=1
	ds_write_b16 v26, v9
; %bb.305:                              ;   in Loop: Header=BB104_15 Depth=1
	s_or_b64 exec, exec, s[8:9]
	v_and_b32_e32 v2, s51, v37
	v_lshl_or_b32 v37, 2, s38, v2
	v_or_b32_e32 v45, s50, v45
	s_mov_b64 s[88:89], -1
	s_mov_b64 s[90:91], 0
	s_cmp_eq_u32 s5, 0
	s_mov_b64 s[12:13], 0
	s_mov_b64 s[16:17], -1
	s_waitcnt lgkmcnt(0)
	s_barrier
                                        ; implicit-def: $vgpr46
	s_cbranch_scc1 .LBB104_317
; %bb.306:                              ;   in Loop: Header=BB104_15 Depth=1
	v_readlane_b32 s8, v52, 21
	s_add_i32 s8, s5, s8
	v_readlane_b32 s9, v52, 42
	s_mul_hi_u32 s9, s8, s9
	s_mul_i32 s9, s9, s48
	s_sub_i32 s9, s8, s9
	s_sub_i32 s12, s9, s48
	s_cmp_ge_u32 s9, s48
	s_cselect_b32 s9, s12, s9
	s_sub_i32 s12, s9, s48
	s_cmp_ge_u32 s9, s48
	s_cselect_b32 s9, s12, s9
	s_sub_i32 s44, s8, s9
	v_cmp_gt_u32_e32 vcc, s44, v0
	s_mov_b64 s[16:17], 0
	s_mov_b64 s[12:13], 0
                                        ; implicit-def: $vgpr46
	s_and_saveexec_b64 s[18:19], vcc
	s_cbranch_execz .LBB104_316
; %bb.307:                              ;   in Loop: Header=BB104_15 Depth=1
	v_mov_b32_e32 v2, v25
	v_mov_b32_e32 v3, v0
                                        ; implicit-def: $sgpr24_sgpr25
	s_branch .LBB104_311
.LBB104_308:                            ;   in Loop: Header=BB104_311 Depth=2
	s_or_b64 exec, exec, s[8:9]
	s_waitcnt lgkmcnt(0)
	s_barrier
	ds_read_b32 v8, v9 offset:3072
	s_waitcnt lgkmcnt(0)
	s_barrier
	v_cmp_neq_f16_e32 vcc, 0, v8
	s_cbranch_vccnz .LBB104_314
; %bb.309:                              ;   in Loop: Header=BB104_311 Depth=2
	v_add_u32_e32 v3, s48, v3
	v_cmp_le_u32_e32 vcc, s44, v3
	v_add_u32_e32 v2, s4, v2
	s_mov_b64 s[8:9], 0
	s_orn2_b64 s[28:29], vcc, exec
.LBB104_310:                            ;   in Loop: Header=BB104_311 Depth=2
	s_and_b64 s[28:29], exec, s[28:29]
	s_or_b64 s[12:13], s[28:29], s[12:13]
	s_andn2_b64 s[24:25], s[24:25], exec
	s_and_b64 s[8:9], s[8:9], exec
	s_or_b64 s[24:25], s[24:25], s[8:9]
	s_andn2_b64 exec, exec, s[12:13]
	s_cbranch_execz .LBB104_315
.LBB104_311:                            ;   Parent Loop BB104_15 Depth=1
                                        ; =>  This Inner Loop Header: Depth=2
	v_cmp_gt_u32_e32 vcc, s5, v3
	s_and_saveexec_b64 s[8:9], vcc
	s_cbranch_execz .LBB104_308
; %bb.312:                              ;   in Loop: Header=BB104_311 Depth=2
	ds_read_u16 v8, v2
	s_waitcnt lgkmcnt(0)
	v_cmp_lt_i16_e32 vcc, -1, v8
	v_cndmask_b32_e32 v12, v41, v42, vcc
	v_xor_b32_sdwa v12, v12, v8 dst_sel:DWORD dst_unused:UNUSED_PAD src0_sel:DWORD src1_sel:WORD_0
	v_cmp_o_f16_e32 vcc, v8, v8
	v_cndmask_b32_e32 v12, v41, v12, vcc
	v_and_b32_e32 v12, v12, v45
	v_cmp_eq_u32_e32 vcc, v12, v37
	s_and_b64 exec, exec, vcc
	s_cbranch_execz .LBB104_308
; %bb.313:                              ;   in Loop: Header=BB104_311 Depth=2
	s_movk_i32 s28, 0x3c00
	v_perm_b32 v8, v8, s28, v44
	ds_write_b32 v9, v8 offset:3072
	s_branch .LBB104_308
.LBB104_314:                            ;   in Loop: Header=BB104_311 Depth=2
	s_mov_b64 s[28:29], -1
                                        ; implicit-def: $vgpr3
                                        ; implicit-def: $vgpr2
	s_mov_b64 s[8:9], -1
	s_branch .LBB104_310
.LBB104_315:                            ;   in Loop: Header=BB104_15 Depth=1
	s_or_b64 exec, exec, s[12:13]
	v_lshrrev_b32_e32 v46, 16, v8
	s_and_b64 s[12:13], s[24:25], exec
.LBB104_316:                            ;   in Loop: Header=BB104_15 Depth=1
	s_or_b64 exec, exec, s[18:19]
.LBB104_317:                            ;   in Loop: Header=BB104_15 Depth=1
	s_and_b64 vcc, exec, s[16:17]
	s_cbranch_vccz .LBB104_329
; %bb.318:                              ;   in Loop: Header=BB104_15 Depth=1
                                        ; implicit-def: $vgpr46
	s_mov_b64 s[16:17], exec
	v_readlane_b32 s8, v52, 43
	v_readlane_b32 s9, v52, 44
	s_and_b64 s[8:9], s[16:17], s[8:9]
	s_mov_b64 exec, s[8:9]
	s_cbranch_execz .LBB104_328
; %bb.319:                              ;   in Loop: Header=BB104_15 Depth=1
	s_mov_b64 s[18:19], 0
	v_mov_b32_e32 v8, v7
	v_mov_b32_e32 v2, v0
                                        ; implicit-def: $sgpr24_sgpr25
	s_branch .LBB104_323
.LBB104_320:                            ;   in Loop: Header=BB104_323 Depth=2
	s_or_b64 exec, exec, s[8:9]
	s_waitcnt lgkmcnt(0)
	s_barrier
	ds_read_b32 v3, v9 offset:3072
	s_waitcnt lgkmcnt(0)
	s_barrier
	v_cmp_eq_f16_e32 vcc, 0, v3
	s_cbranch_vccz .LBB104_326
; %bb.321:                              ;   in Loop: Header=BB104_323 Depth=2
	v_add_u32_e32 v2, s48, v2
	v_cmp_le_u32_e32 vcc, s61, v2
	v_add_u32_e32 v8, s54, v8
	s_mov_b64 s[8:9], 0
	s_orn2_b64 s[28:29], vcc, exec
.LBB104_322:                            ;   in Loop: Header=BB104_323 Depth=2
	s_and_b64 s[28:29], exec, s[28:29]
	s_or_b64 s[18:19], s[28:29], s[18:19]
	s_andn2_b64 s[24:25], s[24:25], exec
	s_and_b64 s[8:9], s[8:9], exec
	s_or_b64 s[24:25], s[24:25], s[8:9]
	s_andn2_b64 exec, exec, s[18:19]
	s_cbranch_execz .LBB104_327
.LBB104_323:                            ;   Parent Loop BB104_15 Depth=1
                                        ; =>  This Inner Loop Header: Depth=2
	v_cmp_gt_u32_e32 vcc, s36, v2
	s_and_saveexec_b64 s[8:9], vcc
	s_cbranch_execz .LBB104_320
; %bb.324:                              ;   in Loop: Header=BB104_323 Depth=2
	v_lshlrev_b64 v[12:13], 1, v[8:9]
	v_mov_b32_e32 v3, s42
	v_add_co_u32_e32 v12, vcc, s40, v12
	v_addc_co_u32_e32 v13, vcc, v3, v13, vcc
	global_load_ushort v3, v[12:13], off
	s_waitcnt vmcnt(0)
	v_cmp_lt_i16_e32 vcc, -1, v3
	v_cndmask_b32_e32 v12, v41, v42, vcc
	v_xor_b32_sdwa v12, v12, v3 dst_sel:DWORD dst_unused:UNUSED_PAD src0_sel:DWORD src1_sel:WORD_0
	v_cmp_o_f16_e32 vcc, v3, v3
	v_cndmask_b32_e32 v12, v41, v12, vcc
	v_and_b32_e32 v12, v12, v45
	v_cmp_eq_u32_e32 vcc, v12, v37
	s_and_b64 exec, exec, vcc
	s_cbranch_execz .LBB104_320
; %bb.325:                              ;   in Loop: Header=BB104_323 Depth=2
	s_movk_i32 s5, 0x3c00
	v_perm_b32 v3, v3, s5, v44
	ds_write_b32 v9, v3 offset:3072
	s_branch .LBB104_320
.LBB104_326:                            ;   in Loop: Header=BB104_323 Depth=2
	s_mov_b64 s[28:29], -1
                                        ; implicit-def: $vgpr2
	s_mov_b64 s[8:9], -1
	s_branch .LBB104_322
.LBB104_327:                            ;   in Loop: Header=BB104_15 Depth=1
	s_or_b64 exec, exec, s[18:19]
	s_andn2_b64 s[8:9], s[12:13], exec
	s_and_b64 s[12:13], s[24:25], exec
	v_lshrrev_b32_e32 v46, 16, v3
	s_or_b64 s[12:13], s[8:9], s[12:13]
.LBB104_328:                            ;   in Loop: Header=BB104_15 Depth=1
	s_or_b64 exec, exec, s[16:17]
	s_mov_b64 s[88:89], 0
	s_mov_b64 s[90:91], -1
.LBB104_329:                            ;   in Loop: Header=BB104_15 Depth=1
	s_orn2_b64 s[8:9], s[12:13], exec
.LBB104_330:                            ;   in Loop: Header=BB104_15 Depth=1
	s_or_b64 exec, exec, s[2:3]
	s_mov_b64 s[2:3], 0
	s_and_saveexec_b64 s[92:93], s[8:9]
	s_cbranch_execz .LBB104_424
; %bb.331:                              ;   in Loop: Header=BB104_15 Depth=1
	s_xor_b64 s[12:13], s[14:15], -1
	s_mov_b64 s[8:9], 0
	v_mov_b32_e32 v2, 1
	v_mov_b32_e32 v1, 1
	s_and_saveexec_b64 s[2:3], s[12:13]
	s_cbranch_execz .LBB104_340
; %bb.332:                              ;   in Loop: Header=BB104_15 Depth=1
	v_cmp_ge_u32_e32 vcc, s47, v4
	s_and_saveexec_b64 s[8:9], vcc
	s_xor_b64 s[8:9], exec, s[8:9]
	s_cbranch_execz .LBB104_337
; %bb.333:                              ;   in Loop: Header=BB104_15 Depth=1
	v_and_b32_e32 v1, s51, v37
	v_lshl_or_b32 v37, 2, s38, v1
	ds_read_b32 v1, v9 offset:4096
	v_or_b32_e32 v45, s50, v45
	s_waitcnt lgkmcnt(0)
	v_cmp_ne_u32_e32 vcc, 0, v1
	s_cbranch_vccnz .LBB104_337
; %bb.334:                              ;   in Loop: Header=BB104_15 Depth=1
	s_mov_b64 s[12:13], exec
	v_readlane_b32 s14, v52, 7
	v_readlane_b32 s15, v52, 8
	s_and_b64 s[14:15], s[12:13], s[14:15]
	s_mov_b64 exec, s[14:15]
; %bb.335:                              ;   in Loop: Header=BB104_15 Depth=1
	v_mov_b32_e32 v1, s47
	ds_write_b32 v9, v1 offset:4100
; %bb.336:                              ;   in Loop: Header=BB104_15 Depth=1
	s_or_b64 exec, exec, s[12:13]
	s_waitcnt lgkmcnt(0)
	s_barrier
.LBB104_337:                            ;   in Loop: Header=BB104_15 Depth=1
	s_or_saveexec_b64 s[8:9], s[8:9]
	s_mov_b64 s[12:13], 0
	v_mov_b32_e32 v1, 5
	s_xor_b64 exec, exec, s[8:9]
; %bb.338:                              ;   in Loop: Header=BB104_15 Depth=1
	v_subrev_u32_e32 v4, s47, v4
	v_mov_b32_e32 v1, 0
	s_mov_b64 s[12:13], exec
; %bb.339:                              ;   in Loop: Header=BB104_15 Depth=1
	s_or_b64 exec, exec, s[8:9]
	s_and_b64 s[8:9], s[12:13], exec
	v_mov_b32_e32 v2, v4
.LBB104_340:                            ;   in Loop: Header=BB104_15 Depth=1
	s_or_b64 exec, exec, s[2:3]
	s_mov_b64 s[2:3], -1
                                        ; implicit-def: $sgpr44_sgpr45
                                        ; implicit-def: $sgpr58_sgpr59
	s_and_saveexec_b64 s[94:95], s[8:9]
	s_cbranch_execz .LBB104_423
; %bb.341:                              ;   in Loop: Header=BB104_15 Depth=1
	s_cmp_eq_u32 s46, 1
	s_cselect_b64 s[2:3], -1, 0
	v_cmp_eq_u32_e32 vcc, 1, v2
	s_and_b64 s[16:17], s[2:3], vcc
	s_mov_b64 s[8:9], -1
                                        ; implicit-def: $sgpr58_sgpr59
                                        ; implicit-def: $sgpr44_sgpr45
	s_and_saveexec_b64 s[2:3], s[16:17]
	s_cbranch_execz .LBB104_369
; %bb.342:                              ;   in Loop: Header=BB104_15 Depth=1
	ds_read_b32 v3, v9 offset:4096
	s_waitcnt lgkmcnt(0)
	s_barrier
	v_readfirstlane_b32 s5, v3
	s_mov_b64 s[8:9], exec
	v_readlane_b32 s12, v52, 19
	v_readlane_b32 s13, v52, 20
	s_and_b64 s[12:13], s[8:9], s[12:13]
	s_mov_b64 exec, s[12:13]
; %bb.343:                              ;   in Loop: Header=BB104_15 Depth=1
	ds_write_b16 v26, v9
; %bb.344:                              ;   in Loop: Header=BB104_15 Depth=1
	s_or_b64 exec, exec, s[8:9]
	v_and_b32_e32 v3, s51, v37
	v_lshl_or_b32 v37, 1, s38, v3
	v_or_b32_e32 v45, s50, v45
	s_mov_b64 s[44:45], -1
	s_mov_b64 s[58:59], 0
	s_cmp_eq_u32 s5, 0
	s_mov_b64 s[12:13], 0
	s_mov_b64 s[14:15], -1
	s_waitcnt lgkmcnt(0)
	s_barrier
                                        ; implicit-def: $vgpr46
	s_cbranch_scc1 .LBB104_356
; %bb.345:                              ;   in Loop: Header=BB104_15 Depth=1
	v_readlane_b32 s8, v52, 21
	s_add_i32 s8, s5, s8
	v_readlane_b32 s9, v52, 42
	s_mul_hi_u32 s9, s8, s9
	s_mul_i32 s9, s9, s48
	s_sub_i32 s9, s8, s9
	s_sub_i32 s12, s9, s48
	s_cmp_ge_u32 s9, s48
	s_cselect_b32 s9, s12, s9
	s_sub_i32 s12, s9, s48
	s_cmp_ge_u32 s9, s48
	s_cselect_b32 s9, s12, s9
	s_sub_i32 s47, s8, s9
	v_cmp_gt_u32_e32 vcc, s47, v0
	s_mov_b64 s[14:15], 0
	s_mov_b64 s[12:13], 0
                                        ; implicit-def: $vgpr46
	s_and_saveexec_b64 s[18:19], vcc
	s_cbranch_execz .LBB104_355
; %bb.346:                              ;   in Loop: Header=BB104_15 Depth=1
	v_mov_b32_e32 v3, v25
	v_mov_b32_e32 v4, v0
                                        ; implicit-def: $sgpr24_sgpr25
	s_branch .LBB104_350
.LBB104_347:                            ;   in Loop: Header=BB104_350 Depth=2
	s_or_b64 exec, exec, s[8:9]
	s_waitcnt lgkmcnt(0)
	s_barrier
	ds_read_b32 v8, v9 offset:3072
	s_waitcnt lgkmcnt(0)
	s_barrier
	v_cmp_neq_f16_e32 vcc, 0, v8
	s_cbranch_vccnz .LBB104_353
; %bb.348:                              ;   in Loop: Header=BB104_350 Depth=2
	v_add_u32_e32 v4, s48, v4
	v_cmp_le_u32_e32 vcc, s47, v4
	v_add_u32_e32 v3, s4, v3
	s_mov_b64 s[8:9], 0
	s_orn2_b64 s[28:29], vcc, exec
.LBB104_349:                            ;   in Loop: Header=BB104_350 Depth=2
	s_and_b64 s[28:29], exec, s[28:29]
	s_or_b64 s[12:13], s[28:29], s[12:13]
	s_andn2_b64 s[24:25], s[24:25], exec
	s_and_b64 s[8:9], s[8:9], exec
	s_or_b64 s[24:25], s[24:25], s[8:9]
	s_andn2_b64 exec, exec, s[12:13]
	s_cbranch_execz .LBB104_354
.LBB104_350:                            ;   Parent Loop BB104_15 Depth=1
                                        ; =>  This Inner Loop Header: Depth=2
	v_cmp_gt_u32_e32 vcc, s5, v4
	s_and_saveexec_b64 s[8:9], vcc
	s_cbranch_execz .LBB104_347
; %bb.351:                              ;   in Loop: Header=BB104_350 Depth=2
	ds_read_u16 v8, v3
	s_waitcnt lgkmcnt(0)
	v_cmp_lt_i16_e32 vcc, -1, v8
	v_cndmask_b32_e32 v12, v41, v42, vcc
	v_xor_b32_sdwa v12, v12, v8 dst_sel:DWORD dst_unused:UNUSED_PAD src0_sel:DWORD src1_sel:WORD_0
	v_cmp_o_f16_e32 vcc, v8, v8
	v_cndmask_b32_e32 v12, v41, v12, vcc
	v_and_b32_e32 v12, v12, v45
	v_cmp_eq_u32_e32 vcc, v12, v37
	s_and_b64 exec, exec, vcc
	s_cbranch_execz .LBB104_347
; %bb.352:                              ;   in Loop: Header=BB104_350 Depth=2
	s_movk_i32 s28, 0x3c00
	v_perm_b32 v8, v8, s28, v44
	ds_write_b32 v9, v8 offset:3072
	s_branch .LBB104_347
.LBB104_353:                            ;   in Loop: Header=BB104_350 Depth=2
	s_mov_b64 s[28:29], -1
                                        ; implicit-def: $vgpr4
                                        ; implicit-def: $vgpr3
	s_mov_b64 s[8:9], -1
	s_branch .LBB104_349
.LBB104_354:                            ;   in Loop: Header=BB104_15 Depth=1
	s_or_b64 exec, exec, s[12:13]
	v_lshrrev_b32_e32 v46, 16, v8
	s_and_b64 s[12:13], s[24:25], exec
.LBB104_355:                            ;   in Loop: Header=BB104_15 Depth=1
	s_or_b64 exec, exec, s[18:19]
.LBB104_356:                            ;   in Loop: Header=BB104_15 Depth=1
	s_and_b64 vcc, exec, s[14:15]
	s_cbranch_vccz .LBB104_368
; %bb.357:                              ;   in Loop: Header=BB104_15 Depth=1
                                        ; implicit-def: $vgpr46
	s_mov_b64 s[14:15], exec
	v_readlane_b32 s8, v52, 43
	v_readlane_b32 s9, v52, 44
	s_and_b64 s[8:9], s[14:15], s[8:9]
	s_mov_b64 exec, s[8:9]
	s_cbranch_execz .LBB104_367
; %bb.358:                              ;   in Loop: Header=BB104_15 Depth=1
	s_mov_b64 s[18:19], 0
	v_mov_b32_e32 v8, v7
	v_mov_b32_e32 v3, v0
                                        ; implicit-def: $sgpr24_sgpr25
	s_branch .LBB104_362
.LBB104_359:                            ;   in Loop: Header=BB104_362 Depth=2
	s_or_b64 exec, exec, s[8:9]
	s_waitcnt lgkmcnt(0)
	s_barrier
	ds_read_b32 v4, v9 offset:3072
	s_waitcnt lgkmcnt(0)
	s_barrier
	v_cmp_eq_f16_e32 vcc, 0, v4
	s_cbranch_vccz .LBB104_365
; %bb.360:                              ;   in Loop: Header=BB104_362 Depth=2
	v_add_u32_e32 v3, s48, v3
	v_cmp_le_u32_e32 vcc, s61, v3
	v_add_u32_e32 v8, s54, v8
	s_mov_b64 s[8:9], 0
	s_orn2_b64 s[28:29], vcc, exec
.LBB104_361:                            ;   in Loop: Header=BB104_362 Depth=2
	s_and_b64 s[28:29], exec, s[28:29]
	s_or_b64 s[18:19], s[28:29], s[18:19]
	s_andn2_b64 s[24:25], s[24:25], exec
	s_and_b64 s[8:9], s[8:9], exec
	s_or_b64 s[24:25], s[24:25], s[8:9]
	s_andn2_b64 exec, exec, s[18:19]
	s_cbranch_execz .LBB104_366
.LBB104_362:                            ;   Parent Loop BB104_15 Depth=1
                                        ; =>  This Inner Loop Header: Depth=2
	v_cmp_gt_u32_e32 vcc, s36, v3
	s_and_saveexec_b64 s[8:9], vcc
	s_cbranch_execz .LBB104_359
; %bb.363:                              ;   in Loop: Header=BB104_362 Depth=2
	v_lshlrev_b64 v[12:13], 1, v[8:9]
	v_mov_b32_e32 v4, s42
	v_add_co_u32_e32 v12, vcc, s40, v12
	v_addc_co_u32_e32 v13, vcc, v4, v13, vcc
	global_load_ushort v4, v[12:13], off
	s_waitcnt vmcnt(0)
	v_cmp_lt_i16_e32 vcc, -1, v4
	v_cndmask_b32_e32 v12, v41, v42, vcc
	v_xor_b32_sdwa v12, v12, v4 dst_sel:DWORD dst_unused:UNUSED_PAD src0_sel:DWORD src1_sel:WORD_0
	v_cmp_o_f16_e32 vcc, v4, v4
	v_cndmask_b32_e32 v12, v41, v12, vcc
	v_and_b32_e32 v12, v12, v45
	v_cmp_eq_u32_e32 vcc, v12, v37
	s_and_b64 exec, exec, vcc
	s_cbranch_execz .LBB104_359
; %bb.364:                              ;   in Loop: Header=BB104_362 Depth=2
	s_movk_i32 s5, 0x3c00
	v_perm_b32 v4, v4, s5, v44
	ds_write_b32 v9, v4 offset:3072
	s_branch .LBB104_359
.LBB104_365:                            ;   in Loop: Header=BB104_362 Depth=2
	s_mov_b64 s[28:29], -1
                                        ; implicit-def: $vgpr3
	s_mov_b64 s[8:9], -1
	s_branch .LBB104_361
.LBB104_366:                            ;   in Loop: Header=BB104_15 Depth=1
	s_or_b64 exec, exec, s[18:19]
	s_andn2_b64 s[8:9], s[12:13], exec
	s_and_b64 s[12:13], s[24:25], exec
	v_lshrrev_b32_e32 v46, 16, v4
	s_or_b64 s[12:13], s[8:9], s[12:13]
.LBB104_367:                            ;   in Loop: Header=BB104_15 Depth=1
	s_or_b64 exec, exec, s[14:15]
	s_mov_b64 s[44:45], 0
	s_mov_b64 s[58:59], -1
.LBB104_368:                            ;   in Loop: Header=BB104_15 Depth=1
	s_orn2_b64 s[8:9], s[12:13], exec
.LBB104_369:                            ;   in Loop: Header=BB104_15 Depth=1
	s_or_b64 exec, exec, s[2:3]
	s_mov_b64 s[2:3], 0
	s_and_saveexec_b64 s[14:15], s[8:9]
	s_cbranch_execz .LBB104_422
; %bb.370:                              ;   in Loop: Header=BB104_15 Depth=1
	s_xor_b64 s[12:13], s[16:17], -1
	s_mov_b64 s[8:9], 0
	v_mov_b32_e32 v3, 1
	v_mov_b32_e32 v1, 1
	s_and_saveexec_b64 s[2:3], s[12:13]
	s_cbranch_execz .LBB104_379
; %bb.371:                              ;   in Loop: Header=BB104_15 Depth=1
	v_cmp_ge_u32_e32 vcc, s46, v2
	s_and_saveexec_b64 s[8:9], vcc
	s_xor_b64 s[8:9], exec, s[8:9]
	s_cbranch_execz .LBB104_376
; %bb.372:                              ;   in Loop: Header=BB104_15 Depth=1
	v_and_b32_e32 v1, s51, v37
	v_lshl_or_b32 v37, 1, s38, v1
	ds_read_b32 v1, v9 offset:4096
	v_or_b32_e32 v45, s50, v45
	s_waitcnt lgkmcnt(0)
	v_cmp_ne_u32_e32 vcc, 0, v1
	s_cbranch_vccnz .LBB104_376
; %bb.373:                              ;   in Loop: Header=BB104_15 Depth=1
	s_mov_b64 s[12:13], exec
	v_readlane_b32 s16, v52, 7
	v_readlane_b32 s17, v52, 8
	s_and_b64 s[16:17], s[12:13], s[16:17]
	s_mov_b64 exec, s[16:17]
; %bb.374:                              ;   in Loop: Header=BB104_15 Depth=1
	v_mov_b32_e32 v1, s46
	ds_write_b32 v9, v1 offset:4100
; %bb.375:                              ;   in Loop: Header=BB104_15 Depth=1
	s_or_b64 exec, exec, s[12:13]
	s_waitcnt lgkmcnt(0)
	s_barrier
.LBB104_376:                            ;   in Loop: Header=BB104_15 Depth=1
	s_or_saveexec_b64 s[8:9], s[8:9]
	s_mov_b64 s[12:13], 0
	v_mov_b32_e32 v1, 5
	s_xor_b64 exec, exec, s[8:9]
; %bb.377:                              ;   in Loop: Header=BB104_15 Depth=1
	v_subrev_u32_e32 v2, s46, v2
	v_mov_b32_e32 v1, 0
	s_mov_b64 s[12:13], exec
; %bb.378:                              ;   in Loop: Header=BB104_15 Depth=1
	s_or_b64 exec, exec, s[8:9]
	s_and_b64 s[8:9], s[12:13], exec
	v_mov_b32_e32 v3, v2
.LBB104_379:                            ;   in Loop: Header=BB104_15 Depth=1
	s_or_b64 exec, exec, s[2:3]
	s_mov_b64 s[2:3], -1
                                        ; implicit-def: $sgpr28_sgpr29
                                        ; implicit-def: $sgpr46_sgpr47
	s_and_saveexec_b64 s[16:17], s[8:9]
	s_cbranch_execz .LBB104_421
; %bb.380:                              ;   in Loop: Header=BB104_15 Depth=1
	s_cmp_eq_u32 s39, 1
	s_cselect_b64 s[2:3], -1, 0
	v_cmp_eq_u32_e32 vcc, 1, v3
	s_mov_b64 s[8:9], -1
	s_and_b64 s[12:13], s[2:3], vcc
                                        ; implicit-def: $sgpr28_sgpr29
                                        ; implicit-def: $sgpr46_sgpr47
	s_mov_b64 s[2:3], exec
	v_writelane_b32 v52, s12, 47
	v_writelane_b32 v52, s13, 48
	s_and_b64 s[12:13], s[2:3], s[12:13]
	s_mov_b64 exec, s[12:13]
	s_cbranch_execz .LBB104_409
; %bb.381:                              ;   in Loop: Header=BB104_15 Depth=1
	ds_read_b32 v2, v9 offset:4096
	s_waitcnt lgkmcnt(0)
	s_barrier
	v_readfirstlane_b32 s5, v2
	s_mov_b64 s[8:9], exec
	v_readlane_b32 s12, v52, 19
	v_readlane_b32 s13, v52, 20
	s_and_b64 s[12:13], s[8:9], s[12:13]
	s_mov_b64 exec, s[12:13]
; %bb.382:                              ;   in Loop: Header=BB104_15 Depth=1
	ds_write_b16 v26, v9
; %bb.383:                              ;   in Loop: Header=BB104_15 Depth=1
	s_or_b64 exec, exec, s[8:9]
	v_and_b32_e32 v37, s51, v37
	v_or_b32_e32 v45, s50, v45
	s_mov_b64 s[28:29], 0
	s_cmp_eq_u32 s5, 0
	s_mov_b64 s[56:57], 0
	s_mov_b64 s[46:47], -1
	s_waitcnt lgkmcnt(0)
	s_barrier
                                        ; implicit-def: $vgpr46
	s_cbranch_scc1 .LBB104_395
; %bb.384:                              ;   in Loop: Header=BB104_15 Depth=1
	v_readlane_b32 s8, v52, 21
	s_add_i32 s8, s5, s8
	v_readlane_b32 s9, v52, 42
	s_mul_hi_u32 s9, s8, s9
	s_mul_i32 s9, s9, s48
	s_sub_i32 s9, s8, s9
	s_sub_i32 s12, s9, s48
	s_cmp_ge_u32 s9, s48
	s_cselect_b32 s9, s12, s9
	s_sub_i32 s12, s9, s48
	s_cmp_ge_u32 s9, s48
	s_cselect_b32 s9, s12, s9
	s_sub_i32 s18, s8, s9
	v_cmp_gt_u32_e32 vcc, s18, v0
	s_mov_b64 s[46:47], 0
                                        ; implicit-def: $vgpr46
	s_and_saveexec_b64 s[12:13], vcc
	s_cbranch_execz .LBB104_394
; %bb.385:                              ;   in Loop: Header=BB104_15 Depth=1
	s_mov_b64 s[24:25], 0
	v_mov_b32_e32 v2, v25
	v_mov_b32_e32 v4, v0
                                        ; implicit-def: $sgpr56_sgpr57
	s_branch .LBB104_389
.LBB104_386:                            ;   in Loop: Header=BB104_389 Depth=2
	s_or_b64 exec, exec, s[8:9]
	s_waitcnt lgkmcnt(0)
	s_barrier
	ds_read_b32 v8, v9 offset:3072
	s_waitcnt lgkmcnt(0)
	s_barrier
	v_cmp_neq_f16_e32 vcc, 0, v8
	s_cbranch_vccnz .LBB104_392
; %bb.387:                              ;   in Loop: Header=BB104_389 Depth=2
	v_add_u32_e32 v4, s48, v4
	v_cmp_le_u32_e32 vcc, s18, v4
	v_add_u32_e32 v2, s4, v2
	s_mov_b64 s[8:9], 0
	s_orn2_b64 s[52:53], vcc, exec
.LBB104_388:                            ;   in Loop: Header=BB104_389 Depth=2
	s_and_b64 s[52:53], exec, s[52:53]
	s_or_b64 s[24:25], s[52:53], s[24:25]
	s_andn2_b64 s[52:53], s[56:57], exec
	s_and_b64 s[8:9], s[8:9], exec
	s_or_b64 s[56:57], s[52:53], s[8:9]
	s_andn2_b64 exec, exec, s[24:25]
	s_cbranch_execz .LBB104_393
.LBB104_389:                            ;   Parent Loop BB104_15 Depth=1
                                        ; =>  This Inner Loop Header: Depth=2
	v_cmp_gt_u32_e32 vcc, s5, v4
	s_and_saveexec_b64 s[8:9], vcc
	s_cbranch_execz .LBB104_386
; %bb.390:                              ;   in Loop: Header=BB104_389 Depth=2
	ds_read_u16 v8, v2
	s_waitcnt lgkmcnt(0)
	v_cmp_lt_i16_e32 vcc, -1, v8
	v_cndmask_b32_e32 v12, v41, v42, vcc
	v_xor_b32_sdwa v12, v12, v8 dst_sel:DWORD dst_unused:UNUSED_PAD src0_sel:DWORD src1_sel:WORD_0
	v_cmp_o_f16_e32 vcc, v8, v8
	v_cndmask_b32_e32 v12, v41, v12, vcc
	v_and_b32_e32 v12, v12, v45
	v_cmp_eq_u32_e32 vcc, v12, v37
	s_and_b64 exec, exec, vcc
	s_cbranch_execz .LBB104_386
; %bb.391:                              ;   in Loop: Header=BB104_389 Depth=2
	s_movk_i32 s19, 0x3c00
	v_perm_b32 v8, v8, s19, v44
	ds_write_b32 v9, v8 offset:3072
	s_branch .LBB104_386
.LBB104_392:                            ;   in Loop: Header=BB104_389 Depth=2
	s_mov_b64 s[52:53], -1
                                        ; implicit-def: $vgpr4
                                        ; implicit-def: $vgpr2
	s_mov_b64 s[8:9], -1
	s_branch .LBB104_388
.LBB104_393:                            ;   in Loop: Header=BB104_15 Depth=1
	s_or_b64 exec, exec, s[24:25]
	v_readlane_b32 s52, v52, 45
	v_lshrrev_b32_e32 v46, 16, v8
	s_and_b64 s[56:57], s[56:57], exec
	v_readlane_b32 s53, v52, 46
.LBB104_394:                            ;   in Loop: Header=BB104_15 Depth=1
	s_or_b64 exec, exec, s[12:13]
.LBB104_395:                            ;   in Loop: Header=BB104_15 Depth=1
	s_and_b64 vcc, exec, s[46:47]
	s_cbranch_vccz .LBB104_405
; %bb.396:                              ;   in Loop: Header=BB104_15 Depth=1
                                        ; implicit-def: $vgpr46
	s_mov_b64 s[18:19], exec
	v_readlane_b32 s8, v52, 43
	v_readlane_b32 s9, v52, 44
	s_and_b64 s[8:9], s[18:19], s[8:9]
	s_mov_b64 exec, s[8:9]
	s_cbranch_execz .LBB104_407
; %bb.397:                              ;   in Loop: Header=BB104_15 Depth=1
	s_mov_b64 s[24:25], 0
	v_mov_b32_e32 v8, v7
	v_mov_b32_e32 v2, v0
                                        ; implicit-def: $sgpr28_sgpr29
	s_branch .LBB104_401
.LBB104_398:                            ;   in Loop: Header=BB104_401 Depth=2
	s_or_b64 exec, exec, s[8:9]
	s_waitcnt lgkmcnt(0)
	s_barrier
	ds_read_b32 v4, v9 offset:3072
	s_waitcnt lgkmcnt(0)
	s_barrier
	v_cmp_eq_f16_e32 vcc, 0, v4
	s_cbranch_vccz .LBB104_404
; %bb.399:                              ;   in Loop: Header=BB104_401 Depth=2
	v_add_u32_e32 v2, s48, v2
	v_cmp_le_u32_e32 vcc, s61, v2
	v_add_u32_e32 v8, s54, v8
	s_mov_b64 s[8:9], 0
	s_orn2_b64 s[52:53], vcc, exec
.LBB104_400:                            ;   in Loop: Header=BB104_401 Depth=2
	s_and_b64 s[12:13], exec, s[52:53]
	s_or_b64 s[24:25], s[12:13], s[24:25]
	s_andn2_b64 s[12:13], s[28:29], exec
	s_and_b64 s[8:9], s[8:9], exec
	v_readlane_b32 s52, v52, 45
	s_or_b64 s[28:29], s[12:13], s[8:9]
	v_readlane_b32 s53, v52, 46
	s_andn2_b64 exec, exec, s[24:25]
	s_cbranch_execz .LBB104_406
.LBB104_401:                            ;   Parent Loop BB104_15 Depth=1
                                        ; =>  This Inner Loop Header: Depth=2
	v_cmp_gt_u32_e32 vcc, s36, v2
	s_and_saveexec_b64 s[8:9], vcc
	s_cbranch_execz .LBB104_398
; %bb.402:                              ;   in Loop: Header=BB104_401 Depth=2
	v_lshlrev_b64 v[12:13], 1, v[8:9]
	v_mov_b32_e32 v4, s42
	v_add_co_u32_e32 v12, vcc, s40, v12
	v_addc_co_u32_e32 v13, vcc, v4, v13, vcc
	global_load_ushort v4, v[12:13], off
	s_waitcnt vmcnt(0)
	v_cmp_lt_i16_e32 vcc, -1, v4
	v_cndmask_b32_e32 v12, v41, v42, vcc
	v_xor_b32_sdwa v12, v12, v4 dst_sel:DWORD dst_unused:UNUSED_PAD src0_sel:DWORD src1_sel:WORD_0
	v_cmp_o_f16_e32 vcc, v4, v4
	v_cndmask_b32_e32 v12, v41, v12, vcc
	v_and_b32_e32 v12, v12, v45
	v_cmp_eq_u32_e32 vcc, v12, v37
	s_and_b64 exec, exec, vcc
	s_cbranch_execz .LBB104_398
; %bb.403:                              ;   in Loop: Header=BB104_401 Depth=2
	s_movk_i32 s5, 0x3c00
	v_perm_b32 v4, v4, s5, v44
	ds_write_b32 v9, v4 offset:3072
	s_branch .LBB104_398
.LBB104_404:                            ;   in Loop: Header=BB104_401 Depth=2
	s_mov_b64 s[52:53], -1
                                        ; implicit-def: $vgpr2
	s_mov_b64 s[8:9], -1
	s_branch .LBB104_400
.LBB104_405:                            ;   in Loop: Header=BB104_15 Depth=1
	s_mov_b64 s[46:47], -1
	s_branch .LBB104_408
.LBB104_406:                            ;   in Loop: Header=BB104_15 Depth=1
	s_or_b64 exec, exec, s[24:25]
	s_andn2_b64 s[8:9], s[56:57], exec
	s_and_b64 s[12:13], s[28:29], exec
	v_lshrrev_b32_e32 v46, 16, v4
	s_or_b64 s[56:57], s[8:9], s[12:13]
.LBB104_407:                            ;   in Loop: Header=BB104_15 Depth=1
	s_or_b64 exec, exec, s[18:19]
	s_mov_b64 s[46:47], 0
	s_mov_b64 s[28:29], -1
.LBB104_408:                            ;   in Loop: Header=BB104_15 Depth=1
	s_orn2_b64 s[8:9], s[56:57], exec
.LBB104_409:                            ;   in Loop: Header=BB104_15 Depth=1
	s_or_b64 exec, exec, s[2:3]
	s_mov_b64 s[24:25], 0
	s_and_saveexec_b64 s[2:3], s[8:9]
	s_cbranch_execz .LBB104_420
; %bb.410:                              ;   in Loop: Header=BB104_15 Depth=1
	v_readlane_b32 s8, v52, 47
	v_readlane_b32 s9, v52, 48
	s_xor_b64 s[8:9], s[8:9], -1
	v_mov_b32_e32 v1, 1
	v_mov_b32_e32 v2, 1
	s_and_saveexec_b64 s[12:13], s[8:9]
	s_cbranch_execz .LBB104_419
; %bb.411:                              ;   in Loop: Header=BB104_15 Depth=1
	v_cmp_ge_u32_e32 vcc, s39, v3
	s_and_saveexec_b64 s[8:9], vcc
	s_xor_b64 s[8:9], exec, s[8:9]
	s_cbranch_execz .LBB104_416
; %bb.412:                              ;   in Loop: Header=BB104_15 Depth=1
	ds_read_b32 v1, v9 offset:4096
	v_and_b32_e32 v37, s51, v37
	v_or_b32_e32 v45, s50, v45
	s_waitcnt lgkmcnt(0)
	v_cmp_ne_u32_e32 vcc, 0, v1
	s_cbranch_vccnz .LBB104_416
; %bb.413:                              ;   in Loop: Header=BB104_15 Depth=1
	s_mov_b64 s[24:25], exec
	v_readlane_b32 s18, v52, 7
	v_readlane_b32 s19, v52, 8
	s_and_b64 s[18:19], s[24:25], s[18:19]
	s_mov_b64 exec, s[18:19]
; %bb.414:                              ;   in Loop: Header=BB104_15 Depth=1
	v_mov_b32_e32 v1, s39
	ds_write_b32 v9, v1 offset:4100
; %bb.415:                              ;   in Loop: Header=BB104_15 Depth=1
	s_or_b64 exec, exec, s[24:25]
	s_waitcnt lgkmcnt(0)
	s_barrier
.LBB104_416:                            ;   in Loop: Header=BB104_15 Depth=1
	s_andn2_saveexec_b64 s[8:9], s[8:9]
; %bb.417:                              ;   in Loop: Header=BB104_15 Depth=1
	v_subrev_u32_e32 v3, s39, v3
; %bb.418:                              ;   in Loop: Header=BB104_15 Depth=1
	s_or_b64 exec, exec, s[8:9]
	v_mov_b32_e32 v1, 5
	v_mov_b32_e32 v2, v3
.LBB104_419:                            ;   in Loop: Header=BB104_15 Depth=1
	s_or_b64 exec, exec, s[12:13]
	s_mov_b64 s[24:25], exec
	v_mov_b32_e32 v3, v2
.LBB104_420:                            ;   in Loop: Header=BB104_15 Depth=1
	s_or_b64 exec, exec, s[2:3]
	s_orn2_b64 s[2:3], s[24:25], exec
.LBB104_421:                            ;   in Loop: Header=BB104_15 Depth=1
	s_or_b64 exec, exec, s[16:17]
	s_andn2_b64 s[8:9], s[58:59], exec
	s_and_b64 s[12:13], s[28:29], exec
	s_or_b64 s[58:59], s[8:9], s[12:13]
	s_andn2_b64 s[8:9], s[44:45], exec
	s_and_b64 s[12:13], s[46:47], exec
	s_or_b64 s[44:45], s[8:9], s[12:13]
	s_and_b64 s[2:3], s[2:3], exec
	v_mov_b32_e32 v2, v3
.LBB104_422:                            ;   in Loop: Header=BB104_15 Depth=1
	s_or_b64 exec, exec, s[14:15]
	s_orn2_b64 s[2:3], s[2:3], exec
.LBB104_423:                            ;   in Loop: Header=BB104_15 Depth=1
	s_or_b64 exec, exec, s[94:95]
	s_andn2_b64 s[8:9], s[90:91], exec
	s_and_b64 s[12:13], s[58:59], exec
	s_or_b64 s[90:91], s[8:9], s[12:13]
	s_andn2_b64 s[8:9], s[88:89], exec
	s_and_b64 s[12:13], s[44:45], exec
	s_or_b64 s[88:89], s[8:9], s[12:13]
	s_and_b64 s[2:3], s[2:3], exec
	v_mov_b32_e32 v4, v2
.LBB104_424:                            ;   in Loop: Header=BB104_15 Depth=1
	s_or_b64 exec, exec, s[92:93]
	s_orn2_b64 s[2:3], s[2:3], exec
.LBB104_425:                            ;   in Loop: Header=BB104_15 Depth=1
	s_or_b64 exec, exec, s[6:7]
	s_mov_b64 s[6:7], s[84:85]
	s_mov_b64 s[8:9], s[34:35]
	s_and_saveexec_b64 s[12:13], s[2:3]
; %bb.426:                              ;   in Loop: Header=BB104_15 Depth=1
	v_cmp_ne_u32_e64 s[6:7], 5, v1
	v_cmp_eq_u32_e32 vcc, 5, v1
	s_andn2_b64 s[2:3], s[34:35], exec
	s_and_b64 s[6:7], s[6:7], exec
	s_or_b64 s[8:9], s[2:3], s[6:7]
	s_andn2_b64 s[2:3], s[84:85], exec
	s_and_b64 s[6:7], vcc, exec
	s_or_b64 s[6:7], s[2:3], s[6:7]
; %bb.427:                              ;   in Loop: Header=BB104_15 Depth=1
	s_or_b64 exec, exec, s[12:13]
	s_andn2_b64 s[2:3], s[26:27], exec
	s_and_b64 s[12:13], s[90:91], exec
	s_or_b64 s[26:27], s[2:3], s[12:13]
	s_andn2_b64 s[2:3], s[30:31], exec
	s_and_b64 s[12:13], s[88:89], exec
	s_or_b64 s[30:31], s[2:3], s[12:13]
	;; [unrolled: 3-line block ×4, first 2 shown]
.LBB104_428:                            ;   in Loop: Header=BB104_15 Depth=1
	s_or_b64 exec, exec, s[86:87]
	s_mov_b64 s[86:87], 0
	s_mov_b64 s[88:89], 0
	s_and_saveexec_b64 s[2:3], s[84:85]
.LBB104_429:                            ;   in Loop: Header=BB104_15 Depth=1
	v_mov_b32_e32 v1, 0
	s_or_b64 s[34:35], s[34:35], exec
.LBB104_430:                            ;   in Loop: Header=BB104_15 Depth=1
	s_or_b64 exec, exec, s[2:3]
	s_andn2_b64 s[2:3], s[80:81], exec
	s_and_b64 s[8:9], s[26:27], exec
	s_or_b64 s[80:81], s[2:3], s[8:9]
	s_andn2_b64 s[2:3], s[78:79], exec
	s_and_b64 s[8:9], s[30:31], exec
	s_or_b64 s[78:79], s[2:3], s[8:9]
	;; [unrolled: 3-line block ×3, first 2 shown]
	s_andn2_b64 s[2:3], s[74:75], exec
	s_and_b64 s[8:9], s[86:87], exec
	s_mov_b64 s[6:7], -1
	s_andn2_b64 s[82:83], s[82:83], exec
	s_or_b64 s[74:75], s[2:3], s[8:9]
	v_mov_b32_e32 v47, v4
	s_and_saveexec_b64 s[2:3], s[34:35]
	s_xor_b64 s[2:3], exec, s[2:3]
	s_cbranch_execz .LBB104_14
; %bb.431:                              ;   in Loop: Header=BB104_15 Depth=1
	v_cmp_eq_u32_e32 vcc, 0, v1
	s_mov_b64 s[8:9], -1
	s_and_saveexec_b64 s[12:13], vcc
	s_cbranch_execz .LBB104_13
; %bb.432:                              ;   in Loop: Header=BB104_15 Depth=1
	s_xor_b32 s49, s49, 1
	s_add_i32 s5, s38, -2
	s_cmp_eq_u32 s38, 0
	s_cselect_b64 s[6:7], -1, 0
	s_xor_b64 s[8:9], exec, -1
	s_orn2_b64 s[6:7], s[6:7], exec
	s_mov_b32 s38, s5
	s_branch .LBB104_13
.LBB104_433:
	s_or_b64 exec, exec, s[62:63]
	s_xor_b64 s[6:7], s[72:73], -1
	s_xor_b64 s[14:15], s[68:69], -1
	;; [unrolled: 1-line block ×5, first 2 shown]
	s_mov_b64 s[8:9], 0
	s_and_saveexec_b64 s[10:11], s[4:5]
	s_xor_b64 s[10:11], exec, s[10:11]
	s_cbranch_execnz .LBB104_438
; %bb.434:
	s_andn2_saveexec_b64 s[0:1], s[10:11]
	s_cbranch_execnz .LBB104_457
.LBB104_435:
	s_or_b64 exec, exec, s[0:1]
	s_and_saveexec_b64 s[0:1], s[8:9]
.LBB104_436:
	; divergent unreachable
.LBB104_437:
	s_endpgm
.LBB104_438:
	s_and_saveexec_b64 s[4:5], s[12:13]
	s_xor_b64 s[12:13], exec, s[4:5]
	s_cbranch_execz .LBB104_455
; %bb.439:
	s_and_saveexec_b64 s[4:5], s[14:15]
	s_xor_b64 s[14:15], exec, s[4:5]
	s_cbranch_execz .LBB104_453
; %bb.440:
	;; [unrolled: 4-line block ×3, first 2 shown]
	s_and_saveexec_b64 s[4:5], s[2:3]
	s_xor_b64 s[2:3], exec, s[4:5]
; %bb.442:
	v_and_b32_e32 v1, 0x8000, v37
	v_mov_b32_e32 v2, 0x8000
	v_mov_b32_e32 v3, 0xffff
	v_cmp_eq_u32_e32 vcc, 0, v1
	v_cndmask_b32_e32 v1, v2, v3, vcc
	v_xor_b32_e32 v46, v1, v37
; %bb.443:
	s_or_b64 exec, exec, s[2:3]
	s_mov_b64 s[2:3], exec
	v_readlane_b32 s4, v52, 7
	v_readlane_b32 s5, v52, 8
	v_readlane_b32 s44, v52, 9
	s_and_b64 s[4:5], s[2:3], s[4:5]
	v_readlane_b32 s45, v52, 10
	s_mov_b64 exec, s[4:5]
; %bb.444:
	v_mov_b32_e32 v1, 0
	ds_write_b32 v1, v1 offset:4108
; %bb.445:
	s_or_b64 exec, exec, s[2:3]
	v_mov_b32_e32 v4, 0
	s_waitcnt lgkmcnt(0)
	s_barrier
	s_and_saveexec_b64 s[2:3], s[52:53]
	s_cbranch_execz .LBB104_447
; %bb.446:
	global_load_ushort v4, v[5:6], off
.LBB104_447:
	s_or_b64 exec, exec, s[2:3]
	v_readlane_b32 s4, v52, 3
	v_readlane_b32 s5, v52, 4
	s_load_dword s3, s[4:5], 0x23c
	v_readlane_b32 s2, v52, 0
	s_mul_i32 s2, s2, s20
	s_add_i32 s30, s36, 63
	s_add_i32 s2, s2, s41
	s_waitcnt lgkmcnt(0)
	s_mul_i32 s3, s3, s55
	s_load_dword s31, s[4:5], 0x2a8
	s_load_dword s34, s[4:5], 0x1c8
	s_add_i32 s4, s3, s43
	s_mov_b32 s3, 0
	s_andn2_b32 s30, s30, 63
	s_lshl_b64 s[6:7], s[2:3], 1
	v_readlane_b32 s8, v52, 1
	v_mov_b32_e32 v8, 0xffff
	v_mov_b32_e32 v9, 0x8000
	v_cmp_lt_i16_e32 vcc, -1, v46
	v_readlane_b32 s9, v52, 2
	s_add_u32 s35, s8, s6
	s_mov_b32 s5, s3
	v_cndmask_b32_e32 v1, v8, v9, vcc
	s_addc_u32 s38, s9, s7
	s_lshl_b64 s[2:3], s[4:5], 3
	v_readlane_b32 s4, v52, 5
	v_xor_b32_sdwa v1, v1, v46 dst_sel:DWORD dst_unused:UNUSED_PAD src0_sel:DWORD src1_sel:WORD_0
	v_cmp_o_f16_e32 vcc, v46, v46
	v_readlane_b32 s5, v52, 6
	s_add_u32 s39, s4, s2
	v_cndmask_b32_e32 v7, v8, v1, vcc
	s_addc_u32 s41, s5, s3
	v_cmp_gt_u32_e32 vcc, s30, v0
	s_mov_b64 s[18:19], -1
	s_mov_b64 s[2:3], 0
	s_mov_b64 s[4:5], 0
	s_and_saveexec_b64 s[8:9], vcc
	s_cbranch_execnz .LBB104_458
; %bb.448:
	s_or_b64 exec, exec, s[8:9]
	s_and_saveexec_b64 s[6:7], s[18:19]
	s_cbranch_execnz .LBB104_475
.LBB104_449:
	s_or_b64 exec, exec, s[6:7]
	s_and_saveexec_b64 s[0:1], s[4:5]
	s_xor_b64 s[0:1], exec, s[0:1]
	s_cbranch_execnz .LBB104_498
.LBB104_450:
	s_or_b64 exec, exec, s[0:1]
	s_and_b64 s[8:9], s[2:3], exec
.LBB104_451:
	s_andn2_saveexec_b64 s[0:1], s[16:17]
	s_cbranch_execnz .LBB104_500
.LBB104_452:
	s_or_b64 exec, exec, s[0:1]
	s_and_b64 s[8:9], s[8:9], exec
.LBB104_453:
	s_andn2_saveexec_b64 s[0:1], s[14:15]
	s_cbranch_execnz .LBB104_499
.LBB104_454:
	s_or_b64 exec, exec, s[0:1]
	s_and_b64 s[8:9], s[8:9], exec
.LBB104_455:
	s_andn2_saveexec_b64 s[0:1], s[12:13]
	s_cbranch_execnz .LBB104_494
.LBB104_456:
	s_or_b64 exec, exec, s[0:1]
	s_and_b64 s[8:9], s[8:9], exec
	s_andn2_saveexec_b64 s[0:1], s[10:11]
	s_cbranch_execz .LBB104_435
.LBB104_457:
	s_or_b64 s[8:9], s[8:9], exec
	s_trap 2
	s_or_b64 exec, exec, s[0:1]
	s_and_saveexec_b64 s[0:1], s[8:9]
	s_cbranch_execnz .LBB104_436
	s_branch .LBB104_437
.LBB104_458:
	v_add_u32_e32 v1, s48, v0
	v_mul_lo_u32 v1, s33, v1
	s_mov_b64 s[18:19], 0
	v_mov_b32_e32 v2, 0
	v_mov_b32_e32 v3, v0
                                        ; implicit-def: $sgpr20_sgpr21
                                        ; implicit-def: $vgpr11
	s_branch .LBB104_460
.LBB104_459:                            ;   in Loop: Header=BB104_460 Depth=1
	s_or_b64 exec, exec, s[24:25]
	s_xor_b64 s[4:5], s[22:23], -1
	s_and_b64 s[6:7], exec, s[6:7]
	s_or_b64 s[18:19], s[6:7], s[18:19]
	s_andn2_b64 s[6:7], s[20:21], exec
	s_and_b64 s[4:5], s[4:5], exec
	s_or_b64 s[20:21], s[6:7], s[4:5]
	v_mov_b32_e32 v3, v10
	s_waitcnt vmcnt(0)
	v_mov_b32_e32 v4, v12
	s_andn2_b64 exec, exec, s[18:19]
	s_cbranch_execz .LBB104_474
.LBB104_460:                            ; =>This Inner Loop Header: Depth=1
	v_add_u32_e32 v10, s48, v3
	v_cmp_gt_u32_e64 s[4:5], s36, v10
	v_mov_b32_e32 v12, 0
	s_and_saveexec_b64 s[6:7], s[4:5]
	s_cbranch_execz .LBB104_462
; %bb.461:                              ;   in Loop: Header=BB104_460 Depth=1
	v_lshlrev_b64 v[12:13], 1, v[1:2]
	v_mov_b32_e32 v14, s42
	v_add_co_u32_e64 v12, s[4:5], s40, v12
	v_addc_co_u32_e64 v13, s[4:5], v14, v13, s[4:5]
	global_load_ushort v12, v[12:13], off
.LBB104_462:                            ;   in Loop: Header=BB104_460 Depth=1
	s_or_b64 exec, exec, s[6:7]
	v_cmp_gt_u32_e64 s[4:5], s36, v3
	s_mov_b64 s[22:23], 0
	s_and_saveexec_b64 s[6:7], s[4:5]
	s_cbranch_execz .LBB104_464
; %bb.463:                              ;   in Loop: Header=BB104_460 Depth=1
	s_waitcnt vmcnt(0)
	v_cmp_lt_i16_e64 s[4:5], -1, v4
	v_cndmask_b32_e64 v13, v8, v9, s[4:5]
	v_xor_b32_sdwa v13, v13, v4 dst_sel:DWORD dst_unused:UNUSED_PAD src0_sel:DWORD src1_sel:WORD_0
	v_cmp_o_f16_e64 s[4:5], v4, v4
	v_cndmask_b32_e64 v13, v8, v13, s[4:5]
	v_cmp_gt_u32_e64 s[4:5], v13, v7
	v_cndmask_b32_e64 v14, 0, 1, s[4:5]
	v_cmp_lt_u32_e64 s[4:5], v13, v7
	v_cndmask_b32_e64 v13, 0, 1, s[4:5]
	v_cndmask_b32_e64 v13, v13, v14, s[44:45]
	v_and_b32_e32 v13, 1, v13
	v_cmp_eq_u32_e64 s[4:5], 1, v13
	s_and_b64 s[22:23], s[4:5], exec
.LBB104_464:                            ;   in Loop: Header=BB104_460 Depth=1
	s_or_b64 exec, exec, s[6:7]
	v_cndmask_b32_e64 v13, 0, 1, s[22:23]
	v_cmp_ne_u32_e64 s[4:5], 0, v13
	s_cmp_lg_u64 s[4:5], 0
	s_cselect_b64 s[6:7], -1, 0
	s_and_b64 s[6:7], s[0:1], s[6:7]
	s_and_saveexec_b64 s[24:25], s[6:7]
	s_cbranch_execz .LBB104_468
; %bb.465:                              ;   in Loop: Header=BB104_460 Depth=1
	s_mov_b64 s[28:29], exec
	s_waitcnt lgkmcnt(0)
	v_mbcnt_lo_u32_b32 v11, s28, 0
	v_mbcnt_hi_u32_b32 v11, s29, v11
	s_bcnt1_i32_b64 s43, s[4:5]
	v_cmp_eq_u32_e64 s[6:7], 0, v11
                                        ; implicit-def: $vgpr13
	s_and_saveexec_b64 s[26:27], s[6:7]
; %bb.466:                              ;   in Loop: Header=BB104_460 Depth=1
	s_bcnt1_i32_b64 s6, s[28:29]
	s_mul_i32 s6, s43, s6
	v_mov_b32_e32 v13, s6
	ds_add_rtn_u32 v13, v2, v13 offset:4108
; %bb.467:                              ;   in Loop: Header=BB104_460 Depth=1
	s_or_b64 exec, exec, s[26:27]
	s_waitcnt lgkmcnt(0)
	v_readfirstlane_b32 s6, v13
	v_mov_b32_e32 v13, s6
	v_mad_u32_u24 v11, s43, v11, v13
.LBB104_468:                            ;   in Loop: Header=BB104_460 Depth=1
	s_or_b64 exec, exec, s[24:25]
	s_waitcnt lgkmcnt(0)
	ds_bpermute_b32 v11, v20, v11
	s_mov_b64 s[6:7], -1
	s_mov_b64 s[26:27], -1
	s_and_saveexec_b64 s[24:25], s[22:23]
	s_cbranch_execz .LBB104_472
; %bb.469:                              ;   in Loop: Header=BB104_460 Depth=1
	v_and_b32_e32 v14, s4, v22
	v_and_b32_e32 v13, s5, v21
	v_bcnt_u32_b32 v14, v14, 0
	v_bcnt_u32_b32 v13, v13, v14
	s_waitcnt lgkmcnt(0)
	v_add_u32_e32 v13, v11, v13
	v_cmp_gt_u32_e64 s[4:5], s37, v13
	s_mov_b64 s[22:23], 0
	s_and_saveexec_b64 s[26:27], s[4:5]
	s_cbranch_execz .LBB104_471
; %bb.470:                              ;   in Loop: Header=BB104_460 Depth=1
	v_mul_lo_u32 v14, v13, s34
	v_mov_b32_e32 v15, v2
	v_mul_lo_u32 v13, v13, s31
	v_mov_b32_e32 v16, s38
	v_lshlrev_b64 v[14:15], 1, v[14:15]
	s_mov_b64 s[22:23], exec
	v_add_co_u32_e64 v14, s[4:5], s35, v14
	v_addc_co_u32_e64 v15, s[4:5], v16, v15, s[4:5]
	s_waitcnt vmcnt(0)
	global_store_short v[14:15], v4, off
	v_mov_b32_e32 v14, v2
	v_lshlrev_b64 v[13:14], 3, v[13:14]
	v_mov_b32_e32 v15, s41
	v_add_co_u32_e64 v13, s[4:5], s39, v13
	v_mov_b32_e32 v4, v2
	v_addc_co_u32_e64 v14, s[4:5], v15, v14, s[4:5]
	global_store_dwordx2 v[13:14], v[3:4], off
.LBB104_471:                            ;   in Loop: Header=BB104_460 Depth=1
	s_or_b64 exec, exec, s[26:27]
	s_orn2_b64 s[26:27], s[22:23], exec
.LBB104_472:                            ;   in Loop: Header=BB104_460 Depth=1
	s_or_b64 exec, exec, s[24:25]
	s_mov_b64 s[22:23], -1
	s_and_saveexec_b64 s[24:25], s[26:27]
	s_cbranch_execz .LBB104_459
; %bb.473:                              ;   in Loop: Header=BB104_460 Depth=1
	v_cmp_le_u32_e64 s[4:5], s30, v10
	v_add_u32_e32 v1, s54, v1
	s_xor_b64 s[22:23], exec, -1
	s_orn2_b64 s[6:7], s[4:5], exec
	s_branch .LBB104_459
.LBB104_474:
	s_or_b64 exec, exec, s[18:19]
	s_mov_b64 s[4:5], exec
	s_orn2_b64 s[18:19], s[20:21], exec
	s_or_b64 exec, exec, s[8:9]
	s_and_saveexec_b64 s[6:7], s[18:19]
	s_cbranch_execz .LBB104_449
.LBB104_475:
	v_mov_b32_e32 v1, 0
	s_waitcnt vmcnt(0) lgkmcnt(0)
	s_barrier
	s_and_saveexec_b64 s[2:3], s[52:53]
	s_cbranch_execz .LBB104_477
; %bb.476:
	global_load_ushort v1, v[5:6], off
.LBB104_477:
	s_or_b64 exec, exec, s[2:3]
	s_mov_b64 s[2:3], 0
	s_and_saveexec_b64 s[8:9], vcc
	s_cbranch_execz .LBB104_497
; %bb.478:
	v_add_u32_e32 v2, s48, v0
	v_mul_lo_u32 v2, s33, v2
	s_mov_b64 s[18:19], 0
	v_mov_b32_e32 v3, 0
	v_mov_b32_e32 v4, 0xffff
	;; [unrolled: 1-line block ×3, first 2 shown]
                                        ; implicit-def: $sgpr20_sgpr21
                                        ; implicit-def: $vgpr8
	s_branch .LBB104_481
.LBB104_479:                            ;   in Loop: Header=BB104_481 Depth=1
	s_or_b64 exec, exec, s[24:25]
	s_orn2_b64 s[26:27], s[28:29], exec
	s_orn2_b64 s[24:25], s[22:23], exec
.LBB104_480:                            ;   in Loop: Header=BB104_481 Depth=1
	s_or_b64 exec, exec, s[2:3]
	s_xor_b64 s[2:3], s[26:27], -1
	s_and_b64 s[22:23], exec, s[24:25]
	s_or_b64 s[18:19], s[22:23], s[18:19]
	s_andn2_b64 s[20:21], s[20:21], exec
	s_and_b64 s[2:3], s[2:3], exec
	s_or_b64 s[20:21], s[20:21], s[2:3]
	v_mov_b32_e32 v0, v6
	v_mov_b32_e32 v1, v9
	s_andn2_b64 exec, exec, s[18:19]
	s_cbranch_execz .LBB104_495
.LBB104_481:                            ; =>This Inner Loop Header: Depth=1
	v_add_u32_e32 v6, s48, v0
	v_cmp_gt_u32_e32 vcc, s36, v6
	v_mov_b32_e32 v9, 0
	s_and_saveexec_b64 s[2:3], vcc
	s_cbranch_execz .LBB104_483
; %bb.482:                              ;   in Loop: Header=BB104_481 Depth=1
	v_lshlrev_b64 v[9:10], 1, v[2:3]
	v_mov_b32_e32 v11, s42
	v_add_co_u32_e32 v9, vcc, s40, v9
	v_addc_co_u32_e32 v10, vcc, v11, v10, vcc
	global_load_ushort v9, v[9:10], off
.LBB104_483:                            ;   in Loop: Header=BB104_481 Depth=1
	s_or_b64 exec, exec, s[2:3]
	s_waitcnt vmcnt(0)
	v_cmp_lt_i16_e64 s[2:3], -1, v1
	v_cndmask_b32_e64 v10, v4, v5, s[2:3]
	v_xor_b32_sdwa v10, v10, v1 dst_sel:DWORD dst_unused:UNUSED_PAD src0_sel:DWORD src1_sel:WORD_0
	v_cmp_o_f16_e64 s[2:3], v1, v1
	v_cndmask_b32_e64 v10, v4, v10, s[2:3]
	v_cmp_gt_u32_e32 vcc, s36, v0
	v_cmp_eq_u32_e64 s[2:3], v10, v7
	s_and_b64 s[22:23], vcc, s[2:3]
	v_cndmask_b32_e64 v10, 0, 1, s[22:23]
	v_cmp_ne_u32_e32 vcc, 0, v10
	s_cmp_lg_u64 vcc, 0
	s_cselect_b64 s[2:3], -1, 0
	s_and_b64 s[2:3], s[0:1], s[2:3]
	s_and_saveexec_b64 s[24:25], s[2:3]
	s_cbranch_execz .LBB104_487
; %bb.484:                              ;   in Loop: Header=BB104_481 Depth=1
	s_mov_b64 s[28:29], exec
	v_mbcnt_lo_u32_b32 v8, s28, 0
	v_mbcnt_hi_u32_b32 v8, s29, v8
	s_bcnt1_i32_b64 s33, vcc
	v_cmp_eq_u32_e64 s[2:3], 0, v8
                                        ; implicit-def: $vgpr10
	s_and_saveexec_b64 s[26:27], s[2:3]
; %bb.485:                              ;   in Loop: Header=BB104_481 Depth=1
	s_bcnt1_i32_b64 s2, s[28:29]
	s_mul_i32 s2, s33, s2
	v_mov_b32_e32 v10, s2
	ds_add_rtn_u32 v10, v3, v10 offset:4108
; %bb.486:                              ;   in Loop: Header=BB104_481 Depth=1
	s_or_b64 exec, exec, s[26:27]
	s_waitcnt lgkmcnt(0)
	v_readfirstlane_b32 s2, v10
	v_mov_b32_e32 v10, s2
	v_mad_u32_u24 v8, s33, v8, v10
.LBB104_487:                            ;   in Loop: Header=BB104_481 Depth=1
	s_or_b64 exec, exec, s[24:25]
	ds_bpermute_b32 v8, v20, v8
	s_cmp_eq_u64 vcc, 0
	s_cselect_b64 s[26:27], -1, 0
	s_mov_b64 s[24:25], -1
	s_waitcnt lgkmcnt(0)
	v_cmp_gt_u32_e64 s[2:3], s37, v8
	s_or_b64 s[28:29], s[26:27], s[2:3]
	s_mov_b64 s[26:27], -1
	s_and_saveexec_b64 s[2:3], s[28:29]
	s_cbranch_execz .LBB104_480
; %bb.488:                              ;   in Loop: Header=BB104_481 Depth=1
	v_and_b32_e32 v11, vcc_lo, v22
	v_and_b32_e32 v10, vcc_hi, v21
	v_bcnt_u32_b32 v11, v11, 0
	v_bcnt_u32_b32 v10, v10, v11
	v_sub_u32_e32 v11, s37, v8
	v_cmp_gt_u32_e32 vcc, v11, v10
	s_and_b64 s[44:45], s[22:23], vcc
	s_mov_b64 s[22:23], -1
	s_mov_b64 s[28:29], -1
	s_and_saveexec_b64 s[24:25], s[44:45]
	s_cbranch_execz .LBB104_492
; %bb.489:                              ;   in Loop: Header=BB104_481 Depth=1
	v_add_u32_e32 v10, v8, v10
	v_cmp_gt_u32_e32 vcc, s37, v10
	s_mov_b64 s[26:27], 0
	s_and_saveexec_b64 s[28:29], vcc
; %bb.490:                              ;   in Loop: Header=BB104_481 Depth=1
	v_mul_lo_u32 v11, v10, s34
	v_mov_b32_e32 v12, v3
	v_mul_lo_u32 v10, v10, s31
	v_mov_b32_e32 v13, s38
	v_lshlrev_b64 v[11:12], 1, v[11:12]
	s_mov_b64 s[26:27], exec
	v_add_co_u32_e32 v11, vcc, s35, v11
	v_addc_co_u32_e32 v12, vcc, v13, v12, vcc
	global_store_short v[11:12], v1, off
	v_mov_b32_e32 v11, v3
	v_lshlrev_b64 v[10:11], 3, v[10:11]
	v_mov_b32_e32 v12, s41
	v_add_co_u32_e32 v10, vcc, s39, v10
	v_mov_b32_e32 v1, v3
	v_addc_co_u32_e32 v11, vcc, v12, v11, vcc
	global_store_dwordx2 v[10:11], v[0:1], off
; %bb.491:                              ;   in Loop: Header=BB104_481 Depth=1
	s_or_b64 exec, exec, s[28:29]
	s_xor_b64 s[28:29], exec, -1
	s_orn2_b64 s[26:27], s[26:27], exec
.LBB104_492:                            ;   in Loop: Header=BB104_481 Depth=1
	s_or_b64 exec, exec, s[24:25]
	s_and_saveexec_b64 s[24:25], s[26:27]
	s_cbranch_execz .LBB104_479
; %bb.493:                              ;   in Loop: Header=BB104_481 Depth=1
	v_cmp_le_u32_e32 vcc, s30, v6
	v_add_u32_e32 v2, s54, v2
	s_or_b64 s[28:29], s[28:29], exec
	s_orn2_b64 s[22:23], vcc, exec
	s_branch .LBB104_479
.LBB104_494:
	s_or_b64 s[8:9], s[8:9], exec
	s_trap 2
	s_branch .LBB104_456
.LBB104_495:
	s_or_b64 exec, exec, s[18:19]
	s_mov_b64 s[0:1], 0
	s_and_saveexec_b64 s[2:3], s[20:21]
	s_xor_b64 s[2:3], exec, s[2:3]
	s_cbranch_execnz .LBB104_501
.LBB104_496:
	s_or_b64 exec, exec, s[2:3]
	s_and_b64 s[2:3], s[0:1], exec
.LBB104_497:
	s_or_b64 exec, exec, s[8:9]
	s_and_b64 s[2:3], s[2:3], exec
	s_andn2_b64 s[4:5], s[4:5], exec
	s_or_b64 exec, exec, s[6:7]
	s_and_saveexec_b64 s[0:1], s[4:5]
	s_xor_b64 s[0:1], exec, s[0:1]
	s_cbranch_execz .LBB104_450
.LBB104_498:
	s_trap 2
	s_or_b64 s[2:3], s[2:3], exec
	s_branch .LBB104_450
.LBB104_499:
	s_or_b64 s[8:9], s[8:9], exec
	s_trap 2
	s_branch .LBB104_454
.LBB104_500:
	s_trap 2
	s_or_b64 s[8:9], s[8:9], exec
	s_branch .LBB104_452
.LBB104_501:
	s_mov_b64 s[0:1], exec
	s_trap 2
	s_branch .LBB104_496
	.section	.rodata,"a",@progbits
	.p2align	6, 0x0
	.amdhsa_kernel _ZN2at6native6sbtopk10gatherTopKIN3c104HalfEjLin1ELb0EEEvNS_4cuda6detail10TensorInfoIKT_T0_EESA_SA_bSA_SA_NS7_IS8_SA_EESA_NS7_IlSA_EESA_PS8_
		.amdhsa_group_segment_fixed_size 4112
		.amdhsa_private_segment_fixed_size 0
		.amdhsa_kernarg_size 952
		.amdhsa_user_sgpr_count 6
		.amdhsa_user_sgpr_private_segment_buffer 1
		.amdhsa_user_sgpr_dispatch_ptr 0
		.amdhsa_user_sgpr_queue_ptr 0
		.amdhsa_user_sgpr_kernarg_segment_ptr 1
		.amdhsa_user_sgpr_dispatch_id 0
		.amdhsa_user_sgpr_flat_scratch_init 0
		.amdhsa_user_sgpr_private_segment_size 0
		.amdhsa_uses_dynamic_stack 0
		.amdhsa_system_sgpr_private_segment_wavefront_offset 0
		.amdhsa_system_sgpr_workgroup_id_x 1
		.amdhsa_system_sgpr_workgroup_id_y 1
		.amdhsa_system_sgpr_workgroup_id_z 1
		.amdhsa_system_sgpr_workgroup_info 0
		.amdhsa_system_vgpr_workitem_id 0
		.amdhsa_next_free_vgpr 53
		.amdhsa_next_free_sgpr 96
		.amdhsa_reserve_vcc 1
		.amdhsa_reserve_flat_scratch 0
		.amdhsa_float_round_mode_32 0
		.amdhsa_float_round_mode_16_64 0
		.amdhsa_float_denorm_mode_32 3
		.amdhsa_float_denorm_mode_16_64 3
		.amdhsa_dx10_clamp 1
		.amdhsa_ieee_mode 1
		.amdhsa_fp16_overflow 0
		.amdhsa_exception_fp_ieee_invalid_op 0
		.amdhsa_exception_fp_denorm_src 0
		.amdhsa_exception_fp_ieee_div_zero 0
		.amdhsa_exception_fp_ieee_overflow 0
		.amdhsa_exception_fp_ieee_underflow 0
		.amdhsa_exception_fp_ieee_inexact 0
		.amdhsa_exception_int_div_zero 0
	.end_amdhsa_kernel
	.section	.text._ZN2at6native6sbtopk10gatherTopKIN3c104HalfEjLin1ELb0EEEvNS_4cuda6detail10TensorInfoIKT_T0_EESA_SA_bSA_SA_NS7_IS8_SA_EESA_NS7_IlSA_EESA_PS8_,"axG",@progbits,_ZN2at6native6sbtopk10gatherTopKIN3c104HalfEjLin1ELb0EEEvNS_4cuda6detail10TensorInfoIKT_T0_EESA_SA_bSA_SA_NS7_IS8_SA_EESA_NS7_IlSA_EESA_PS8_,comdat
.Lfunc_end104:
	.size	_ZN2at6native6sbtopk10gatherTopKIN3c104HalfEjLin1ELb0EEEvNS_4cuda6detail10TensorInfoIKT_T0_EESA_SA_bSA_SA_NS7_IS8_SA_EESA_NS7_IlSA_EESA_PS8_, .Lfunc_end104-_ZN2at6native6sbtopk10gatherTopKIN3c104HalfEjLin1ELb0EEEvNS_4cuda6detail10TensorInfoIKT_T0_EESA_SA_bSA_SA_NS7_IS8_SA_EESA_NS7_IlSA_EESA_PS8_
                                        ; -- End function
	.set _ZN2at6native6sbtopk10gatherTopKIN3c104HalfEjLin1ELb0EEEvNS_4cuda6detail10TensorInfoIKT_T0_EESA_SA_bSA_SA_NS7_IS8_SA_EESA_NS7_IlSA_EESA_PS8_.num_vgpr, 53
	.set _ZN2at6native6sbtopk10gatherTopKIN3c104HalfEjLin1ELb0EEEvNS_4cuda6detail10TensorInfoIKT_T0_EESA_SA_bSA_SA_NS7_IS8_SA_EESA_NS7_IlSA_EESA_PS8_.num_agpr, 0
	.set _ZN2at6native6sbtopk10gatherTopKIN3c104HalfEjLin1ELb0EEEvNS_4cuda6detail10TensorInfoIKT_T0_EESA_SA_bSA_SA_NS7_IS8_SA_EESA_NS7_IlSA_EESA_PS8_.numbered_sgpr, 96
	.set _ZN2at6native6sbtopk10gatherTopKIN3c104HalfEjLin1ELb0EEEvNS_4cuda6detail10TensorInfoIKT_T0_EESA_SA_bSA_SA_NS7_IS8_SA_EESA_NS7_IlSA_EESA_PS8_.num_named_barrier, 0
	.set _ZN2at6native6sbtopk10gatherTopKIN3c104HalfEjLin1ELb0EEEvNS_4cuda6detail10TensorInfoIKT_T0_EESA_SA_bSA_SA_NS7_IS8_SA_EESA_NS7_IlSA_EESA_PS8_.private_seg_size, 0
	.set _ZN2at6native6sbtopk10gatherTopKIN3c104HalfEjLin1ELb0EEEvNS_4cuda6detail10TensorInfoIKT_T0_EESA_SA_bSA_SA_NS7_IS8_SA_EESA_NS7_IlSA_EESA_PS8_.uses_vcc, 1
	.set _ZN2at6native6sbtopk10gatherTopKIN3c104HalfEjLin1ELb0EEEvNS_4cuda6detail10TensorInfoIKT_T0_EESA_SA_bSA_SA_NS7_IS8_SA_EESA_NS7_IlSA_EESA_PS8_.uses_flat_scratch, 0
	.set _ZN2at6native6sbtopk10gatherTopKIN3c104HalfEjLin1ELb0EEEvNS_4cuda6detail10TensorInfoIKT_T0_EESA_SA_bSA_SA_NS7_IS8_SA_EESA_NS7_IlSA_EESA_PS8_.has_dyn_sized_stack, 0
	.set _ZN2at6native6sbtopk10gatherTopKIN3c104HalfEjLin1ELb0EEEvNS_4cuda6detail10TensorInfoIKT_T0_EESA_SA_bSA_SA_NS7_IS8_SA_EESA_NS7_IlSA_EESA_PS8_.has_recursion, 0
	.set _ZN2at6native6sbtopk10gatherTopKIN3c104HalfEjLin1ELb0EEEvNS_4cuda6detail10TensorInfoIKT_T0_EESA_SA_bSA_SA_NS7_IS8_SA_EESA_NS7_IlSA_EESA_PS8_.has_indirect_call, 0
	.section	.AMDGPU.csdata,"",@progbits
; Kernel info:
; codeLenInByte = 17428
; TotalNumSgprs: 100
; NumVgprs: 53
; ScratchSize: 0
; MemoryBound: 0
; FloatMode: 240
; IeeeMode: 1
; LDSByteSize: 4112 bytes/workgroup (compile time only)
; SGPRBlocks: 12
; VGPRBlocks: 13
; NumSGPRsForWavesPerEU: 100
; NumVGPRsForWavesPerEU: 53
; Occupancy: 4
; WaveLimiterHint : 1
; COMPUTE_PGM_RSRC2:SCRATCH_EN: 0
; COMPUTE_PGM_RSRC2:USER_SGPR: 6
; COMPUTE_PGM_RSRC2:TRAP_HANDLER: 0
; COMPUTE_PGM_RSRC2:TGID_X_EN: 1
; COMPUTE_PGM_RSRC2:TGID_Y_EN: 1
; COMPUTE_PGM_RSRC2:TGID_Z_EN: 1
; COMPUTE_PGM_RSRC2:TIDIG_COMP_CNT: 0
	.section	.text._ZN2at6native6mbtopk23computeBlockDigitCountsIN3c108BFloat16EjjLi1EEEvNS_4cuda6detail10TensorInfoIKT_T0_EEjPjjSA_iijT1_PSD_Ps,"axG",@progbits,_ZN2at6native6mbtopk23computeBlockDigitCountsIN3c108BFloat16EjjLi1EEEvNS_4cuda6detail10TensorInfoIKT_T0_EEjPjjSA_iijT1_PSD_Ps,comdat
	.protected	_ZN2at6native6mbtopk23computeBlockDigitCountsIN3c108BFloat16EjjLi1EEEvNS_4cuda6detail10TensorInfoIKT_T0_EEjPjjSA_iijT1_PSD_Ps ; -- Begin function _ZN2at6native6mbtopk23computeBlockDigitCountsIN3c108BFloat16EjjLi1EEEvNS_4cuda6detail10TensorInfoIKT_T0_EEjPjjSA_iijT1_PSD_Ps
	.globl	_ZN2at6native6mbtopk23computeBlockDigitCountsIN3c108BFloat16EjjLi1EEEvNS_4cuda6detail10TensorInfoIKT_T0_EEjPjjSA_iijT1_PSD_Ps
	.p2align	8
	.type	_ZN2at6native6mbtopk23computeBlockDigitCountsIN3c108BFloat16EjjLi1EEEvNS_4cuda6detail10TensorInfoIKT_T0_EEjPjjSA_iijT1_PSD_Ps,@function
_ZN2at6native6mbtopk23computeBlockDigitCountsIN3c108BFloat16EjjLi1EEEvNS_4cuda6detail10TensorInfoIKT_T0_EEjPjjSA_iijT1_PSD_Ps: ; @_ZN2at6native6mbtopk23computeBlockDigitCountsIN3c108BFloat16EjjLi1EEEvNS_4cuda6detail10TensorInfoIKT_T0_EEjPjjSA_iijT1_PSD_Ps
; %bb.0:
	s_load_dwordx2 s[10:11], s[4:5], 0xf8
	s_load_dwordx4 s[12:15], s[4:5], 0xe8
	s_load_dwordx2 s[0:1], s[4:5], 0x110
	s_waitcnt lgkmcnt(0)
	v_cvt_f32_u32_e32 v1, s10
	s_sub_i32 s2, 0, s10
	s_mul_i32 s1, s1, s8
	s_add_i32 s1, s1, s7
	v_rcp_iflag_f32_e32 v1, v1
	s_mul_i32 s16, s1, s0
	s_add_i32 s16, s16, s6
	s_mov_b32 s7, 0
	v_mul_f32_e32 v1, 0x4f7ffffe, v1
	v_cvt_u32_f32_e32 v1, v1
	v_readfirstlane_b32 s0, v1
	s_mul_i32 s2, s2, s0
	s_mul_hi_u32 s1, s0, s2
	s_add_i32 s0, s0, s1
	s_mul_hi_u32 s0, s16, s0
	s_mul_i32 s1, s0, s10
	s_sub_i32 s1, s16, s1
	s_add_i32 s2, s0, 1
	s_sub_i32 s3, s1, s10
	s_cmp_ge_u32 s1, s10
	s_cselect_b32 s0, s2, s0
	s_cselect_b32 s1, s3, s1
	s_add_i32 s2, s0, 1
	s_cmp_ge_u32 s1, s10
	s_cselect_b32 s6, s2, s0
	s_cmp_ge_u32 s6, s12
	s_cbranch_scc1 .LBB105_27
; %bb.1:
	s_load_dwordx4 s[0:3], s[4:5], 0x100
	s_lshl_b64 s[8:9], s[6:7], 2
	s_movk_i32 s7, 0x100
	v_cmp_gt_u32_e32 vcc, s7, v0
	v_lshlrev_b32_e32 v3, 2, v0
	s_waitcnt lgkmcnt(0)
	s_add_u32 s0, s0, s8
	s_addc_u32 s1, s1, s9
	s_and_saveexec_b64 s[8:9], vcc
; %bb.2:
	v_mov_b32_e32 v1, 0
	ds_write_b32 v3, v1
; %bb.3:
	s_or_b64 exec, exec, s[8:9]
	s_load_dword s8, s[4:5], 0xd8
	s_mul_i32 s7, s6, s10
	s_sub_i32 s7, s16, s7
	s_add_i32 s9, s7, 1
	s_mul_i32 s7, s15, s7
	s_lshl_b32 s17, s7, 8
	s_waitcnt lgkmcnt(0)
	s_sub_i32 s7, s8, s17
	s_add_u32 s18, s7, 0xff
	s_addc_u32 s19, 0, 0
	s_lshr_b64 s[18:19], s[18:19], 8
	s_cmp_lt_u32 s9, s10
	s_cselect_b32 s15, s15, s18
	s_cmp_lt_i32 s15, 1
	s_mov_b32 s7, 0
	s_barrier
	s_cbranch_scc1 .LBB105_25
; %bb.4:
	s_load_dword s10, s[4:5], 0x6c
	s_load_dwordx2 s[18:19], s[4:5], 0x0
	s_load_dword s9, s[0:1], 0x0
	s_waitcnt lgkmcnt(0)
	s_mul_i32 s6, s10, s6
	s_lshl_b64 s[0:1], s[6:7], 1
	s_add_u32 s6, s18, s0
	s_addc_u32 s10, s19, s1
	s_and_b32 s12, s14, 0xff
	s_cmp_lt_u32 s15, 4
	s_cbranch_scc1 .LBB105_19
; %bb.5:
	v_add_u32_e32 v1, s17, v0
	v_add_u32_e32 v2, 0x200, v1
	;; [unrolled: 1-line block ×3, first 2 shown]
	v_mul_lo_u32 v6, s13, v2
	v_add_u32_e32 v2, 0x100, v1
	v_mul_lo_u32 v5, s13, v4
	v_mul_lo_u32 v7, s13, v2
	;; [unrolled: 1-line block ×3, first 2 shown]
	s_and_b32 s7, s15, 0x7ffffffc
	s_lshl_b32 s14, s13, 10
	s_mov_b32 s18, 0
	v_mov_b32_e32 v2, 0
	v_mov_b32_e32 v9, 1
	;; [unrolled: 1-line block ×4, first 2 shown]
	s_mov_b32 s19, 0
	s_branch .LBB105_7
.LBB105_6:                              ;   in Loop: Header=BB105_7 Depth=1
	s_or_b64 exec, exec, s[4:5]
	s_add_i32 s19, s19, 4
	s_add_i32 s18, s18, s14
	s_cmp_eq_u32 s7, s19
	v_add_u32_e32 v4, 0x400, v4
	s_cbranch_scc1 .LBB105_19
.LBB105_7:                              ; =>This Inner Loop Header: Depth=1
	v_add_u32_e32 v1, 0xfffffd00, v4
	v_cmp_gt_u32_e64 s[0:1], s8, v1
	s_and_saveexec_b64 s[4:5], s[0:1]
	s_cbranch_execz .LBB105_10
; %bb.8:                                ;   in Loop: Header=BB105_7 Depth=1
	v_add_u32_e32 v1, s18, v8
	v_lshlrev_b64 v[12:13], 1, v[1:2]
	v_mov_b32_e32 v1, s10
	v_add_co_u32_e64 v12, s[0:1], s6, v12
	v_addc_co_u32_e64 v13, s[0:1], v1, v13, s[0:1]
	global_load_ushort v1, v[12:13], off
	s_waitcnt vmcnt(0)
	v_cmp_lt_i16_e64 s[0:1], -1, v1
	v_cndmask_b32_e64 v12, v10, v11, s[0:1]
	v_lshlrev_b32_e32 v13, 16, v1
	v_xor_b32_sdwa v1, v12, v1 dst_sel:DWORD dst_unused:UNUSED_PAD src0_sel:DWORD src1_sel:WORD_0
	v_cmp_o_f32_e64 s[0:1], v13, v13
	v_cndmask_b32_e64 v1, v10, v1, s[0:1]
	v_xor_b32_e32 v12, s9, v1
	v_and_b32_e32 v12, s11, v12
	v_cmp_eq_u32_e64 s[0:1], 0, v12
	s_and_b64 exec, exec, s[0:1]
; %bb.9:                                ;   in Loop: Header=BB105_7 Depth=1
	v_bfe_u32 v1, v1, s12, 8
	v_lshlrev_b32_e32 v1, 2, v1
	ds_add_u32 v1, v9
.LBB105_10:                             ;   in Loop: Header=BB105_7 Depth=1
	s_or_b64 exec, exec, s[4:5]
	v_add_u32_e32 v1, 0xfffffe00, v4
	v_cmp_gt_u32_e64 s[0:1], s8, v1
	s_and_saveexec_b64 s[4:5], s[0:1]
	s_cbranch_execz .LBB105_13
; %bb.11:                               ;   in Loop: Header=BB105_7 Depth=1
	v_add_u32_e32 v1, s18, v7
	v_lshlrev_b64 v[12:13], 1, v[1:2]
	v_mov_b32_e32 v1, s10
	v_add_co_u32_e64 v12, s[0:1], s6, v12
	v_addc_co_u32_e64 v13, s[0:1], v1, v13, s[0:1]
	global_load_ushort v1, v[12:13], off
	s_waitcnt vmcnt(0)
	v_cmp_lt_i16_e64 s[0:1], -1, v1
	v_cndmask_b32_e64 v12, v10, v11, s[0:1]
	v_lshlrev_b32_e32 v13, 16, v1
	v_xor_b32_sdwa v1, v12, v1 dst_sel:DWORD dst_unused:UNUSED_PAD src0_sel:DWORD src1_sel:WORD_0
	v_cmp_o_f32_e64 s[0:1], v13, v13
	v_cndmask_b32_e64 v1, v10, v1, s[0:1]
	v_xor_b32_e32 v12, s9, v1
	v_and_b32_e32 v12, s11, v12
	v_cmp_eq_u32_e64 s[0:1], 0, v12
	s_and_b64 exec, exec, s[0:1]
; %bb.12:                               ;   in Loop: Header=BB105_7 Depth=1
	v_bfe_u32 v1, v1, s12, 8
	v_lshlrev_b32_e32 v1, 2, v1
	ds_add_u32 v1, v9
.LBB105_13:                             ;   in Loop: Header=BB105_7 Depth=1
	s_or_b64 exec, exec, s[4:5]
	v_add_u32_e32 v1, 0xffffff00, v4
	v_cmp_gt_u32_e64 s[0:1], s8, v1
	s_and_saveexec_b64 s[4:5], s[0:1]
	s_cbranch_execz .LBB105_16
; %bb.14:                               ;   in Loop: Header=BB105_7 Depth=1
	v_add_u32_e32 v1, s18, v6
	v_lshlrev_b64 v[12:13], 1, v[1:2]
	v_mov_b32_e32 v1, s10
	v_add_co_u32_e64 v12, s[0:1], s6, v12
	v_addc_co_u32_e64 v13, s[0:1], v1, v13, s[0:1]
	global_load_ushort v1, v[12:13], off
	s_waitcnt vmcnt(0)
	v_cmp_lt_i16_e64 s[0:1], -1, v1
	v_cndmask_b32_e64 v12, v10, v11, s[0:1]
	v_lshlrev_b32_e32 v13, 16, v1
	v_xor_b32_sdwa v1, v12, v1 dst_sel:DWORD dst_unused:UNUSED_PAD src0_sel:DWORD src1_sel:WORD_0
	v_cmp_o_f32_e64 s[0:1], v13, v13
	v_cndmask_b32_e64 v1, v10, v1, s[0:1]
	v_xor_b32_e32 v12, s9, v1
	v_and_b32_e32 v12, s11, v12
	v_cmp_eq_u32_e64 s[0:1], 0, v12
	s_and_b64 exec, exec, s[0:1]
; %bb.15:                               ;   in Loop: Header=BB105_7 Depth=1
	v_bfe_u32 v1, v1, s12, 8
	v_lshlrev_b32_e32 v1, 2, v1
	ds_add_u32 v1, v9
.LBB105_16:                             ;   in Loop: Header=BB105_7 Depth=1
	s_or_b64 exec, exec, s[4:5]
	v_cmp_gt_u32_e64 s[0:1], s8, v4
	s_and_saveexec_b64 s[4:5], s[0:1]
	s_cbranch_execz .LBB105_6
; %bb.17:                               ;   in Loop: Header=BB105_7 Depth=1
	v_add_u32_e32 v1, s18, v5
	v_lshlrev_b64 v[12:13], 1, v[1:2]
	v_mov_b32_e32 v1, s10
	v_add_co_u32_e64 v12, s[0:1], s6, v12
	v_addc_co_u32_e64 v13, s[0:1], v1, v13, s[0:1]
	global_load_ushort v1, v[12:13], off
	s_waitcnt vmcnt(0)
	v_cmp_lt_i16_e64 s[0:1], -1, v1
	v_cndmask_b32_e64 v12, v10, v11, s[0:1]
	v_lshlrev_b32_e32 v13, 16, v1
	v_xor_b32_sdwa v1, v12, v1 dst_sel:DWORD dst_unused:UNUSED_PAD src0_sel:DWORD src1_sel:WORD_0
	v_cmp_o_f32_e64 s[0:1], v13, v13
	v_cndmask_b32_e64 v1, v10, v1, s[0:1]
	v_xor_b32_e32 v12, s9, v1
	v_and_b32_e32 v12, s11, v12
	v_cmp_eq_u32_e64 s[0:1], 0, v12
	s_and_b64 exec, exec, s[0:1]
	s_cbranch_execz .LBB105_6
; %bb.18:                               ;   in Loop: Header=BB105_7 Depth=1
	v_bfe_u32 v1, v1, s12, 8
	v_lshlrev_b32_e32 v1, 2, v1
	ds_add_u32 v1, v9
	s_branch .LBB105_6
.LBB105_19:
	s_and_b32 s14, s15, 3
	s_cmp_eq_u32 s14, 0
	s_cbranch_scc1 .LBB105_25
; %bb.20:
	s_lshl_b32 s0, s7, 8
	s_add_i32 s0, s0, s17
	v_add_u32_e32 v4, s0, v0
	v_mul_lo_u32 v1, s13, v4
	s_lshl_b32 s7, s13, 8
	v_mov_b32_e32 v2, 0
	v_mov_b32_e32 v5, 1
	;; [unrolled: 1-line block ×4, first 2 shown]
	s_branch .LBB105_22
.LBB105_21:                             ;   in Loop: Header=BB105_22 Depth=1
	s_or_b64 exec, exec, s[4:5]
	s_add_i32 s14, s14, -1
	v_add_u32_e32 v1, s7, v1
	s_cmp_lg_u32 s14, 0
	v_add_u32_e32 v4, 0x100, v4
	s_cbranch_scc0 .LBB105_25
.LBB105_22:                             ; =>This Inner Loop Header: Depth=1
	v_cmp_gt_u32_e64 s[0:1], s8, v4
	s_and_saveexec_b64 s[4:5], s[0:1]
	s_cbranch_execz .LBB105_21
; %bb.23:                               ;   in Loop: Header=BB105_22 Depth=1
	v_lshlrev_b64 v[8:9], 1, v[1:2]
	v_mov_b32_e32 v10, s10
	v_add_co_u32_e64 v8, s[0:1], s6, v8
	v_addc_co_u32_e64 v9, s[0:1], v10, v9, s[0:1]
	global_load_ushort v8, v[8:9], off
	s_waitcnt vmcnt(0)
	v_cmp_lt_i16_e64 s[0:1], -1, v8
	v_cndmask_b32_e64 v9, v6, v7, s[0:1]
	v_lshlrev_b32_e32 v10, 16, v8
	v_xor_b32_sdwa v8, v9, v8 dst_sel:DWORD dst_unused:UNUSED_PAD src0_sel:DWORD src1_sel:WORD_0
	v_cmp_o_f32_e64 s[0:1], v10, v10
	v_cndmask_b32_e64 v8, v6, v8, s[0:1]
	v_xor_b32_e32 v9, s9, v8
	v_and_b32_e32 v9, s11, v9
	v_cmp_eq_u32_e64 s[0:1], 0, v9
	s_and_b64 exec, exec, s[0:1]
	s_cbranch_execz .LBB105_21
; %bb.24:                               ;   in Loop: Header=BB105_22 Depth=1
	v_bfe_u32 v8, v8, s12, 8
	v_lshlrev_b32_e32 v8, 2, v8
	ds_add_u32 v8, v5
	s_branch .LBB105_21
.LBB105_25:
	s_waitcnt lgkmcnt(0)
	s_barrier
	s_and_saveexec_b64 s[0:1], vcc
	s_cbranch_execz .LBB105_27
; %bb.26:
	v_lshl_or_b32 v0, s16, 8, v0
	v_mov_b32_e32 v1, 0
	ds_read_b32 v3, v3
	v_lshlrev_b64 v[0:1], 1, v[0:1]
	v_mov_b32_e32 v2, s3
	v_add_co_u32_e32 v0, vcc, s2, v0
	v_addc_co_u32_e32 v1, vcc, v2, v1, vcc
	s_waitcnt lgkmcnt(0)
	global_store_short v[0:1], v3, off
.LBB105_27:
	s_endpgm
	.section	.rodata,"a",@progbits
	.p2align	6, 0x0
	.amdhsa_kernel _ZN2at6native6mbtopk23computeBlockDigitCountsIN3c108BFloat16EjjLi1EEEvNS_4cuda6detail10TensorInfoIKT_T0_EEjPjjSA_iijT1_PSD_Ps
		.amdhsa_group_segment_fixed_size 1024
		.amdhsa_private_segment_fixed_size 0
		.amdhsa_kernarg_size 528
		.amdhsa_user_sgpr_count 6
		.amdhsa_user_sgpr_private_segment_buffer 1
		.amdhsa_user_sgpr_dispatch_ptr 0
		.amdhsa_user_sgpr_queue_ptr 0
		.amdhsa_user_sgpr_kernarg_segment_ptr 1
		.amdhsa_user_sgpr_dispatch_id 0
		.amdhsa_user_sgpr_flat_scratch_init 0
		.amdhsa_user_sgpr_private_segment_size 0
		.amdhsa_uses_dynamic_stack 0
		.amdhsa_system_sgpr_private_segment_wavefront_offset 0
		.amdhsa_system_sgpr_workgroup_id_x 1
		.amdhsa_system_sgpr_workgroup_id_y 1
		.amdhsa_system_sgpr_workgroup_id_z 1
		.amdhsa_system_sgpr_workgroup_info 0
		.amdhsa_system_vgpr_workitem_id 0
		.amdhsa_next_free_vgpr 14
		.amdhsa_next_free_sgpr 20
		.amdhsa_reserve_vcc 1
		.amdhsa_reserve_flat_scratch 0
		.amdhsa_float_round_mode_32 0
		.amdhsa_float_round_mode_16_64 0
		.amdhsa_float_denorm_mode_32 3
		.amdhsa_float_denorm_mode_16_64 3
		.amdhsa_dx10_clamp 1
		.amdhsa_ieee_mode 1
		.amdhsa_fp16_overflow 0
		.amdhsa_exception_fp_ieee_invalid_op 0
		.amdhsa_exception_fp_denorm_src 0
		.amdhsa_exception_fp_ieee_div_zero 0
		.amdhsa_exception_fp_ieee_overflow 0
		.amdhsa_exception_fp_ieee_underflow 0
		.amdhsa_exception_fp_ieee_inexact 0
		.amdhsa_exception_int_div_zero 0
	.end_amdhsa_kernel
	.section	.text._ZN2at6native6mbtopk23computeBlockDigitCountsIN3c108BFloat16EjjLi1EEEvNS_4cuda6detail10TensorInfoIKT_T0_EEjPjjSA_iijT1_PSD_Ps,"axG",@progbits,_ZN2at6native6mbtopk23computeBlockDigitCountsIN3c108BFloat16EjjLi1EEEvNS_4cuda6detail10TensorInfoIKT_T0_EEjPjjSA_iijT1_PSD_Ps,comdat
.Lfunc_end105:
	.size	_ZN2at6native6mbtopk23computeBlockDigitCountsIN3c108BFloat16EjjLi1EEEvNS_4cuda6detail10TensorInfoIKT_T0_EEjPjjSA_iijT1_PSD_Ps, .Lfunc_end105-_ZN2at6native6mbtopk23computeBlockDigitCountsIN3c108BFloat16EjjLi1EEEvNS_4cuda6detail10TensorInfoIKT_T0_EEjPjjSA_iijT1_PSD_Ps
                                        ; -- End function
	.set _ZN2at6native6mbtopk23computeBlockDigitCountsIN3c108BFloat16EjjLi1EEEvNS_4cuda6detail10TensorInfoIKT_T0_EEjPjjSA_iijT1_PSD_Ps.num_vgpr, 14
	.set _ZN2at6native6mbtopk23computeBlockDigitCountsIN3c108BFloat16EjjLi1EEEvNS_4cuda6detail10TensorInfoIKT_T0_EEjPjjSA_iijT1_PSD_Ps.num_agpr, 0
	.set _ZN2at6native6mbtopk23computeBlockDigitCountsIN3c108BFloat16EjjLi1EEEvNS_4cuda6detail10TensorInfoIKT_T0_EEjPjjSA_iijT1_PSD_Ps.numbered_sgpr, 20
	.set _ZN2at6native6mbtopk23computeBlockDigitCountsIN3c108BFloat16EjjLi1EEEvNS_4cuda6detail10TensorInfoIKT_T0_EEjPjjSA_iijT1_PSD_Ps.num_named_barrier, 0
	.set _ZN2at6native6mbtopk23computeBlockDigitCountsIN3c108BFloat16EjjLi1EEEvNS_4cuda6detail10TensorInfoIKT_T0_EEjPjjSA_iijT1_PSD_Ps.private_seg_size, 0
	.set _ZN2at6native6mbtopk23computeBlockDigitCountsIN3c108BFloat16EjjLi1EEEvNS_4cuda6detail10TensorInfoIKT_T0_EEjPjjSA_iijT1_PSD_Ps.uses_vcc, 1
	.set _ZN2at6native6mbtopk23computeBlockDigitCountsIN3c108BFloat16EjjLi1EEEvNS_4cuda6detail10TensorInfoIKT_T0_EEjPjjSA_iijT1_PSD_Ps.uses_flat_scratch, 0
	.set _ZN2at6native6mbtopk23computeBlockDigitCountsIN3c108BFloat16EjjLi1EEEvNS_4cuda6detail10TensorInfoIKT_T0_EEjPjjSA_iijT1_PSD_Ps.has_dyn_sized_stack, 0
	.set _ZN2at6native6mbtopk23computeBlockDigitCountsIN3c108BFloat16EjjLi1EEEvNS_4cuda6detail10TensorInfoIKT_T0_EEjPjjSA_iijT1_PSD_Ps.has_recursion, 0
	.set _ZN2at6native6mbtopk23computeBlockDigitCountsIN3c108BFloat16EjjLi1EEEvNS_4cuda6detail10TensorInfoIKT_T0_EEjPjjSA_iijT1_PSD_Ps.has_indirect_call, 0
	.section	.AMDGPU.csdata,"",@progbits
; Kernel info:
; codeLenInByte = 1400
; TotalNumSgprs: 24
; NumVgprs: 14
; ScratchSize: 0
; MemoryBound: 0
; FloatMode: 240
; IeeeMode: 1
; LDSByteSize: 1024 bytes/workgroup (compile time only)
; SGPRBlocks: 2
; VGPRBlocks: 3
; NumSGPRsForWavesPerEU: 24
; NumVGPRsForWavesPerEU: 14
; Occupancy: 10
; WaveLimiterHint : 1
; COMPUTE_PGM_RSRC2:SCRATCH_EN: 0
; COMPUTE_PGM_RSRC2:USER_SGPR: 6
; COMPUTE_PGM_RSRC2:TRAP_HANDLER: 0
; COMPUTE_PGM_RSRC2:TGID_X_EN: 1
; COMPUTE_PGM_RSRC2:TGID_Y_EN: 1
; COMPUTE_PGM_RSRC2:TGID_Z_EN: 1
; COMPUTE_PGM_RSRC2:TIDIG_COMP_CNT: 0
	.section	.text._ZN2at6native6mbtopk29computeBlockwiseWithinKCountsIjN3c108BFloat16EEEvPT_PsPjjibS8_PT0_S8_S6_S8_j,"axG",@progbits,_ZN2at6native6mbtopk29computeBlockwiseWithinKCountsIjN3c108BFloat16EEEvPT_PsPjjibS8_PT0_S8_S6_S8_j,comdat
	.protected	_ZN2at6native6mbtopk29computeBlockwiseWithinKCountsIjN3c108BFloat16EEEvPT_PsPjjibS8_PT0_S8_S6_S8_j ; -- Begin function _ZN2at6native6mbtopk29computeBlockwiseWithinKCountsIjN3c108BFloat16EEEvPT_PsPjjibS8_PT0_S8_S6_S8_j
	.globl	_ZN2at6native6mbtopk29computeBlockwiseWithinKCountsIjN3c108BFloat16EEEvPT_PsPjjibS8_PT0_S8_S6_S8_j
	.p2align	8
	.type	_ZN2at6native6mbtopk29computeBlockwiseWithinKCountsIjN3c108BFloat16EEEvPT_PsPjjibS8_PT0_S8_S6_S8_j,@function
_ZN2at6native6mbtopk29computeBlockwiseWithinKCountsIjN3c108BFloat16EEEvPT_PsPjjibS8_PT0_S8_S6_S8_j: ; @_ZN2at6native6mbtopk29computeBlockwiseWithinKCountsIjN3c108BFloat16EEEvPT_PsPjjibS8_PT0_S8_S6_S8_j
; %bb.0:
	s_load_dwordx4 s[16:19], s[4:5], 0x18
	s_load_dword s2, s[4:5], 0x50
	s_load_dwordx2 s[0:1], s[4:5], 0x58
	s_waitcnt lgkmcnt(0)
	v_cvt_f32_u32_e32 v1, s16
	s_mul_i32 s1, s1, s8
	s_add_i32 s1, s1, s7
	v_rcp_iflag_f32_e32 v1, v1
	s_mul_i32 s0, s1, s0
	s_add_i32 s6, s0, s6
	s_cmp_ge_u32 s6, s2
	v_mul_f32_e32 v1, 0x4f7ffffe, v1
	v_cvt_u32_f32_e32 v1, v1
	v_readfirstlane_b32 s0, v1
	s_cbranch_scc1 .LBB106_40
; %bb.1:
	s_sub_i32 s1, 0, s16
	s_mul_i32 s1, s1, s0
	s_mul_hi_u32 s1, s0, s1
	s_add_i32 s0, s0, s1
	s_mul_hi_u32 s2, s6, s0
	s_mul_i32 s3, s2, s16
	s_sub_i32 s3, s6, s3
	s_add_i32 s8, s2, 1
	s_sub_i32 s9, s3, s16
	s_cmp_ge_u32 s3, s16
	s_load_dwordx4 s[20:23], s[4:5], 0x0
	s_load_dwordx2 s[0:1], s[4:5], 0x10
	s_cselect_b32 s2, s8, s2
	s_cselect_b32 s3, s9, s3
	s_add_i32 s8, s2, 1
	s_mov_b32 s7, 0
	s_cmp_ge_u32 s3, s16
	s_cselect_b32 s28, s8, s2
	s_mov_b32 s29, s7
	s_lshl_b64 s[24:25], s[28:29], 2
	s_waitcnt lgkmcnt(0)
	s_add_u32 s0, s0, s24
	s_movk_i32 s2, 0x100
	s_addc_u32 s1, s1, s25
	v_cmp_gt_u32_e64 s[2:3], s2, v0
	s_and_saveexec_b64 s[8:9], s[2:3]
	s_cbranch_execz .LBB106_8
; %bb.2:
	s_mul_i32 s10, s28, s16
	s_lshl_b32 s10, s10, 8
	s_mov_b32 s11, s7
	s_lshl_b64 s[10:11], s[10:11], 1
	s_add_u32 s10, s22, s10
	s_addc_u32 s11, s23, s11
	v_lshlrev_b32_e32 v1, 1, v0
	v_mov_b32_e32 v2, s11
	v_add_co_u32_e32 v1, vcc, s10, v1
	v_mov_b32_e32 v3, 0
	s_cmp_lt_u32 s16, 4
	v_addc_co_u32_e32 v2, vcc, 0, v2, vcc
	s_cbranch_scc1 .LBB106_41
; %bb.3:
	v_mov_b32_e32 v3, 0
	s_mov_b32 s10, 0
.LBB106_4:                              ; =>This Inner Loop Header: Depth=1
	global_load_sshort v4, v[1:2], off
	global_load_sshort v5, v[1:2], off offset:512
	global_load_sshort v6, v[1:2], off offset:1024
	global_load_sshort v7, v[1:2], off offset:1536
	s_mov_b32 s11, s10
	v_add_co_u32_e32 v1, vcc, 0x800, v1
	s_add_i32 s10, s10, 4
	s_add_i32 s11, s11, 7
	v_addc_co_u32_e32 v2, vcc, 0, v2, vcc
	s_cmp_ge_u32 s11, s16
	s_waitcnt vmcnt(2)
	v_add3_u32 v3, v3, v4, v5
	s_waitcnt vmcnt(0)
	v_add3_u32 v3, v3, v6, v7
	s_cbranch_scc0 .LBB106_4
; %bb.5:
	s_cmp_ge_u32 s10, s16
	s_cbranch_scc1 .LBB106_7
.LBB106_6:                              ; =>This Inner Loop Header: Depth=1
	global_load_sshort v4, v[1:2], off
	v_add_co_u32_e32 v1, vcc, 0x200, v1
	s_add_i32 s10, s10, 1
	v_addc_co_u32_e32 v2, vcc, 0, v2, vcc
	s_cmp_lt_u32 s10, s16
	s_waitcnt vmcnt(0)
	v_add_u32_e32 v3, v3, v4
	s_cbranch_scc1 .LBB106_6
.LBB106_7:
	v_lshlrev_b32_e32 v1, 2, v0
	ds_write_b32 v1, v3 offset:1056
.LBB106_8:
	s_or_b64 exec, exec, s[8:9]
	s_load_dword s19, s[0:1], 0x0
	v_mov_b32_e32 v3, 0
	s_waitcnt lgkmcnt(0)
	s_barrier
	s_and_saveexec_b64 s[0:1], s[2:3]
; %bb.9:
	v_lshlrev_b32_e32 v1, 2, v0
	ds_read_b32 v3, v1 offset:1056
; %bb.10:
	s_or_b64 exec, exec, s[0:1]
	v_lshrrev_b32_e32 v1, 3, v0
	v_and_b32_e32 v1, 28, v1
	v_lshl_add_u32 v2, v0, 2, v1
	v_cmp_gt_u32_e64 s[0:1], 64, v0
	v_mbcnt_lo_u32_b32 v1, -1, 0
	s_waitcnt lgkmcnt(0)
	ds_write_b32 v2, v3
	s_waitcnt lgkmcnt(0)
	s_barrier
	s_and_saveexec_b64 s[8:9], s[0:1]
	s_cbranch_execz .LBB106_12
; %bb.11:
	v_lshrrev_b32_e32 v4, 1, v0
	v_and_b32_e32 v4, 0x7c, v4
	v_lshl_add_u32 v8, v0, 4, v4
	ds_read2_b32 v[4:5], v8 offset1:1
	ds_read2_b32 v[6:7], v8 offset0:2 offset1:3
	v_mbcnt_hi_u32_b32 v9, -1, v1
	v_and_b32_e32 v10, 15, v9
	v_cmp_ne_u32_e32 vcc, 0, v10
	s_waitcnt lgkmcnt(1)
	v_add_u32_e32 v5, v5, v4
	s_waitcnt lgkmcnt(0)
	v_add3_u32 v5, v5, v6, v7
	v_bfe_i32 v7, v9, 4, 1
	s_nop 0
	v_mov_b32_dpp v6, v5 row_shr:1 row_mask:0xf bank_mask:0xf
	v_cndmask_b32_e32 v6, 0, v6, vcc
	v_add_u32_e32 v5, v6, v5
	v_cmp_lt_u32_e32 vcc, 1, v10
	; wave barrier
	s_nop 0
	v_mov_b32_dpp v6, v5 row_shr:2 row_mask:0xf bank_mask:0xf
	v_cndmask_b32_e32 v6, 0, v6, vcc
	v_add_u32_e32 v5, v5, v6
	v_cmp_lt_u32_e32 vcc, 3, v10
	s_nop 0
	v_mov_b32_dpp v6, v5 row_shr:4 row_mask:0xf bank_mask:0xf
	v_cndmask_b32_e32 v6, 0, v6, vcc
	v_add_u32_e32 v5, v5, v6
	v_cmp_lt_u32_e32 vcc, 7, v10
	;; [unrolled: 5-line block ×3, first 2 shown]
	s_nop 0
	v_mov_b32_dpp v6, v5 row_bcast:15 row_mask:0xf bank_mask:0xf
	v_and_b32_e32 v6, v7, v6
	v_add_u32_e32 v5, v5, v6
	v_and_b32_e32 v7, 64, v9
	s_nop 0
	v_mov_b32_dpp v6, v5 row_bcast:31 row_mask:0xf bank_mask:0xf
	v_cndmask_b32_e32 v6, 0, v6, vcc
	v_add_u32_e32 v5, v5, v6
	v_add_u32_e32 v6, -1, v9
	v_cmp_lt_i32_e32 vcc, v6, v7
	v_cndmask_b32_e32 v6, v6, v9, vcc
	v_lshlrev_b32_e32 v6, 2, v6
	ds_bpermute_b32 v5, v6, v5
	v_cmp_eq_u32_e32 vcc, 0, v0
	s_waitcnt lgkmcnt(0)
	v_add_u32_e32 v4, v5, v4
	v_cndmask_b32_e32 v5, v4, v3, vcc
	ds_write_b32 v8, v5
	; wave barrier
	ds_read2_b32 v[3:4], v8 offset0:1 offset1:2
	ds_read_b32 v6, v8 offset:12
	s_waitcnt lgkmcnt(1)
	v_add_u32_e32 v3, v3, v5
	v_add_u32_e32 v4, v4, v3
	ds_write2_b32 v8, v3, v4 offset0:1 offset1:2
	s_waitcnt lgkmcnt(1)
	v_add_u32_e32 v3, v6, v4
	ds_write_b32 v8, v3 offset:12
.LBB106_12:
	s_or_b64 exec, exec, s[8:9]
	s_waitcnt lgkmcnt(0)
	s_barrier
	ds_read_b32 v3, v2
	s_waitcnt lgkmcnt(0)
	s_barrier
	s_and_saveexec_b64 s[8:9], s[2:3]
; %bb.13:
	v_lshlrev_b32_e32 v2, 2, v0
	ds_write_b32 v2, v3 offset:1056
; %bb.14:
	s_or_b64 exec, exec, s[8:9]
	s_load_dwordx8 s[8:15], s[4:5], 0x28
	s_load_dwordx2 s[26:27], s[4:5], 0x48
	s_waitcnt lgkmcnt(0)
	s_barrier
	s_and_saveexec_b64 s[4:5], s[2:3]
	s_cbranch_execz .LBB106_23
; %bb.15:
	v_mov_b32_e32 v2, 0
	v_cmp_ne_u32_e32 vcc, 0, v0
	s_and_saveexec_b64 s[2:3], vcc
; %bb.16:
	v_lshlrev_b32_e32 v2, 2, v0
	ds_read_b32 v2, v2 offset:1052
; %bb.17:
	s_or_b64 exec, exec, s[2:3]
	s_waitcnt lgkmcnt(0)
	v_cmp_gt_u32_e32 vcc, s19, v2
	v_cmp_le_u32_e64 s[2:3], s19, v3
	s_and_b64 s[2:3], vcc, s[2:3]
	s_and_b64 exec, exec, s[2:3]
	s_cbranch_execz .LBB106_23
; %bb.18:
	s_add_u32 s2, s20, s24
	s_addc_u32 s3, s21, s25
	v_mov_b32_e32 v4, 0
	global_load_dword v3, v4, s[2:3]
	s_lshl_b32 s3, 0xff, s17
	v_not_b32_e32 v6, s3
	v_lshlrev_b32_e32 v5, s17, v0
	s_mul_i32 s2, s28, s16
	s_cmp_lg_u32 s6, s2
	s_waitcnt vmcnt(0)
	v_and_b32_e32 v3, v3, v6
	v_or_b32_e32 v3, v3, v5
	ds_write_b32 v4, v3 offset:2096
	s_cbranch_scc1 .LBB106_23
; %bb.19:
	s_add_u32 s2, s14, s24
	s_addc_u32 s3, s15, s25
	global_store_dword v4, v3, s[2:3]
	s_cmp_lt_i32 s17, 1
	s_mov_b64 s[2:3], -1
	s_cbranch_scc0 .LBB106_21
; %bb.20:
	v_and_b32_e32 v4, 0x8000, v3
	v_mov_b32_e32 v5, 0x8000
	v_mov_b32_e32 v6, 0xffff
	v_cmp_eq_u32_e32 vcc, 0, v4
	s_lshl_b64 s[2:3], s[28:29], 1
	v_cndmask_b32_e32 v4, v5, v6, vcc
	s_add_u32 s2, s10, s2
	v_xor_b32_e32 v3, v4, v3
	s_addc_u32 s3, s11, s3
	v_mov_b32_e32 v4, 0
	global_store_short v4, v3, s[2:3]
	s_mov_b64 s[2:3], 0
.LBB106_21:
	s_andn2_b64 vcc, exec, s[2:3]
	s_cbranch_vccnz .LBB106_23
; %bb.22:
	s_add_u32 s2, s12, s24
	v_sub_u32_e32 v2, s19, v2
	s_addc_u32 s3, s13, s25
	v_mov_b32_e32 v3, 0
	global_store_dword v3, v2, s[2:3]
.LBB106_23:
	s_or_b64 exec, exec, s[4:5]
	v_mov_b32_e32 v2, 0
	s_waitcnt vmcnt(0) lgkmcnt(0)
	s_barrier
	ds_read_b32 v2, v2 offset:2096
	s_bitcmp0_b32 s18, 0
	s_waitcnt lgkmcnt(0)
	v_lshrrev_b32_e32 v2, s17, v2
	s_cbranch_scc0 .LBB106_25
; %bb.24:
	v_and_b32_e32 v3, 0xc0, v0
	v_cmp_lt_u32_sdwa s[10:11], v3, v2 src0_sel:DWORD src1_sel:BYTE_0
	v_cmp_lt_u32_sdwa s[4:5], v0, v2 src0_sel:DWORD src1_sel:BYTE_0
	s_cbranch_execz .LBB106_26
	s_branch .LBB106_27
.LBB106_25:
                                        ; implicit-def: $sgpr4_sgpr5
                                        ; implicit-def: $sgpr10_sgpr11
.LBB106_26:
	v_or_b32_e32 v3, 63, v0
	v_cmp_gt_u32_sdwa s[2:3], v3, v2 src0_sel:DWORD src1_sel:BYTE_0
	v_cmp_gt_u32_sdwa s[12:13], v0, v2 src0_sel:DWORD src1_sel:BYTE_0
	s_andn2_b64 s[4:5], s[4:5], exec
	s_and_b64 s[12:13], s[12:13], exec
	s_andn2_b64 s[10:11], s[10:11], exec
	s_and_b64 s[2:3], s[2:3], exec
	s_or_b64 s[4:5], s[4:5], s[12:13]
	s_or_b64 s[10:11], s[10:11], s[2:3]
.LBB106_27:
	v_mov_b32_e32 v2, 0
	s_and_saveexec_b64 s[2:3], s[10:11]
	s_cbranch_execz .LBB106_31
; %bb.28:
	v_mov_b32_e32 v2, 0
	s_and_saveexec_b64 s[10:11], s[4:5]
	s_cbranch_execz .LBB106_30
; %bb.29:
	s_lshl_b32 s4, s6, 8
	s_mov_b32 s5, 0
	s_lshl_b64 s[4:5], s[4:5], 1
	s_add_u32 s4, s22, s4
	s_addc_u32 s5, s23, s5
	v_lshlrev_b32_e32 v2, 1, v0
	global_load_sshort v2, v2, s[4:5]
.LBB106_30:
	s_or_b64 exec, exec, s[10:11]
	v_mbcnt_hi_u32_b32 v3, -1, v1
	v_mov_b32_e32 v4, 0x80
	v_lshl_or_b32 v4, v3, 2, v4
	s_waitcnt vmcnt(0)
	ds_bpermute_b32 v4, v4, v2
	v_and_b32_e32 v5, 63, v3
	v_cmp_gt_u32_e32 vcc, 48, v5
	v_cndmask_b32_e64 v6, 0, 16, vcc
	v_cmp_gt_u32_e32 vcc, 56, v5
	s_waitcnt lgkmcnt(0)
	v_add_u32_e32 v2, v4, v2
	v_add_lshl_u32 v4, v6, v3, 2
	ds_bpermute_b32 v4, v4, v2
	v_cndmask_b32_e64 v6, 0, 8, vcc
	v_add_lshl_u32 v6, v6, v3, 2
	v_cmp_gt_u32_e32 vcc, 60, v5
	s_waitcnt lgkmcnt(0)
	v_add_u32_e32 v2, v4, v2
	ds_bpermute_b32 v4, v6, v2
	v_cndmask_b32_e64 v6, 0, 4, vcc
	v_add_lshl_u32 v6, v6, v3, 2
	v_cmp_gt_u32_e32 vcc, 62, v5
	s_waitcnt lgkmcnt(0)
	v_add_u32_e32 v2, v4, v2
	ds_bpermute_b32 v4, v6, v2
	v_cndmask_b32_e64 v6, 0, 2, vcc
	v_add_lshl_u32 v6, v6, v3, 2
	v_cmp_ne_u32_e32 vcc, 63, v5
	v_addc_co_u32_e32 v3, vcc, 0, v3, vcc
	s_waitcnt lgkmcnt(0)
	v_add_u32_e32 v2, v4, v2
	ds_bpermute_b32 v4, v6, v2
	v_lshlrev_b32_e32 v3, 2, v3
	s_waitcnt lgkmcnt(0)
	v_add_u32_e32 v2, v4, v2
	ds_bpermute_b32 v3, v3, v2
	s_waitcnt lgkmcnt(0)
	v_add_u32_e32 v2, v3, v2
.LBB106_31:
	s_or_b64 exec, exec, s[2:3]
	v_and_b32_e32 v3, 63, v0
	v_cmp_eq_u32_e32 vcc, 0, v3
	s_and_saveexec_b64 s[2:3], vcc
; %bb.32:
	v_lshrrev_b32_e32 v3, 4, v0
	v_and_b32_e32 v3, 12, v3
	ds_write_b32 v3, v2 offset:2080
; %bb.33:
	s_or_b64 exec, exec, s[2:3]
	s_waitcnt lgkmcnt(0)
	s_barrier
	s_and_saveexec_b64 s[2:3], s[0:1]
	s_cbranch_execz .LBB106_40
; %bb.34:
	v_cmp_gt_u32_e32 vcc, 4, v0
	v_mov_b32_e32 v2, 0
	s_and_saveexec_b64 s[0:1], vcc
; %bb.35:
	v_lshlrev_b32_e32 v2, 2, v0
	ds_read_b32 v2, v2 offset:2080
; %bb.36:
	s_or_b64 exec, exec, s[0:1]
	v_mbcnt_hi_u32_b32 v1, -1, v1
	v_and_b32_e32 v3, 63, v1
	v_cmp_gt_u32_e32 vcc, 62, v3
	v_cndmask_b32_e64 v4, 0, 2, vcc
	v_add_lshl_u32 v4, v4, v1, 2
	s_waitcnt lgkmcnt(0)
	ds_bpermute_b32 v4, v4, v2
	v_cmp_ne_u32_e32 vcc, 63, v3
	v_addc_co_u32_e32 v3, vcc, 0, v1, vcc
	v_cmp_eq_u32_e32 vcc, 0, v0
	s_waitcnt lgkmcnt(0)
	v_add_u32_e32 v1, v4, v2
	v_lshlrev_b32_e32 v2, 2, v3
	ds_bpermute_b32 v2, v2, v1
	s_and_saveexec_b64 s[0:1], vcc
	s_cbranch_execz .LBB106_38
; %bb.37:
	s_lshl_b64 s[2:3], s[6:7], 2
	s_add_u32 s2, s8, s2
	s_addc_u32 s3, s9, s3
	v_mov_b32_e32 v3, 0
	global_load_dword v4, v3, s[2:3]
	s_waitcnt vmcnt(0) lgkmcnt(0)
	v_add3_u32 v1, v2, v1, v4
	global_store_dword v3, v1, s[2:3]
.LBB106_38:
	s_or_b64 exec, exec, s[0:1]
	v_or_b32_e32 v0, s17, v0
	v_cmp_eq_u32_e32 vcc, 0, v0
	s_and_b64 exec, exec, vcc
	s_cbranch_execz .LBB106_40
; %bb.39:
	v_mov_b32_e32 v0, 0
	ds_read_b32 v1, v0 offset:2096
	s_lshl_b32 s0, s6, 8
	s_mov_b32 s1, 0
	s_lshl_b64 s[0:1], s[0:1], 1
	s_add_u32 s0, s22, s0
	s_waitcnt lgkmcnt(1)
	v_mov_b32_e32 v2, 1
	s_addc_u32 s1, s23, s1
	s_waitcnt lgkmcnt(0)
	v_lshlrev_b32_sdwa v1, v2, v1 dst_sel:DWORD dst_unused:UNUSED_PAD src0_sel:DWORD src1_sel:BYTE_0
	global_load_sshort v1, v1, s[0:1]
	s_lshl_b64 s[0:1], s[6:7], 2
	s_add_u32 s0, s26, s0
	s_addc_u32 s1, s27, s1
	s_waitcnt vmcnt(0)
	global_store_dword v0, v1, s[0:1]
.LBB106_40:
	s_endpgm
.LBB106_41:
	s_mov_b32 s10, s7
	s_cmp_ge_u32 s10, s16
	s_cbranch_scc0 .LBB106_6
	s_branch .LBB106_7
	.section	.rodata,"a",@progbits
	.p2align	6, 0x0
	.amdhsa_kernel _ZN2at6native6mbtopk29computeBlockwiseWithinKCountsIjN3c108BFloat16EEEvPT_PsPjjibS8_PT0_S8_S6_S8_j
		.amdhsa_group_segment_fixed_size 2100
		.amdhsa_private_segment_fixed_size 0
		.amdhsa_kernarg_size 344
		.amdhsa_user_sgpr_count 6
		.amdhsa_user_sgpr_private_segment_buffer 1
		.amdhsa_user_sgpr_dispatch_ptr 0
		.amdhsa_user_sgpr_queue_ptr 0
		.amdhsa_user_sgpr_kernarg_segment_ptr 1
		.amdhsa_user_sgpr_dispatch_id 0
		.amdhsa_user_sgpr_flat_scratch_init 0
		.amdhsa_user_sgpr_private_segment_size 0
		.amdhsa_uses_dynamic_stack 0
		.amdhsa_system_sgpr_private_segment_wavefront_offset 0
		.amdhsa_system_sgpr_workgroup_id_x 1
		.amdhsa_system_sgpr_workgroup_id_y 1
		.amdhsa_system_sgpr_workgroup_id_z 1
		.amdhsa_system_sgpr_workgroup_info 0
		.amdhsa_system_vgpr_workitem_id 0
		.amdhsa_next_free_vgpr 11
		.amdhsa_next_free_sgpr 30
		.amdhsa_reserve_vcc 1
		.amdhsa_reserve_flat_scratch 0
		.amdhsa_float_round_mode_32 0
		.amdhsa_float_round_mode_16_64 0
		.amdhsa_float_denorm_mode_32 3
		.amdhsa_float_denorm_mode_16_64 3
		.amdhsa_dx10_clamp 1
		.amdhsa_ieee_mode 1
		.amdhsa_fp16_overflow 0
		.amdhsa_exception_fp_ieee_invalid_op 0
		.amdhsa_exception_fp_denorm_src 0
		.amdhsa_exception_fp_ieee_div_zero 0
		.amdhsa_exception_fp_ieee_overflow 0
		.amdhsa_exception_fp_ieee_underflow 0
		.amdhsa_exception_fp_ieee_inexact 0
		.amdhsa_exception_int_div_zero 0
	.end_amdhsa_kernel
	.section	.text._ZN2at6native6mbtopk29computeBlockwiseWithinKCountsIjN3c108BFloat16EEEvPT_PsPjjibS8_PT0_S8_S6_S8_j,"axG",@progbits,_ZN2at6native6mbtopk29computeBlockwiseWithinKCountsIjN3c108BFloat16EEEvPT_PsPjjibS8_PT0_S8_S6_S8_j,comdat
.Lfunc_end106:
	.size	_ZN2at6native6mbtopk29computeBlockwiseWithinKCountsIjN3c108BFloat16EEEvPT_PsPjjibS8_PT0_S8_S6_S8_j, .Lfunc_end106-_ZN2at6native6mbtopk29computeBlockwiseWithinKCountsIjN3c108BFloat16EEEvPT_PsPjjibS8_PT0_S8_S6_S8_j
                                        ; -- End function
	.set _ZN2at6native6mbtopk29computeBlockwiseWithinKCountsIjN3c108BFloat16EEEvPT_PsPjjibS8_PT0_S8_S6_S8_j.num_vgpr, 11
	.set _ZN2at6native6mbtopk29computeBlockwiseWithinKCountsIjN3c108BFloat16EEEvPT_PsPjjibS8_PT0_S8_S6_S8_j.num_agpr, 0
	.set _ZN2at6native6mbtopk29computeBlockwiseWithinKCountsIjN3c108BFloat16EEEvPT_PsPjjibS8_PT0_S8_S6_S8_j.numbered_sgpr, 30
	.set _ZN2at6native6mbtopk29computeBlockwiseWithinKCountsIjN3c108BFloat16EEEvPT_PsPjjibS8_PT0_S8_S6_S8_j.num_named_barrier, 0
	.set _ZN2at6native6mbtopk29computeBlockwiseWithinKCountsIjN3c108BFloat16EEEvPT_PsPjjibS8_PT0_S8_S6_S8_j.private_seg_size, 0
	.set _ZN2at6native6mbtopk29computeBlockwiseWithinKCountsIjN3c108BFloat16EEEvPT_PsPjjibS8_PT0_S8_S6_S8_j.uses_vcc, 1
	.set _ZN2at6native6mbtopk29computeBlockwiseWithinKCountsIjN3c108BFloat16EEEvPT_PsPjjibS8_PT0_S8_S6_S8_j.uses_flat_scratch, 0
	.set _ZN2at6native6mbtopk29computeBlockwiseWithinKCountsIjN3c108BFloat16EEEvPT_PsPjjibS8_PT0_S8_S6_S8_j.has_dyn_sized_stack, 0
	.set _ZN2at6native6mbtopk29computeBlockwiseWithinKCountsIjN3c108BFloat16EEEvPT_PsPjjibS8_PT0_S8_S6_S8_j.has_recursion, 0
	.set _ZN2at6native6mbtopk29computeBlockwiseWithinKCountsIjN3c108BFloat16EEEvPT_PsPjjibS8_PT0_S8_S6_S8_j.has_indirect_call, 0
	.section	.AMDGPU.csdata,"",@progbits
; Kernel info:
; codeLenInByte = 1884
; TotalNumSgprs: 34
; NumVgprs: 11
; ScratchSize: 0
; MemoryBound: 0
; FloatMode: 240
; IeeeMode: 1
; LDSByteSize: 2100 bytes/workgroup (compile time only)
; SGPRBlocks: 4
; VGPRBlocks: 2
; NumSGPRsForWavesPerEU: 34
; NumVGPRsForWavesPerEU: 11
; Occupancy: 10
; WaveLimiterHint : 1
; COMPUTE_PGM_RSRC2:SCRATCH_EN: 0
; COMPUTE_PGM_RSRC2:USER_SGPR: 6
; COMPUTE_PGM_RSRC2:TRAP_HANDLER: 0
; COMPUTE_PGM_RSRC2:TGID_X_EN: 1
; COMPUTE_PGM_RSRC2:TGID_Y_EN: 1
; COMPUTE_PGM_RSRC2:TGID_Z_EN: 1
; COMPUTE_PGM_RSRC2:TIDIG_COMP_CNT: 0
	.section	.text._ZN2at6native6mbtopk10gatherTopKIN3c108BFloat16EjLi1EEEvNS_4cuda6detail10TensorInfoIKT_T0_EESA_SA_bjSA_NS7_IS8_SA_EESA_NS7_IlSA_EESA_jjPS8_PjSF_j,"axG",@progbits,_ZN2at6native6mbtopk10gatherTopKIN3c108BFloat16EjLi1EEEvNS_4cuda6detail10TensorInfoIKT_T0_EESA_SA_bjSA_NS7_IS8_SA_EESA_NS7_IlSA_EESA_jjPS8_PjSF_j,comdat
	.protected	_ZN2at6native6mbtopk10gatherTopKIN3c108BFloat16EjLi1EEEvNS_4cuda6detail10TensorInfoIKT_T0_EESA_SA_bjSA_NS7_IS8_SA_EESA_NS7_IlSA_EESA_jjPS8_PjSF_j ; -- Begin function _ZN2at6native6mbtopk10gatherTopKIN3c108BFloat16EjLi1EEEvNS_4cuda6detail10TensorInfoIKT_T0_EESA_SA_bjSA_NS7_IS8_SA_EESA_NS7_IlSA_EESA_jjPS8_PjSF_j
	.globl	_ZN2at6native6mbtopk10gatherTopKIN3c108BFloat16EjLi1EEEvNS_4cuda6detail10TensorInfoIKT_T0_EESA_SA_bjSA_NS7_IS8_SA_EESA_NS7_IlSA_EESA_jjPS8_PjSF_j
	.p2align	8
	.type	_ZN2at6native6mbtopk10gatherTopKIN3c108BFloat16EjLi1EEEvNS_4cuda6detail10TensorInfoIKT_T0_EESA_SA_bjSA_NS7_IS8_SA_EESA_NS7_IlSA_EESA_jjPS8_PjSF_j,@function
_ZN2at6native6mbtopk10gatherTopKIN3c108BFloat16EjLi1EEEvNS_4cuda6detail10TensorInfoIKT_T0_EESA_SA_bjSA_NS7_IS8_SA_EESA_NS7_IlSA_EESA_jjPS8_PjSF_j: ; @_ZN2at6native6mbtopk10gatherTopKIN3c108BFloat16EjLi1EEEvNS_4cuda6detail10TensorInfoIKT_T0_EESA_SA_bjSA_NS7_IS8_SA_EESA_NS7_IlSA_EESA_jjPS8_PjSF_j
; %bb.0:
	s_load_dwordx2 s[0:1], s[4:5], 0x2d8
	s_load_dword s2, s[4:5], 0x2d0
	s_waitcnt lgkmcnt(0)
	s_mul_i32 s1, s1, s8
	s_add_i32 s1, s1, s7
	s_mul_i32 s0, s1, s0
	s_add_i32 s0, s0, s6
	s_cmp_ge_u32 s0, s2
	s_cbranch_scc1 .LBB107_40
; %bb.1:
	s_load_dwordx8 s[8:15], s[4:5], 0x2a8
	s_mov_b32 s7, 0
	v_mov_b32_e32 v2, 0
	s_waitcnt lgkmcnt(0)
	v_cvt_f32_u32_e32 v1, s10
	s_sub_i32 s1, 0, s10
	v_rcp_iflag_f32_e32 v1, v1
	v_mul_f32_e32 v1, 0x4f7ffffe, v1
	v_cvt_u32_f32_e32 v1, v1
	v_readfirstlane_b32 s2, v1
	s_mul_i32 s1, s1, s2
	s_mul_hi_u32 s1, s2, s1
	s_add_i32 s2, s2, s1
	s_mul_hi_u32 s1, s0, s2
	s_mul_i32 s2, s1, s10
	s_sub_i32 s2, s0, s2
	s_add_i32 s3, s1, 1
	s_sub_i32 s6, s2, s10
	s_cmp_ge_u32 s2, s10
	s_cselect_b32 s1, s3, s1
	s_cselect_b32 s2, s6, s2
	s_add_i32 s3, s1, 1
	s_cmp_ge_u32 s2, s10
	s_cselect_b32 s6, s3, s1
	s_mul_i32 s16, s6, s10
	s_lshl_b64 s[2:3], s[6:7], 1
	s_sub_i32 s11, s0, s16
	s_add_u32 s0, s12, s2
	s_addc_u32 s1, s13, s3
	global_load_ushort v1, v2, s[0:1]
	s_load_dwordx2 s[20:21], s[4:5], 0x1d0
	s_load_dwordx2 s[22:23], s[4:5], 0xf0
	;; [unrolled: 1-line block ×3, first 2 shown]
	v_cmp_ne_u32_e64 s[0:1], 0, v0
	v_cmp_eq_u32_e64 s[2:3], 0, v0
	s_waitcnt vmcnt(0)
	v_readfirstlane_b32 s33, v1
	s_and_saveexec_b64 s[12:13], s[2:3]
	s_cbranch_execz .LBB107_17
; %bb.2:
	s_load_dwordx2 s[26:27], s[4:5], 0x2c8
	s_mov_b32 s17, s7
	s_lshl_b64 s[28:29], s[16:17], 2
	s_add_u32 s16, s14, s28
	s_addc_u32 s17, s15, s29
	s_waitcnt lgkmcnt(0)
	s_add_u32 s18, s26, s28
	s_addc_u32 s19, s27, s29
	s_cmp_lt_u32 s10, 4
	s_cbranch_scc1 .LBB107_14
; %bb.3:
	s_mov_b32 s34, s7
	s_mov_b32 s35, s7
	;; [unrolled: 1-line block ×3, first 2 shown]
.LBB107_4:                              ; =>This Inner Loop Header: Depth=1
	s_add_u32 s30, s14, s28
	s_addc_u32 s31, s15, s29
	s_load_dwordx4 s[16:19], s[30:31], 0x0
	s_add_u32 s30, s26, s28
	s_addc_u32 s31, s27, s29
	s_cmp_ge_u32 s36, s11
	s_cbranch_scc0 .LBB107_11
; %bb.5:                                ;   in Loop: Header=BB107_4 Depth=1
	s_add_i32 s37, s36, 1
	s_cmp_ge_u32 s37, s11
	s_cbranch_scc0 .LBB107_12
.LBB107_6:                              ;   in Loop: Header=BB107_4 Depth=1
	s_add_i32 s37, s37, 1
	s_cmp_ge_u32 s37, s11
	s_cbranch_scc0 .LBB107_13
.LBB107_7:                              ;   in Loop: Header=BB107_4 Depth=1
	s_add_i32 s37, s37, 1
	s_cmp_ge_u32 s37, s11
	s_cbranch_scc1 .LBB107_9
.LBB107_8:                              ;   in Loop: Header=BB107_4 Depth=1
	s_load_dword s30, s[30:31], 0xc
	s_waitcnt lgkmcnt(0)
	s_add_i32 s7, s7, s19
	s_add_i32 s34, s30, s34
.LBB107_9:                              ;   in Loop: Header=BB107_4 Depth=1
	s_waitcnt lgkmcnt(0)
	s_add_i32 s16, s16, s35
	s_add_i32 s16, s16, s17
	;; [unrolled: 1-line block ×4, first 2 shown]
	s_add_u32 s14, s14, 16
	s_addc_u32 s15, s15, 0
	s_add_u32 s26, s26, 16
	s_addc_u32 s27, s27, 0
	s_add_i32 s31, s37, 4
	s_add_u32 s18, s26, s28
	s_addc_u32 s19, s27, s29
	s_add_u32 s16, s14, s28
	s_addc_u32 s17, s15, s29
	s_add_i32 s30, s37, 1
	s_cmp_ge_u32 s31, s10
	s_cbranch_scc1 .LBB107_15
; %bb.10:                               ;   in Loop: Header=BB107_4 Depth=1
	s_mov_b32 s36, s30
	s_branch .LBB107_4
.LBB107_11:                             ;   in Loop: Header=BB107_4 Depth=1
	s_load_dword s37, s[30:31], 0x0
	s_waitcnt lgkmcnt(0)
	s_add_i32 s7, s16, s7
	s_add_i32 s34, s37, s34
	;; [unrolled: 1-line block ×3, first 2 shown]
	s_cmp_ge_u32 s37, s11
	s_cbranch_scc1 .LBB107_6
.LBB107_12:                             ;   in Loop: Header=BB107_4 Depth=1
	s_load_dword s38, s[30:31], 0x4
	s_waitcnt lgkmcnt(0)
	s_add_i32 s7, s7, s17
	s_add_i32 s34, s38, s34
	;; [unrolled: 1-line block ×3, first 2 shown]
	s_cmp_ge_u32 s37, s11
	s_cbranch_scc1 .LBB107_7
.LBB107_13:                             ;   in Loop: Header=BB107_4 Depth=1
	s_load_dword s38, s[30:31], 0x8
	s_waitcnt lgkmcnt(0)
	s_add_i32 s7, s7, s18
	s_add_i32 s34, s38, s34
	;; [unrolled: 1-line block ×3, first 2 shown]
	s_cmp_ge_u32 s37, s11
	s_cbranch_scc0 .LBB107_8
	s_branch .LBB107_9
.LBB107_14:
	s_mov_b32 s34, 0
	s_mov_b32 s35, 0
	;; [unrolled: 1-line block ×3, first 2 shown]
	s_cmp_ge_u32 s14, s10
	s_cbranch_scc0 .LBB107_38
	s_branch .LBB107_16
.LBB107_15:
	s_add_i32 s14, s36, 4
	s_cmp_ge_u32 s14, s10
	s_cbranch_scc0 .LBB107_38
.LBB107_16:
	v_mov_b32_e32 v1, s34
	v_mov_b32_e32 v2, s35
	;; [unrolled: 1-line block ×4, first 2 shown]
	ds_write_b96 v4, v[1:3] offset:1056
.LBB107_17:
	s_or_b64 exec, exec, s[12:13]
	s_load_dword s7, s[4:5], 0x23c
	s_load_dword s16, s[4:5], 0x15c
	;; [unrolled: 1-line block ×3, first 2 shown]
	s_load_dwordx4 s[12:15], s[4:5], 0xd8
	s_mul_i32 s18, s9, s11
	s_lshl_b32 s26, s18, 8
	s_waitcnt lgkmcnt(0)
	s_add_i32 s15, s11, 1
	s_mov_b32 s11, 0
	s_sub_i32 s18, s12, s26
	s_add_u32 s18, s18, 0xff
	s_addc_u32 s19, 0, 0
	s_lshr_b64 s[18:19], s[18:19], 8
	s_cmp_lt_u32 s15, s10
	s_cselect_b32 s9, s9, s18
	s_cmp_eq_u32 s9, 0
	s_barrier
	s_cbranch_scc1 .LBB107_40
; %bb.18:
	s_mul_i32 s10, s6, s17
	s_mul_i32 s18, s6, s16
	s_lshl_b64 s[16:17], s[10:11], 1
	s_add_u32 s15, s24, s16
	s_mov_b32 s19, s11
	s_addc_u32 s16, s25, s17
	s_lshl_b64 s[18:19], s[18:19], 1
	s_mul_i32 s6, s6, s7
	s_add_u32 s17, s22, s18
	s_mov_b32 s7, s11
	v_mov_b32_e32 v5, 0
	s_addc_u32 s18, s23, s19
	s_lshl_b64 s[6:7], s[6:7], 3
	ds_read_b96 v[1:3], v5 offset:1056
	s_add_u32 s19, s20, s6
	s_addc_u32 s20, s21, s7
	s_and_b32 s10, 0xffff, s33
	s_sext_i32_i16 s6, s33
	s_cmp_gt_i32 s6, -1
	s_mov_b32 s6, 0x8000
	s_cselect_b32 s11, s6, 0xffff
	s_lshl_b32 s6, s33, 16
	v_cmp_o_f32_e64 s[6:7], s6, s6
	s_xor_b32 s10, s11, s10
	s_waitcnt lgkmcnt(0)
	v_add_u32_e32 v2, v1, v2
	v_lshrrev_b32_e32 v1, 3, v0
	s_and_b64 s[6:7], s[6:7], exec
	v_and_b32_e32 v1, 28, v1
	s_cselect_b32 s21, s10, 0xffff
	s_bitcmp1_b32 s14, 0
	s_load_dword s10, s[4:5], 0xe8
	s_load_dword s14, s[4:5], 0x1c8
	v_lshl_add_u32 v6, v0, 2, v1
	v_lshrrev_b32_e32 v1, 1, v0
	v_and_b32_e32 v7, 0x7c, v1
	v_add_u32_e32 v1, -1, v0
	v_lshrrev_b32_e32 v4, 3, v1
	v_cmp_gt_u32_e64 s[4:5], 64, v0
	v_lshlrev_b32_e32 v8, 4, v0
	v_and_b32_e32 v4, 0x1ffffffc, v4
	v_add_u32_e32 v0, s26, v0
	v_lshl_add_u32 v9, v1, 2, v4
	s_waitcnt lgkmcnt(0)
	v_mul_lo_u32 v4, s10, v0
	v_mbcnt_lo_u32_b32 v1, -1, 0
	s_cselect_b64 s[6:7], -1, 0
	s_lshl_b32 s22, s10, 8
	v_mov_b32_e32 v10, 0xffff
	v_mov_b32_e32 v11, 0x8000
	v_mbcnt_hi_u32_b32 v12, -1, v1
                                        ; implicit-def: $vgpr13
	s_branch .LBB107_21
.LBB107_19:                             ;   in Loop: Header=BB107_21 Depth=1
	s_or_b64 exec, exec, s[10:11]
	v_add_u32_e32 v2, v16, v2
.LBB107_20:                             ;   in Loop: Header=BB107_21 Depth=1
	s_add_i32 s9, s9, -1
	v_add_u32_e32 v3, v15, v3
	v_add_u32_e32 v4, s22, v4
	s_cmp_lg_u32 s9, 0
	v_add_u32_e32 v0, 0x100, v0
	s_cbranch_scc0 .LBB107_40
.LBB107_21:                             ; =>This Inner Loop Header: Depth=1
	v_cmp_gt_u32_e32 vcc, s12, v0
	v_mov_b32_e32 v1, 0
	v_mov_b32_e32 v14, 0
	s_and_saveexec_b64 s[10:11], vcc
	s_cbranch_execz .LBB107_23
; %bb.22:                               ;   in Loop: Header=BB107_21 Depth=1
	v_lshlrev_b64 v[13:14], 1, v[4:5]
	v_mov_b32_e32 v1, s16
	v_add_co_u32_e32 v13, vcc, s15, v13
	v_addc_co_u32_e32 v14, vcc, v1, v14, vcc
	global_load_ushort v13, v[13:14], off
	s_waitcnt vmcnt(0)
	v_cmp_lt_i16_e32 vcc, -1, v13
	v_cndmask_b32_e32 v1, v10, v11, vcc
	v_lshlrev_b32_e32 v14, 16, v13
	v_xor_b32_sdwa v1, v1, v13 dst_sel:DWORD dst_unused:UNUSED_PAD src0_sel:DWORD src1_sel:WORD_0
	v_cmp_o_f32_e32 vcc, v14, v14
	v_cndmask_b32_e32 v14, v10, v1, vcc
	v_cmp_lt_u32_e32 vcc, s21, v14
	v_cndmask_b32_e64 v1, 0, 1, vcc
	v_cmp_gt_u32_e32 vcc, s21, v14
	v_cndmask_b32_e64 v15, 0, 1, vcc
	v_cndmask_b32_e64 v1, v15, v1, s[6:7]
	v_cmp_eq_u32_e32 vcc, s21, v14
	v_and_b32_e32 v1, 1, v1
	v_cndmask_b32_e64 v14, 0, 1, vcc
.LBB107_23:                             ;   in Loop: Header=BB107_21 Depth=1
	s_or_b64 exec, exec, s[10:11]
	ds_write_b32 v6, v1
	s_waitcnt vmcnt(0) lgkmcnt(0)
	s_barrier
	s_and_saveexec_b64 s[10:11], s[4:5]
	s_cbranch_execz .LBB107_25
; %bb.24:                               ;   in Loop: Header=BB107_21 Depth=1
	v_add_u32_e32 v19, v7, v8
	ds_read2_b32 v[15:16], v19 offset1:1
	ds_read2_b32 v[17:18], v19 offset0:2 offset1:3
	v_and_b32_e32 v20, 15, v12
	v_cmp_ne_u32_e32 vcc, 0, v20
	s_waitcnt lgkmcnt(1)
	v_add_u32_e32 v16, v16, v15
	s_waitcnt lgkmcnt(0)
	v_add3_u32 v16, v16, v17, v18
	v_bfe_i32 v18, v12, 4, 1
	; wave barrier
	s_nop 0
	v_mov_b32_dpp v17, v16 row_shr:1 row_mask:0xf bank_mask:0xf
	v_cndmask_b32_e32 v17, 0, v17, vcc
	v_add_u32_e32 v16, v17, v16
	v_cmp_lt_u32_e32 vcc, 1, v20
	s_nop 0
	v_mov_b32_dpp v17, v16 row_shr:2 row_mask:0xf bank_mask:0xf
	v_cndmask_b32_e32 v17, 0, v17, vcc
	v_add_u32_e32 v16, v16, v17
	v_cmp_lt_u32_e32 vcc, 3, v20
	;; [unrolled: 5-line block ×4, first 2 shown]
	s_nop 0
	v_mov_b32_dpp v17, v16 row_bcast:15 row_mask:0xf bank_mask:0xf
	v_and_b32_e32 v17, v18, v17
	v_add_u32_e32 v16, v16, v17
	v_and_b32_e32 v18, 64, v12
	s_nop 0
	v_mov_b32_dpp v17, v16 row_bcast:31 row_mask:0xf bank_mask:0xf
	v_cndmask_b32_e32 v17, 0, v17, vcc
	v_add_u32_e32 v16, v16, v17
	v_add_u32_e32 v17, -1, v12
	v_cmp_lt_i32_e32 vcc, v17, v18
	v_cndmask_b32_e32 v17, v17, v12, vcc
	v_lshlrev_b32_e32 v17, 2, v17
	ds_bpermute_b32 v16, v17, v16
	s_waitcnt lgkmcnt(0)
	v_add_u32_e32 v15, v16, v15
	v_cndmask_b32_e64 v17, v15, v1, s[2:3]
	ds_write_b32 v19, v17
	; wave barrier
	ds_read2_b32 v[15:16], v19 offset0:1 offset1:2
	ds_read_b32 v18, v19 offset:12
	s_waitcnt lgkmcnt(1)
	v_add_u32_e32 v15, v15, v17
	v_add_u32_e32 v16, v16, v15
	ds_write2_b32 v19, v15, v16 offset0:1 offset1:2
	s_waitcnt lgkmcnt(1)
	v_add_u32_e32 v15, v18, v16
	ds_write_b32 v19, v15 offset:12
.LBB107_25:                             ;   in Loop: Header=BB107_21 Depth=1
	s_or_b64 exec, exec, s[10:11]
	v_mov_b32_e32 v16, 0
	s_waitcnt lgkmcnt(0)
	s_barrier
	s_and_saveexec_b64 s[10:11], s[0:1]
; %bb.26:                               ;   in Loop: Header=BB107_21 Depth=1
	ds_read_b32 v16, v9
; %bb.27:                               ;   in Loop: Header=BB107_21 Depth=1
	s_or_b64 exec, exec, s[10:11]
	ds_read_b32 v15, v5 offset:1048
	v_cmp_ne_u32_e32 vcc, 0, v1
	s_waitcnt lgkmcnt(0)
	s_barrier
	s_and_saveexec_b64 s[10:11], vcc
	s_cbranch_execz .LBB107_29
; %bb.28:                               ;   in Loop: Header=BB107_21 Depth=1
	v_add_u32_e32 v1, v16, v3
	v_mul_lo_u32 v16, v1, s14
	v_mov_b32_e32 v17, v5
	v_mov_b32_e32 v18, s18
	;; [unrolled: 1-line block ×3, first 2 shown]
	v_lshlrev_b64 v[16:17], 1, v[16:17]
	v_add_co_u32_e32 v16, vcc, s17, v16
	v_addc_co_u32_e32 v17, vcc, v18, v17, vcc
	v_mul_lo_u32 v18, v1, s8
	global_store_short v[16:17], v13, off
	v_mov_b32_e32 v1, v5
	v_lshlrev_b64 v[16:17], 3, v[18:19]
	v_mov_b32_e32 v18, s20
	v_add_co_u32_e32 v16, vcc, s19, v16
	v_addc_co_u32_e32 v17, vcc, v18, v17, vcc
	global_store_dwordx2 v[16:17], v[0:1], off
.LBB107_29:                             ;   in Loop: Header=BB107_21 Depth=1
	s_or_b64 exec, exec, s[10:11]
	v_cmp_le_u32_e32 vcc, s13, v2
	s_cbranch_vccnz .LBB107_20
; %bb.30:                               ;   in Loop: Header=BB107_21 Depth=1
	ds_write_b32 v6, v14
	s_waitcnt vmcnt(0) lgkmcnt(0)
	s_barrier
	s_and_saveexec_b64 s[10:11], s[4:5]
	s_cbranch_execz .LBB107_32
; %bb.31:                               ;   in Loop: Header=BB107_21 Depth=1
	v_add_u32_e32 v1, v7, v8
	ds_read2_b32 v[16:17], v1 offset1:1
	ds_read2_b32 v[18:19], v1 offset0:2 offset1:3
	v_and_b32_e32 v20, 15, v12
	v_cmp_ne_u32_e32 vcc, 0, v20
	s_waitcnt lgkmcnt(1)
	v_add_u32_e32 v17, v17, v16
	s_waitcnt lgkmcnt(0)
	v_add3_u32 v17, v17, v18, v19
	v_bfe_i32 v19, v12, 4, 1
	; wave barrier
	s_nop 0
	v_mov_b32_dpp v18, v17 row_shr:1 row_mask:0xf bank_mask:0xf
	v_cndmask_b32_e32 v18, 0, v18, vcc
	v_add_u32_e32 v17, v18, v17
	v_cmp_lt_u32_e32 vcc, 1, v20
	s_nop 0
	v_mov_b32_dpp v18, v17 row_shr:2 row_mask:0xf bank_mask:0xf
	v_cndmask_b32_e32 v18, 0, v18, vcc
	v_add_u32_e32 v17, v17, v18
	v_cmp_lt_u32_e32 vcc, 3, v20
	;; [unrolled: 5-line block ×4, first 2 shown]
	s_nop 0
	v_mov_b32_dpp v18, v17 row_bcast:15 row_mask:0xf bank_mask:0xf
	v_and_b32_e32 v18, v19, v18
	v_add_u32_e32 v17, v17, v18
	v_and_b32_e32 v19, 64, v12
	s_nop 0
	v_mov_b32_dpp v18, v17 row_bcast:31 row_mask:0xf bank_mask:0xf
	v_cndmask_b32_e32 v18, 0, v18, vcc
	v_add_u32_e32 v17, v17, v18
	v_add_u32_e32 v18, -1, v12
	v_cmp_lt_i32_e32 vcc, v18, v19
	v_cndmask_b32_e32 v18, v18, v12, vcc
	v_lshlrev_b32_e32 v18, 2, v18
	ds_bpermute_b32 v17, v18, v17
	s_waitcnt lgkmcnt(0)
	v_add_u32_e32 v16, v17, v16
	v_cndmask_b32_e64 v18, v16, v14, s[2:3]
	ds_write_b32 v1, v18
	; wave barrier
	ds_read2_b32 v[16:17], v1 offset0:1 offset1:2
	ds_read_b32 v19, v1 offset:12
	s_waitcnt lgkmcnt(1)
	v_add_u32_e32 v16, v16, v18
	v_add_u32_e32 v17, v17, v16
	ds_write2_b32 v1, v16, v17 offset0:1 offset1:2
	s_waitcnt lgkmcnt(1)
	v_add_u32_e32 v16, v19, v17
	ds_write_b32 v1, v16 offset:12
.LBB107_32:                             ;   in Loop: Header=BB107_21 Depth=1
	s_or_b64 exec, exec, s[10:11]
	v_mov_b32_e32 v1, 0
	s_waitcnt lgkmcnt(0)
	s_barrier
	s_and_saveexec_b64 s[10:11], s[0:1]
; %bb.33:                               ;   in Loop: Header=BB107_21 Depth=1
	ds_read_b32 v1, v9
; %bb.34:                               ;   in Loop: Header=BB107_21 Depth=1
	s_or_b64 exec, exec, s[10:11]
	ds_read_b32 v16, v5 offset:1048
	v_cmp_ne_u32_e32 vcc, 0, v14
	s_waitcnt lgkmcnt(0)
	s_barrier
	s_and_saveexec_b64 s[10:11], vcc
	s_cbranch_execz .LBB107_19
; %bb.35:                               ;   in Loop: Header=BB107_21 Depth=1
	v_add_u32_e32 v1, v1, v2
	v_cmp_gt_u32_e32 vcc, s13, v1
	s_and_b64 exec, exec, vcc
	s_cbranch_execz .LBB107_19
; %bb.36:                               ;   in Loop: Header=BB107_21 Depth=1
	v_mul_lo_u32 v17, v1, s14
	v_mov_b32_e32 v18, v5
	v_mul_lo_u32 v19, v1, s8
	v_mov_b32_e32 v14, s18
	v_lshlrev_b64 v[17:18], 1, v[17:18]
	v_mov_b32_e32 v20, v5
	v_add_co_u32_e32 v17, vcc, s17, v17
	v_addc_co_u32_e32 v18, vcc, v14, v18, vcc
	global_store_short v[17:18], v13, off
	v_lshlrev_b64 v[17:18], 3, v[19:20]
	v_mov_b32_e32 v14, s20
	v_add_co_u32_e32 v17, vcc, s19, v17
	v_mov_b32_e32 v1, v5
	v_addc_co_u32_e32 v18, vcc, v14, v18, vcc
	global_store_dwordx2 v[17:18], v[0:1], off
	s_branch .LBB107_19
.LBB107_37:                             ;   in Loop: Header=BB107_38 Depth=1
	s_add_u32 s16, s16, 4
	s_addc_u32 s17, s17, 0
	s_waitcnt lgkmcnt(0)
	s_add_i32 s35, s15, s35
	s_add_u32 s18, s18, 4
	s_addc_u32 s19, s19, 0
	s_add_i32 s14, s14, 1
	s_cmp_lt_u32 s14, s10
	s_cbranch_scc0 .LBB107_16
.LBB107_38:                             ; =>This Inner Loop Header: Depth=1
	s_load_dword s15, s[16:17], 0x0
	s_cmp_ge_u32 s14, s11
	s_cbranch_scc1 .LBB107_37
; %bb.39:                               ;   in Loop: Header=BB107_38 Depth=1
	s_load_dword s26, s[18:19], 0x0
	s_waitcnt lgkmcnt(0)
	s_add_i32 s7, s15, s7
	s_add_i32 s34, s26, s34
	s_branch .LBB107_37
.LBB107_40:
	s_endpgm
	.section	.rodata,"a",@progbits
	.p2align	6, 0x0
	.amdhsa_kernel _ZN2at6native6mbtopk10gatherTopKIN3c108BFloat16EjLi1EEEvNS_4cuda6detail10TensorInfoIKT_T0_EESA_SA_bjSA_NS7_IS8_SA_EESA_NS7_IlSA_EESA_jjPS8_PjSF_j
		.amdhsa_group_segment_fixed_size 1068
		.amdhsa_private_segment_fixed_size 0
		.amdhsa_kernarg_size 984
		.amdhsa_user_sgpr_count 6
		.amdhsa_user_sgpr_private_segment_buffer 1
		.amdhsa_user_sgpr_dispatch_ptr 0
		.amdhsa_user_sgpr_queue_ptr 0
		.amdhsa_user_sgpr_kernarg_segment_ptr 1
		.amdhsa_user_sgpr_dispatch_id 0
		.amdhsa_user_sgpr_flat_scratch_init 0
		.amdhsa_user_sgpr_private_segment_size 0
		.amdhsa_uses_dynamic_stack 0
		.amdhsa_system_sgpr_private_segment_wavefront_offset 0
		.amdhsa_system_sgpr_workgroup_id_x 1
		.amdhsa_system_sgpr_workgroup_id_y 1
		.amdhsa_system_sgpr_workgroup_id_z 1
		.amdhsa_system_sgpr_workgroup_info 0
		.amdhsa_system_vgpr_workitem_id 0
		.amdhsa_next_free_vgpr 21
		.amdhsa_next_free_sgpr 39
		.amdhsa_reserve_vcc 1
		.amdhsa_reserve_flat_scratch 0
		.amdhsa_float_round_mode_32 0
		.amdhsa_float_round_mode_16_64 0
		.amdhsa_float_denorm_mode_32 3
		.amdhsa_float_denorm_mode_16_64 3
		.amdhsa_dx10_clamp 1
		.amdhsa_ieee_mode 1
		.amdhsa_fp16_overflow 0
		.amdhsa_exception_fp_ieee_invalid_op 0
		.amdhsa_exception_fp_denorm_src 0
		.amdhsa_exception_fp_ieee_div_zero 0
		.amdhsa_exception_fp_ieee_overflow 0
		.amdhsa_exception_fp_ieee_underflow 0
		.amdhsa_exception_fp_ieee_inexact 0
		.amdhsa_exception_int_div_zero 0
	.end_amdhsa_kernel
	.section	.text._ZN2at6native6mbtopk10gatherTopKIN3c108BFloat16EjLi1EEEvNS_4cuda6detail10TensorInfoIKT_T0_EESA_SA_bjSA_NS7_IS8_SA_EESA_NS7_IlSA_EESA_jjPS8_PjSF_j,"axG",@progbits,_ZN2at6native6mbtopk10gatherTopKIN3c108BFloat16EjLi1EEEvNS_4cuda6detail10TensorInfoIKT_T0_EESA_SA_bjSA_NS7_IS8_SA_EESA_NS7_IlSA_EESA_jjPS8_PjSF_j,comdat
.Lfunc_end107:
	.size	_ZN2at6native6mbtopk10gatherTopKIN3c108BFloat16EjLi1EEEvNS_4cuda6detail10TensorInfoIKT_T0_EESA_SA_bjSA_NS7_IS8_SA_EESA_NS7_IlSA_EESA_jjPS8_PjSF_j, .Lfunc_end107-_ZN2at6native6mbtopk10gatherTopKIN3c108BFloat16EjLi1EEEvNS_4cuda6detail10TensorInfoIKT_T0_EESA_SA_bjSA_NS7_IS8_SA_EESA_NS7_IlSA_EESA_jjPS8_PjSF_j
                                        ; -- End function
	.set _ZN2at6native6mbtopk10gatherTopKIN3c108BFloat16EjLi1EEEvNS_4cuda6detail10TensorInfoIKT_T0_EESA_SA_bjSA_NS7_IS8_SA_EESA_NS7_IlSA_EESA_jjPS8_PjSF_j.num_vgpr, 21
	.set _ZN2at6native6mbtopk10gatherTopKIN3c108BFloat16EjLi1EEEvNS_4cuda6detail10TensorInfoIKT_T0_EESA_SA_bjSA_NS7_IS8_SA_EESA_NS7_IlSA_EESA_jjPS8_PjSF_j.num_agpr, 0
	.set _ZN2at6native6mbtopk10gatherTopKIN3c108BFloat16EjLi1EEEvNS_4cuda6detail10TensorInfoIKT_T0_EESA_SA_bjSA_NS7_IS8_SA_EESA_NS7_IlSA_EESA_jjPS8_PjSF_j.numbered_sgpr, 39
	.set _ZN2at6native6mbtopk10gatherTopKIN3c108BFloat16EjLi1EEEvNS_4cuda6detail10TensorInfoIKT_T0_EESA_SA_bjSA_NS7_IS8_SA_EESA_NS7_IlSA_EESA_jjPS8_PjSF_j.num_named_barrier, 0
	.set _ZN2at6native6mbtopk10gatherTopKIN3c108BFloat16EjLi1EEEvNS_4cuda6detail10TensorInfoIKT_T0_EESA_SA_bjSA_NS7_IS8_SA_EESA_NS7_IlSA_EESA_jjPS8_PjSF_j.private_seg_size, 0
	.set _ZN2at6native6mbtopk10gatherTopKIN3c108BFloat16EjLi1EEEvNS_4cuda6detail10TensorInfoIKT_T0_EESA_SA_bjSA_NS7_IS8_SA_EESA_NS7_IlSA_EESA_jjPS8_PjSF_j.uses_vcc, 1
	.set _ZN2at6native6mbtopk10gatherTopKIN3c108BFloat16EjLi1EEEvNS_4cuda6detail10TensorInfoIKT_T0_EESA_SA_bjSA_NS7_IS8_SA_EESA_NS7_IlSA_EESA_jjPS8_PjSF_j.uses_flat_scratch, 0
	.set _ZN2at6native6mbtopk10gatherTopKIN3c108BFloat16EjLi1EEEvNS_4cuda6detail10TensorInfoIKT_T0_EESA_SA_bjSA_NS7_IS8_SA_EESA_NS7_IlSA_EESA_jjPS8_PjSF_j.has_dyn_sized_stack, 0
	.set _ZN2at6native6mbtopk10gatherTopKIN3c108BFloat16EjLi1EEEvNS_4cuda6detail10TensorInfoIKT_T0_EESA_SA_bjSA_NS7_IS8_SA_EESA_NS7_IlSA_EESA_jjPS8_PjSF_j.has_recursion, 0
	.set _ZN2at6native6mbtopk10gatherTopKIN3c108BFloat16EjLi1EEEvNS_4cuda6detail10TensorInfoIKT_T0_EESA_SA_bjSA_NS7_IS8_SA_EESA_NS7_IlSA_EESA_jjPS8_PjSF_j.has_indirect_call, 0
	.section	.AMDGPU.csdata,"",@progbits
; Kernel info:
; codeLenInByte = 2200
; TotalNumSgprs: 43
; NumVgprs: 21
; ScratchSize: 0
; MemoryBound: 0
; FloatMode: 240
; IeeeMode: 1
; LDSByteSize: 1068 bytes/workgroup (compile time only)
; SGPRBlocks: 5
; VGPRBlocks: 5
; NumSGPRsForWavesPerEU: 43
; NumVGPRsForWavesPerEU: 21
; Occupancy: 10
; WaveLimiterHint : 1
; COMPUTE_PGM_RSRC2:SCRATCH_EN: 0
; COMPUTE_PGM_RSRC2:USER_SGPR: 6
; COMPUTE_PGM_RSRC2:TRAP_HANDLER: 0
; COMPUTE_PGM_RSRC2:TGID_X_EN: 1
; COMPUTE_PGM_RSRC2:TGID_Y_EN: 1
; COMPUTE_PGM_RSRC2:TGID_Z_EN: 1
; COMPUTE_PGM_RSRC2:TIDIG_COMP_CNT: 0
	.section	.text._ZN2at6native6sbtopk10gatherTopKIN3c108BFloat16EjLi1ELb0EEEvNS_4cuda6detail10TensorInfoIKT_T0_EESA_SA_bSA_SA_NS7_IS8_SA_EESA_NS7_IlSA_EESA_PS8_,"axG",@progbits,_ZN2at6native6sbtopk10gatherTopKIN3c108BFloat16EjLi1ELb0EEEvNS_4cuda6detail10TensorInfoIKT_T0_EESA_SA_bSA_SA_NS7_IS8_SA_EESA_NS7_IlSA_EESA_PS8_,comdat
	.protected	_ZN2at6native6sbtopk10gatherTopKIN3c108BFloat16EjLi1ELb0EEEvNS_4cuda6detail10TensorInfoIKT_T0_EESA_SA_bSA_SA_NS7_IS8_SA_EESA_NS7_IlSA_EESA_PS8_ ; -- Begin function _ZN2at6native6sbtopk10gatherTopKIN3c108BFloat16EjLi1ELb0EEEvNS_4cuda6detail10TensorInfoIKT_T0_EESA_SA_bSA_SA_NS7_IS8_SA_EESA_NS7_IlSA_EESA_PS8_
	.globl	_ZN2at6native6sbtopk10gatherTopKIN3c108BFloat16EjLi1ELb0EEEvNS_4cuda6detail10TensorInfoIKT_T0_EESA_SA_bSA_SA_NS7_IS8_SA_EESA_NS7_IlSA_EESA_PS8_
	.p2align	8
	.type	_ZN2at6native6sbtopk10gatherTopKIN3c108BFloat16EjLi1ELb0EEEvNS_4cuda6detail10TensorInfoIKT_T0_EESA_SA_bSA_SA_NS7_IS8_SA_EESA_NS7_IlSA_EESA_PS8_,@function
_ZN2at6native6sbtopk10gatherTopKIN3c108BFloat16EjLi1ELb0EEEvNS_4cuda6detail10TensorInfoIKT_T0_EESA_SA_bSA_SA_NS7_IS8_SA_EESA_NS7_IlSA_EESA_PS8_: ; @_ZN2at6native6sbtopk10gatherTopKIN3c108BFloat16EjLi1ELb0EEEvNS_4cuda6detail10TensorInfoIKT_T0_EESA_SA_bSA_SA_NS7_IS8_SA_EESA_NS7_IlSA_EESA_PS8_
; %bb.0:
	s_load_dwordx2 s[14:15], s[4:5], 0x2b8
	s_load_dwordx4 s[36:39], s[4:5], 0xd8
	s_add_u32 s12, s4, 0x2b8
	s_addc_u32 s13, s5, 0
	s_waitcnt lgkmcnt(0)
	s_mul_i32 s0, s15, s8
	s_add_i32 s0, s0, s7
	s_mul_i32 s0, s0, s14
	s_add_i32 s10, s0, s6
	s_cmp_ge_u32 s10, s39
	s_cbranch_scc1 .LBB108_411
; %bb.1:
	s_load_dwordx2 s[0:1], s[4:5], 0x1d0
	s_load_dword s7, s[4:5], 0x6c
                                        ; implicit-def: $vgpr52 : SGPR spill to VGPR lane
	s_mov_b32 s45, 0
	s_waitcnt lgkmcnt(0)
	v_writelane_b32 v52, s0, 0
	v_writelane_b32 v52, s1, 1
	s_load_dword s50, s[4:5], 0xe8
	s_load_dwordx2 s[0:1], s[4:5], 0xf0
	s_waitcnt lgkmcnt(0)
	v_writelane_b32 v52, s0, 2
	v_writelane_b32 v52, s1, 3
	;; [unrolled: 1-line block ×3, first 2 shown]
	s_load_dwordx2 s[0:1], s[4:5], 0x0
	v_writelane_b32 v52, s5, 5
	v_cmp_eq_u32_e64 s[4:5], 0, v0
	v_writelane_b32 v52, s4, 6
	v_writelane_b32 v52, s5, 7
	s_and_saveexec_b64 s[2:3], s[4:5]
; %bb.2:
	v_mov_b32_e32 v1, 0
	v_mov_b32_e32 v2, s36
	;; [unrolled: 1-line block ×3, first 2 shown]
	ds_write_b96 v1, v[1:3] offset:4096
; %bb.3:
	s_or_b64 exec, exec, s[2:3]
	s_mul_i32 s44, s7, s10
	s_lshl_b64 s[2:3], s[44:45], 1
	s_waitcnt lgkmcnt(0)
	s_add_u32 s33, s0, s2
	s_addc_u32 s44, s1, s3
	s_barrier
	s_load_dword s0, s[12:13], 0xc
	s_bitcmp1_b32 s38, 0
	v_writelane_b32 v52, s10, 8
	s_cselect_b64 s[2:3], -1, 0
	v_writelane_b32 v52, s2, 9
	v_writelane_b32 v52, s3, 10
	s_xor_b64 s[2:3], s[2:3], -1
	v_mbcnt_lo_u32_b32 v1, -1, 0
	v_writelane_b32 v52, s2, 11
	v_mbcnt_hi_u32_b32 v24, -1, v1
	v_writelane_b32 v52, s3, 12
	s_waitcnt lgkmcnt(0)
	s_and_b32 s48, s0, 0xffff
	v_cmp_gt_u32_e32 vcc, 64, v0
	v_cmp_gt_i32_e64 s[2:3], 4, v24
	s_lshl_b32 s51, s48, 2
	s_bfe_u32 s5, s0, 0xa0006
	s_and_b64 s[2:3], vcc, s[2:3]
	v_writelane_b32 v52, s2, 13
	s_cmpk_gt_u32 s36, 0x600
	v_writelane_b32 v52, s3, 14
	s_cselect_b64 s[2:3], -1, 0
	v_mul_lo_u32 v7, s50, v0
	v_writelane_b32 v52, s2, 15
	v_writelane_b32 v52, s3, 16
	v_cmp_gt_u32_e64 s[2:3], s36, v0
	v_mov_b32_e32 v9, 0
	v_writelane_b32 v52, s2, 17
	s_cmp_gt_u32 s48, 63
	v_mov_b32_e32 v8, v9
	v_writelane_b32 v52, s3, 18
	s_cselect_b64 s[2:3], -1, 0
	v_lshlrev_b64 v[1:2], 1, v[7:8]
	v_writelane_b32 v52, s2, 19
	v_writelane_b32 v52, s3, 20
	v_cmp_gt_u32_e64 s[2:3], 2, v0
	v_mov_b32_e32 v3, s44
	v_add_co_u32_e32 v5, vcc, s33, v1
	v_writelane_b32 v52, s2, 21
	v_addc_co_u32_e32 v6, vcc, v3, v2, vcc
	v_writelane_b32 v52, s3, 22
	s_add_i32 s2, s48, -1
	v_lshlrev_b64 v[2:3], v24, -1
	v_writelane_b32 v52, s2, 23
	s_add_i32 s2, s2, s36
	v_not_b32_e32 v22, v2
	v_lshrrev_b32_e32 v2, 2, v0
	s_cmp_lt_u32 s6, s14
	v_and_b32_e32 v2, 0xf0, v2
	s_cselect_b32 s3, 12, 18
	v_or_b32_e32 v27, 0xc00, v2
	s_add_u32 s6, s12, s3
	v_add_u32_e32 v2, 2, v0
	s_addc_u32 s7, s13, 0
	v_max_u32_e32 v2, s36, v2
	v_writelane_b32 v52, s6, 24
	v_xad_u32 v2, v0, -1, v2
	v_not_b32_e32 v21, v3
	v_writelane_b32 v52, s7, 25
	v_add_u32_e32 v3, -2, v2
	v_cmp_lt_u32_e64 s[6:7], 31, v2
	v_lshrrev_b32_e32 v4, 1, v3
	v_writelane_b32 v52, s6, 26
	v_add_u32_e32 v4, 1, v4
	v_writelane_b32 v52, s7, 27
	v_cmp_lt_u32_e64 s[6:7], 13, v3
	v_and_b32_e32 v12, 7, v4
	v_writelane_b32 v52, s6, 28
	v_writelane_b32 v52, s7, 29
	v_cmp_ne_u32_e64 s[6:7], 0, v12
	v_and_b32_e32 v28, -2, v2
	v_writelane_b32 v52, s6, 30
	v_writelane_b32 v52, s7, 31
	v_cmp_ne_u32_e64 s[6:7], v2, v28
	v_cvt_f32_u32_e32 v2, s51
	v_writelane_b32 v52, s6, 32
	s_add_i32 s3, s5, -1
	v_writelane_b32 v52, s7, 33
	v_rcp_iflag_f32_e32 v2, v2
	s_bfe_u32 s6, s48, 0x30006
	s_and_b32 s3, s3, 0xffff
	s_cmp_gt_u32 s3, 6
	s_cselect_b64 s[8:9], -1, 0
	v_mul_f32_e32 v2, 0x4f7ffffe, v2
	v_writelane_b32 v52, s8, 34
	s_and_b32 s5, s5, 0x3f8
	v_cvt_u32_f32_e32 v2, v2
	v_writelane_b32 v52, s9, 35
	s_cmp_lg_u32 s6, 0
	v_writelane_b32 v52, s6, 36
	s_cselect_b64 s[6:7], -1, 0
	v_writelane_b32 v52, s6, 37
	v_writelane_b32 v52, s7, 38
	s_sub_i32 s3, 0, s51
	v_readfirstlane_b32 s6, v2
	s_mul_i32 s3, s3, s6
	s_mul_hi_u32 s3, s6, s3
	s_add_i32 s3, s6, s3
	v_writelane_b32 v52, s3, 39
	s_mul_hi_u32 s3, s36, s3
	s_mul_i32 s3, s3, s51
	v_cvt_f32_u32_e32 v2, s48
	s_sub_i32 s3, s36, s3
	s_sub_i32 s6, s3, s51
	s_cmp_ge_u32 s3, s51
	v_and_b32_e32 v30, -8, v4
	s_cselect_b32 s3, s6, s3
	v_rcp_iflag_f32_e32 v4, v2
	s_sub_i32 s6, s3, s51
	s_cmp_ge_u32 s3, s51
	s_cselect_b32 s3, s6, s3
	v_lshlrev_b32_e32 v23, 2, v0
	s_sub_i32 s21, s36, s3
	v_mul_f32_e32 v4, 0x4f7ffffe, v4
	v_cmp_gt_u32_e64 s[6:7], s21, v23
	v_cvt_u32_f32_e32 v4, v4
	v_add_u32_e32 v31, s21, v0
	v_writelane_b32 v52, s6, 40
	v_writelane_b32 v52, s7, 41
	v_cmp_gt_u32_e64 s[6:7], s36, v31
	v_writelane_b32 v52, s6, 42
	v_writelane_b32 v52, s7, 43
	s_sub_i32 s6, 0, s48
	v_readfirstlane_b32 s7, v4
	s_mul_i32 s6, s6, s7
	v_mul_lo_u32 v8, v31, s50
	s_mul_hi_u32 s6, s7, s6
	s_add_i32 s6, s7, s6
	v_writelane_b32 v52, s6, 44
	s_mul_hi_u32 s6, s2, s6
	s_mul_i32 s6, s6, s48
	v_lshlrev_b64 v[2:3], 1, v[8:9]
	s_sub_i32 s6, s2, s6
	s_sub_i32 s7, s6, s48
	v_add_co_u32_e32 v10, vcc, s33, v2
	s_cmp_ge_u32 s6, s48
	v_mul_lo_u32 v2, s50, v23
	s_cselect_b32 s6, s7, s6
	s_sub_i32 s7, s6, s48
	s_cmp_ge_u32 s6, s48
	s_cselect_b32 s6, s7, s6
	v_add_u32_e32 v33, s50, v2
	v_or_b32_e32 v2, 2, v23
	s_sub_i32 s22, s2, s6
	v_mul_lo_u32 v34, s50, v2
	v_or_b32_e32 v2, 3, v23
	s_add_i32 s2, s48, s36
	v_mul_lo_u32 v35, s50, v2
	v_add_u32_e32 v2, s2, v0
	v_subrev_u32_e32 v2, s3, v2
	v_mul_lo_u32 v36, s50, v2
	v_lshlrev_b32_e32 v25, 1, v0
	v_lshlrev_b32_e32 v1, 2, v24
	v_mov_b32_e32 v8, s44
	v_cmp_gt_u32_e64 s[6:7], s22, v0
	s_mul_i32 s49, s50, s48
	v_cmp_eq_u32_e64 s[0:1], 0, v24
	v_add_u32_e32 v26, 0xc00, v25
	v_and_b32_e32 v20, 0x100, v1
	v_add_u32_e32 v29, v0, v28
	s_mov_b32 s4, s50
	v_addc_co_u32_e32 v11, vcc, v8, v3, vcc
	v_writelane_b32 v52, s6, 45
	v_lshlrev_b32_e32 v32, 2, v12
	s_lshl_b32 s23, s49, 2
	s_lshl_b32 s20, s48, 3
	;; [unrolled: 1-line block ×3, first 2 shown]
	v_or_b32_e32 v38, 0xc00, v1
	s_mov_b32 s38, 14
	s_mov_b64 s[58:59], 0
	v_lshlrev_b32_e32 v39, 2, v7
	v_lshlrev_b32_e32 v40, 3, v0
	v_mov_b32_e32 v47, s37
	v_mov_b32_e32 v41, 0xffff
	;; [unrolled: 1-line block ×3, first 2 shown]
	v_mov_b32_e32 v43, -1
	v_mov_b32_e32 v44, 0x5040100
	v_mov_b32_e32 v46, 0
	;; [unrolled: 1-line block ×4, first 2 shown]
	v_writelane_b32 v52, s7, 46
                                        ; implicit-def: $sgpr60_sgpr61
                                        ; implicit-def: $sgpr62_sgpr63
                                        ; implicit-def: $sgpr64_sgpr65
                                        ; implicit-def: $sgpr68_sgpr69
                                        ; implicit-def: $sgpr66_sgpr67
                                        ; implicit-def: $sgpr70_sgpr71
                                        ; implicit-def: $sgpr72_sgpr73
                                        ; implicit-def: $sgpr74_sgpr75
                                        ; implicit-def: $sgpr76_sgpr77
                                        ; implicit-def: $sgpr78_sgpr79
	s_branch .LBB108_6
.LBB108_4:                              ;   in Loop: Header=BB108_6 Depth=1
	s_or_b64 exec, exec, s[14:15]
	s_andn2_b64 s[8:9], s[78:79], exec
	s_and_b64 s[12:13], s[12:13], exec
	s_or_b64 s[78:79], s[8:9], s[12:13]
	s_andn2_b64 s[76:77], s[76:77], exec
	s_andn2_b64 s[74:75], s[74:75], exec
	s_andn2_b64 s[72:73], s[72:73], exec
	s_andn2_b64 s[70:71], s[70:71], exec
	s_orn2_b64 s[6:7], s[6:7], exec
	v_mov_b32_e32 v47, v4
.LBB108_5:                              ;   in Loop: Header=BB108_6 Depth=1
	s_or_b64 exec, exec, s[2:3]
	s_and_b64 s[2:3], exec, s[6:7]
	s_or_b64 s[58:59], s[2:3], s[58:59]
	s_andn2_b64 s[2:3], s[66:67], exec
	s_and_b64 s[6:7], s[78:79], exec
	s_or_b64 s[66:67], s[2:3], s[6:7]
	s_andn2_b64 s[2:3], s[68:69], exec
	s_and_b64 s[6:7], s[76:77], exec
	;; [unrolled: 3-line block ×5, first 2 shown]
	s_or_b64 s[60:61], s[2:3], s[6:7]
	s_andn2_b64 exec, exec, s[58:59]
	s_cbranch_execz .LBB108_407
.LBB108_6:                              ; =>This Loop Header: Depth=1
                                        ;     Child Loop BB108_11 Depth 2
                                        ;     Child Loop BB108_32 Depth 2
	;; [unrolled: 1-line block ×26, first 2 shown]
	ds_read_b64 v[1:2], v9 offset:4096
	s_waitcnt lgkmcnt(0)
	v_readfirstlane_b32 s8, v1
	s_cmp_lg_u32 s8, 0
	s_cbranch_scc1 .LBB108_51
; %bb.7:                                ;   in Loop: Header=BB108_6 Depth=1
	v_readlane_b32 s2, v52, 15
	v_readlane_b32 s3, v52, 16
	s_and_b64 vcc, exec, s[2:3]
	s_cbranch_vccz .LBB108_19
; %bb.8:                                ;   in Loop: Header=BB108_6 Depth=1
	s_movk_i32 s2, 0x601
	v_cmp_gt_u32_e32 vcc, s2, v2
	s_mov_b64 s[12:13], 0
	s_mov_b64 s[2:3], 0
	s_cbranch_vccz .LBB108_20
; %bb.9:                                ;   in Loop: Header=BB108_6 Depth=1
	v_readlane_b32 s2, v52, 24
	v_readlane_b32 s3, v52, 25
	s_nop 4
	global_load_ushort v1, v9, s[2:3]
	global_load_ushort v4, v[5:6], off
	s_mov_b64 s[2:3], 0
	v_mov_b32_e32 v3, v0
	s_waitcnt vmcnt(1)
	v_add_u32_e32 v2, v0, v1
	v_mul_lo_u32 v8, s50, v2
	v_mul_lo_u32 v2, s50, v1
	s_branch .LBB108_11
.LBB108_10:                             ;   in Loop: Header=BB108_11 Depth=2
	s_or_b64 exec, exec, s[6:7]
	v_add_u32_e32 v8, v8, v2
	v_mov_b32_e32 v4, v12
	s_andn2_b64 exec, exec, s[2:3]
	s_cbranch_execz .LBB108_26
.LBB108_11:                             ;   Parent Loop BB108_6 Depth=1
                                        ; =>  This Inner Loop Header: Depth=2
	v_add_u32_e32 v3, v3, v1
	v_cmp_gt_u32_e64 s[6:7], s36, v3
	v_cmp_le_u32_e32 vcc, s36, v3
	s_waitcnt lgkmcnt(0)
	v_mov_b32_e32 v13, 0
	v_mov_b32_e32 v12, 0
	s_and_saveexec_b64 s[14:15], s[6:7]
	s_cbranch_execz .LBB108_13
; %bb.12:                               ;   in Loop: Header=BB108_11 Depth=2
	v_lshlrev_b64 v[14:15], 1, v[8:9]
	v_mov_b32_e32 v12, s44
	v_add_co_u32_e64 v14, s[6:7], s33, v14
	v_addc_co_u32_e64 v15, s[6:7], v12, v15, s[6:7]
	global_load_ushort v12, v[14:15], off
.LBB108_13:                             ;   in Loop: Header=BB108_11 Depth=2
	s_or_b64 exec, exec, s[14:15]
	s_waitcnt vmcnt(0)
	v_cmp_lt_i16_e64 s[6:7], -1, v4
	v_cndmask_b32_e64 v14, v41, v42, s[6:7]
	v_lshlrev_b32_e32 v15, 16, v4
	v_cmp_o_f32_e64 s[6:7], v15, v15
	v_xor_b32_sdwa v14, v14, v4 dst_sel:DWORD dst_unused:UNUSED_PAD src0_sel:DWORD src1_sel:WORD_0
	v_cndmask_b32_e64 v14, v41, v14, s[6:7]
	v_and_b32_e32 v14, v14, v45
	v_cmp_eq_u32_e64 s[26:27], v14, v37
	s_cmp_lg_u64 s[26:27], 0
	s_cselect_b64 s[6:7], -1, 0
	s_and_b64 s[6:7], s[0:1], s[6:7]
	s_and_saveexec_b64 s[14:15], s[6:7]
	s_cbranch_execz .LBB108_17
; %bb.14:                               ;   in Loop: Header=BB108_11 Depth=2
	s_mov_b64 s[16:17], exec
	v_mbcnt_lo_u32_b32 v13, s16, 0
	v_mbcnt_hi_u32_b32 v13, s17, v13
	s_bcnt1_i32_b64 s11, s[26:27]
	v_cmp_eq_u32_e64 s[6:7], 0, v13
                                        ; implicit-def: $vgpr14
	s_and_saveexec_b64 s[8:9], s[6:7]
; %bb.15:                               ;   in Loop: Header=BB108_11 Depth=2
	s_bcnt1_i32_b64 s6, s[16:17]
	s_mul_i32 s6, s11, s6
	v_mov_b32_e32 v14, s6
	ds_add_rtn_u32 v14, v9, v14 offset:4104
; %bb.16:                               ;   in Loop: Header=BB108_11 Depth=2
	s_or_b64 exec, exec, s[8:9]
	s_waitcnt lgkmcnt(0)
	v_readfirstlane_b32 s6, v14
	v_mov_b32_e32 v14, s6
	v_mad_u32_u24 v13, s11, v13, v14
.LBB108_17:                             ;   in Loop: Header=BB108_11 Depth=2
	s_or_b64 exec, exec, s[14:15]
	ds_bpermute_b32 v13, v20, v13
	s_and_b64 s[6:7], exec, vcc
	s_or_b64 s[2:3], s[6:7], s[2:3]
	s_and_saveexec_b64 s[6:7], s[26:27]
	s_cbranch_execz .LBB108_10
; %bb.18:                               ;   in Loop: Header=BB108_11 Depth=2
	v_and_b32_e32 v15, s26, v22
	v_and_b32_e32 v14, s27, v21
	v_bcnt_u32_b32 v15, v15, 0
	v_bcnt_u32_b32 v14, v14, v15
	v_lshlrev_b32_e32 v14, 1, v14
	s_waitcnt lgkmcnt(0)
	v_lshl_add_u32 v13, v13, 1, v14
	ds_write_b16 v13, v4
	s_branch .LBB108_10
.LBB108_19:                             ;   in Loop: Header=BB108_6 Depth=1
	s_mov_b64 s[12:13], -1
	s_mov_b64 s[2:3], 0
.LBB108_20:                             ;   in Loop: Header=BB108_6 Depth=1
	s_and_b64 vcc, exec, s[12:13]
	s_cbranch_vccz .LBB108_49
.LBB108_21:                             ;   in Loop: Header=BB108_6 Depth=1
	s_mov_b64 s[26:27], exec
	v_readlane_b32 s2, v52, 17
	v_readlane_b32 s3, v52, 18
	s_and_b64 s[2:3], s[26:27], s[2:3]
	s_mov_b64 exec, s[2:3]
	s_cbranch_execz .LBB108_46
; %bb.22:                               ;   in Loop: Header=BB108_6 Depth=1
	v_readlane_b32 s2, v52, 24
	v_readlane_b32 s3, v52, 25
	s_nop 4
	global_load_ushort v1, v9, s[2:3]
	global_load_ushort v16, v[5:6], off
	s_waitcnt vmcnt(1)
	v_add_u32_e32 v12, v0, v1
	v_readfirstlane_b32 s8, v1
	v_cmp_gt_u32_e32 vcc, s36, v12
	v_mov_b32_e32 v1, v0
	s_and_saveexec_b64 s[30:31], vcc
	s_cbranch_execz .LBB108_45
; %bb.23:                               ;   in Loop: Header=BB108_6 Depth=1
	s_mov_b64 s[6:7], 0
	s_mul_i32 s9, s50, s8
                                        ; implicit-def: $vgpr1
                                        ; implicit-def: $vgpr3
                                        ; implicit-def: $vgpr2
	s_mov_b64 s[2:3], exec
	v_readlane_b32 s12, v52, 26
	v_readlane_b32 s13, v52, 27
	s_and_b64 s[12:13], s[2:3], s[12:13]
	s_xor_b64 s[34:35], s[12:13], s[2:3]
	s_mov_b64 exec, s[12:13]
	s_cbranch_execnz .LBB108_29
; %bb.24:                               ;   in Loop: Header=BB108_6 Depth=1
	s_andn2_saveexec_b64 s[2:3], s[34:35]
	s_cbranch_execnz .LBB108_40
.LBB108_25:                             ;   in Loop: Header=BB108_6 Depth=1
	s_or_b64 exec, exec, s[2:3]
	s_and_saveexec_b64 s[2:3], s[6:7]
	s_cbranch_execnz .LBB108_41
	s_branch .LBB108_44
.LBB108_26:                             ;   in Loop: Header=BB108_6 Depth=1
	s_or_b64 exec, exec, s[2:3]
	s_waitcnt lgkmcnt(0)
	s_barrier
	s_mov_b64 s[2:3], exec
	v_readlane_b32 s6, v52, 6
	v_readlane_b32 s7, v52, 7
	s_and_b64 s[6:7], s[2:3], s[6:7]
	s_mov_b64 exec, s[6:7]
	s_cbranch_execz .LBB108_28
; %bb.27:                               ;   in Loop: Header=BB108_6 Depth=1
	ds_read_b32 v1, v9 offset:4104
	s_waitcnt lgkmcnt(0)
	ds_write_b32 v9, v1 offset:4096
.LBB108_28:                             ;   in Loop: Header=BB108_6 Depth=1
	s_or_b64 exec, exec, s[2:3]
	s_waitcnt lgkmcnt(0)
	s_barrier
	s_mov_b64 s[2:3], -1
	s_and_b64 vcc, exec, s[12:13]
	s_cbranch_vccnz .LBB108_21
	s_branch .LBB108_49
.LBB108_29:                             ;   in Loop: Header=BB108_6 Depth=1
	v_cvt_f32_u32_e32 v1, s8
	s_sub_i32 s3, 0, s8
	v_add_u32_e32 v2, s8, v12
	v_max_u32_e32 v2, s36, v2
	v_rcp_iflag_f32_e32 v1, v1
	s_lshl_b32 s2, s8, 1
	v_sub_u32_e32 v2, v2, v0
	v_cmp_ne_u32_e32 vcc, s2, v2
	v_mul_f32_e32 v1, 0x4f7ffffe, v1
	v_cvt_u32_f32_e32 v1, v1
	v_cndmask_b32_e64 v8, 0, 1, vcc
	v_or_b32_e32 v8, s2, v8
	v_sub_u32_e32 v2, v2, v8
	v_mul_lo_u32 v3, s3, v1
	s_not_b32 s6, s9
	s_ashr_i32 s14, s6, 31
	s_abs_i32 s11, s9
	v_mul_hi_u32 v3, v1, v3
	v_mul_lo_u32 v4, s50, v12
	s_cmp_eq_u32 s8, 1
	s_cselect_b64 s[12:13], -1, 0
	v_add_u32_e32 v1, v1, v3
	v_mul_hi_u32 v3, v2, v1
	v_xor_b32_e32 v4, s14, v4
	s_mov_b64 s[2:3], -1
                                        ; implicit-def: $vgpr1
	v_mul_lo_u32 v8, v3, s8
	v_add_u32_e32 v13, 1, v3
	v_sub_u32_e32 v2, v2, v8
	v_subrev_u32_e32 v8, s8, v2
	v_cmp_le_u32_e64 s[6:7], s8, v2
	v_cndmask_b32_e64 v3, v3, v13, s[6:7]
	v_cndmask_b32_e64 v2, v2, v8, s[6:7]
	v_add_u32_e32 v8, 1, v3
	v_cmp_le_u32_e64 s[6:7], s8, v2
	v_cndmask_b32_e64 v2, v3, v8, s[6:7]
	v_addc_co_u32_e32 v2, vcc, 0, v2, vcc
	v_mul_hi_u32 v3, s11, v2
	v_mul_lo_u32 v2, s11, v2
	v_cmp_eq_u32_e32 vcc, 0, v3
	v_cmp_le_u32_e64 s[6:7], v2, v4
	s_and_b64 s[12:13], vcc, s[12:13]
	s_and_b64 s[12:13], s[12:13], s[6:7]
	v_mov_b32_e32 v3, v0
	s_and_saveexec_b64 s[6:7], s[12:13]
	s_cbranch_execz .LBB108_39
; %bb.30:                               ;   in Loop: Header=BB108_6 Depth=1
	v_add_u32_e32 v13, 1, v12
	v_mov_b32_e32 v15, v13
	s_waitcnt vmcnt(0)
	v_lshlrev_b32_e32 v17, 16, v16
	v_mov_b32_e32 v1, 0
	v_mov_b32_e32 v14, v12
                                        ; implicit-def: $vgpr16
	s_mov_b64 s[80:81], exec
	v_readlane_b32 s2, v52, 28
	v_readlane_b32 s3, v52, 29
	s_and_b64 s[2:3], s[80:81], s[2:3]
	s_mov_b64 exec, s[2:3]
	s_cbranch_execz .LBB108_34
; %bb.31:                               ;   in Loop: Header=BB108_6 Depth=1
	v_mov_b32_e32 v15, v13
	s_mov_b32 s2, 0
	s_mov_b64 s[82:83], 0
	v_mov_b32_e32 v48, v30
	v_mov_b32_e32 v49, v25
	;; [unrolled: 1-line block ×3, first 2 shown]
	s_mov_b32 s3, 0x5040100
.LBB108_32:                             ;   Parent Loop BB108_6 Depth=1
                                        ; =>  This Inner Loop Header: Depth=2
	v_mul_lo_u32 v8, v14, s50
	v_mul_lo_u32 v1, v15, s4
	v_mov_b32_e32 v13, s44
	v_add_u32_e32 v48, -8, v48
	v_lshlrev_b64 v[2:3], 1, v[8:9]
	s_add_i32 s2, s2, 16
	v_add_co_u32_e32 v18, vcc, s33, v2
	v_mov_b32_e32 v2, v9
	v_lshlrev_b64 v[1:2], 1, v[1:2]
	v_addc_co_u32_e32 v19, vcc, v13, v3, vcc
	v_add_co_u32_e32 v1, vcc, s33, v1
	v_addc_co_u32_e32 v2, vcc, v13, v2, vcc
	global_load_ushort v3, v[18:19], off
	s_nop 0
	global_load_ushort v18, v[1:2], off
	v_add_u32_e32 v2, 2, v15
	v_mul_lo_u32 v2, v2, s4
	s_waitcnt vmcnt(1)
	v_alignbit_b32 v1, v3, v17, 16
	v_add_u32_e32 v3, 2, v14
	v_mul_lo_u32 v8, v3, s50
	v_lshlrev_b64 v[3:4], 1, v[8:9]
	v_add_co_u32_e32 v16, vcc, s33, v3
	v_mov_b32_e32 v3, v9
	v_lshlrev_b64 v[2:3], 1, v[2:3]
	v_addc_co_u32_e32 v17, vcc, v13, v4, vcc
	v_add_co_u32_e32 v2, vcc, s33, v2
	v_addc_co_u32_e32 v3, vcc, v13, v3, vcc
	global_load_ushort v4, v[16:17], off
	global_load_ushort v19, v[2:3], off
	v_add_u32_e32 v3, 4, v15
	v_mul_lo_u32 v3, v3, s4
	s_waitcnt vmcnt(1)
	v_perm_b32 v2, v4, v18, s3
	v_add_u32_e32 v4, 4, v14
	v_mul_lo_u32 v8, v4, s50
	v_mov_b32_e32 v4, v9
	v_lshlrev_b64 v[3:4], 1, v[3:4]
	v_lshlrev_b64 v[16:17], 1, v[8:9]
	v_add_co_u32_e32 v16, vcc, s33, v16
	v_addc_co_u32_e32 v17, vcc, v13, v17, vcc
	v_add_co_u32_e32 v3, vcc, s33, v3
	v_addc_co_u32_e32 v4, vcc, v13, v4, vcc
	global_load_ushort v8, v[16:17], off
	s_nop 0
	global_load_ushort v4, v[3:4], off
	v_add_u32_e32 v16, 6, v15
	v_mul_lo_u32 v16, v16, s4
	s_waitcnt vmcnt(1)
	v_perm_b32 v3, v8, v19, s3
	v_add_u32_e32 v8, 6, v14
	v_mul_lo_u32 v8, v8, s50
	v_lshlrev_b64 v[17:18], 1, v[8:9]
	v_add_co_u32_e32 v50, vcc, s33, v17
	v_mov_b32_e32 v17, v9
	v_lshlrev_b64 v[16:17], 1, v[16:17]
	v_addc_co_u32_e32 v51, vcc, v13, v18, vcc
	v_add_co_u32_e32 v16, vcc, s33, v16
	v_addc_co_u32_e32 v17, vcc, v13, v17, vcc
	global_load_ushort v8, v[50:51], off
	global_load_ushort v18, v[16:17], off
	s_waitcnt vmcnt(1)
	v_perm_b32 v4, v8, v4, s3
	ds_write_b128 v49, v[1:4]
	v_add_u32_e32 v2, 8, v14
	v_mul_lo_u32 v8, v2, s50
	v_add_u32_e32 v1, 8, v15
	v_mul_lo_u32 v1, v1, s4
	v_lshlrev_b64 v[2:3], 1, v[8:9]
	v_add_co_u32_e32 v16, vcc, s33, v2
	v_mov_b32_e32 v2, v9
	v_lshlrev_b64 v[1:2], 1, v[1:2]
	v_addc_co_u32_e32 v17, vcc, v13, v3, vcc
	v_add_co_u32_e32 v1, vcc, s33, v1
	v_addc_co_u32_e32 v2, vcc, v13, v2, vcc
	global_load_ushort v3, v[16:17], off
	global_load_ushort v19, v[1:2], off
	v_add_u32_e32 v2, 10, v15
	v_mul_lo_u32 v2, v2, s4
	s_waitcnt vmcnt(1)
	v_perm_b32 v1, v3, v18, s3
	v_add_u32_e32 v3, 10, v14
	v_mul_lo_u32 v8, v3, s50
	v_lshlrev_b64 v[3:4], 1, v[8:9]
	v_add_co_u32_e32 v16, vcc, s33, v3
	v_mov_b32_e32 v3, v9
	v_lshlrev_b64 v[2:3], 1, v[2:3]
	v_addc_co_u32_e32 v17, vcc, v13, v4, vcc
	v_add_co_u32_e32 v2, vcc, s33, v2
	v_addc_co_u32_e32 v3, vcc, v13, v3, vcc
	global_load_ushort v4, v[16:17], off
	global_load_ushort v18, v[2:3], off
	v_add_u32_e32 v3, 12, v15
	v_mul_lo_u32 v3, v3, s4
	s_waitcnt vmcnt(1)
	v_perm_b32 v2, v4, v19, s3
	v_add_u32_e32 v4, 12, v14
	v_mul_lo_u32 v8, v4, s50
	v_mov_b32_e32 v4, v9
	v_lshlrev_b64 v[3:4], 1, v[3:4]
	v_mov_b32_e32 v19, v9
	v_lshlrev_b64 v[16:17], 1, v[8:9]
	v_add_co_u32_e32 v16, vcc, s33, v16
	v_addc_co_u32_e32 v17, vcc, v13, v17, vcc
	v_add_co_u32_e32 v3, vcc, s33, v3
	v_addc_co_u32_e32 v4, vcc, v13, v4, vcc
	global_load_ushort v8, v[16:17], off
	s_nop 0
	global_load_ushort v4, v[3:4], off
	v_add_u32_e32 v16, 14, v15
	v_add_u32_e32 v15, 16, v15
	s_waitcnt vmcnt(1)
	v_perm_b32 v3, v8, v18, s3
	v_add_u32_e32 v8, 14, v14
	v_mul_lo_u32 v8, v8, s50
	v_mul_lo_u32 v18, v16, s4
	v_add_u32_e32 v14, 16, v14
	v_lshlrev_b64 v[16:17], 1, v[8:9]
	v_lshlrev_b64 v[18:19], 1, v[18:19]
	v_add_co_u32_e32 v16, vcc, s33, v16
	v_addc_co_u32_e32 v17, vcc, v13, v17, vcc
	v_add_co_u32_e32 v18, vcc, s33, v18
	v_addc_co_u32_e32 v19, vcc, v13, v19, vcc
	global_load_ushort v8, v[16:17], off
	s_nop 0
	global_load_ushort v16, v[18:19], off
	v_cmp_eq_u32_e32 vcc, 0, v48
	s_or_b64 s[82:83], vcc, s[82:83]
	s_waitcnt vmcnt(1)
	v_perm_b32 v4, v8, v4, s3
	s_waitcnt vmcnt(0)
	v_perm_b32 v17, v16, v8, s3
	ds_write_b128 v49, v[1:4] offset:16
	v_add_u32_e32 v49, 32, v49
	v_mov_b32_e32 v1, s2
	s_andn2_b64 exec, exec, s[82:83]
	s_cbranch_execnz .LBB108_32
; %bb.33:                               ;   in Loop: Header=BB108_6 Depth=1
	s_or_b64 exec, exec, s[82:83]
.LBB108_34:                             ;   in Loop: Header=BB108_6 Depth=1
	s_or_b64 exec, exec, s[80:81]
	s_mov_b64 s[2:3], exec
	v_readlane_b32 s12, v52, 30
	v_readlane_b32 s13, v52, 31
	s_and_b64 s[12:13], s[2:3], s[12:13]
	s_mov_b64 exec, s[12:13]
	s_cbranch_execz .LBB108_38
; %bb.35:                               ;   in Loop: Header=BB108_6 Depth=1
	v_lshl_add_u32 v1, v1, 1, v25
	s_mov_b64 s[12:13], 0
	v_mov_b32_e32 v2, v32
	s_mov_b32 s11, 0x5040100
.LBB108_36:                             ;   Parent Loop BB108_6 Depth=1
                                        ; =>  This Inner Loop Header: Depth=2
	v_mul_lo_u32 v8, v14, s50
	v_mul_lo_u32 v3, v15, s4
	v_mov_b32_e32 v4, v9
	v_mov_b32_e32 v13, s44
	v_lshlrev_b64 v[18:19], 1, v[8:9]
	v_lshlrev_b64 v[3:4], 1, v[3:4]
	v_add_co_u32_e32 v18, vcc, s33, v18
	v_addc_co_u32_e32 v19, vcc, v13, v19, vcc
	v_add_co_u32_e32 v3, vcc, s33, v3
	v_addc_co_u32_e32 v4, vcc, v13, v4, vcc
	global_load_ushort v8, v[18:19], off
	global_load_ushort v16, v[3:4], off
	v_add_u32_e32 v2, -4, v2
	v_cmp_eq_u32_e32 vcc, 0, v2
	v_add_u32_e32 v15, 2, v15
	v_add_u32_e32 v14, 2, v14
	s_or_b64 s[12:13], vcc, s[12:13]
	s_waitcnt vmcnt(1)
	v_alignbit_b32 v4, v8, v17, 16
	s_waitcnt vmcnt(0)
	v_perm_b32 v3, v16, v8, s11
	ds_write_b32 v1, v4
	v_add_u32_e32 v1, 4, v1
	v_mov_b32_e32 v17, v3
	s_andn2_b64 exec, exec, s[12:13]
	s_cbranch_execnz .LBB108_36
; %bb.37:                               ;   in Loop: Header=BB108_6 Depth=1
	s_or_b64 exec, exec, s[12:13]
.LBB108_38:                             ;   in Loop: Header=BB108_6 Depth=1
	s_or_b64 exec, exec, s[2:3]
	v_readlane_b32 s2, v52, 32
	v_add_u32_e32 v12, v12, v28
	v_readlane_b32 s3, v52, 33
	v_add_u32_e32 v1, -1, v12
	s_orn2_b64 s[2:3], s[2:3], exec
	v_mov_b32_e32 v3, v29
.LBB108_39:                             ;   in Loop: Header=BB108_6 Depth=1
	s_or_b64 exec, exec, s[6:7]
	v_mov_b32_e32 v2, s9
	s_and_b64 s[6:7], s[2:3], exec
	s_andn2_saveexec_b64 s[2:3], s[34:35]
	s_cbranch_execz .LBB108_25
.LBB108_40:                             ;   in Loop: Header=BB108_6 Depth=1
	v_mov_b32_e32 v2, s9
	s_or_b64 s[6:7], s[6:7], exec
	v_mov_b32_e32 v3, v0
	s_or_b64 exec, exec, s[2:3]
	s_and_saveexec_b64 s[2:3], s[6:7]
	s_cbranch_execz .LBB108_44
.LBB108_41:                             ;   in Loop: Header=BB108_6 Depth=1
	v_mul_lo_u32 v8, s50, v12
	s_sub_i32 s9, 0, s8
	s_mov_b64 s[6:7], 0
.LBB108_42:                             ;   Parent Loop BB108_6 Depth=1
                                        ; =>  This Inner Loop Header: Depth=2
	v_mov_b32_e32 v4, v12
	v_lshlrev_b64 v[12:13], 1, v[8:9]
	v_mov_b32_e32 v14, s44
	v_add_co_u32_e32 v12, vcc, s33, v12
	v_addc_co_u32_e32 v13, vcc, v14, v13, vcc
	s_waitcnt vmcnt(0)
	v_mov_b32_e32 v1, v16
	global_load_ushort v16, v[12:13], off
	v_add_u32_e32 v12, s8, v4
	v_lshlrev_b32_e32 v3, 1, v3
	v_cmp_le_u32_e32 vcc, s36, v12
	ds_write_b16 v3, v1
	v_add_u32_e32 v8, v8, v2
	s_or_b64 s[6:7], vcc, s[6:7]
	v_mov_b32_e32 v3, v4
	s_andn2_b64 exec, exec, s[6:7]
	s_cbranch_execnz .LBB108_42
; %bb.43:                               ;   in Loop: Header=BB108_6 Depth=1
	s_or_b64 exec, exec, s[6:7]
	v_add_u32_e32 v1, s9, v12
.LBB108_44:                             ;   in Loop: Header=BB108_6 Depth=1
	s_or_b64 exec, exec, s[2:3]
.LBB108_45:                             ;   in Loop: Header=BB108_6 Depth=1
	s_or_b64 exec, exec, s[30:31]
	v_lshlrev_b32_e32 v1, 1, v1
	s_waitcnt vmcnt(0)
	ds_write_b16 v1, v16
.LBB108_46:                             ;   in Loop: Header=BB108_6 Depth=1
	s_or_b64 exec, exec, s[26:27]
	s_waitcnt lgkmcnt(0)
	s_barrier
	s_mov_b64 s[2:3], exec
	v_readlane_b32 s6, v52, 6
	v_readlane_b32 s7, v52, 7
	s_and_b64 s[6:7], s[2:3], s[6:7]
	s_mov_b64 exec, s[6:7]
; %bb.47:                               ;   in Loop: Header=BB108_6 Depth=1
	v_mov_b32_e32 v1, s36
	ds_write_b32 v9, v1 offset:4096
; %bb.48:                               ;   in Loop: Header=BB108_6 Depth=1
	s_or_b64 exec, exec, s[2:3]
	s_mov_b64 s[2:3], -1
	s_waitcnt lgkmcnt(0)
	s_barrier
.LBB108_49:                             ;   in Loop: Header=BB108_6 Depth=1
	s_mov_b32 s8, 0
	s_and_b64 vcc, exec, s[2:3]
	s_cbranch_vccz .LBB108_51
; %bb.50:                               ;   in Loop: Header=BB108_6 Depth=1
	ds_read_b32 v1, v9 offset:4096
	s_waitcnt lgkmcnt(0)
	v_readfirstlane_b32 s8, v1
.LBB108_51:                             ;   in Loop: Header=BB108_6 Depth=1
	s_cmp_lt_i32 s8, 1
	s_mov_b64 s[2:3], -1
                                        ; implicit-def: $vgpr1
	s_cbranch_scc1 .LBB108_61
; %bb.52:                               ;   in Loop: Header=BB108_6 Depth=1
	s_and_b64 vcc, exec, s[2:3]
	s_cbranch_vccnz .LBB108_72
.LBB108_53:                             ;   in Loop: Header=BB108_6 Depth=1
	s_lshl_b32 s6, s45, 6
	s_and_saveexec_b64 s[2:3], s[0:1]
.LBB108_54:                             ;   in Loop: Header=BB108_6 Depth=1
	v_lshl_add_u32 v8, s6, 2, v27
	ds_write_b128 v8, v[1:4]
.LBB108_55:                             ;   in Loop: Header=BB108_6 Depth=1
	s_or_b64 exec, exec, s[2:3]
	s_waitcnt lgkmcnt(0)
	s_barrier
	s_mov_b64 s[2:3], exec
	v_readlane_b32 s8, v52, 13
	v_readlane_b32 s9, v52, 14
	s_and_b64 s[8:9], s[2:3], s[8:9]
	s_mov_b64 exec, s[8:9]
	s_cbranch_execz .LBB108_86
; %bb.56:                               ;   in Loop: Header=BB108_6 Depth=1
	v_readlane_b32 s8, v52, 19
	v_readlane_b32 s9, v52, 20
	s_andn2_b64 vcc, exec, s[8:9]
	v_mov_b32_e32 v1, 0
	s_cbranch_vccnz .LBB108_85
; %bb.57:                               ;   in Loop: Header=BB108_6 Depth=1
	v_readlane_b32 s8, v52, 34
	v_readlane_b32 s9, v52, 35
	s_andn2_b64 vcc, exec, s[8:9]
	s_cbranch_vccnz .LBB108_81
; %bb.58:                               ;   in Loop: Header=BB108_6 Depth=1
	v_lshl_add_u32 v2, s45, 8, v38
	s_mov_b32 s7, 0
	v_mov_b32_e32 v1, 0
.LBB108_59:                             ;   Parent Loop BB108_6 Depth=1
                                        ; =>  This Inner Loop Header: Depth=2
	ds_read2_b32 v[3:4], v2 offset1:4
	ds_read2_b32 v[12:13], v2 offset0:8 offset1:12
	ds_read2_b32 v[14:15], v2 offset0:16 offset1:20
	;; [unrolled: 1-line block ×3, first 2 shown]
	s_add_i32 s7, s7, 8
	s_waitcnt lgkmcnt(3)
	v_add3_u32 v1, v3, v1, v4
	s_waitcnt lgkmcnt(2)
	v_add3_u32 v1, v12, v1, v13
	;; [unrolled: 2-line block ×3, first 2 shown]
	v_add_u32_e32 v2, 0x80, v2
	s_cmp_eq_u32 s5, s7
	s_waitcnt lgkmcnt(0)
	v_add3_u32 v1, v16, v1, v17
	s_cbranch_scc0 .LBB108_59
; %bb.60:                               ;   in Loop: Header=BB108_6 Depth=1
	s_mov_b32 s7, s5
	s_branch .LBB108_82
.LBB108_61:                             ;   in Loop: Header=BB108_6 Depth=1
	v_mov_b32_e32 v1, 0
	v_mov_b32_e32 v2, 0
	;; [unrolled: 1-line block ×4, first 2 shown]
	s_mov_b64 s[80:81], exec
	v_readlane_b32 s2, v52, 40
	v_readlane_b32 s3, v52, 41
	s_and_b64 s[2:3], s[80:81], s[2:3]
	s_mov_b64 exec, s[2:3]
	s_cbranch_execz .LBB108_65
; %bb.62:                               ;   in Loop: Header=BB108_6 Depth=1
	s_mov_b32 s2, 0
	s_mov_b64 s[82:83], 0
	s_mov_b32 s3, 0
	s_mov_b32 s9, 0
	s_mov_b32 s11, 0
	s_mov_b32 s12, 0
	v_mov_b32_e32 v12, v23
.LBB108_63:                             ;   Parent Loop BB108_6 Depth=1
                                        ; =>  This Inner Loop Header: Depth=2
	v_add_u32_e32 v8, s2, v39
	v_lshlrev_b64 v[1:2], 1, v[8:9]
	v_mov_b32_e32 v3, s44
	v_add_co_u32_e32 v1, vcc, s33, v1
	v_addc_co_u32_e32 v2, vcc, v3, v2, vcc
	v_add_u32_e32 v8, s2, v33
	global_load_ushort v4, v[1:2], off
	v_lshlrev_b64 v[1:2], 1, v[8:9]
	v_add_u32_e32 v8, s2, v34
	v_add_co_u32_e32 v1, vcc, s33, v1
	v_addc_co_u32_e32 v2, vcc, v3, v2, vcc
	global_load_ushort v13, v[1:2], off
	v_lshlrev_b64 v[1:2], 1, v[8:9]
	v_add_u32_e32 v8, s2, v35
	v_add_co_u32_e32 v1, vcc, s33, v1
	v_addc_co_u32_e32 v2, vcc, v3, v2, vcc
	;; [unrolled: 5-line block ×3, first 2 shown]
	global_load_ushort v1, v[1:2], off
	s_add_i32 s2, s2, s23
	s_waitcnt vmcnt(3)
	v_cmp_lt_i16_e32 vcc, -1, v4
	v_cndmask_b32_e32 v2, v41, v42, vcc
	v_lshlrev_b32_e32 v3, 16, v4
	v_cmp_o_f32_e32 vcc, v3, v3
	v_xor_b32_sdwa v2, v2, v4 dst_sel:DWORD dst_unused:UNUSED_PAD src0_sel:DWORD src1_sel:WORD_0
	v_cndmask_b32_e32 v2, v41, v2, vcc
	s_waitcnt vmcnt(2)
	v_cmp_lt_i16_e32 vcc, -1, v13
	v_cndmask_b32_e32 v3, v41, v42, vcc
	v_lshlrev_b32_e32 v4, 16, v13
	v_cmp_o_f32_e32 vcc, v4, v4
	v_xor_b32_sdwa v3, v3, v13 dst_sel:DWORD dst_unused:UNUSED_PAD src0_sel:DWORD src1_sel:WORD_0
	v_cndmask_b32_e32 v3, v41, v3, vcc
	;; [unrolled: 7-line block ×3, first 2 shown]
	s_waitcnt vmcnt(0)
	v_cmp_lt_i16_e32 vcc, -1, v1
	v_cndmask_b32_e32 v8, v41, v42, vcc
	v_lshlrev_b32_e32 v13, 16, v1
	v_cmp_o_f32_e32 vcc, v13, v13
	v_xor_b32_sdwa v1, v8, v1 dst_sel:DWORD dst_unused:UNUSED_PAD src0_sel:DWORD src1_sel:WORD_0
	v_and_b32_e32 v8, v2, v45
	v_bfe_u32 v2, v2, s38, 2
	v_cndmask_b32_e32 v1, v41, v1, vcc
	v_cmp_eq_u32_e32 vcc, v8, v37
	v_and_b32_e32 v8, v3, v45
	v_bfe_u32 v3, v3, s38, 2
	v_cmp_eq_u32_e64 s[34:35], 0, v2
	v_cmp_eq_u32_e64 s[6:7], v8, v37
	v_and_b32_e32 v8, v4, v45
	v_bfe_u32 v4, v4, s38, 2
	s_and_b64 s[14:15], vcc, s[34:35]
	v_cmp_eq_u32_e64 s[34:35], 0, v3
	v_cmp_eq_u32_e64 s[26:27], v8, v37
	v_and_b32_e32 v8, v1, v45
	v_bfe_u32 v1, v1, s38, 2
	s_and_b64 s[16:17], s[6:7], s[34:35]
	v_cmp_eq_u32_e64 s[34:35], 0, v4
	v_cmp_eq_u32_e64 s[30:31], v8, v37
	s_and_b64 s[18:19], s[26:27], s[34:35]
	v_cmp_eq_u32_e64 s[34:35], 0, v1
	v_cndmask_b32_e64 v8, 0, 1, s[14:15]
	s_and_b64 s[24:25], s[30:31], s[34:35]
	v_cmp_ne_u32_e64 s[34:35], 0, v8
	v_cndmask_b32_e64 v8, 0, 1, s[16:17]
	s_bcnt1_i32_b64 s13, s[34:35]
	v_cmp_ne_u32_e64 s[34:35], 0, v8
	v_cndmask_b32_e64 v8, 0, 1, s[18:19]
	s_bcnt1_i32_b64 s14, s[34:35]
	;; [unrolled: 3-line block ×3, first 2 shown]
	v_cmp_ne_u32_e64 s[34:35], 0, v8
	s_add_i32 s12, s12, s13
	s_bcnt1_i32_b64 s16, s[34:35]
	s_add_i32 s12, s12, s14
	v_cmp_eq_u32_e64 s[34:35], 1, v2
	s_add_i32 s12, s12, s15
	s_and_b64 s[14:15], vcc, s[34:35]
	v_cmp_eq_u32_e64 s[34:35], 1, v3
	s_add_i32 s12, s12, s16
	s_and_b64 s[16:17], s[6:7], s[34:35]
	v_cmp_eq_u32_e64 s[34:35], 1, v4
	s_and_b64 s[18:19], s[26:27], s[34:35]
	v_cmp_eq_u32_e64 s[34:35], 1, v1
	v_cndmask_b32_e64 v8, 0, 1, s[14:15]
	s_and_b64 s[24:25], s[30:31], s[34:35]
	v_cmp_ne_u32_e64 s[34:35], 0, v8
	v_cndmask_b32_e64 v8, 0, 1, s[16:17]
	s_bcnt1_i32_b64 s13, s[34:35]
	v_cmp_ne_u32_e64 s[34:35], 0, v8
	v_cndmask_b32_e64 v8, 0, 1, s[18:19]
	s_bcnt1_i32_b64 s14, s[34:35]
	;; [unrolled: 3-line block ×3, first 2 shown]
	v_cmp_ne_u32_e64 s[34:35], 0, v8
	s_add_i32 s11, s11, s13
	s_bcnt1_i32_b64 s16, s[34:35]
	s_add_i32 s11, s11, s14
	v_cmp_eq_u32_e64 s[34:35], 2, v2
	s_add_i32 s11, s11, s15
	s_and_b64 s[14:15], vcc, s[34:35]
	v_cmp_eq_u32_e64 s[34:35], 2, v3
	s_add_i32 s11, s11, s16
	s_and_b64 s[16:17], s[6:7], s[34:35]
	v_cmp_eq_u32_e64 s[34:35], 2, v4
	s_and_b64 s[18:19], s[26:27], s[34:35]
	v_cmp_eq_u32_e64 s[34:35], 2, v1
	v_cndmask_b32_e64 v8, 0, 1, s[14:15]
	s_and_b64 s[24:25], s[30:31], s[34:35]
	v_cmp_ne_u32_e64 s[34:35], 0, v8
	v_cndmask_b32_e64 v8, 0, 1, s[16:17]
	s_bcnt1_i32_b64 s13, s[34:35]
	v_cmp_ne_u32_e64 s[34:35], 0, v8
	v_cndmask_b32_e64 v8, 0, 1, s[18:19]
	s_bcnt1_i32_b64 s14, s[34:35]
	;; [unrolled: 3-line block ×3, first 2 shown]
	v_cmp_ne_u32_e64 s[34:35], 0, v8
	s_add_i32 s9, s9, s13
	s_bcnt1_i32_b64 s16, s[34:35]
	s_add_i32 s9, s9, s14
	v_cmp_eq_u32_e64 s[34:35], 3, v2
	s_add_i32 s9, s9, s15
	s_and_b64 s[14:15], vcc, s[34:35]
	v_cmp_eq_u32_e32 vcc, 3, v3
	s_and_b64 s[6:7], s[6:7], vcc
	v_cmp_eq_u32_e32 vcc, 3, v4
	s_add_i32 s9, s9, s16
	s_and_b64 s[16:17], s[26:27], vcc
	v_cmp_eq_u32_e32 vcc, 3, v1
	v_cndmask_b32_e64 v1, 0, 1, s[14:15]
	s_and_b64 s[18:19], s[30:31], vcc
	v_cmp_ne_u32_e32 vcc, 0, v1
	v_cndmask_b32_e64 v1, 0, 1, s[6:7]
	s_bcnt1_i32_b64 s13, vcc
	v_cmp_ne_u32_e32 vcc, 0, v1
	v_cndmask_b32_e64 v1, 0, 1, s[16:17]
	s_bcnt1_i32_b64 s6, vcc
	v_cmp_ne_u32_e32 vcc, 0, v1
	v_cndmask_b32_e64 v1, 0, 1, s[18:19]
	s_add_i32 s3, s3, s13
	s_bcnt1_i32_b64 s7, vcc
	v_cmp_ne_u32_e32 vcc, 0, v1
	s_add_i32 s3, s3, s6
	s_bcnt1_i32_b64 s14, vcc
	s_add_i32 s3, s3, s7
	s_add_i32 s3, s3, s14
	v_cmp_le_u32_e32 vcc, s21, v12
	s_or_b64 s[82:83], vcc, s[82:83]
	v_mov_b32_e32 v1, s12
	v_mov_b32_e32 v2, s11
	;; [unrolled: 1-line block ×4, first 2 shown]
	s_andn2_b64 exec, exec, s[82:83]
	s_cbranch_execnz .LBB108_63
; %bb.64:                               ;   in Loop: Header=BB108_6 Depth=1
	s_or_b64 exec, exec, s[82:83]
.LBB108_65:                             ;   in Loop: Header=BB108_6 Depth=1
	s_or_b64 exec, exec, s[80:81]
	s_mov_b64 s[2:3], exec
	v_readlane_b32 s6, v52, 42
	v_readlane_b32 s7, v52, 43
	s_and_b64 s[6:7], s[2:3], s[6:7]
	s_mov_b64 exec, s[6:7]
	s_cbranch_execz .LBB108_71
; %bb.66:                               ;   in Loop: Header=BB108_6 Depth=1
	global_load_ushort v14, v[10:11], off
	s_mov_b64 s[12:13], 0
	v_mov_b32_e32 v8, v36
	v_mov_b32_e32 v12, v31
	s_branch .LBB108_68
.LBB108_67:                             ;   in Loop: Header=BB108_68 Depth=2
	s_or_b64 exec, exec, s[14:15]
	s_and_b64 s[6:7], exec, vcc
	s_waitcnt vmcnt(0)
	v_cmp_lt_i16_e32 vcc, -1, v14
	v_cndmask_b32_e32 v15, v41, v42, vcc
	v_lshlrev_b32_e32 v16, 16, v14
	v_cmp_o_f32_e32 vcc, v16, v16
	v_xor_b32_sdwa v14, v15, v14 dst_sel:DWORD dst_unused:UNUSED_PAD src0_sel:DWORD src1_sel:WORD_0
	v_cndmask_b32_e32 v14, v41, v14, vcc
	v_and_b32_e32 v15, v14, v45
	v_bfe_u32 v14, v14, s38, 2
	s_or_b64 s[12:13], s[6:7], s[12:13]
	v_cmp_eq_u32_e32 vcc, v15, v37
	v_cmp_eq_u32_e64 s[6:7], 0, v14
	s_and_b64 s[6:7], vcc, s[6:7]
	v_cndmask_b32_e64 v15, 0, 1, s[6:7]
	v_cmp_ne_u32_e64 s[6:7], 0, v15
	s_bcnt1_i32_b64 s6, s[6:7]
	v_add_u32_e32 v1, s6, v1
	v_cmp_eq_u32_e64 s[6:7], 1, v14
	s_and_b64 s[6:7], vcc, s[6:7]
	v_cndmask_b32_e64 v15, 0, 1, s[6:7]
	v_cmp_ne_u32_e64 s[6:7], 0, v15
	s_bcnt1_i32_b64 s6, s[6:7]
	v_add_u32_e32 v2, s6, v2
	;; [unrolled: 6-line block ×3, first 2 shown]
	v_cmp_eq_u32_e64 s[6:7], 3, v14
	s_and_b64 s[6:7], vcc, s[6:7]
	v_cndmask_b32_e64 v14, 0, 1, s[6:7]
	v_cmp_ne_u32_e32 vcc, 0, v14
	s_bcnt1_i32_b64 s6, vcc
	v_add_u32_e32 v4, s6, v4
	v_add_u32_e32 v8, s49, v8
	v_mov_b32_e32 v14, v13
	s_andn2_b64 exec, exec, s[12:13]
	s_cbranch_execz .LBB108_70
.LBB108_68:                             ;   Parent Loop BB108_6 Depth=1
                                        ; =>  This Inner Loop Header: Depth=2
	v_add_u32_e32 v12, s48, v12
	v_cmp_gt_u32_e64 s[6:7], s36, v12
	v_cmp_le_u32_e32 vcc, s36, v12
	v_mov_b32_e32 v13, 0
	s_and_saveexec_b64 s[14:15], s[6:7]
	s_cbranch_execz .LBB108_67
; %bb.69:                               ;   in Loop: Header=BB108_68 Depth=2
	v_lshlrev_b64 v[15:16], 1, v[8:9]
	v_mov_b32_e32 v13, s44
	v_add_co_u32_e64 v15, s[6:7], s33, v15
	v_addc_co_u32_e64 v16, s[6:7], v13, v16, s[6:7]
	global_load_ushort v13, v[15:16], off
	s_branch .LBB108_67
.LBB108_70:                             ;   in Loop: Header=BB108_6 Depth=1
	s_or_b64 exec, exec, s[12:13]
.LBB108_71:                             ;   in Loop: Header=BB108_6 Depth=1
	s_or_b64 exec, exec, s[2:3]
	s_branch .LBB108_53
.LBB108_72:                             ;   in Loop: Header=BB108_6 Depth=1
	v_readlane_b32 s2, v52, 39
	s_mul_hi_u32 s2, s8, s2
	s_mul_i32 s2, s2, s51
	s_sub_i32 s2, s8, s2
	s_sub_i32 s3, s2, s51
	s_cmp_ge_u32 s2, s51
	s_cselect_b32 s2, s3, s2
	s_sub_i32 s3, s2, s51
	s_cmp_ge_u32 s2, s51
	s_cselect_b32 s2, s3, s2
	s_sub_i32 s2, s8, s2
	v_cmp_gt_u32_e32 vcc, s2, v23
	v_mov_b32_e32 v1, 0
	v_mov_b32_e32 v2, 0
	v_mov_b32_e32 v3, 0
	v_mov_b32_e32 v4, 0
	s_and_saveexec_b64 s[80:81], vcc
	s_cbranch_execz .LBB108_76
; %bb.73:                               ;   in Loop: Header=BB108_6 Depth=1
	s_mov_b32 s3, 0
	s_mov_b64 s[82:83], 0
	v_mov_b32_e32 v8, v40
	s_mov_b32 s9, 0
	s_mov_b32 s11, 0
	;; [unrolled: 1-line block ×3, first 2 shown]
	v_mov_b32_e32 v12, v23
.LBB108_74:                             ;   Parent Loop BB108_6 Depth=1
                                        ; =>  This Inner Loop Header: Depth=2
	ds_read_b64 v[1:2], v8
	v_add_u32_e32 v12, s51, v12
	v_add_u32_e32 v8, s20, v8
	s_waitcnt lgkmcnt(0)
	v_cmp_lt_i16_e32 vcc, -1, v1
	v_cndmask_b32_e32 v3, v41, v42, vcc
	v_lshlrev_b32_e32 v4, 16, v1
	v_cmp_o_f32_e32 vcc, v4, v4
	v_xor_b32_sdwa v3, v3, v1 dst_sel:DWORD dst_unused:UNUSED_PAD src0_sel:DWORD src1_sel:WORD_0
	v_cndmask_b32_e32 v3, v41, v3, vcc
	v_cmp_gt_i16_sdwa vcc, v1, v43 src0_sel:WORD_1 src1_sel:DWORD
	v_cndmask_b32_e32 v4, v41, v42, vcc
	v_and_b32_e32 v13, 0xffff0000, v1
	v_cmp_o_f32_e32 vcc, v13, v13
	v_xor_b32_sdwa v1, v4, v1 dst_sel:DWORD dst_unused:UNUSED_PAD src0_sel:DWORD src1_sel:WORD_1
	v_cndmask_b32_e32 v1, v41, v1, vcc
	v_cmp_lt_i16_e32 vcc, -1, v2
	v_cndmask_b32_e32 v4, v41, v42, vcc
	v_lshlrev_b32_e32 v13, 16, v2
	v_cmp_o_f32_e32 vcc, v13, v13
	v_xor_b32_sdwa v4, v4, v2 dst_sel:DWORD dst_unused:UNUSED_PAD src0_sel:DWORD src1_sel:WORD_0
	v_cndmask_b32_e32 v4, v41, v4, vcc
	v_cmp_gt_i16_sdwa vcc, v2, v43 src0_sel:WORD_1 src1_sel:DWORD
	v_cndmask_b32_e32 v13, v41, v42, vcc
	v_and_b32_e32 v14, 0xffff0000, v2
	v_cmp_o_f32_e32 vcc, v14, v14
	v_xor_b32_sdwa v2, v13, v2 dst_sel:DWORD dst_unused:UNUSED_PAD src0_sel:DWORD src1_sel:WORD_1
	v_and_b32_e32 v13, v3, v45
	v_bfe_u32 v3, v3, s38, 2
	v_cndmask_b32_e32 v2, v41, v2, vcc
	v_cmp_eq_u32_e32 vcc, v13, v37
	v_and_b32_e32 v13, v1, v45
	v_bfe_u32 v1, v1, s38, 2
	v_cmp_eq_u32_e64 s[34:35], 0, v3
	v_cmp_eq_u32_e64 s[6:7], v13, v37
	v_and_b32_e32 v13, v4, v45
	v_bfe_u32 v4, v4, s38, 2
	s_and_b64 s[14:15], vcc, s[34:35]
	v_cmp_eq_u32_e64 s[34:35], 0, v1
	v_cmp_eq_u32_e64 s[26:27], v13, v37
	v_and_b32_e32 v13, v2, v45
	v_bfe_u32 v2, v2, s38, 2
	s_and_b64 s[16:17], s[6:7], s[34:35]
	v_cmp_eq_u32_e64 s[34:35], 0, v4
	v_cmp_eq_u32_e64 s[30:31], v13, v37
	s_and_b64 s[18:19], s[26:27], s[34:35]
	v_cmp_eq_u32_e64 s[34:35], 0, v2
	v_cndmask_b32_e64 v13, 0, 1, s[14:15]
	s_and_b64 s[24:25], s[30:31], s[34:35]
	v_cmp_ne_u32_e64 s[34:35], 0, v13
	v_cndmask_b32_e64 v13, 0, 1, s[16:17]
	s_bcnt1_i32_b64 s13, s[34:35]
	v_cmp_ne_u32_e64 s[34:35], 0, v13
	v_cndmask_b32_e64 v13, 0, 1, s[18:19]
	s_bcnt1_i32_b64 s14, s[34:35]
	;; [unrolled: 3-line block ×3, first 2 shown]
	v_cmp_ne_u32_e64 s[34:35], 0, v13
	s_add_i32 s12, s12, s13
	s_bcnt1_i32_b64 s16, s[34:35]
	s_add_i32 s12, s12, s14
	v_cmp_eq_u32_e64 s[34:35], 1, v3
	s_add_i32 s12, s12, s15
	s_and_b64 s[14:15], vcc, s[34:35]
	v_cmp_eq_u32_e64 s[34:35], 1, v1
	s_add_i32 s12, s12, s16
	s_and_b64 s[16:17], s[6:7], s[34:35]
	v_cmp_eq_u32_e64 s[34:35], 1, v4
	s_and_b64 s[18:19], s[26:27], s[34:35]
	v_cmp_eq_u32_e64 s[34:35], 1, v2
	v_cndmask_b32_e64 v13, 0, 1, s[14:15]
	s_and_b64 s[24:25], s[30:31], s[34:35]
	v_cmp_ne_u32_e64 s[34:35], 0, v13
	v_cndmask_b32_e64 v13, 0, 1, s[16:17]
	s_bcnt1_i32_b64 s13, s[34:35]
	v_cmp_ne_u32_e64 s[34:35], 0, v13
	v_cndmask_b32_e64 v13, 0, 1, s[18:19]
	s_bcnt1_i32_b64 s14, s[34:35]
	v_cmp_ne_u32_e64 s[34:35], 0, v13
	v_cndmask_b32_e64 v13, 0, 1, s[24:25]
	s_bcnt1_i32_b64 s15, s[34:35]
	v_cmp_ne_u32_e64 s[34:35], 0, v13
	s_add_i32 s11, s11, s13
	s_bcnt1_i32_b64 s16, s[34:35]
	s_add_i32 s11, s11, s14
	v_cmp_eq_u32_e64 s[34:35], 2, v3
	s_add_i32 s11, s11, s15
	s_and_b64 s[14:15], vcc, s[34:35]
	v_cmp_eq_u32_e64 s[34:35], 2, v1
	s_add_i32 s11, s11, s16
	s_and_b64 s[16:17], s[6:7], s[34:35]
	v_cmp_eq_u32_e64 s[34:35], 2, v4
	s_and_b64 s[18:19], s[26:27], s[34:35]
	v_cmp_eq_u32_e64 s[34:35], 2, v2
	v_cndmask_b32_e64 v13, 0, 1, s[14:15]
	s_and_b64 s[24:25], s[30:31], s[34:35]
	v_cmp_ne_u32_e64 s[34:35], 0, v13
	v_cndmask_b32_e64 v13, 0, 1, s[16:17]
	s_bcnt1_i32_b64 s13, s[34:35]
	v_cmp_ne_u32_e64 s[34:35], 0, v13
	v_cndmask_b32_e64 v13, 0, 1, s[18:19]
	s_bcnt1_i32_b64 s14, s[34:35]
	;; [unrolled: 3-line block ×3, first 2 shown]
	v_cmp_ne_u32_e64 s[34:35], 0, v13
	s_add_i32 s9, s9, s13
	s_bcnt1_i32_b64 s16, s[34:35]
	s_add_i32 s9, s9, s14
	v_cmp_eq_u32_e64 s[34:35], 3, v3
	s_add_i32 s9, s9, s15
	s_and_b64 s[14:15], vcc, s[34:35]
	v_cmp_eq_u32_e32 vcc, 3, v1
	s_and_b64 s[6:7], s[6:7], vcc
	v_cmp_eq_u32_e32 vcc, 3, v4
	s_add_i32 s9, s9, s16
	s_and_b64 s[16:17], s[26:27], vcc
	v_cmp_eq_u32_e32 vcc, 3, v2
	v_cndmask_b32_e64 v1, 0, 1, s[14:15]
	s_and_b64 s[18:19], s[30:31], vcc
	v_cmp_ne_u32_e32 vcc, 0, v1
	v_cndmask_b32_e64 v1, 0, 1, s[6:7]
	s_bcnt1_i32_b64 s13, vcc
	v_cmp_ne_u32_e32 vcc, 0, v1
	v_cndmask_b32_e64 v1, 0, 1, s[16:17]
	s_bcnt1_i32_b64 s6, vcc
	v_cmp_ne_u32_e32 vcc, 0, v1
	v_cndmask_b32_e64 v1, 0, 1, s[18:19]
	s_add_i32 s3, s3, s13
	s_bcnt1_i32_b64 s7, vcc
	v_cmp_ne_u32_e32 vcc, 0, v1
	s_add_i32 s3, s3, s6
	s_bcnt1_i32_b64 s14, vcc
	s_add_i32 s3, s3, s7
	s_add_i32 s3, s3, s14
	v_cmp_le_u32_e32 vcc, s2, v12
	s_or_b64 s[82:83], vcc, s[82:83]
	v_mov_b32_e32 v1, s12
	v_mov_b32_e32 v2, s11
	v_mov_b32_e32 v3, s9
	v_mov_b32_e32 v4, s3
	s_andn2_b64 exec, exec, s[82:83]
	s_cbranch_execnz .LBB108_74
; %bb.75:                               ;   in Loop: Header=BB108_6 Depth=1
	s_or_b64 exec, exec, s[82:83]
.LBB108_76:                             ;   in Loop: Header=BB108_6 Depth=1
	s_or_b64 exec, exec, s[80:81]
	v_add_u32_e32 v8, s2, v0
	v_cmp_gt_u32_e32 vcc, s8, v8
	s_and_saveexec_b64 s[14:15], vcc
	s_cbranch_execz .LBB108_80
; %bb.77:                               ;   in Loop: Header=BB108_6 Depth=1
	v_lshlrev_b32_e32 v12, 1, v8
	s_mov_b64 s[16:17], 0
.LBB108_78:                             ;   Parent Loop BB108_6 Depth=1
                                        ; =>  This Inner Loop Header: Depth=2
	ds_read_u16 v13, v12
	v_add_u32_e32 v8, s48, v8
	v_add_u32_e32 v12, s10, v12
	s_waitcnt lgkmcnt(0)
	v_cmp_lt_i16_e32 vcc, -1, v13
	v_cndmask_b32_e32 v14, v41, v42, vcc
	v_lshlrev_b32_e32 v15, 16, v13
	v_cmp_o_f32_e32 vcc, v15, v15
	v_xor_b32_sdwa v13, v14, v13 dst_sel:DWORD dst_unused:UNUSED_PAD src0_sel:DWORD src1_sel:WORD_0
	v_cndmask_b32_e32 v13, v41, v13, vcc
	v_and_b32_e32 v14, v13, v45
	v_bfe_u32 v13, v13, s38, 2
	v_cmp_eq_u32_e32 vcc, v14, v37
	v_cmp_eq_u32_e64 s[6:7], 0, v13
	s_and_b64 s[2:3], vcc, s[6:7]
	v_cndmask_b32_e64 v14, 0, 1, s[2:3]
	v_cmp_ne_u32_e64 s[6:7], 0, v14
	s_bcnt1_i32_b64 s2, s[6:7]
	v_cmp_eq_u32_e64 s[6:7], 1, v13
	v_add_u32_e32 v1, s2, v1
	s_and_b64 s[2:3], vcc, s[6:7]
	v_cndmask_b32_e64 v14, 0, 1, s[2:3]
	v_cmp_ne_u32_e64 s[6:7], 0, v14
	s_bcnt1_i32_b64 s2, s[6:7]
	v_cmp_eq_u32_e64 s[6:7], 2, v13
	v_add_u32_e32 v2, s2, v2
	;; [unrolled: 6-line block ×3, first 2 shown]
	s_and_b64 s[2:3], vcc, s[6:7]
	v_cndmask_b32_e64 v13, 0, 1, s[2:3]
	v_cmp_ne_u32_e32 vcc, 0, v13
	s_bcnt1_i32_b64 s2, vcc
	v_cmp_le_u32_e32 vcc, s8, v8
	v_add_u32_e32 v4, s2, v4
	s_or_b64 s[16:17], vcc, s[16:17]
	s_andn2_b64 exec, exec, s[16:17]
	s_cbranch_execnz .LBB108_78
; %bb.79:                               ;   in Loop: Header=BB108_6 Depth=1
	s_or_b64 exec, exec, s[16:17]
.LBB108_80:                             ;   in Loop: Header=BB108_6 Depth=1
	s_or_b64 exec, exec, s[14:15]
	s_lshl_b32 s6, s45, 6
	s_and_saveexec_b64 s[2:3], s[0:1]
	s_cbranch_execnz .LBB108_54
	s_branch .LBB108_55
.LBB108_81:                             ;   in Loop: Header=BB108_6 Depth=1
	v_mov_b32_e32 v1, 0
	s_mov_b32 s7, 0
.LBB108_82:                             ;   in Loop: Header=BB108_6 Depth=1
	v_readlane_b32 s8, v52, 37
	v_readlane_b32 s9, v52, 38
	s_andn2_b64 vcc, exec, s[8:9]
	s_cbranch_vccnz .LBB108_85
; %bb.83:                               ;   in Loop: Header=BB108_6 Depth=1
	s_lshl_b32 s8, s45, 8
	s_lshl_b32 s7, s7, 4
	s_add_i32 s8, s8, s7
	v_add_u32_e32 v2, s8, v38
	v_readlane_b32 s7, v52, 36
.LBB108_84:                             ;   Parent Loop BB108_6 Depth=1
                                        ; =>  This Inner Loop Header: Depth=2
	ds_read_b32 v3, v2
	s_add_i32 s7, s7, -1
	v_add_u32_e32 v2, 16, v2
	s_cmp_lg_u32 s7, 0
	s_waitcnt lgkmcnt(0)
	v_add_u32_e32 v1, v3, v1
	s_cbranch_scc1 .LBB108_84
.LBB108_85:                             ;   in Loop: Header=BB108_6 Depth=1
	v_add_lshl_u32 v2, s6, v24, 2
	ds_write_b32 v2, v1 offset:3072
.LBB108_86:                             ;   in Loop: Header=BB108_6 Depth=1
	s_or_b64 exec, exec, s[2:3]
	s_lshl_b32 s2, s6, 2
	v_mov_b32_e32 v1, s2
	s_waitcnt lgkmcnt(0)
	s_barrier
	ds_read_b128 v[1:4], v1 offset:3072
	v_readlane_b32 s2, v52, 11
	s_lshl_b32 s46, 3, s38
	v_readlane_b32 s3, v52, 12
	s_not_b32 s47, s46
	s_waitcnt lgkmcnt(0)
	v_readfirstlane_b32 s39, v1
	v_readfirstlane_b32 s94, v2
	;; [unrolled: 1-line block ×4, first 2 shown]
	v_cmp_eq_u32_e64 s[26:27], 1, v47
	s_mov_b64 s[86:87], -1
	s_mov_b64 s[30:31], 0
	s_andn2_b64 vcc, exec, s[2:3]
	s_mov_b64 s[80:81], 0
	s_mov_b64 s[34:35], 0
                                        ; implicit-def: $sgpr82_sgpr83
                                        ; implicit-def: $sgpr84_sgpr85
                                        ; implicit-def: $vgpr4
                                        ; implicit-def: $vgpr1
                                        ; implicit-def: $vgpr3
                                        ; implicit-def: $vgpr2
                                        ; implicit-def: $vgpr8
	s_cbranch_vccnz .LBB108_244
; %bb.87:                               ;   in Loop: Header=BB108_6 Depth=1
	s_cmp_eq_u32 s39, 1
	s_cselect_b64 s[2:3], -1, 0
	s_and_b64 s[6:7], s[2:3], s[26:27]
	s_mov_b64 s[2:3], -1
	v_mov_b32_e32 v3, v37
	v_mov_b32_e32 v2, v45
	;; [unrolled: 1-line block ×3, first 2 shown]
                                        ; implicit-def: $sgpr84_sgpr85
                                        ; implicit-def: $sgpr82_sgpr83
	s_and_saveexec_b64 s[14:15], s[6:7]
	s_cbranch_execz .LBB108_113
; %bb.88:                               ;   in Loop: Header=BB108_6 Depth=1
	ds_read_b32 v1, v9 offset:4096
	s_waitcnt lgkmcnt(0)
	s_barrier
	v_readfirstlane_b32 s8, v1
	s_mov_b64 s[2:3], exec
	v_readlane_b32 s12, v52, 21
	v_readlane_b32 s13, v52, 22
	s_and_b64 s[12:13], s[2:3], s[12:13]
	s_mov_b64 exec, s[12:13]
; %bb.89:                               ;   in Loop: Header=BB108_6 Depth=1
	ds_write_b16 v26, v9
; %bb.90:                               ;   in Loop: Header=BB108_6 Depth=1
	s_or_b64 exec, exec, s[2:3]
	v_and_b32_e32 v3, s47, v37
	v_or_b32_e32 v2, s46, v45
	s_mov_b64 s[82:83], -1
	s_mov_b64 s[84:85], 0
	s_cmp_eq_u32 s8, 0
	s_mov_b64 s[2:3], 0
	s_mov_b64 s[12:13], -1
	s_waitcnt lgkmcnt(0)
	s_barrier
                                        ; implicit-def: $vgpr8
	s_cbranch_scc1 .LBB108_101
; %bb.91:                               ;   in Loop: Header=BB108_6 Depth=1
	v_readlane_b32 s2, v52, 23
	s_add_i32 s2, s8, s2
	v_readlane_b32 s3, v52, 44
	s_mul_hi_u32 s3, s2, s3
	s_mul_i32 s3, s3, s48
	s_sub_i32 s3, s2, s3
	s_sub_i32 s9, s3, s48
	s_cmp_ge_u32 s3, s48
	s_cselect_b32 s3, s9, s3
	s_sub_i32 s9, s3, s48
	s_cmp_ge_u32 s3, s48
	s_cselect_b32 s3, s9, s3
	s_sub_i32 s9, s2, s3
	v_cmp_gt_u32_e32 vcc, s9, v0
	s_mov_b64 s[12:13], 0
	s_mov_b64 s[2:3], 0
                                        ; implicit-def: $vgpr8
	s_and_saveexec_b64 s[16:17], vcc
	s_cbranch_execz .LBB108_100
; %bb.92:                               ;   in Loop: Header=BB108_6 Depth=1
	v_mov_b32_e32 v1, v25
	v_mov_b32_e32 v4, v0
                                        ; implicit-def: $sgpr18_sgpr19
	s_branch .LBB108_95
.LBB108_93:                             ;   in Loop: Header=BB108_95 Depth=2
	s_or_b64 exec, exec, s[24:25]
	s_waitcnt lgkmcnt(0)
	s_barrier
	ds_read_b32 v8, v9 offset:3072
	s_mov_b64 s[24:25], -1
	s_mov_b64 s[28:29], -1
	s_waitcnt lgkmcnt(0)
	s_barrier
	v_and_b32_e32 v12, 0x7fff, v8
	v_cmp_ne_u32_e32 vcc, 0, v12
	s_cbranch_vccz .LBB108_98
.LBB108_94:                             ;   in Loop: Header=BB108_95 Depth=2
	s_and_b64 s[24:25], exec, s[24:25]
	s_or_b64 s[2:3], s[24:25], s[2:3]
	s_andn2_b64 s[18:19], s[18:19], exec
	s_and_b64 s[24:25], s[28:29], exec
	s_or_b64 s[18:19], s[18:19], s[24:25]
	s_andn2_b64 exec, exec, s[2:3]
	s_cbranch_execz .LBB108_99
.LBB108_95:                             ;   Parent Loop BB108_6 Depth=1
                                        ; =>  This Inner Loop Header: Depth=2
	v_cmp_gt_u32_e32 vcc, s8, v4
	s_and_saveexec_b64 s[24:25], vcc
	s_cbranch_execz .LBB108_93
; %bb.96:                               ;   in Loop: Header=BB108_95 Depth=2
	ds_read_u16 v8, v1
	s_waitcnt lgkmcnt(0)
	v_cmp_lt_i16_e32 vcc, -1, v8
	v_cndmask_b32_e32 v12, v41, v42, vcc
	v_lshlrev_b32_e32 v13, 16, v8
	v_cmp_o_f32_e32 vcc, v13, v13
	v_xor_b32_sdwa v12, v12, v8 dst_sel:DWORD dst_unused:UNUSED_PAD src0_sel:DWORD src1_sel:WORD_0
	v_cndmask_b32_e32 v12, v41, v12, vcc
	v_and_b32_e32 v12, v12, v2
	v_cmp_eq_u32_e32 vcc, v12, v3
	s_and_b64 exec, exec, vcc
	s_cbranch_execz .LBB108_93
; %bb.97:                               ;   in Loop: Header=BB108_95 Depth=2
	s_movk_i32 s28, 0x3f80
	v_perm_b32 v8, v8, s28, v44
	ds_write_b32 v9, v8 offset:3072
	s_branch .LBB108_93
.LBB108_98:                             ;   in Loop: Header=BB108_95 Depth=2
	v_add_u32_e32 v4, s48, v4
	v_cmp_le_u32_e32 vcc, s9, v4
	v_add_u32_e32 v1, s10, v1
	s_mov_b64 s[28:29], 0
	s_orn2_b64 s[24:25], vcc, exec
	s_branch .LBB108_94
.LBB108_99:                             ;   in Loop: Header=BB108_6 Depth=1
	s_or_b64 exec, exec, s[2:3]
	v_lshrrev_b32_e32 v8, 16, v8
	s_and_b64 s[2:3], s[18:19], exec
.LBB108_100:                            ;   in Loop: Header=BB108_6 Depth=1
	s_or_b64 exec, exec, s[16:17]
.LBB108_101:                            ;   in Loop: Header=BB108_6 Depth=1
	s_and_b64 vcc, exec, s[12:13]
	s_cbranch_vccz .LBB108_112
; %bb.102:                              ;   in Loop: Header=BB108_6 Depth=1
                                        ; implicit-def: $vgpr8
	s_mov_b64 s[12:13], exec
	v_readlane_b32 s8, v52, 45
	v_readlane_b32 s9, v52, 46
	s_and_b64 s[8:9], s[12:13], s[8:9]
	s_mov_b64 exec, s[8:9]
	s_cbranch_execz .LBB108_111
; %bb.103:                              ;   in Loop: Header=BB108_6 Depth=1
	s_mov_b64 s[16:17], 0
	v_mov_b32_e32 v8, v7
	v_mov_b32_e32 v1, v0
                                        ; implicit-def: $sgpr18_sgpr19
	s_branch .LBB108_106
.LBB108_104:                            ;   in Loop: Header=BB108_106 Depth=2
	s_or_b64 exec, exec, s[28:29]
	s_waitcnt lgkmcnt(0)
	s_barrier
	ds_read_b32 v4, v9 offset:3072
	s_mov_b64 s[24:25], -1
	s_mov_b64 s[28:29], -1
	s_waitcnt lgkmcnt(0)
	s_barrier
	v_and_b32_e32 v12, 0x7fff, v4
	v_cmp_ne_u32_e32 vcc, 0, v12
	s_cbranch_vccz .LBB108_109
.LBB108_105:                            ;   in Loop: Header=BB108_106 Depth=2
	s_and_b64 s[8:9], exec, s[24:25]
	s_or_b64 s[16:17], s[8:9], s[16:17]
	s_andn2_b64 s[8:9], s[18:19], exec
	s_and_b64 s[18:19], s[28:29], exec
	s_or_b64 s[18:19], s[8:9], s[18:19]
	s_andn2_b64 exec, exec, s[16:17]
	s_cbranch_execz .LBB108_110
.LBB108_106:                            ;   Parent Loop BB108_6 Depth=1
                                        ; =>  This Inner Loop Header: Depth=2
	v_cmp_gt_u32_e32 vcc, s36, v1
	s_and_saveexec_b64 s[28:29], vcc
	s_cbranch_execz .LBB108_104
; %bb.107:                              ;   in Loop: Header=BB108_106 Depth=2
	v_lshlrev_b64 v[12:13], 1, v[8:9]
	v_mov_b32_e32 v4, s44
	v_add_co_u32_e32 v12, vcc, s33, v12
	v_addc_co_u32_e32 v13, vcc, v4, v13, vcc
	global_load_ushort v4, v[12:13], off
	s_waitcnt vmcnt(0)
	v_cmp_lt_i16_e32 vcc, -1, v4
	v_cndmask_b32_e32 v12, v41, v42, vcc
	v_lshlrev_b32_e32 v13, 16, v4
	v_xor_b32_sdwa v12, v12, v4 dst_sel:DWORD dst_unused:UNUSED_PAD src0_sel:DWORD src1_sel:WORD_0
	v_cmp_o_f32_e32 vcc, v13, v13
	v_cndmask_b32_e32 v12, v41, v12, vcc
	v_and_b32_e32 v12, v12, v2
	v_cmp_eq_u32_e32 vcc, v12, v3
	s_and_b64 exec, exec, vcc
	s_cbranch_execz .LBB108_104
; %bb.108:                              ;   in Loop: Header=BB108_106 Depth=2
	s_movk_i32 s8, 0x3f80
	v_perm_b32 v4, v4, s8, v44
	ds_write_b32 v9, v4 offset:3072
	s_branch .LBB108_104
.LBB108_109:                            ;   in Loop: Header=BB108_106 Depth=2
	v_add_u32_e32 v1, s48, v1
	v_cmp_le_u32_e32 vcc, s22, v1
	v_add_u32_e32 v8, s49, v8
	s_mov_b64 s[28:29], 0
	s_orn2_b64 s[24:25], vcc, exec
	s_branch .LBB108_105
.LBB108_110:                            ;   in Loop: Header=BB108_6 Depth=1
	s_or_b64 exec, exec, s[16:17]
	s_andn2_b64 s[2:3], s[2:3], exec
	s_and_b64 s[8:9], s[18:19], exec
	v_lshrrev_b32_e32 v8, 16, v4
	s_or_b64 s[2:3], s[2:3], s[8:9]
.LBB108_111:                            ;   in Loop: Header=BB108_6 Depth=1
	s_or_b64 exec, exec, s[12:13]
	s_mov_b64 s[82:83], 0
	s_mov_b64 s[84:85], -1
.LBB108_112:                            ;   in Loop: Header=BB108_6 Depth=1
	s_orn2_b64 s[2:3], s[2:3], exec
.LBB108_113:                            ;   in Loop: Header=BB108_6 Depth=1
	s_or_b64 exec, exec, s[14:15]
	s_mov_b64 s[86:87], 0
	s_mov_b64 s[80:81], 0
	;; [unrolled: 1-line block ×3, first 2 shown]
                                        ; implicit-def: $vgpr4
                                        ; implicit-def: $vgpr1
	s_and_saveexec_b64 s[88:89], s[2:3]
	s_cbranch_execz .LBB108_243
; %bb.114:                              ;   in Loop: Header=BB108_6 Depth=1
	s_xor_b64 s[8:9], s[6:7], -1
	s_mov_b64 s[6:7], 0
	v_mov_b32_e32 v4, 1
	v_mov_b32_e32 v1, 1
	s_and_saveexec_b64 s[2:3], s[8:9]
	s_cbranch_execz .LBB108_123
; %bb.115:                              ;   in Loop: Header=BB108_6 Depth=1
	v_cmp_ge_u32_e32 vcc, s39, v47
	s_and_saveexec_b64 s[6:7], vcc
	s_xor_b64 s[6:7], exec, s[6:7]
	s_cbranch_execz .LBB108_120
; %bb.116:                              ;   in Loop: Header=BB108_6 Depth=1
	ds_read_b32 v1, v9 offset:4096
	v_and_b32_e32 v3, s47, v3
	v_or_b32_e32 v2, s46, v2
	s_waitcnt lgkmcnt(0)
	v_cmp_ne_u32_e32 vcc, 0, v1
	s_cbranch_vccnz .LBB108_120
; %bb.117:                              ;   in Loop: Header=BB108_6 Depth=1
	s_mov_b64 s[8:9], exec
	v_readlane_b32 s12, v52, 6
	v_readlane_b32 s13, v52, 7
	s_and_b64 s[12:13], s[8:9], s[12:13]
	s_mov_b64 exec, s[12:13]
; %bb.118:                              ;   in Loop: Header=BB108_6 Depth=1
	v_mov_b32_e32 v1, s39
	ds_write_b32 v9, v1 offset:4100
; %bb.119:                              ;   in Loop: Header=BB108_6 Depth=1
	s_or_b64 exec, exec, s[8:9]
	s_waitcnt lgkmcnt(0)
	s_barrier
.LBB108_120:                            ;   in Loop: Header=BB108_6 Depth=1
	s_or_saveexec_b64 s[6:7], s[6:7]
	s_mov_b64 s[12:13], 0
	v_mov_b32_e32 v1, 8
	v_mov_b32_e32 v4, v47
	s_xor_b64 exec, exec, s[6:7]
; %bb.121:                              ;   in Loop: Header=BB108_6 Depth=1
	s_mov_b64 s[12:13], exec
	v_subrev_u32_e32 v4, s39, v47
	v_mov_b32_e32 v1, 0
; %bb.122:                              ;   in Loop: Header=BB108_6 Depth=1
	s_or_b64 exec, exec, s[6:7]
	s_and_b64 s[6:7], s[12:13], exec
.LBB108_123:                            ;   in Loop: Header=BB108_6 Depth=1
	s_or_b64 exec, exec, s[2:3]
	s_mov_b64 s[2:3], -1
                                        ; implicit-def: $sgpr34_sgpr35
                                        ; implicit-def: $sgpr80_sgpr81
	s_and_saveexec_b64 s[8:9], s[6:7]
	s_xor_b64 s[6:7], exec, s[8:9]
	s_cbranch_execz .LBB108_240
; %bb.124:                              ;   in Loop: Header=BB108_6 Depth=1
	s_cmp_eq_u32 s94, 1
	s_cselect_b64 s[2:3], -1, 0
	v_cmp_eq_u32_e32 vcc, 1, v4
	s_and_b64 s[14:15], s[2:3], vcc
	s_mov_b64 s[2:3], -1
                                        ; implicit-def: $sgpr80_sgpr81
                                        ; implicit-def: $sgpr34_sgpr35
	s_and_saveexec_b64 s[16:17], s[14:15]
	s_cbranch_execz .LBB108_150
; %bb.125:                              ;   in Loop: Header=BB108_6 Depth=1
	ds_read_b32 v8, v9 offset:4096
	s_waitcnt lgkmcnt(0)
	s_barrier
	v_readfirstlane_b32 s8, v8
	s_mov_b64 s[2:3], exec
	v_readlane_b32 s12, v52, 21
	v_readlane_b32 s13, v52, 22
	s_and_b64 s[12:13], s[2:3], s[12:13]
	s_mov_b64 exec, s[12:13]
; %bb.126:                              ;   in Loop: Header=BB108_6 Depth=1
	ds_write_b16 v26, v9
; %bb.127:                              ;   in Loop: Header=BB108_6 Depth=1
	s_or_b64 exec, exec, s[2:3]
	v_and_b32_e32 v3, s47, v3
	v_lshl_or_b32 v3, 1, s38, v3
	v_or_b32_e32 v2, s46, v2
	s_mov_b64 s[34:35], -1
	s_mov_b64 s[80:81], 0
	s_cmp_eq_u32 s8, 0
	s_mov_b64 s[12:13], 0
	s_mov_b64 s[2:3], -1
	s_waitcnt lgkmcnt(0)
	s_barrier
                                        ; implicit-def: $vgpr8
	s_cbranch_scc1 .LBB108_138
; %bb.128:                              ;   in Loop: Header=BB108_6 Depth=1
	v_readlane_b32 s2, v52, 23
	s_add_i32 s2, s8, s2
	v_readlane_b32 s3, v52, 44
	s_mul_hi_u32 s3, s2, s3
	s_mul_i32 s3, s3, s48
	s_sub_i32 s3, s2, s3
	s_sub_i32 s9, s3, s48
	s_cmp_ge_u32 s3, s48
	s_cselect_b32 s3, s9, s3
	s_sub_i32 s9, s3, s48
	s_cmp_ge_u32 s3, s48
	s_cselect_b32 s3, s9, s3
	s_sub_i32 s9, s2, s3
	v_cmp_gt_u32_e32 vcc, s9, v0
	s_mov_b64 s[2:3], 0
                                        ; implicit-def: $vgpr8
	s_and_saveexec_b64 s[18:19], vcc
	s_cbranch_execz .LBB108_137
; %bb.129:                              ;   in Loop: Header=BB108_6 Depth=1
	v_mov_b32_e32 v8, v25
	v_mov_b32_e32 v12, v0
                                        ; implicit-def: $sgpr28_sgpr29
	s_branch .LBB108_132
.LBB108_130:                            ;   in Loop: Header=BB108_132 Depth=2
	s_or_b64 exec, exec, s[40:41]
	s_waitcnt lgkmcnt(0)
	s_barrier
	ds_read_b32 v13, v9 offset:3072
	s_mov_b64 s[24:25], -1
	s_mov_b64 s[40:41], -1
	s_waitcnt lgkmcnt(0)
	s_barrier
	v_and_b32_e32 v14, 0x7fff, v13
	v_cmp_ne_u32_e32 vcc, 0, v14
	s_cbranch_vccz .LBB108_135
.LBB108_131:                            ;   in Loop: Header=BB108_132 Depth=2
	s_and_b64 s[24:25], exec, s[24:25]
	s_or_b64 s[12:13], s[24:25], s[12:13]
	s_andn2_b64 s[24:25], s[28:29], exec
	s_and_b64 s[28:29], s[40:41], exec
	s_or_b64 s[28:29], s[24:25], s[28:29]
	s_andn2_b64 exec, exec, s[12:13]
	s_cbranch_execz .LBB108_136
.LBB108_132:                            ;   Parent Loop BB108_6 Depth=1
                                        ; =>  This Inner Loop Header: Depth=2
	v_cmp_gt_u32_e32 vcc, s8, v12
	s_and_saveexec_b64 s[40:41], vcc
	s_cbranch_execz .LBB108_130
; %bb.133:                              ;   in Loop: Header=BB108_132 Depth=2
	ds_read_u16 v13, v8
	s_waitcnt lgkmcnt(0)
	v_cmp_lt_i16_e32 vcc, -1, v13
	v_cndmask_b32_e32 v14, v41, v42, vcc
	v_lshlrev_b32_e32 v15, 16, v13
	v_cmp_o_f32_e32 vcc, v15, v15
	v_xor_b32_sdwa v14, v14, v13 dst_sel:DWORD dst_unused:UNUSED_PAD src0_sel:DWORD src1_sel:WORD_0
	v_cndmask_b32_e32 v14, v41, v14, vcc
	v_and_b32_e32 v14, v14, v2
	v_cmp_eq_u32_e32 vcc, v14, v3
	s_and_b64 exec, exec, vcc
	s_cbranch_execz .LBB108_130
; %bb.134:                              ;   in Loop: Header=BB108_132 Depth=2
	s_movk_i32 s24, 0x3f80
	v_perm_b32 v13, v13, s24, v44
	ds_write_b32 v9, v13 offset:3072
	s_branch .LBB108_130
.LBB108_135:                            ;   in Loop: Header=BB108_132 Depth=2
	v_add_u32_e32 v12, s48, v12
	v_cmp_le_u32_e32 vcc, s9, v12
	v_add_u32_e32 v8, s10, v8
	s_mov_b64 s[40:41], 0
	s_orn2_b64 s[24:25], vcc, exec
	s_branch .LBB108_131
.LBB108_136:                            ;   in Loop: Header=BB108_6 Depth=1
	s_or_b64 exec, exec, s[12:13]
	v_lshrrev_b32_e32 v8, 16, v13
	s_and_b64 s[12:13], s[28:29], exec
.LBB108_137:                            ;   in Loop: Header=BB108_6 Depth=1
	s_or_b64 exec, exec, s[18:19]
.LBB108_138:                            ;   in Loop: Header=BB108_6 Depth=1
	s_and_b64 vcc, exec, s[2:3]
	s_cbranch_vccz .LBB108_149
; %bb.139:                              ;   in Loop: Header=BB108_6 Depth=1
                                        ; implicit-def: $vgpr8
	s_mov_b64 s[2:3], exec
	v_readlane_b32 s8, v52, 45
	v_readlane_b32 s9, v52, 46
	s_and_b64 s[8:9], s[2:3], s[8:9]
	s_mov_b64 exec, s[8:9]
	s_cbranch_execz .LBB108_148
; %bb.140:                              ;   in Loop: Header=BB108_6 Depth=1
	s_mov_b64 s[18:19], 0
	v_mov_b32_e32 v8, v7
	v_mov_b32_e32 v12, v0
                                        ; implicit-def: $sgpr28_sgpr29
	s_branch .LBB108_143
.LBB108_141:                            ;   in Loop: Header=BB108_143 Depth=2
	s_or_b64 exec, exec, s[34:35]
	s_waitcnt lgkmcnt(0)
	s_barrier
	ds_read_b32 v13, v9 offset:3072
	s_mov_b64 s[24:25], -1
	s_mov_b64 s[34:35], -1
	s_waitcnt lgkmcnt(0)
	s_barrier
	v_and_b32_e32 v14, 0x7fff, v13
	v_cmp_eq_u32_e32 vcc, 0, v14
	s_cbranch_vccnz .LBB108_146
.LBB108_142:                            ;   in Loop: Header=BB108_143 Depth=2
	s_and_b64 s[8:9], exec, s[24:25]
	s_or_b64 s[18:19], s[8:9], s[18:19]
	s_andn2_b64 s[8:9], s[28:29], exec
	s_and_b64 s[24:25], s[34:35], exec
	s_or_b64 s[28:29], s[8:9], s[24:25]
	s_andn2_b64 exec, exec, s[18:19]
	s_cbranch_execz .LBB108_147
.LBB108_143:                            ;   Parent Loop BB108_6 Depth=1
                                        ; =>  This Inner Loop Header: Depth=2
	v_cmp_gt_u32_e32 vcc, s36, v12
	s_and_saveexec_b64 s[34:35], vcc
	s_cbranch_execz .LBB108_141
; %bb.144:                              ;   in Loop: Header=BB108_143 Depth=2
	v_lshlrev_b64 v[13:14], 1, v[8:9]
	v_mov_b32_e32 v15, s44
	v_add_co_u32_e32 v13, vcc, s33, v13
	v_addc_co_u32_e32 v14, vcc, v15, v14, vcc
	global_load_ushort v13, v[13:14], off
	s_waitcnt vmcnt(0)
	v_cmp_lt_i16_e32 vcc, -1, v13
	v_cndmask_b32_e32 v14, v41, v42, vcc
	v_lshlrev_b32_e32 v15, 16, v13
	v_xor_b32_sdwa v14, v14, v13 dst_sel:DWORD dst_unused:UNUSED_PAD src0_sel:DWORD src1_sel:WORD_0
	v_cmp_o_f32_e32 vcc, v15, v15
	v_cndmask_b32_e32 v14, v41, v14, vcc
	v_and_b32_e32 v14, v14, v2
	v_cmp_eq_u32_e32 vcc, v14, v3
	s_and_b64 exec, exec, vcc
	s_cbranch_execz .LBB108_141
; %bb.145:                              ;   in Loop: Header=BB108_143 Depth=2
	s_movk_i32 s8, 0x3f80
	v_perm_b32 v13, v13, s8, v44
	ds_write_b32 v9, v13 offset:3072
	s_branch .LBB108_141
.LBB108_146:                            ;   in Loop: Header=BB108_143 Depth=2
	v_add_u32_e32 v12, s48, v12
	v_cmp_le_u32_e32 vcc, s22, v12
	v_add_u32_e32 v8, s49, v8
	s_mov_b64 s[34:35], 0
	s_orn2_b64 s[24:25], vcc, exec
	s_branch .LBB108_142
.LBB108_147:                            ;   in Loop: Header=BB108_6 Depth=1
	s_or_b64 exec, exec, s[18:19]
	s_andn2_b64 s[8:9], s[12:13], exec
	s_and_b64 s[12:13], s[28:29], exec
	v_lshrrev_b32_e32 v8, 16, v13
	s_or_b64 s[12:13], s[8:9], s[12:13]
.LBB108_148:                            ;   in Loop: Header=BB108_6 Depth=1
	s_or_b64 exec, exec, s[2:3]
	s_mov_b64 s[34:35], 0
	s_mov_b64 s[80:81], -1
.LBB108_149:                            ;   in Loop: Header=BB108_6 Depth=1
	s_orn2_b64 s[2:3], s[12:13], exec
.LBB108_150:                            ;   in Loop: Header=BB108_6 Depth=1
	s_or_b64 exec, exec, s[16:17]
	s_mov_b64 s[12:13], 0
	s_and_saveexec_b64 s[90:91], s[2:3]
	s_cbranch_execz .LBB108_239
; %bb.151:                              ;   in Loop: Header=BB108_6 Depth=1
	s_xor_b64 s[8:9], s[14:15], -1
	v_mov_b32_e32 v12, 1
	v_mov_b32_e32 v1, 1
	s_and_saveexec_b64 s[2:3], s[8:9]
	s_cbranch_execz .LBB108_160
; %bb.152:                              ;   in Loop: Header=BB108_6 Depth=1
	v_cmp_ge_u32_e32 vcc, s94, v4
	s_and_saveexec_b64 s[8:9], vcc
	s_xor_b64 s[12:13], exec, s[8:9]
	s_cbranch_execz .LBB108_157
; %bb.153:                              ;   in Loop: Header=BB108_6 Depth=1
	v_and_b32_e32 v1, s47, v3
	v_lshl_or_b32 v3, 1, s38, v1
	ds_read_b32 v1, v9 offset:4096
	v_or_b32_e32 v2, s46, v2
	s_waitcnt lgkmcnt(0)
	v_cmp_ne_u32_e32 vcc, 0, v1
	s_cbranch_vccnz .LBB108_157
; %bb.154:                              ;   in Loop: Header=BB108_6 Depth=1
	s_mov_b64 s[8:9], exec
	v_readlane_b32 s14, v52, 6
	v_readlane_b32 s15, v52, 7
	s_and_b64 s[14:15], s[8:9], s[14:15]
	s_mov_b64 exec, s[14:15]
; %bb.155:                              ;   in Loop: Header=BB108_6 Depth=1
	v_mov_b32_e32 v1, s94
	ds_write_b32 v9, v1 offset:4100
; %bb.156:                              ;   in Loop: Header=BB108_6 Depth=1
	s_or_b64 exec, exec, s[8:9]
	s_waitcnt lgkmcnt(0)
	s_barrier
.LBB108_157:                            ;   in Loop: Header=BB108_6 Depth=1
	s_or_saveexec_b64 s[12:13], s[12:13]
	s_mov_b64 s[14:15], 0
	v_mov_b32_e32 v1, 8
	s_xor_b64 exec, exec, s[12:13]
; %bb.158:                              ;   in Loop: Header=BB108_6 Depth=1
	s_mov_b64 s[14:15], exec
	v_subrev_u32_e32 v4, s94, v4
	v_mov_b32_e32 v1, 0
; %bb.159:                              ;   in Loop: Header=BB108_6 Depth=1
	s_or_b64 exec, exec, s[12:13]
	s_and_b64 s[12:13], s[14:15], exec
	v_mov_b32_e32 v12, v4
.LBB108_160:                            ;   in Loop: Header=BB108_6 Depth=1
	s_or_b64 exec, exec, s[2:3]
	s_mov_b64 s[2:3], -1
                                        ; implicit-def: $sgpr8_sgpr9
                                        ; kill: killed $sgpr8_sgpr9
                                        ; implicit-def: $sgpr40_sgpr41
	s_and_saveexec_b64 s[92:93], s[12:13]
	s_cbranch_execz .LBB108_238
; %bb.161:                              ;   in Loop: Header=BB108_6 Depth=1
	s_cmp_eq_u32 s95, 1
	s_cselect_b64 s[2:3], -1, 0
	v_cmp_eq_u32_e32 vcc, 1, v12
	s_and_b64 s[14:15], s[2:3], vcc
	s_mov_b64 s[2:3], -1
                                        ; implicit-def: $sgpr40_sgpr41
                                        ; implicit-def: $sgpr8_sgpr9
                                        ; kill: killed $sgpr8_sgpr9
	s_and_saveexec_b64 s[16:17], s[14:15]
	s_cbranch_execz .LBB108_187
; %bb.162:                              ;   in Loop: Header=BB108_6 Depth=1
	ds_read_b32 v4, v9 offset:4096
	s_waitcnt lgkmcnt(0)
	s_barrier
	v_readfirstlane_b32 s8, v4
	s_mov_b64 s[2:3], exec
	v_readlane_b32 s12, v52, 21
	v_readlane_b32 s13, v52, 22
	s_and_b64 s[12:13], s[2:3], s[12:13]
	s_mov_b64 exec, s[12:13]
; %bb.163:                              ;   in Loop: Header=BB108_6 Depth=1
	ds_write_b16 v26, v9
; %bb.164:                              ;   in Loop: Header=BB108_6 Depth=1
	s_or_b64 exec, exec, s[2:3]
	s_mov_b64 s[2:3], -1
	v_and_b32_e32 v3, s47, v3
	v_writelane_b32 v52, s2, 47
	v_lshl_or_b32 v3, 2, s38, v3
	v_or_b32_e32 v2, s46, v2
	v_writelane_b32 v52, s3, 48
	s_mov_b64 s[40:41], 0
	s_cmp_eq_u32 s8, 0
	s_mov_b64 s[12:13], 0
	s_mov_b64 s[2:3], -1
	s_waitcnt lgkmcnt(0)
	s_barrier
                                        ; implicit-def: $vgpr8
	s_cbranch_scc1 .LBB108_175
; %bb.165:                              ;   in Loop: Header=BB108_6 Depth=1
	v_readlane_b32 s2, v52, 23
	s_add_i32 s2, s8, s2
	v_readlane_b32 s3, v52, 44
	s_mul_hi_u32 s3, s2, s3
	s_mul_i32 s3, s3, s48
	s_sub_i32 s3, s2, s3
	s_sub_i32 s9, s3, s48
	s_cmp_ge_u32 s3, s48
	s_cselect_b32 s3, s9, s3
	s_sub_i32 s9, s3, s48
	s_cmp_ge_u32 s3, s48
	s_cselect_b32 s3, s9, s3
	s_sub_i32 s9, s2, s3
	v_cmp_gt_u32_e32 vcc, s9, v0
	s_mov_b64 s[2:3], 0
                                        ; implicit-def: $vgpr8
	s_and_saveexec_b64 s[18:19], vcc
	s_cbranch_execz .LBB108_174
; %bb.166:                              ;   in Loop: Header=BB108_6 Depth=1
	v_mov_b32_e32 v4, v25
	v_mov_b32_e32 v8, v0
                                        ; implicit-def: $sgpr28_sgpr29
	s_branch .LBB108_169
.LBB108_167:                            ;   in Loop: Header=BB108_169 Depth=2
	s_or_b64 exec, exec, s[42:43]
	s_waitcnt lgkmcnt(0)
	s_barrier
	ds_read_b32 v13, v9 offset:3072
	s_mov_b64 s[24:25], -1
	s_mov_b64 s[42:43], -1
	s_waitcnt lgkmcnt(0)
	s_barrier
	v_and_b32_e32 v14, 0x7fff, v13
	v_cmp_ne_u32_e32 vcc, 0, v14
	s_cbranch_vccz .LBB108_172
.LBB108_168:                            ;   in Loop: Header=BB108_169 Depth=2
	s_and_b64 s[24:25], exec, s[24:25]
	s_or_b64 s[12:13], s[24:25], s[12:13]
	s_andn2_b64 s[24:25], s[28:29], exec
	s_and_b64 s[28:29], s[42:43], exec
	s_or_b64 s[28:29], s[24:25], s[28:29]
	s_andn2_b64 exec, exec, s[12:13]
	s_cbranch_execz .LBB108_173
.LBB108_169:                            ;   Parent Loop BB108_6 Depth=1
                                        ; =>  This Inner Loop Header: Depth=2
	v_cmp_gt_u32_e32 vcc, s8, v8
	s_and_saveexec_b64 s[42:43], vcc
	s_cbranch_execz .LBB108_167
; %bb.170:                              ;   in Loop: Header=BB108_169 Depth=2
	ds_read_u16 v13, v4
	s_waitcnt lgkmcnt(0)
	v_cmp_lt_i16_e32 vcc, -1, v13
	v_cndmask_b32_e32 v14, v41, v42, vcc
	v_lshlrev_b32_e32 v15, 16, v13
	v_cmp_o_f32_e32 vcc, v15, v15
	v_xor_b32_sdwa v14, v14, v13 dst_sel:DWORD dst_unused:UNUSED_PAD src0_sel:DWORD src1_sel:WORD_0
	v_cndmask_b32_e32 v14, v41, v14, vcc
	v_and_b32_e32 v14, v14, v2
	v_cmp_eq_u32_e32 vcc, v14, v3
	s_and_b64 exec, exec, vcc
	s_cbranch_execz .LBB108_167
; %bb.171:                              ;   in Loop: Header=BB108_169 Depth=2
	s_movk_i32 s24, 0x3f80
	v_perm_b32 v13, v13, s24, v44
	ds_write_b32 v9, v13 offset:3072
	s_branch .LBB108_167
.LBB108_172:                            ;   in Loop: Header=BB108_169 Depth=2
	v_add_u32_e32 v8, s48, v8
	v_cmp_le_u32_e32 vcc, s9, v8
	v_add_u32_e32 v4, s10, v4
	s_mov_b64 s[42:43], 0
	s_orn2_b64 s[24:25], vcc, exec
	s_branch .LBB108_168
.LBB108_173:                            ;   in Loop: Header=BB108_6 Depth=1
	s_or_b64 exec, exec, s[12:13]
	v_lshrrev_b32_e32 v8, 16, v13
	s_and_b64 s[12:13], s[28:29], exec
.LBB108_174:                            ;   in Loop: Header=BB108_6 Depth=1
	s_or_b64 exec, exec, s[18:19]
.LBB108_175:                            ;   in Loop: Header=BB108_6 Depth=1
	s_and_b64 vcc, exec, s[2:3]
	s_cbranch_vccz .LBB108_186
; %bb.176:                              ;   in Loop: Header=BB108_6 Depth=1
                                        ; implicit-def: $vgpr8
	s_mov_b64 s[2:3], exec
	v_readlane_b32 s8, v52, 45
	v_readlane_b32 s9, v52, 46
	s_and_b64 s[8:9], s[2:3], s[8:9]
	s_mov_b64 exec, s[8:9]
	s_cbranch_execz .LBB108_185
; %bb.177:                              ;   in Loop: Header=BB108_6 Depth=1
	s_mov_b64 s[18:19], 0
	v_mov_b32_e32 v8, v7
	v_mov_b32_e32 v4, v0
                                        ; implicit-def: $sgpr28_sgpr29
	s_branch .LBB108_180
.LBB108_178:                            ;   in Loop: Header=BB108_180 Depth=2
	s_or_b64 exec, exec, s[40:41]
	s_waitcnt lgkmcnt(0)
	s_barrier
	ds_read_b32 v13, v9 offset:3072
	s_mov_b64 s[24:25], -1
	s_mov_b64 s[40:41], -1
	s_waitcnt lgkmcnt(0)
	s_barrier
	v_and_b32_e32 v14, 0x7fff, v13
	v_cmp_eq_u32_e32 vcc, 0, v14
	s_cbranch_vccnz .LBB108_183
.LBB108_179:                            ;   in Loop: Header=BB108_180 Depth=2
	s_and_b64 s[8:9], exec, s[24:25]
	s_or_b64 s[18:19], s[8:9], s[18:19]
	s_andn2_b64 s[8:9], s[28:29], exec
	s_and_b64 s[24:25], s[40:41], exec
	s_or_b64 s[28:29], s[8:9], s[24:25]
	s_andn2_b64 exec, exec, s[18:19]
	s_cbranch_execz .LBB108_184
.LBB108_180:                            ;   Parent Loop BB108_6 Depth=1
                                        ; =>  This Inner Loop Header: Depth=2
	v_cmp_gt_u32_e32 vcc, s36, v4
	s_and_saveexec_b64 s[40:41], vcc
	s_cbranch_execz .LBB108_178
; %bb.181:                              ;   in Loop: Header=BB108_180 Depth=2
	v_lshlrev_b64 v[13:14], 1, v[8:9]
	v_mov_b32_e32 v15, s44
	v_add_co_u32_e32 v13, vcc, s33, v13
	v_addc_co_u32_e32 v14, vcc, v15, v14, vcc
	global_load_ushort v13, v[13:14], off
	s_waitcnt vmcnt(0)
	v_cmp_lt_i16_e32 vcc, -1, v13
	v_cndmask_b32_e32 v14, v41, v42, vcc
	v_lshlrev_b32_e32 v15, 16, v13
	v_xor_b32_sdwa v14, v14, v13 dst_sel:DWORD dst_unused:UNUSED_PAD src0_sel:DWORD src1_sel:WORD_0
	v_cmp_o_f32_e32 vcc, v15, v15
	v_cndmask_b32_e32 v14, v41, v14, vcc
	v_and_b32_e32 v14, v14, v2
	v_cmp_eq_u32_e32 vcc, v14, v3
	s_and_b64 exec, exec, vcc
	s_cbranch_execz .LBB108_178
; %bb.182:                              ;   in Loop: Header=BB108_180 Depth=2
	s_movk_i32 s8, 0x3f80
	v_perm_b32 v13, v13, s8, v44
	ds_write_b32 v9, v13 offset:3072
	s_branch .LBB108_178
.LBB108_183:                            ;   in Loop: Header=BB108_180 Depth=2
	v_add_u32_e32 v4, s48, v4
	v_cmp_le_u32_e32 vcc, s22, v4
	v_add_u32_e32 v8, s49, v8
	s_mov_b64 s[40:41], 0
	s_orn2_b64 s[24:25], vcc, exec
	s_branch .LBB108_179
.LBB108_184:                            ;   in Loop: Header=BB108_6 Depth=1
	s_or_b64 exec, exec, s[18:19]
	s_andn2_b64 s[8:9], s[12:13], exec
	s_and_b64 s[12:13], s[28:29], exec
	v_lshrrev_b32_e32 v8, 16, v13
	s_or_b64 s[12:13], s[8:9], s[12:13]
.LBB108_185:                            ;   in Loop: Header=BB108_6 Depth=1
	s_or_b64 exec, exec, s[2:3]
	s_mov_b64 s[2:3], 0
	v_writelane_b32 v52, s2, 47
	s_mov_b64 s[40:41], -1
	v_writelane_b32 v52, s3, 48
.LBB108_186:                            ;   in Loop: Header=BB108_6 Depth=1
	s_orn2_b64 s[2:3], s[12:13], exec
.LBB108_187:                            ;   in Loop: Header=BB108_6 Depth=1
	s_or_b64 exec, exec, s[16:17]
	s_mov_b64 s[12:13], 0
	s_and_saveexec_b64 s[42:43], s[2:3]
	s_cbranch_execz .LBB108_237
; %bb.188:                              ;   in Loop: Header=BB108_6 Depth=1
	s_xor_b64 s[8:9], s[14:15], -1
	v_mov_b32_e32 v4, 1
	v_mov_b32_e32 v1, 1
	s_and_saveexec_b64 s[2:3], s[8:9]
	s_cbranch_execz .LBB108_197
; %bb.189:                              ;   in Loop: Header=BB108_6 Depth=1
	v_cmp_ge_u32_e32 vcc, s95, v12
	s_and_saveexec_b64 s[8:9], vcc
	s_xor_b64 s[12:13], exec, s[8:9]
	s_cbranch_execz .LBB108_194
; %bb.190:                              ;   in Loop: Header=BB108_6 Depth=1
	v_and_b32_e32 v1, s47, v3
	v_lshl_or_b32 v3, 2, s38, v1
	ds_read_b32 v1, v9 offset:4096
	v_or_b32_e32 v2, s46, v2
	s_waitcnt lgkmcnt(0)
	v_cmp_ne_u32_e32 vcc, 0, v1
	s_cbranch_vccnz .LBB108_194
; %bb.191:                              ;   in Loop: Header=BB108_6 Depth=1
	s_mov_b64 s[8:9], exec
	v_readlane_b32 s14, v52, 6
	v_readlane_b32 s15, v52, 7
	s_and_b64 s[14:15], s[8:9], s[14:15]
	s_mov_b64 exec, s[14:15]
; %bb.192:                              ;   in Loop: Header=BB108_6 Depth=1
	v_mov_b32_e32 v1, s95
	ds_write_b32 v9, v1 offset:4100
; %bb.193:                              ;   in Loop: Header=BB108_6 Depth=1
	s_or_b64 exec, exec, s[8:9]
	s_waitcnt lgkmcnt(0)
	s_barrier
.LBB108_194:                            ;   in Loop: Header=BB108_6 Depth=1
	s_or_saveexec_b64 s[12:13], s[12:13]
	s_mov_b64 s[14:15], 0
	v_mov_b32_e32 v1, 8
	s_xor_b64 exec, exec, s[12:13]
; %bb.195:                              ;   in Loop: Header=BB108_6 Depth=1
	s_mov_b64 s[14:15], exec
	v_subrev_u32_e32 v12, s95, v12
	v_mov_b32_e32 v1, 0
; %bb.196:                              ;   in Loop: Header=BB108_6 Depth=1
	s_or_b64 exec, exec, s[12:13]
	s_and_b64 s[12:13], s[14:15], exec
	v_mov_b32_e32 v4, v12
.LBB108_197:                            ;   in Loop: Header=BB108_6 Depth=1
	s_or_b64 exec, exec, s[2:3]
	s_mov_b64 s[2:3], -1
                                        ; implicit-def: $sgpr28_sgpr29
                                        ; implicit-def: $sgpr18_sgpr19
	s_and_saveexec_b64 s[14:15], s[12:13]
	s_cbranch_execz .LBB108_236
; %bb.198:                              ;   in Loop: Header=BB108_6 Depth=1
	s_cmp_eq_u32 s11, 1
	s_cselect_b64 s[2:3], -1, 0
	v_cmp_eq_u32_e32 vcc, 1, v4
	s_mov_b64 s[52:53], -1
	s_and_b64 s[2:3], s[2:3], vcc
                                        ; implicit-def: $sgpr28_sgpr29
                                        ; implicit-def: $sgpr18_sgpr19
	s_mov_b64 s[12:13], exec
	v_writelane_b32 v52, s2, 49
	v_writelane_b32 v52, s3, 50
	s_and_b64 s[2:3], s[12:13], s[2:3]
	s_mov_b64 exec, s[2:3]
	s_cbranch_execz .LBB108_224
; %bb.199:                              ;   in Loop: Header=BB108_6 Depth=1
	ds_read_b32 v8, v9 offset:4096
	s_waitcnt lgkmcnt(0)
	s_barrier
	v_readfirstlane_b32 s16, v8
	s_mov_b64 s[2:3], exec
	v_readlane_b32 s8, v52, 21
	v_readlane_b32 s9, v52, 22
	s_and_b64 s[8:9], s[2:3], s[8:9]
	s_mov_b64 exec, s[8:9]
; %bb.200:                              ;   in Loop: Header=BB108_6 Depth=1
	ds_write_b16 v26, v9
; %bb.201:                              ;   in Loop: Header=BB108_6 Depth=1
	s_or_b64 exec, exec, s[2:3]
	v_or_b32_e32 v3, s46, v3
	v_or_b32_e32 v2, s46, v2
	s_mov_b64 s[18:19], -1
	s_mov_b64 s[28:29], 0
	s_cmp_eq_u32 s16, 0
	s_mov_b64 s[2:3], 0
	s_waitcnt lgkmcnt(0)
	s_barrier
                                        ; implicit-def: $vgpr8
	s_cbranch_scc1 .LBB108_212
; %bb.202:                              ;   in Loop: Header=BB108_6 Depth=1
	v_readlane_b32 s2, v52, 23
	s_add_i32 s2, s16, s2
	v_readlane_b32 s3, v52, 44
	s_mul_hi_u32 s3, s2, s3
	s_mul_i32 s3, s3, s48
	s_sub_i32 s3, s2, s3
	s_sub_i32 s8, s3, s48
	s_cmp_ge_u32 s3, s48
	s_cselect_b32 s3, s8, s3
	s_sub_i32 s8, s3, s48
	s_cmp_ge_u32 s3, s48
	s_cselect_b32 s3, s8, s3
	s_sub_i32 s17, s2, s3
	v_cmp_gt_u32_e32 vcc, s17, v0
	s_mov_b64 s[52:53], 0
	s_mov_b64 s[2:3], 0
                                        ; implicit-def: $vgpr8
	s_and_saveexec_b64 s[54:55], vcc
	s_cbranch_execz .LBB108_211
; %bb.203:                              ;   in Loop: Header=BB108_6 Depth=1
	v_mov_b32_e32 v8, v25
	v_mov_b32_e32 v12, v0
                                        ; implicit-def: $sgpr56_sgpr57
	s_branch .LBB108_206
.LBB108_204:                            ;   in Loop: Header=BB108_206 Depth=2
	s_or_b64 exec, exec, s[24:25]
	s_waitcnt lgkmcnt(0)
	s_barrier
	ds_read_b32 v13, v9 offset:3072
	s_mov_b64 s[24:25], -1
	s_mov_b64 s[8:9], -1
	s_waitcnt lgkmcnt(0)
	s_barrier
	v_and_b32_e32 v14, 0x7fff, v13
	v_cmp_ne_u32_e32 vcc, 0, v14
	s_cbranch_vccz .LBB108_209
.LBB108_205:                            ;   in Loop: Header=BB108_206 Depth=2
	s_and_b64 s[24:25], exec, s[24:25]
	s_or_b64 s[2:3], s[24:25], s[2:3]
	s_andn2_b64 s[24:25], s[56:57], exec
	s_and_b64 s[8:9], s[8:9], exec
	s_or_b64 s[56:57], s[24:25], s[8:9]
	s_andn2_b64 exec, exec, s[2:3]
	s_cbranch_execz .LBB108_210
.LBB108_206:                            ;   Parent Loop BB108_6 Depth=1
                                        ; =>  This Inner Loop Header: Depth=2
	v_cmp_gt_u32_e32 vcc, s16, v12
	s_and_saveexec_b64 s[24:25], vcc
	s_cbranch_execz .LBB108_204
; %bb.207:                              ;   in Loop: Header=BB108_206 Depth=2
	ds_read_u16 v13, v8
	s_waitcnt lgkmcnt(0)
	v_cmp_lt_i16_e32 vcc, -1, v13
	v_cndmask_b32_e32 v14, v41, v42, vcc
	v_lshlrev_b32_e32 v15, 16, v13
	v_cmp_o_f32_e32 vcc, v15, v15
	v_xor_b32_sdwa v14, v14, v13 dst_sel:DWORD dst_unused:UNUSED_PAD src0_sel:DWORD src1_sel:WORD_0
	v_cndmask_b32_e32 v14, v41, v14, vcc
	v_and_b32_e32 v14, v14, v2
	v_cmp_eq_u32_e32 vcc, v14, v3
	s_and_b64 exec, exec, vcc
	s_cbranch_execz .LBB108_204
; %bb.208:                              ;   in Loop: Header=BB108_206 Depth=2
	s_movk_i32 s8, 0x3f80
	v_perm_b32 v13, v13, s8, v44
	ds_write_b32 v9, v13 offset:3072
	s_branch .LBB108_204
.LBB108_209:                            ;   in Loop: Header=BB108_206 Depth=2
	v_add_u32_e32 v12, s48, v12
	v_cmp_le_u32_e32 vcc, s17, v12
	v_add_u32_e32 v8, s10, v8
	s_mov_b64 s[8:9], 0
	s_orn2_b64 s[24:25], vcc, exec
	s_branch .LBB108_205
.LBB108_210:                            ;   in Loop: Header=BB108_6 Depth=1
	s_or_b64 exec, exec, s[2:3]
	v_lshrrev_b32_e32 v8, 16, v13
	s_and_b64 s[2:3], s[56:57], exec
.LBB108_211:                            ;   in Loop: Header=BB108_6 Depth=1
	s_or_b64 exec, exec, s[54:55]
.LBB108_212:                            ;   in Loop: Header=BB108_6 Depth=1
	s_and_b64 vcc, exec, s[52:53]
	s_cbranch_vccz .LBB108_223
; %bb.213:                              ;   in Loop: Header=BB108_6 Depth=1
                                        ; implicit-def: $vgpr8
	s_mov_b64 s[18:19], exec
	v_readlane_b32 s8, v52, 45
	v_readlane_b32 s9, v52, 46
	s_and_b64 s[8:9], s[18:19], s[8:9]
	s_mov_b64 exec, s[8:9]
	s_cbranch_execz .LBB108_222
; %bb.214:                              ;   in Loop: Header=BB108_6 Depth=1
	s_mov_b64 s[28:29], 0
	v_mov_b32_e32 v8, v7
	v_mov_b32_e32 v12, v0
                                        ; implicit-def: $sgpr52_sgpr53
	s_branch .LBB108_217
.LBB108_215:                            ;   in Loop: Header=BB108_217 Depth=2
	s_or_b64 exec, exec, s[54:55]
	s_waitcnt lgkmcnt(0)
	s_barrier
	ds_read_b32 v13, v9 offset:3072
	s_mov_b64 s[24:25], -1
	s_mov_b64 s[8:9], -1
	s_waitcnt lgkmcnt(0)
	s_barrier
	v_and_b32_e32 v14, 0x7fff, v13
	v_cmp_eq_u32_e32 vcc, 0, v14
	s_cbranch_vccnz .LBB108_220
.LBB108_216:                            ;   in Loop: Header=BB108_217 Depth=2
	s_and_b64 s[16:17], exec, s[24:25]
	s_or_b64 s[28:29], s[16:17], s[28:29]
	s_andn2_b64 s[16:17], s[52:53], exec
	s_and_b64 s[8:9], s[8:9], exec
	s_or_b64 s[52:53], s[16:17], s[8:9]
	s_andn2_b64 exec, exec, s[28:29]
	s_cbranch_execz .LBB108_221
.LBB108_217:                            ;   Parent Loop BB108_6 Depth=1
                                        ; =>  This Inner Loop Header: Depth=2
	v_cmp_gt_u32_e32 vcc, s36, v12
	s_and_saveexec_b64 s[54:55], vcc
	s_cbranch_execz .LBB108_215
; %bb.218:                              ;   in Loop: Header=BB108_217 Depth=2
	v_lshlrev_b64 v[13:14], 1, v[8:9]
	v_mov_b32_e32 v15, s44
	v_add_co_u32_e32 v13, vcc, s33, v13
	v_addc_co_u32_e32 v14, vcc, v15, v14, vcc
	global_load_ushort v13, v[13:14], off
	s_waitcnt vmcnt(0)
	v_cmp_lt_i16_e32 vcc, -1, v13
	v_cndmask_b32_e32 v14, v41, v42, vcc
	v_lshlrev_b32_e32 v15, 16, v13
	v_xor_b32_sdwa v14, v14, v13 dst_sel:DWORD dst_unused:UNUSED_PAD src0_sel:DWORD src1_sel:WORD_0
	v_cmp_o_f32_e32 vcc, v15, v15
	v_cndmask_b32_e32 v14, v41, v14, vcc
	v_and_b32_e32 v14, v14, v2
	v_cmp_eq_u32_e32 vcc, v14, v3
	s_and_b64 exec, exec, vcc
	s_cbranch_execz .LBB108_215
; %bb.219:                              ;   in Loop: Header=BB108_217 Depth=2
	s_movk_i32 s8, 0x3f80
	v_perm_b32 v13, v13, s8, v44
	ds_write_b32 v9, v13 offset:3072
	s_branch .LBB108_215
.LBB108_220:                            ;   in Loop: Header=BB108_217 Depth=2
	v_add_u32_e32 v12, s48, v12
	v_cmp_le_u32_e32 vcc, s22, v12
	v_add_u32_e32 v8, s49, v8
	s_mov_b64 s[8:9], 0
	s_orn2_b64 s[24:25], vcc, exec
	s_branch .LBB108_216
.LBB108_221:                            ;   in Loop: Header=BB108_6 Depth=1
	s_or_b64 exec, exec, s[28:29]
	s_andn2_b64 s[2:3], s[2:3], exec
	s_and_b64 s[8:9], s[52:53], exec
	v_lshrrev_b32_e32 v8, 16, v13
	s_or_b64 s[2:3], s[2:3], s[8:9]
.LBB108_222:                            ;   in Loop: Header=BB108_6 Depth=1
	s_or_b64 exec, exec, s[18:19]
	s_mov_b64 s[18:19], 0
	s_mov_b64 s[28:29], -1
.LBB108_223:                            ;   in Loop: Header=BB108_6 Depth=1
	s_orn2_b64 s[52:53], s[2:3], exec
.LBB108_224:                            ;   in Loop: Header=BB108_6 Depth=1
	s_or_b64 exec, exec, s[12:13]
	s_mov_b64 s[12:13], 0
	s_and_saveexec_b64 s[2:3], s[52:53]
	s_cbranch_execz .LBB108_235
; %bb.225:                              ;   in Loop: Header=BB108_6 Depth=1
	v_readlane_b32 s8, v52, 49
	v_readlane_b32 s9, v52, 50
	s_xor_b64 s[8:9], s[8:9], -1
	v_mov_b32_e32 v1, 1
	v_mov_b32_e32 v12, 1
	s_and_saveexec_b64 s[12:13], s[8:9]
	s_cbranch_execz .LBB108_234
; %bb.226:                              ;   in Loop: Header=BB108_6 Depth=1
	v_cmp_ge_u32_e32 vcc, s11, v4
	s_and_saveexec_b64 s[8:9], vcc
	s_xor_b64 s[16:17], exec, s[8:9]
	s_cbranch_execz .LBB108_231
; %bb.227:                              ;   in Loop: Header=BB108_6 Depth=1
	ds_read_b32 v1, v9 offset:4096
	v_or_b32_e32 v3, s46, v3
	v_or_b32_e32 v2, s46, v2
	s_waitcnt lgkmcnt(0)
	v_cmp_ne_u32_e32 vcc, 0, v1
	s_cbranch_vccnz .LBB108_231
; %bb.228:                              ;   in Loop: Header=BB108_6 Depth=1
	s_mov_b64 s[8:9], exec
	v_readlane_b32 s24, v52, 6
	v_readlane_b32 s25, v52, 7
	s_and_b64 s[24:25], s[8:9], s[24:25]
	s_mov_b64 exec, s[24:25]
; %bb.229:                              ;   in Loop: Header=BB108_6 Depth=1
	v_mov_b32_e32 v1, s11
	ds_write_b32 v9, v1 offset:4100
; %bb.230:                              ;   in Loop: Header=BB108_6 Depth=1
	s_or_b64 exec, exec, s[8:9]
	s_waitcnt lgkmcnt(0)
	s_barrier
.LBB108_231:                            ;   in Loop: Header=BB108_6 Depth=1
	s_andn2_saveexec_b64 s[16:17], s[16:17]
; %bb.232:                              ;   in Loop: Header=BB108_6 Depth=1
	v_subrev_u32_e32 v4, s11, v4
; %bb.233:                              ;   in Loop: Header=BB108_6 Depth=1
	s_or_b64 exec, exec, s[16:17]
	v_mov_b32_e32 v1, 8
	v_mov_b32_e32 v12, v4
.LBB108_234:                            ;   in Loop: Header=BB108_6 Depth=1
	s_or_b64 exec, exec, s[12:13]
	s_mov_b64 s[12:13], exec
	v_mov_b32_e32 v4, v12
.LBB108_235:                            ;   in Loop: Header=BB108_6 Depth=1
	s_or_b64 exec, exec, s[2:3]
	s_orn2_b64 s[2:3], s[12:13], exec
.LBB108_236:                            ;   in Loop: Header=BB108_6 Depth=1
	s_or_b64 exec, exec, s[14:15]
	s_andn2_b64 s[8:9], s[40:41], exec
	s_and_b64 s[12:13], s[28:29], exec
	s_or_b64 s[40:41], s[8:9], s[12:13]
	v_readlane_b32 s8, v52, 47
	v_readlane_b32 s9, v52, 48
	s_andn2_b64 s[8:9], s[8:9], exec
	s_and_b64 s[12:13], s[18:19], exec
	s_or_b64 s[8:9], s[8:9], s[12:13]
	v_writelane_b32 v52, s8, 47
	s_and_b64 s[12:13], s[2:3], exec
	v_mov_b32_e32 v12, v4
	v_writelane_b32 v52, s9, 48
.LBB108_237:                            ;   in Loop: Header=BB108_6 Depth=1
	s_or_b64 exec, exec, s[42:43]
	s_orn2_b64 s[2:3], s[12:13], exec
.LBB108_238:                            ;   in Loop: Header=BB108_6 Depth=1
	s_or_b64 exec, exec, s[92:93]
	s_andn2_b64 s[8:9], s[80:81], exec
	s_and_b64 s[12:13], s[40:41], exec
	s_or_b64 s[80:81], s[8:9], s[12:13]
	v_readlane_b32 s12, v52, 47
	v_readlane_b32 s13, v52, 48
	s_andn2_b64 s[8:9], s[34:35], exec
	s_and_b64 s[12:13], s[12:13], exec
	s_or_b64 s[34:35], s[8:9], s[12:13]
	s_and_b64 s[12:13], s[2:3], exec
	v_mov_b32_e32 v4, v12
.LBB108_239:                            ;   in Loop: Header=BB108_6 Depth=1
	s_or_b64 exec, exec, s[90:91]
	s_orn2_b64 s[2:3], s[12:13], exec
.LBB108_240:                            ;   in Loop: Header=BB108_6 Depth=1
	s_or_b64 exec, exec, s[6:7]
	s_mov_b64 s[6:7], 0
	s_mov_b64 s[12:13], 0
	s_and_saveexec_b64 s[8:9], s[2:3]
	s_xor_b64 s[2:3], exec, s[8:9]
; %bb.241:                              ;   in Loop: Header=BB108_6 Depth=1
	v_cmp_eq_u32_e32 vcc, 8, v1
	v_cmp_ne_u32_e64 s[6:7], 8, v1
	s_and_b64 s[12:13], s[6:7], exec
	s_and_b64 s[6:7], vcc, exec
; %bb.242:                              ;   in Loop: Header=BB108_6 Depth=1
	s_or_b64 exec, exec, s[2:3]
	s_andn2_b64 s[2:3], s[84:85], exec
	s_and_b64 s[8:9], s[80:81], exec
	s_or_b64 s[84:85], s[2:3], s[8:9]
	s_andn2_b64 s[2:3], s[82:83], exec
	s_and_b64 s[8:9], s[34:35], exec
	s_or_b64 s[82:83], s[2:3], s[8:9]
	s_and_b64 s[34:35], s[12:13], exec
	s_and_b64 s[80:81], s[6:7], exec
.LBB108_243:                            ;   in Loop: Header=BB108_6 Depth=1
	s_or_b64 exec, exec, s[88:89]
.LBB108_244:                            ;   in Loop: Header=BB108_6 Depth=1
	s_and_b64 vcc, exec, s[86:87]
	s_cbranch_vccz .LBB108_257
; %bb.245:                              ;   in Loop: Header=BB108_6 Depth=1
	s_cmp_eq_u32 s11, 1
	s_cselect_b64 s[2:3], -1, 0
	s_and_b64 s[6:7], s[2:3], s[26:27]
	s_mov_b64 s[2:3], -1
                                        ; implicit-def: $sgpr26_sgpr27
                                        ; implicit-def: $sgpr30_sgpr31
	s_and_saveexec_b64 s[14:15], s[6:7]
	s_cbranch_execz .LBB108_272
; %bb.246:                              ;   in Loop: Header=BB108_6 Depth=1
	ds_read_b32 v1, v9 offset:4096
	s_waitcnt lgkmcnt(0)
	s_barrier
	v_readfirstlane_b32 s40, v1
	s_mov_b64 s[2:3], exec
	v_readlane_b32 s8, v52, 21
	v_readlane_b32 s9, v52, 22
	s_and_b64 s[8:9], s[2:3], s[8:9]
	s_mov_b64 exec, s[8:9]
; %bb.247:                              ;   in Loop: Header=BB108_6 Depth=1
	ds_write_b16 v26, v9
; %bb.248:                              ;   in Loop: Header=BB108_6 Depth=1
	s_or_b64 exec, exec, s[2:3]
	v_or_b32_e32 v37, s46, v37
	v_or_b32_e32 v45, s46, v45
	s_mov_b64 s[30:31], -1
	s_mov_b64 s[26:27], 0
	s_cmp_eq_u32 s40, 0
	s_mov_b64 s[12:13], 0
	s_mov_b64 s[2:3], -1
	s_waitcnt lgkmcnt(0)
	s_barrier
                                        ; implicit-def: $vgpr46
	s_cbranch_scc1 .LBB108_260
; %bb.249:                              ;   in Loop: Header=BB108_6 Depth=1
	v_readlane_b32 s2, v52, 23
	s_add_i32 s2, s40, s2
	v_readlane_b32 s3, v52, 44
	s_mul_hi_u32 s3, s2, s3
	s_mul_i32 s3, s3, s48
	s_sub_i32 s3, s2, s3
	s_sub_i32 s8, s3, s48
	s_cmp_ge_u32 s3, s48
	s_cselect_b32 s3, s8, s3
	s_sub_i32 s8, s3, s48
	s_cmp_ge_u32 s3, s48
	s_cselect_b32 s3, s8, s3
	s_sub_i32 s41, s2, s3
	v_cmp_gt_u32_e32 vcc, s41, v0
	s_mov_b64 s[2:3], 0
                                        ; implicit-def: $vgpr46
	s_and_saveexec_b64 s[16:17], vcc
	s_cbranch_execz .LBB108_259
; %bb.250:                              ;   in Loop: Header=BB108_6 Depth=1
	v_mov_b32_e32 v1, v25
	v_mov_b32_e32 v2, v0
                                        ; implicit-def: $sgpr18_sgpr19
	s_branch .LBB108_253
.LBB108_251:                            ;   in Loop: Header=BB108_253 Depth=2
	s_or_b64 exec, exec, s[28:29]
	s_waitcnt lgkmcnt(0)
	s_barrier
	ds_read_b32 v3, v9 offset:3072
	s_mov_b64 s[24:25], -1
	s_mov_b64 s[8:9], -1
	s_waitcnt lgkmcnt(0)
	s_barrier
	v_and_b32_e32 v4, 0x7fff, v3
	v_cmp_ne_u32_e32 vcc, 0, v4
	s_cbranch_vccz .LBB108_256
.LBB108_252:                            ;   in Loop: Header=BB108_253 Depth=2
	s_and_b64 s[24:25], exec, s[24:25]
	s_or_b64 s[12:13], s[24:25], s[12:13]
	s_andn2_b64 s[18:19], s[18:19], exec
	s_and_b64 s[8:9], s[8:9], exec
	s_or_b64 s[18:19], s[18:19], s[8:9]
	s_andn2_b64 exec, exec, s[12:13]
	s_cbranch_execz .LBB108_258
.LBB108_253:                            ;   Parent Loop BB108_6 Depth=1
                                        ; =>  This Inner Loop Header: Depth=2
	v_cmp_gt_u32_e32 vcc, s40, v2
	s_and_saveexec_b64 s[28:29], vcc
	s_cbranch_execz .LBB108_251
; %bb.254:                              ;   in Loop: Header=BB108_253 Depth=2
	ds_read_u16 v3, v1
	s_waitcnt lgkmcnt(0)
	v_cmp_lt_i16_e32 vcc, -1, v3
	v_cndmask_b32_e32 v4, v41, v42, vcc
	v_lshlrev_b32_e32 v8, 16, v3
	v_cmp_o_f32_e32 vcc, v8, v8
	v_xor_b32_sdwa v4, v4, v3 dst_sel:DWORD dst_unused:UNUSED_PAD src0_sel:DWORD src1_sel:WORD_0
	v_cndmask_b32_e32 v4, v41, v4, vcc
	v_and_b32_e32 v4, v4, v45
	v_cmp_eq_u32_e32 vcc, v4, v37
	s_and_b64 exec, exec, vcc
	s_cbranch_execz .LBB108_251
; %bb.255:                              ;   in Loop: Header=BB108_253 Depth=2
	s_movk_i32 s8, 0x3f80
	v_perm_b32 v3, v3, s8, v44
	ds_write_b32 v9, v3 offset:3072
	s_branch .LBB108_251
.LBB108_256:                            ;   in Loop: Header=BB108_253 Depth=2
	v_add_u32_e32 v2, s48, v2
	v_cmp_le_u32_e32 vcc, s41, v2
	v_add_u32_e32 v1, s10, v1
	s_mov_b64 s[8:9], 0
	s_orn2_b64 s[24:25], vcc, exec
	s_branch .LBB108_252
.LBB108_257:                            ;   in Loop: Header=BB108_6 Depth=1
	s_mov_b64 s[26:27], 0
	v_mov_b32_e32 v37, v3
	v_mov_b32_e32 v45, v2
	;; [unrolled: 1-line block ×3, first 2 shown]
	s_and_saveexec_b64 s[2:3], s[80:81]
	s_cbranch_execnz .LBB108_403
	s_branch .LBB108_404
.LBB108_258:                            ;   in Loop: Header=BB108_6 Depth=1
	s_or_b64 exec, exec, s[12:13]
	v_lshrrev_b32_e32 v46, 16, v3
	s_and_b64 s[12:13], s[18:19], exec
.LBB108_259:                            ;   in Loop: Header=BB108_6 Depth=1
	s_or_b64 exec, exec, s[16:17]
.LBB108_260:                            ;   in Loop: Header=BB108_6 Depth=1
	s_and_b64 vcc, exec, s[2:3]
	s_cbranch_vccz .LBB108_271
; %bb.261:                              ;   in Loop: Header=BB108_6 Depth=1
                                        ; implicit-def: $vgpr46
	s_mov_b64 s[2:3], exec
	v_readlane_b32 s8, v52, 45
	v_readlane_b32 s9, v52, 46
	s_and_b64 s[8:9], s[2:3], s[8:9]
	s_mov_b64 exec, s[8:9]
	s_cbranch_execz .LBB108_270
; %bb.262:                              ;   in Loop: Header=BB108_6 Depth=1
	s_mov_b64 s[16:17], 0
	v_mov_b32_e32 v8, v7
	v_mov_b32_e32 v1, v0
                                        ; implicit-def: $sgpr18_sgpr19
	s_branch .LBB108_265
.LBB108_263:                            ;   in Loop: Header=BB108_265 Depth=2
	s_or_b64 exec, exec, s[26:27]
	s_waitcnt lgkmcnt(0)
	s_barrier
	ds_read_b32 v2, v9 offset:3072
	s_mov_b64 s[24:25], -1
	s_mov_b64 s[8:9], -1
	s_waitcnt lgkmcnt(0)
	s_barrier
	v_and_b32_e32 v3, 0x7fff, v2
	v_cmp_ne_u32_e32 vcc, 0, v3
	s_cbranch_vccz .LBB108_268
.LBB108_264:                            ;   in Loop: Header=BB108_265 Depth=2
	s_and_b64 s[24:25], exec, s[24:25]
	s_or_b64 s[16:17], s[24:25], s[16:17]
	s_andn2_b64 s[18:19], s[18:19], exec
	s_and_b64 s[8:9], s[8:9], exec
	s_or_b64 s[18:19], s[18:19], s[8:9]
	s_andn2_b64 exec, exec, s[16:17]
	s_cbranch_execz .LBB108_269
.LBB108_265:                            ;   Parent Loop BB108_6 Depth=1
                                        ; =>  This Inner Loop Header: Depth=2
	v_cmp_gt_u32_e32 vcc, s36, v1
	s_and_saveexec_b64 s[26:27], vcc
	s_cbranch_execz .LBB108_263
; %bb.266:                              ;   in Loop: Header=BB108_265 Depth=2
	v_lshlrev_b64 v[2:3], 1, v[8:9]
	v_mov_b32_e32 v4, s44
	v_add_co_u32_e32 v2, vcc, s33, v2
	v_addc_co_u32_e32 v3, vcc, v4, v3, vcc
	global_load_ushort v2, v[2:3], off
	s_waitcnt vmcnt(0)
	v_cmp_lt_i16_e32 vcc, -1, v2
	v_cndmask_b32_e32 v3, v41, v42, vcc
	v_lshlrev_b32_e32 v4, 16, v2
	v_xor_b32_sdwa v3, v3, v2 dst_sel:DWORD dst_unused:UNUSED_PAD src0_sel:DWORD src1_sel:WORD_0
	v_cmp_o_f32_e32 vcc, v4, v4
	v_cndmask_b32_e32 v3, v41, v3, vcc
	v_and_b32_e32 v3, v3, v45
	v_cmp_eq_u32_e32 vcc, v3, v37
	s_and_b64 exec, exec, vcc
	s_cbranch_execz .LBB108_263
; %bb.267:                              ;   in Loop: Header=BB108_265 Depth=2
	s_movk_i32 s8, 0x3f80
	v_perm_b32 v2, v2, s8, v44
	ds_write_b32 v9, v2 offset:3072
	s_branch .LBB108_263
.LBB108_268:                            ;   in Loop: Header=BB108_265 Depth=2
	v_add_u32_e32 v1, s48, v1
	v_cmp_le_u32_e32 vcc, s22, v1
	v_add_u32_e32 v8, s49, v8
	s_mov_b64 s[8:9], 0
	s_orn2_b64 s[24:25], vcc, exec
	s_branch .LBB108_264
.LBB108_269:                            ;   in Loop: Header=BB108_6 Depth=1
	s_or_b64 exec, exec, s[16:17]
	s_andn2_b64 s[8:9], s[12:13], exec
	s_and_b64 s[12:13], s[18:19], exec
	v_lshrrev_b32_e32 v46, 16, v2
	s_or_b64 s[12:13], s[8:9], s[12:13]
.LBB108_270:                            ;   in Loop: Header=BB108_6 Depth=1
	s_or_b64 exec, exec, s[2:3]
	s_mov_b64 s[30:31], 0
	s_mov_b64 s[26:27], -1
.LBB108_271:                            ;   in Loop: Header=BB108_6 Depth=1
	s_orn2_b64 s[2:3], s[12:13], exec
.LBB108_272:                            ;   in Loop: Header=BB108_6 Depth=1
	s_or_b64 exec, exec, s[14:15]
                                        ; implicit-def: $vgpr4
                                        ; implicit-def: $vgpr1
	s_and_saveexec_b64 s[82:83], s[2:3]
	s_cbranch_execz .LBB108_402
; %bb.273:                              ;   in Loop: Header=BB108_6 Depth=1
	s_xor_b64 s[8:9], s[6:7], -1
	s_mov_b64 s[6:7], 0
	v_mov_b32_e32 v4, 1
	v_mov_b32_e32 v1, 1
	s_and_saveexec_b64 s[2:3], s[8:9]
	s_cbranch_execz .LBB108_282
; %bb.274:                              ;   in Loop: Header=BB108_6 Depth=1
	v_cmp_ge_u32_e32 vcc, s11, v47
	s_and_saveexec_b64 s[6:7], vcc
	s_xor_b64 s[6:7], exec, s[6:7]
	s_cbranch_execz .LBB108_279
; %bb.275:                              ;   in Loop: Header=BB108_6 Depth=1
	ds_read_b32 v1, v9 offset:4096
	v_or_b32_e32 v37, s46, v37
	v_or_b32_e32 v45, s46, v45
	s_waitcnt lgkmcnt(0)
	v_cmp_ne_u32_e32 vcc, 0, v1
	s_cbranch_vccnz .LBB108_279
; %bb.276:                              ;   in Loop: Header=BB108_6 Depth=1
	s_mov_b64 s[8:9], exec
	v_readlane_b32 s12, v52, 6
	v_readlane_b32 s13, v52, 7
	s_and_b64 s[12:13], s[8:9], s[12:13]
	s_mov_b64 exec, s[12:13]
; %bb.277:                              ;   in Loop: Header=BB108_6 Depth=1
	v_mov_b32_e32 v1, s11
	ds_write_b32 v9, v1 offset:4100
; %bb.278:                              ;   in Loop: Header=BB108_6 Depth=1
	s_or_b64 exec, exec, s[8:9]
	s_waitcnt lgkmcnt(0)
	s_barrier
.LBB108_279:                            ;   in Loop: Header=BB108_6 Depth=1
	s_or_saveexec_b64 s[6:7], s[6:7]
	s_mov_b64 s[12:13], 0
	v_mov_b32_e32 v1, 5
	s_xor_b64 exec, exec, s[6:7]
; %bb.280:                              ;   in Loop: Header=BB108_6 Depth=1
	v_subrev_u32_e32 v47, s11, v47
	v_mov_b32_e32 v1, 0
	s_mov_b64 s[12:13], exec
; %bb.281:                              ;   in Loop: Header=BB108_6 Depth=1
	s_or_b64 exec, exec, s[6:7]
	s_and_b64 s[6:7], s[12:13], exec
	v_mov_b32_e32 v4, v47
.LBB108_282:                            ;   in Loop: Header=BB108_6 Depth=1
	s_or_b64 exec, exec, s[2:3]
	s_mov_b64 s[2:3], -1
                                        ; implicit-def: $sgpr84_sgpr85
                                        ; implicit-def: $sgpr86_sgpr87
	s_and_saveexec_b64 s[8:9], s[6:7]
	s_xor_b64 s[6:7], exec, s[8:9]
	s_cbranch_execz .LBB108_399
; %bb.283:                              ;   in Loop: Header=BB108_6 Depth=1
	s_cmp_eq_u32 s95, 1
	s_cselect_b64 s[2:3], -1, 0
	v_cmp_eq_u32_e32 vcc, 1, v4
	s_and_b64 s[14:15], s[2:3], vcc
	s_mov_b64 s[2:3], -1
                                        ; implicit-def: $sgpr86_sgpr87
                                        ; implicit-def: $sgpr84_sgpr85
	s_and_saveexec_b64 s[16:17], s[14:15]
	s_cbranch_execz .LBB108_309
; %bb.284:                              ;   in Loop: Header=BB108_6 Depth=1
	ds_read_b32 v2, v9 offset:4096
	s_waitcnt lgkmcnt(0)
	s_barrier
	v_readfirstlane_b32 s11, v2
	s_mov_b64 s[2:3], exec
	v_readlane_b32 s8, v52, 21
	v_readlane_b32 s9, v52, 22
	s_and_b64 s[8:9], s[2:3], s[8:9]
	s_mov_b64 exec, s[8:9]
; %bb.285:                              ;   in Loop: Header=BB108_6 Depth=1
	ds_write_b16 v26, v9
; %bb.286:                              ;   in Loop: Header=BB108_6 Depth=1
	s_or_b64 exec, exec, s[2:3]
	v_and_b32_e32 v2, s47, v37
	v_lshl_or_b32 v37, 2, s38, v2
	v_or_b32_e32 v45, s46, v45
	s_mov_b64 s[84:85], -1
	s_mov_b64 s[86:87], 0
	s_cmp_eq_u32 s11, 0
	s_mov_b64 s[12:13], 0
	s_mov_b64 s[2:3], -1
	s_waitcnt lgkmcnt(0)
	s_barrier
                                        ; implicit-def: $vgpr46
	s_cbranch_scc1 .LBB108_297
; %bb.287:                              ;   in Loop: Header=BB108_6 Depth=1
	v_readlane_b32 s2, v52, 23
	s_add_i32 s2, s11, s2
	v_readlane_b32 s3, v52, 44
	s_mul_hi_u32 s3, s2, s3
	s_mul_i32 s3, s3, s48
	s_sub_i32 s3, s2, s3
	s_sub_i32 s8, s3, s48
	s_cmp_ge_u32 s3, s48
	s_cselect_b32 s3, s8, s3
	s_sub_i32 s8, s3, s48
	s_cmp_ge_u32 s3, s48
	s_cselect_b32 s3, s8, s3
	s_sub_i32 s42, s2, s3
	v_cmp_gt_u32_e32 vcc, s42, v0
	s_mov_b64 s[2:3], 0
                                        ; implicit-def: $vgpr46
	s_and_saveexec_b64 s[18:19], vcc
	s_cbranch_execz .LBB108_296
; %bb.288:                              ;   in Loop: Header=BB108_6 Depth=1
	v_mov_b32_e32 v2, v25
	v_mov_b32_e32 v3, v0
                                        ; implicit-def: $sgpr28_sgpr29
	s_branch .LBB108_291
.LBB108_289:                            ;   in Loop: Header=BB108_291 Depth=2
	s_or_b64 exec, exec, s[40:41]
	s_waitcnt lgkmcnt(0)
	s_barrier
	ds_read_b32 v8, v9 offset:3072
	s_mov_b64 s[24:25], -1
	s_mov_b64 s[8:9], -1
	s_waitcnt lgkmcnt(0)
	s_barrier
	v_and_b32_e32 v12, 0x7fff, v8
	v_cmp_ne_u32_e32 vcc, 0, v12
	s_cbranch_vccz .LBB108_294
.LBB108_290:                            ;   in Loop: Header=BB108_291 Depth=2
	s_and_b64 s[24:25], exec, s[24:25]
	s_or_b64 s[12:13], s[24:25], s[12:13]
	s_andn2_b64 s[24:25], s[28:29], exec
	s_and_b64 s[8:9], s[8:9], exec
	s_or_b64 s[28:29], s[24:25], s[8:9]
	s_andn2_b64 exec, exec, s[12:13]
	s_cbranch_execz .LBB108_295
.LBB108_291:                            ;   Parent Loop BB108_6 Depth=1
                                        ; =>  This Inner Loop Header: Depth=2
	v_cmp_gt_u32_e32 vcc, s11, v3
	s_and_saveexec_b64 s[40:41], vcc
	s_cbranch_execz .LBB108_289
; %bb.292:                              ;   in Loop: Header=BB108_291 Depth=2
	ds_read_u16 v8, v2
	s_waitcnt lgkmcnt(0)
	v_cmp_lt_i16_e32 vcc, -1, v8
	v_cndmask_b32_e32 v12, v41, v42, vcc
	v_lshlrev_b32_e32 v13, 16, v8
	v_cmp_o_f32_e32 vcc, v13, v13
	v_xor_b32_sdwa v12, v12, v8 dst_sel:DWORD dst_unused:UNUSED_PAD src0_sel:DWORD src1_sel:WORD_0
	v_cndmask_b32_e32 v12, v41, v12, vcc
	v_and_b32_e32 v12, v12, v45
	v_cmp_eq_u32_e32 vcc, v12, v37
	s_and_b64 exec, exec, vcc
	s_cbranch_execz .LBB108_289
; %bb.293:                              ;   in Loop: Header=BB108_291 Depth=2
	s_movk_i32 s8, 0x3f80
	v_perm_b32 v8, v8, s8, v44
	ds_write_b32 v9, v8 offset:3072
	s_branch .LBB108_289
.LBB108_294:                            ;   in Loop: Header=BB108_291 Depth=2
	v_add_u32_e32 v3, s48, v3
	v_cmp_le_u32_e32 vcc, s42, v3
	v_add_u32_e32 v2, s10, v2
	s_mov_b64 s[8:9], 0
	s_orn2_b64 s[24:25], vcc, exec
	s_branch .LBB108_290
.LBB108_295:                            ;   in Loop: Header=BB108_6 Depth=1
	s_or_b64 exec, exec, s[12:13]
	v_lshrrev_b32_e32 v46, 16, v8
	s_and_b64 s[12:13], s[28:29], exec
.LBB108_296:                            ;   in Loop: Header=BB108_6 Depth=1
	s_or_b64 exec, exec, s[18:19]
.LBB108_297:                            ;   in Loop: Header=BB108_6 Depth=1
	s_and_b64 vcc, exec, s[2:3]
	s_cbranch_vccz .LBB108_308
; %bb.298:                              ;   in Loop: Header=BB108_6 Depth=1
                                        ; implicit-def: $vgpr46
	s_mov_b64 s[2:3], exec
	v_readlane_b32 s8, v52, 45
	v_readlane_b32 s9, v52, 46
	s_and_b64 s[8:9], s[2:3], s[8:9]
	s_mov_b64 exec, s[8:9]
	s_cbranch_execz .LBB108_307
; %bb.299:                              ;   in Loop: Header=BB108_6 Depth=1
	s_mov_b64 s[18:19], 0
	v_mov_b32_e32 v8, v7
	v_mov_b32_e32 v2, v0
                                        ; implicit-def: $sgpr28_sgpr29
	s_branch .LBB108_302
.LBB108_300:                            ;   in Loop: Header=BB108_302 Depth=2
	s_or_b64 exec, exec, s[40:41]
	s_waitcnt lgkmcnt(0)
	s_barrier
	ds_read_b32 v3, v9 offset:3072
	s_mov_b64 s[24:25], -1
	s_mov_b64 s[8:9], -1
	s_waitcnt lgkmcnt(0)
	s_barrier
	v_and_b32_e32 v12, 0x7fff, v3
	v_cmp_eq_u32_e32 vcc, 0, v12
	s_cbranch_vccnz .LBB108_305
.LBB108_301:                            ;   in Loop: Header=BB108_302 Depth=2
	s_and_b64 s[24:25], exec, s[24:25]
	s_or_b64 s[18:19], s[24:25], s[18:19]
	s_andn2_b64 s[24:25], s[28:29], exec
	s_and_b64 s[8:9], s[8:9], exec
	s_or_b64 s[28:29], s[24:25], s[8:9]
	s_andn2_b64 exec, exec, s[18:19]
	s_cbranch_execz .LBB108_306
.LBB108_302:                            ;   Parent Loop BB108_6 Depth=1
                                        ; =>  This Inner Loop Header: Depth=2
	v_cmp_gt_u32_e32 vcc, s36, v2
	s_and_saveexec_b64 s[40:41], vcc
	s_cbranch_execz .LBB108_300
; %bb.303:                              ;   in Loop: Header=BB108_302 Depth=2
	v_lshlrev_b64 v[12:13], 1, v[8:9]
	v_mov_b32_e32 v3, s44
	v_add_co_u32_e32 v12, vcc, s33, v12
	v_addc_co_u32_e32 v13, vcc, v3, v13, vcc
	global_load_ushort v3, v[12:13], off
	s_waitcnt vmcnt(0)
	v_cmp_lt_i16_e32 vcc, -1, v3
	v_cndmask_b32_e32 v12, v41, v42, vcc
	v_lshlrev_b32_e32 v13, 16, v3
	v_xor_b32_sdwa v12, v12, v3 dst_sel:DWORD dst_unused:UNUSED_PAD src0_sel:DWORD src1_sel:WORD_0
	v_cmp_o_f32_e32 vcc, v13, v13
	v_cndmask_b32_e32 v12, v41, v12, vcc
	v_and_b32_e32 v12, v12, v45
	v_cmp_eq_u32_e32 vcc, v12, v37
	s_and_b64 exec, exec, vcc
	s_cbranch_execz .LBB108_300
; %bb.304:                              ;   in Loop: Header=BB108_302 Depth=2
	s_movk_i32 s8, 0x3f80
	v_perm_b32 v3, v3, s8, v44
	ds_write_b32 v9, v3 offset:3072
	s_branch .LBB108_300
.LBB108_305:                            ;   in Loop: Header=BB108_302 Depth=2
	v_add_u32_e32 v2, s48, v2
	v_cmp_le_u32_e32 vcc, s22, v2
	v_add_u32_e32 v8, s49, v8
	s_mov_b64 s[8:9], 0
	s_orn2_b64 s[24:25], vcc, exec
	s_branch .LBB108_301
.LBB108_306:                            ;   in Loop: Header=BB108_6 Depth=1
	s_or_b64 exec, exec, s[18:19]
	s_andn2_b64 s[8:9], s[12:13], exec
	s_and_b64 s[12:13], s[28:29], exec
	v_lshrrev_b32_e32 v46, 16, v3
	s_or_b64 s[12:13], s[8:9], s[12:13]
.LBB108_307:                            ;   in Loop: Header=BB108_6 Depth=1
	s_or_b64 exec, exec, s[2:3]
	s_mov_b64 s[84:85], 0
	s_mov_b64 s[86:87], -1
.LBB108_308:                            ;   in Loop: Header=BB108_6 Depth=1
	s_orn2_b64 s[2:3], s[12:13], exec
.LBB108_309:                            ;   in Loop: Header=BB108_6 Depth=1
	s_or_b64 exec, exec, s[16:17]
	s_mov_b64 s[12:13], 0
	s_and_saveexec_b64 s[88:89], s[2:3]
	s_cbranch_execz .LBB108_398
; %bb.310:                              ;   in Loop: Header=BB108_6 Depth=1
	s_xor_b64 s[8:9], s[14:15], -1
	v_mov_b32_e32 v2, 1
	v_mov_b32_e32 v1, 1
	s_and_saveexec_b64 s[2:3], s[8:9]
	s_cbranch_execz .LBB108_319
; %bb.311:                              ;   in Loop: Header=BB108_6 Depth=1
	v_cmp_ge_u32_e32 vcc, s95, v4
	s_and_saveexec_b64 s[8:9], vcc
	s_xor_b64 s[12:13], exec, s[8:9]
	s_cbranch_execz .LBB108_316
; %bb.312:                              ;   in Loop: Header=BB108_6 Depth=1
	v_and_b32_e32 v1, s47, v37
	v_lshl_or_b32 v37, 2, s38, v1
	ds_read_b32 v1, v9 offset:4096
	v_or_b32_e32 v45, s46, v45
	s_waitcnt lgkmcnt(0)
	v_cmp_ne_u32_e32 vcc, 0, v1
	s_cbranch_vccnz .LBB108_316
; %bb.313:                              ;   in Loop: Header=BB108_6 Depth=1
	s_mov_b64 s[8:9], exec
	v_readlane_b32 s14, v52, 6
	v_readlane_b32 s15, v52, 7
	s_and_b64 s[14:15], s[8:9], s[14:15]
	s_mov_b64 exec, s[14:15]
; %bb.314:                              ;   in Loop: Header=BB108_6 Depth=1
	v_mov_b32_e32 v1, s95
	ds_write_b32 v9, v1 offset:4100
; %bb.315:                              ;   in Loop: Header=BB108_6 Depth=1
	s_or_b64 exec, exec, s[8:9]
	s_waitcnt lgkmcnt(0)
	s_barrier
.LBB108_316:                            ;   in Loop: Header=BB108_6 Depth=1
	s_or_saveexec_b64 s[12:13], s[12:13]
	s_mov_b64 s[14:15], 0
	v_mov_b32_e32 v1, 5
	s_xor_b64 exec, exec, s[12:13]
; %bb.317:                              ;   in Loop: Header=BB108_6 Depth=1
	v_subrev_u32_e32 v4, s95, v4
	v_mov_b32_e32 v1, 0
	s_mov_b64 s[14:15], exec
; %bb.318:                              ;   in Loop: Header=BB108_6 Depth=1
	s_or_b64 exec, exec, s[12:13]
	s_and_b64 s[12:13], s[14:15], exec
	v_mov_b32_e32 v2, v4
.LBB108_319:                            ;   in Loop: Header=BB108_6 Depth=1
	s_or_b64 exec, exec, s[2:3]
	s_mov_b64 s[2:3], -1
                                        ; implicit-def: $sgpr92_sgpr93
                                        ; implicit-def: $sgpr42_sgpr43
	s_and_saveexec_b64 s[90:91], s[12:13]
	s_cbranch_execz .LBB108_397
; %bb.320:                              ;   in Loop: Header=BB108_6 Depth=1
	s_cmp_eq_u32 s94, 1
	s_cselect_b64 s[2:3], -1, 0
	v_cmp_eq_u32_e32 vcc, 1, v2
	s_and_b64 s[14:15], s[2:3], vcc
	s_mov_b64 s[2:3], -1
                                        ; implicit-def: $sgpr42_sgpr43
                                        ; implicit-def: $sgpr92_sgpr93
	s_and_saveexec_b64 s[16:17], s[14:15]
	s_cbranch_execz .LBB108_346
; %bb.321:                              ;   in Loop: Header=BB108_6 Depth=1
	ds_read_b32 v3, v9 offset:4096
	s_waitcnt lgkmcnt(0)
	s_barrier
	v_readfirstlane_b32 s11, v3
	s_mov_b64 s[2:3], exec
	v_readlane_b32 s8, v52, 21
	v_readlane_b32 s9, v52, 22
	s_and_b64 s[8:9], s[2:3], s[8:9]
	s_mov_b64 exec, s[8:9]
; %bb.322:                              ;   in Loop: Header=BB108_6 Depth=1
	ds_write_b16 v26, v9
; %bb.323:                              ;   in Loop: Header=BB108_6 Depth=1
	s_or_b64 exec, exec, s[2:3]
	v_and_b32_e32 v3, s47, v37
	v_lshl_or_b32 v37, 1, s38, v3
	v_or_b32_e32 v45, s46, v45
	s_mov_b64 s[92:93], -1
	s_mov_b64 s[42:43], 0
	s_cmp_eq_u32 s11, 0
	s_mov_b64 s[12:13], 0
	s_mov_b64 s[2:3], -1
	s_waitcnt lgkmcnt(0)
	s_barrier
                                        ; implicit-def: $vgpr46
	s_cbranch_scc1 .LBB108_334
; %bb.324:                              ;   in Loop: Header=BB108_6 Depth=1
	v_readlane_b32 s2, v52, 23
	s_add_i32 s2, s11, s2
	v_readlane_b32 s3, v52, 44
	s_mul_hi_u32 s3, s2, s3
	s_mul_i32 s3, s3, s48
	s_sub_i32 s3, s2, s3
	s_sub_i32 s8, s3, s48
	s_cmp_ge_u32 s3, s48
	s_cselect_b32 s3, s8, s3
	s_sub_i32 s8, s3, s48
	s_cmp_ge_u32 s3, s48
	s_cselect_b32 s3, s8, s3
	s_sub_i32 s52, s2, s3
	v_cmp_gt_u32_e32 vcc, s52, v0
	s_mov_b64 s[2:3], 0
                                        ; implicit-def: $vgpr46
	s_and_saveexec_b64 s[18:19], vcc
	s_cbranch_execz .LBB108_333
; %bb.325:                              ;   in Loop: Header=BB108_6 Depth=1
	v_mov_b32_e32 v3, v25
	v_mov_b32_e32 v4, v0
                                        ; implicit-def: $sgpr28_sgpr29
	s_branch .LBB108_328
.LBB108_326:                            ;   in Loop: Header=BB108_328 Depth=2
	s_or_b64 exec, exec, s[40:41]
	s_waitcnt lgkmcnt(0)
	s_barrier
	ds_read_b32 v8, v9 offset:3072
	s_mov_b64 s[24:25], -1
	s_mov_b64 s[8:9], -1
	s_waitcnt lgkmcnt(0)
	s_barrier
	v_and_b32_e32 v12, 0x7fff, v8
	v_cmp_ne_u32_e32 vcc, 0, v12
	s_cbranch_vccz .LBB108_331
.LBB108_327:                            ;   in Loop: Header=BB108_328 Depth=2
	s_and_b64 s[24:25], exec, s[24:25]
	s_or_b64 s[12:13], s[24:25], s[12:13]
	s_andn2_b64 s[24:25], s[28:29], exec
	s_and_b64 s[8:9], s[8:9], exec
	s_or_b64 s[28:29], s[24:25], s[8:9]
	s_andn2_b64 exec, exec, s[12:13]
	s_cbranch_execz .LBB108_332
.LBB108_328:                            ;   Parent Loop BB108_6 Depth=1
                                        ; =>  This Inner Loop Header: Depth=2
	v_cmp_gt_u32_e32 vcc, s11, v4
	s_and_saveexec_b64 s[40:41], vcc
	s_cbranch_execz .LBB108_326
; %bb.329:                              ;   in Loop: Header=BB108_328 Depth=2
	ds_read_u16 v8, v3
	s_waitcnt lgkmcnt(0)
	v_cmp_lt_i16_e32 vcc, -1, v8
	v_cndmask_b32_e32 v12, v41, v42, vcc
	v_lshlrev_b32_e32 v13, 16, v8
	v_cmp_o_f32_e32 vcc, v13, v13
	v_xor_b32_sdwa v12, v12, v8 dst_sel:DWORD dst_unused:UNUSED_PAD src0_sel:DWORD src1_sel:WORD_0
	v_cndmask_b32_e32 v12, v41, v12, vcc
	v_and_b32_e32 v12, v12, v45
	v_cmp_eq_u32_e32 vcc, v12, v37
	s_and_b64 exec, exec, vcc
	s_cbranch_execz .LBB108_326
; %bb.330:                              ;   in Loop: Header=BB108_328 Depth=2
	s_movk_i32 s8, 0x3f80
	v_perm_b32 v8, v8, s8, v44
	ds_write_b32 v9, v8 offset:3072
	s_branch .LBB108_326
.LBB108_331:                            ;   in Loop: Header=BB108_328 Depth=2
	v_add_u32_e32 v4, s48, v4
	v_cmp_le_u32_e32 vcc, s52, v4
	v_add_u32_e32 v3, s10, v3
	s_mov_b64 s[8:9], 0
	s_orn2_b64 s[24:25], vcc, exec
	s_branch .LBB108_327
.LBB108_332:                            ;   in Loop: Header=BB108_6 Depth=1
	s_or_b64 exec, exec, s[12:13]
	v_lshrrev_b32_e32 v46, 16, v8
	s_and_b64 s[12:13], s[28:29], exec
.LBB108_333:                            ;   in Loop: Header=BB108_6 Depth=1
	s_or_b64 exec, exec, s[18:19]
.LBB108_334:                            ;   in Loop: Header=BB108_6 Depth=1
	s_and_b64 vcc, exec, s[2:3]
	s_cbranch_vccz .LBB108_345
; %bb.335:                              ;   in Loop: Header=BB108_6 Depth=1
                                        ; implicit-def: $vgpr46
	s_mov_b64 s[2:3], exec
	v_readlane_b32 s8, v52, 45
	v_readlane_b32 s9, v52, 46
	s_and_b64 s[8:9], s[2:3], s[8:9]
	s_mov_b64 exec, s[8:9]
	s_cbranch_execz .LBB108_344
; %bb.336:                              ;   in Loop: Header=BB108_6 Depth=1
	s_mov_b64 s[18:19], 0
	v_mov_b32_e32 v8, v7
	v_mov_b32_e32 v3, v0
                                        ; implicit-def: $sgpr28_sgpr29
	s_branch .LBB108_339
.LBB108_337:                            ;   in Loop: Header=BB108_339 Depth=2
	s_or_b64 exec, exec, s[40:41]
	s_waitcnt lgkmcnt(0)
	s_barrier
	ds_read_b32 v4, v9 offset:3072
	s_mov_b64 s[24:25], -1
	s_mov_b64 s[8:9], -1
	s_waitcnt lgkmcnt(0)
	s_barrier
	v_and_b32_e32 v12, 0x7fff, v4
	v_cmp_eq_u32_e32 vcc, 0, v12
	s_cbranch_vccnz .LBB108_342
.LBB108_338:                            ;   in Loop: Header=BB108_339 Depth=2
	s_and_b64 s[24:25], exec, s[24:25]
	s_or_b64 s[18:19], s[24:25], s[18:19]
	s_andn2_b64 s[24:25], s[28:29], exec
	s_and_b64 s[8:9], s[8:9], exec
	s_or_b64 s[28:29], s[24:25], s[8:9]
	s_andn2_b64 exec, exec, s[18:19]
	s_cbranch_execz .LBB108_343
.LBB108_339:                            ;   Parent Loop BB108_6 Depth=1
                                        ; =>  This Inner Loop Header: Depth=2
	v_cmp_gt_u32_e32 vcc, s36, v3
	s_and_saveexec_b64 s[40:41], vcc
	s_cbranch_execz .LBB108_337
; %bb.340:                              ;   in Loop: Header=BB108_339 Depth=2
	v_lshlrev_b64 v[12:13], 1, v[8:9]
	v_mov_b32_e32 v4, s44
	v_add_co_u32_e32 v12, vcc, s33, v12
	v_addc_co_u32_e32 v13, vcc, v4, v13, vcc
	global_load_ushort v4, v[12:13], off
	s_waitcnt vmcnt(0)
	v_cmp_lt_i16_e32 vcc, -1, v4
	v_cndmask_b32_e32 v12, v41, v42, vcc
	v_lshlrev_b32_e32 v13, 16, v4
	v_xor_b32_sdwa v12, v12, v4 dst_sel:DWORD dst_unused:UNUSED_PAD src0_sel:DWORD src1_sel:WORD_0
	v_cmp_o_f32_e32 vcc, v13, v13
	v_cndmask_b32_e32 v12, v41, v12, vcc
	v_and_b32_e32 v12, v12, v45
	v_cmp_eq_u32_e32 vcc, v12, v37
	s_and_b64 exec, exec, vcc
	s_cbranch_execz .LBB108_337
; %bb.341:                              ;   in Loop: Header=BB108_339 Depth=2
	s_movk_i32 s8, 0x3f80
	v_perm_b32 v4, v4, s8, v44
	ds_write_b32 v9, v4 offset:3072
	s_branch .LBB108_337
.LBB108_342:                            ;   in Loop: Header=BB108_339 Depth=2
	v_add_u32_e32 v3, s48, v3
	v_cmp_le_u32_e32 vcc, s22, v3
	v_add_u32_e32 v8, s49, v8
	s_mov_b64 s[8:9], 0
	s_orn2_b64 s[24:25], vcc, exec
	s_branch .LBB108_338
.LBB108_343:                            ;   in Loop: Header=BB108_6 Depth=1
	s_or_b64 exec, exec, s[18:19]
	s_andn2_b64 s[8:9], s[12:13], exec
	s_and_b64 s[12:13], s[28:29], exec
	v_lshrrev_b32_e32 v46, 16, v4
	s_or_b64 s[12:13], s[8:9], s[12:13]
.LBB108_344:                            ;   in Loop: Header=BB108_6 Depth=1
	s_or_b64 exec, exec, s[2:3]
	s_mov_b64 s[92:93], 0
	s_mov_b64 s[42:43], -1
.LBB108_345:                            ;   in Loop: Header=BB108_6 Depth=1
	s_orn2_b64 s[2:3], s[12:13], exec
.LBB108_346:                            ;   in Loop: Header=BB108_6 Depth=1
	s_or_b64 exec, exec, s[16:17]
	s_mov_b64 s[12:13], 0
	s_and_saveexec_b64 s[40:41], s[2:3]
	s_cbranch_execz .LBB108_396
; %bb.347:                              ;   in Loop: Header=BB108_6 Depth=1
	s_xor_b64 s[8:9], s[14:15], -1
	v_mov_b32_e32 v3, 1
	v_mov_b32_e32 v1, 1
	s_and_saveexec_b64 s[2:3], s[8:9]
	s_cbranch_execz .LBB108_356
; %bb.348:                              ;   in Loop: Header=BB108_6 Depth=1
	v_cmp_ge_u32_e32 vcc, s94, v2
	s_and_saveexec_b64 s[8:9], vcc
	s_xor_b64 s[12:13], exec, s[8:9]
	s_cbranch_execz .LBB108_353
; %bb.349:                              ;   in Loop: Header=BB108_6 Depth=1
	v_and_b32_e32 v1, s47, v37
	v_lshl_or_b32 v37, 1, s38, v1
	ds_read_b32 v1, v9 offset:4096
	v_or_b32_e32 v45, s46, v45
	s_waitcnt lgkmcnt(0)
	v_cmp_ne_u32_e32 vcc, 0, v1
	s_cbranch_vccnz .LBB108_353
; %bb.350:                              ;   in Loop: Header=BB108_6 Depth=1
	s_mov_b64 s[8:9], exec
	v_readlane_b32 s14, v52, 6
	v_readlane_b32 s15, v52, 7
	s_and_b64 s[14:15], s[8:9], s[14:15]
	s_mov_b64 exec, s[14:15]
; %bb.351:                              ;   in Loop: Header=BB108_6 Depth=1
	v_mov_b32_e32 v1, s94
	ds_write_b32 v9, v1 offset:4100
; %bb.352:                              ;   in Loop: Header=BB108_6 Depth=1
	s_or_b64 exec, exec, s[8:9]
	s_waitcnt lgkmcnt(0)
	s_barrier
.LBB108_353:                            ;   in Loop: Header=BB108_6 Depth=1
	s_or_saveexec_b64 s[12:13], s[12:13]
	s_mov_b64 s[14:15], 0
	v_mov_b32_e32 v1, 5
	s_xor_b64 exec, exec, s[12:13]
; %bb.354:                              ;   in Loop: Header=BB108_6 Depth=1
	v_subrev_u32_e32 v2, s94, v2
	v_mov_b32_e32 v1, 0
	s_mov_b64 s[14:15], exec
; %bb.355:                              ;   in Loop: Header=BB108_6 Depth=1
	s_or_b64 exec, exec, s[12:13]
	s_and_b64 s[12:13], s[14:15], exec
	v_mov_b32_e32 v3, v2
.LBB108_356:                            ;   in Loop: Header=BB108_6 Depth=1
	s_or_b64 exec, exec, s[2:3]
	s_mov_b64 s[2:3], -1
                                        ; implicit-def: $sgpr16_sgpr17
                                        ; implicit-def: $sgpr14_sgpr15
	s_and_saveexec_b64 s[94:95], s[12:13]
	s_cbranch_execz .LBB108_395
; %bb.357:                              ;   in Loop: Header=BB108_6 Depth=1
	s_cmp_eq_u32 s39, 1
	s_cselect_b64 s[2:3], -1, 0
	v_cmp_eq_u32_e32 vcc, 1, v3
	s_mov_b64 s[12:13], -1
	s_and_b64 s[2:3], s[2:3], vcc
                                        ; implicit-def: $sgpr16_sgpr17
                                        ; implicit-def: $sgpr14_sgpr15
	s_mov_b64 s[28:29], exec
	v_writelane_b32 v52, s2, 47
	v_writelane_b32 v52, s3, 48
	s_and_b64 s[2:3], s[28:29], s[2:3]
	s_mov_b64 exec, s[2:3]
	s_cbranch_execz .LBB108_383
; %bb.358:                              ;   in Loop: Header=BB108_6 Depth=1
	ds_read_b32 v2, v9 offset:4096
	s_waitcnt lgkmcnt(0)
	s_barrier
	v_readfirstlane_b32 s11, v2
	s_mov_b64 s[2:3], exec
	v_readlane_b32 s8, v52, 21
	v_readlane_b32 s9, v52, 22
	s_and_b64 s[8:9], s[2:3], s[8:9]
	s_mov_b64 exec, s[8:9]
; %bb.359:                              ;   in Loop: Header=BB108_6 Depth=1
	ds_write_b16 v26, v9
; %bb.360:                              ;   in Loop: Header=BB108_6 Depth=1
	s_or_b64 exec, exec, s[2:3]
	v_and_b32_e32 v37, s47, v37
	v_or_b32_e32 v45, s46, v45
	s_mov_b64 s[14:15], -1
	s_mov_b64 s[16:17], 0
	s_cmp_eq_u32 s11, 0
	s_mov_b64 s[12:13], 0
	s_mov_b64 s[2:3], -1
	s_waitcnt lgkmcnt(0)
	s_barrier
                                        ; implicit-def: $vgpr46
	s_cbranch_scc1 .LBB108_371
; %bb.361:                              ;   in Loop: Header=BB108_6 Depth=1
	v_readlane_b32 s2, v52, 23
	s_add_i32 s2, s11, s2
	v_readlane_b32 s3, v52, 44
	s_mul_hi_u32 s3, s2, s3
	s_mul_i32 s3, s3, s48
	s_sub_i32 s3, s2, s3
	s_sub_i32 s8, s3, s48
	s_cmp_ge_u32 s3, s48
	s_cselect_b32 s3, s8, s3
	s_sub_i32 s8, s3, s48
	s_cmp_ge_u32 s3, s48
	s_cselect_b32 s3, s8, s3
	s_sub_i32 s18, s2, s3
	v_cmp_gt_u32_e32 vcc, s18, v0
	s_mov_b64 s[2:3], 0
                                        ; implicit-def: $vgpr46
	s_and_saveexec_b64 s[52:53], vcc
	s_cbranch_execz .LBB108_370
; %bb.362:                              ;   in Loop: Header=BB108_6 Depth=1
	v_mov_b32_e32 v2, v25
	v_mov_b32_e32 v4, v0
                                        ; implicit-def: $sgpr54_sgpr55
	s_branch .LBB108_365
.LBB108_363:                            ;   in Loop: Header=BB108_365 Depth=2
	s_or_b64 exec, exec, s[56:57]
	s_waitcnt lgkmcnt(0)
	s_barrier
	ds_read_b32 v8, v9 offset:3072
	s_mov_b64 s[24:25], -1
	s_mov_b64 s[8:9], -1
	s_waitcnt lgkmcnt(0)
	s_barrier
	v_and_b32_e32 v12, 0x7fff, v8
	v_cmp_ne_u32_e32 vcc, 0, v12
	s_cbranch_vccz .LBB108_368
.LBB108_364:                            ;   in Loop: Header=BB108_365 Depth=2
	s_and_b64 s[24:25], exec, s[24:25]
	s_or_b64 s[12:13], s[24:25], s[12:13]
	s_andn2_b64 s[24:25], s[54:55], exec
	s_and_b64 s[8:9], s[8:9], exec
	s_or_b64 s[54:55], s[24:25], s[8:9]
	s_andn2_b64 exec, exec, s[12:13]
	s_cbranch_execz .LBB108_369
.LBB108_365:                            ;   Parent Loop BB108_6 Depth=1
                                        ; =>  This Inner Loop Header: Depth=2
	v_cmp_gt_u32_e32 vcc, s11, v4
	s_and_saveexec_b64 s[56:57], vcc
	s_cbranch_execz .LBB108_363
; %bb.366:                              ;   in Loop: Header=BB108_365 Depth=2
	ds_read_u16 v8, v2
	s_waitcnt lgkmcnt(0)
	v_cmp_lt_i16_e32 vcc, -1, v8
	v_cndmask_b32_e32 v12, v41, v42, vcc
	v_lshlrev_b32_e32 v13, 16, v8
	v_cmp_o_f32_e32 vcc, v13, v13
	v_xor_b32_sdwa v12, v12, v8 dst_sel:DWORD dst_unused:UNUSED_PAD src0_sel:DWORD src1_sel:WORD_0
	v_cndmask_b32_e32 v12, v41, v12, vcc
	v_and_b32_e32 v12, v12, v45
	v_cmp_eq_u32_e32 vcc, v12, v37
	s_and_b64 exec, exec, vcc
	s_cbranch_execz .LBB108_363
; %bb.367:                              ;   in Loop: Header=BB108_365 Depth=2
	s_movk_i32 s8, 0x3f80
	v_perm_b32 v8, v8, s8, v44
	ds_write_b32 v9, v8 offset:3072
	s_branch .LBB108_363
.LBB108_368:                            ;   in Loop: Header=BB108_365 Depth=2
	v_add_u32_e32 v4, s48, v4
	v_cmp_le_u32_e32 vcc, s18, v4
	v_add_u32_e32 v2, s10, v2
	s_mov_b64 s[8:9], 0
	s_orn2_b64 s[24:25], vcc, exec
	s_branch .LBB108_364
.LBB108_369:                            ;   in Loop: Header=BB108_6 Depth=1
	s_or_b64 exec, exec, s[12:13]
	v_lshrrev_b32_e32 v46, 16, v8
	s_and_b64 s[12:13], s[54:55], exec
.LBB108_370:                            ;   in Loop: Header=BB108_6 Depth=1
	s_or_b64 exec, exec, s[52:53]
.LBB108_371:                            ;   in Loop: Header=BB108_6 Depth=1
	s_and_b64 vcc, exec, s[2:3]
	s_cbranch_vccz .LBB108_382
; %bb.372:                              ;   in Loop: Header=BB108_6 Depth=1
                                        ; implicit-def: $vgpr46
	s_mov_b64 s[2:3], exec
	v_readlane_b32 s8, v52, 45
	v_readlane_b32 s9, v52, 46
	s_and_b64 s[8:9], s[2:3], s[8:9]
	s_mov_b64 exec, s[8:9]
	s_cbranch_execz .LBB108_381
; %bb.373:                              ;   in Loop: Header=BB108_6 Depth=1
	s_mov_b64 s[14:15], 0
	v_mov_b32_e32 v8, v7
	v_mov_b32_e32 v2, v0
                                        ; implicit-def: $sgpr16_sgpr17
	s_branch .LBB108_376
.LBB108_374:                            ;   in Loop: Header=BB108_376 Depth=2
	s_or_b64 exec, exec, s[52:53]
	s_waitcnt lgkmcnt(0)
	s_barrier
	ds_read_b32 v4, v9 offset:3072
	s_mov_b64 s[24:25], -1
	s_mov_b64 s[8:9], -1
	s_waitcnt lgkmcnt(0)
	s_barrier
	v_and_b32_e32 v12, 0x7fff, v4
	v_cmp_eq_u32_e32 vcc, 0, v12
	s_cbranch_vccnz .LBB108_379
.LBB108_375:                            ;   in Loop: Header=BB108_376 Depth=2
	s_and_b64 s[18:19], exec, s[24:25]
	s_or_b64 s[14:15], s[18:19], s[14:15]
	s_andn2_b64 s[16:17], s[16:17], exec
	s_and_b64 s[8:9], s[8:9], exec
	s_or_b64 s[16:17], s[16:17], s[8:9]
	s_andn2_b64 exec, exec, s[14:15]
	s_cbranch_execz .LBB108_380
.LBB108_376:                            ;   Parent Loop BB108_6 Depth=1
                                        ; =>  This Inner Loop Header: Depth=2
	v_cmp_gt_u32_e32 vcc, s36, v2
	s_and_saveexec_b64 s[52:53], vcc
	s_cbranch_execz .LBB108_374
; %bb.377:                              ;   in Loop: Header=BB108_376 Depth=2
	v_lshlrev_b64 v[12:13], 1, v[8:9]
	v_mov_b32_e32 v4, s44
	v_add_co_u32_e32 v12, vcc, s33, v12
	v_addc_co_u32_e32 v13, vcc, v4, v13, vcc
	global_load_ushort v4, v[12:13], off
	s_waitcnt vmcnt(0)
	v_cmp_lt_i16_e32 vcc, -1, v4
	v_cndmask_b32_e32 v12, v41, v42, vcc
	v_lshlrev_b32_e32 v13, 16, v4
	v_xor_b32_sdwa v12, v12, v4 dst_sel:DWORD dst_unused:UNUSED_PAD src0_sel:DWORD src1_sel:WORD_0
	v_cmp_o_f32_e32 vcc, v13, v13
	v_cndmask_b32_e32 v12, v41, v12, vcc
	v_and_b32_e32 v12, v12, v45
	v_cmp_eq_u32_e32 vcc, v12, v37
	s_and_b64 exec, exec, vcc
	s_cbranch_execz .LBB108_374
; %bb.378:                              ;   in Loop: Header=BB108_376 Depth=2
	s_movk_i32 s8, 0x3f80
	v_perm_b32 v4, v4, s8, v44
	ds_write_b32 v9, v4 offset:3072
	s_branch .LBB108_374
.LBB108_379:                            ;   in Loop: Header=BB108_376 Depth=2
	v_add_u32_e32 v2, s48, v2
	v_cmp_le_u32_e32 vcc, s22, v2
	v_add_u32_e32 v8, s49, v8
	s_mov_b64 s[8:9], 0
	s_orn2_b64 s[24:25], vcc, exec
	s_branch .LBB108_375
.LBB108_380:                            ;   in Loop: Header=BB108_6 Depth=1
	s_or_b64 exec, exec, s[14:15]
	s_andn2_b64 s[8:9], s[12:13], exec
	s_and_b64 s[12:13], s[16:17], exec
	v_lshrrev_b32_e32 v46, 16, v4
	s_or_b64 s[12:13], s[8:9], s[12:13]
.LBB108_381:                            ;   in Loop: Header=BB108_6 Depth=1
	s_or_b64 exec, exec, s[2:3]
	s_mov_b64 s[14:15], 0
	s_mov_b64 s[16:17], -1
.LBB108_382:                            ;   in Loop: Header=BB108_6 Depth=1
	s_orn2_b64 s[12:13], s[12:13], exec
.LBB108_383:                            ;   in Loop: Header=BB108_6 Depth=1
	s_or_b64 exec, exec, s[28:29]
	s_mov_b64 s[24:25], 0
	s_and_saveexec_b64 s[2:3], s[12:13]
	s_cbranch_execz .LBB108_394
; %bb.384:                              ;   in Loop: Header=BB108_6 Depth=1
	v_readlane_b32 s8, v52, 47
	v_readlane_b32 s9, v52, 48
	s_xor_b64 s[8:9], s[8:9], -1
	v_mov_b32_e32 v1, 1
	v_mov_b32_e32 v2, 1
	s_and_saveexec_b64 s[12:13], s[8:9]
	s_cbranch_execz .LBB108_393
; %bb.385:                              ;   in Loop: Header=BB108_6 Depth=1
	v_cmp_ge_u32_e32 vcc, s39, v3
	s_and_saveexec_b64 s[8:9], vcc
	s_xor_b64 s[18:19], exec, s[8:9]
	s_cbranch_execz .LBB108_390
; %bb.386:                              ;   in Loop: Header=BB108_6 Depth=1
	ds_read_b32 v1, v9 offset:4096
	v_and_b32_e32 v37, s47, v37
	v_or_b32_e32 v45, s46, v45
	s_waitcnt lgkmcnt(0)
	v_cmp_ne_u32_e32 vcc, 0, v1
	s_cbranch_vccnz .LBB108_390
; %bb.387:                              ;   in Loop: Header=BB108_6 Depth=1
	s_mov_b64 s[8:9], exec
	v_readlane_b32 s24, v52, 6
	v_readlane_b32 s25, v52, 7
	s_and_b64 s[24:25], s[8:9], s[24:25]
	s_mov_b64 exec, s[24:25]
; %bb.388:                              ;   in Loop: Header=BB108_6 Depth=1
	v_mov_b32_e32 v1, s39
	ds_write_b32 v9, v1 offset:4100
; %bb.389:                              ;   in Loop: Header=BB108_6 Depth=1
	s_or_b64 exec, exec, s[8:9]
	s_waitcnt lgkmcnt(0)
	s_barrier
.LBB108_390:                            ;   in Loop: Header=BB108_6 Depth=1
	s_andn2_saveexec_b64 s[18:19], s[18:19]
; %bb.391:                              ;   in Loop: Header=BB108_6 Depth=1
	v_subrev_u32_e32 v3, s39, v3
; %bb.392:                              ;   in Loop: Header=BB108_6 Depth=1
	s_or_b64 exec, exec, s[18:19]
	v_mov_b32_e32 v1, 5
	v_mov_b32_e32 v2, v3
.LBB108_393:                            ;   in Loop: Header=BB108_6 Depth=1
	s_or_b64 exec, exec, s[12:13]
	s_mov_b64 s[24:25], exec
	v_mov_b32_e32 v3, v2
.LBB108_394:                            ;   in Loop: Header=BB108_6 Depth=1
	s_or_b64 exec, exec, s[2:3]
	s_orn2_b64 s[2:3], s[24:25], exec
.LBB108_395:                            ;   in Loop: Header=BB108_6 Depth=1
	s_or_b64 exec, exec, s[94:95]
	s_andn2_b64 s[8:9], s[42:43], exec
	s_and_b64 s[12:13], s[16:17], exec
	s_or_b64 s[42:43], s[8:9], s[12:13]
	s_andn2_b64 s[8:9], s[92:93], exec
	s_and_b64 s[12:13], s[14:15], exec
	s_or_b64 s[92:93], s[8:9], s[12:13]
	s_and_b64 s[12:13], s[2:3], exec
	v_mov_b32_e32 v2, v3
.LBB108_396:                            ;   in Loop: Header=BB108_6 Depth=1
	s_or_b64 exec, exec, s[40:41]
	s_orn2_b64 s[2:3], s[12:13], exec
.LBB108_397:                            ;   in Loop: Header=BB108_6 Depth=1
	s_or_b64 exec, exec, s[90:91]
	s_andn2_b64 s[8:9], s[86:87], exec
	s_and_b64 s[12:13], s[42:43], exec
	s_or_b64 s[86:87], s[8:9], s[12:13]
	s_andn2_b64 s[8:9], s[84:85], exec
	s_and_b64 s[12:13], s[92:93], exec
	s_or_b64 s[84:85], s[8:9], s[12:13]
	s_and_b64 s[12:13], s[2:3], exec
	v_mov_b32_e32 v4, v2
.LBB108_398:                            ;   in Loop: Header=BB108_6 Depth=1
	s_or_b64 exec, exec, s[88:89]
	s_orn2_b64 s[2:3], s[12:13], exec
.LBB108_399:                            ;   in Loop: Header=BB108_6 Depth=1
	s_or_b64 exec, exec, s[6:7]
	s_mov_b64 s[6:7], s[80:81]
	s_mov_b64 s[12:13], s[34:35]
	s_and_saveexec_b64 s[14:15], s[2:3]
; %bb.400:                              ;   in Loop: Header=BB108_6 Depth=1
	v_cmp_ne_u32_e64 s[6:7], 5, v1
	v_cmp_eq_u32_e32 vcc, 5, v1
	s_andn2_b64 s[2:3], s[34:35], exec
	s_and_b64 s[6:7], s[6:7], exec
	s_or_b64 s[12:13], s[2:3], s[6:7]
	s_andn2_b64 s[2:3], s[80:81], exec
	s_and_b64 s[6:7], vcc, exec
	s_or_b64 s[6:7], s[2:3], s[6:7]
; %bb.401:                              ;   in Loop: Header=BB108_6 Depth=1
	s_or_b64 exec, exec, s[14:15]
	s_andn2_b64 s[2:3], s[26:27], exec
	s_and_b64 s[8:9], s[86:87], exec
	s_or_b64 s[26:27], s[2:3], s[8:9]
	s_andn2_b64 s[2:3], s[30:31], exec
	s_and_b64 s[8:9], s[84:85], exec
	s_or_b64 s[30:31], s[2:3], s[8:9]
	;; [unrolled: 3-line block ×4, first 2 shown]
.LBB108_402:                            ;   in Loop: Header=BB108_6 Depth=1
	s_or_b64 exec, exec, s[82:83]
	s_mov_b64 s[82:83], 0
	s_mov_b64 s[84:85], 0
	s_and_saveexec_b64 s[2:3], s[80:81]
.LBB108_403:                            ;   in Loop: Header=BB108_6 Depth=1
	v_mov_b32_e32 v1, 0
	s_or_b64 s[34:35], s[34:35], exec
.LBB108_404:                            ;   in Loop: Header=BB108_6 Depth=1
	s_or_b64 exec, exec, s[2:3]
	s_andn2_b64 s[2:3], s[76:77], exec
	s_and_b64 s[8:9], s[26:27], exec
	s_or_b64 s[76:77], s[2:3], s[8:9]
	s_andn2_b64 s[2:3], s[74:75], exec
	s_and_b64 s[8:9], s[30:31], exec
	s_or_b64 s[74:75], s[2:3], s[8:9]
	;; [unrolled: 3-line block ×3, first 2 shown]
	s_andn2_b64 s[2:3], s[70:71], exec
	s_and_b64 s[8:9], s[82:83], exec
	s_mov_b64 s[6:7], -1
	s_andn2_b64 s[78:79], s[78:79], exec
	s_or_b64 s[70:71], s[2:3], s[8:9]
	v_mov_b32_e32 v47, v4
	s_and_saveexec_b64 s[2:3], s[34:35]
	s_xor_b64 s[2:3], exec, s[2:3]
	s_cbranch_execz .LBB108_5
; %bb.405:                              ;   in Loop: Header=BB108_6 Depth=1
	v_cmp_eq_u32_e32 vcc, 0, v1
	s_mov_b64 s[12:13], -1
	s_and_saveexec_b64 s[14:15], vcc
	s_cbranch_execz .LBB108_4
; %bb.406:                              ;   in Loop: Header=BB108_6 Depth=1
	s_xor_b32 s45, s45, 1
	s_add_i32 s8, s38, -2
	s_cmp_eq_u32 s38, 0
	s_cselect_b64 s[6:7], -1, 0
	s_xor_b64 s[12:13], exec, -1
	s_orn2_b64 s[6:7], s[6:7], exec
	s_mov_b32 s38, s8
	s_branch .LBB108_4
.LBB108_407:
	s_or_b64 exec, exec, s[58:59]
	s_xor_b64 s[6:7], s[68:69], -1
	s_xor_b64 s[18:19], s[64:65], -1
	;; [unrolled: 1-line block ×5, first 2 shown]
	s_mov_b64 s[12:13], 0
	s_and_saveexec_b64 s[10:11], s[4:5]
	s_xor_b64 s[10:11], exec, s[10:11]
	s_cbranch_execnz .LBB108_412
; %bb.408:
	s_andn2_saveexec_b64 s[0:1], s[10:11]
	s_cbranch_execnz .LBB108_431
.LBB108_409:
	s_or_b64 exec, exec, s[0:1]
	s_and_saveexec_b64 s[0:1], s[12:13]
.LBB108_410:
	; divergent unreachable
.LBB108_411:
	s_endpgm
.LBB108_412:
	s_mov_b64 s[14:15], 0
	s_and_saveexec_b64 s[4:5], s[8:9]
	s_xor_b64 s[12:13], exec, s[4:5]
	s_cbranch_execz .LBB108_429
; %bb.413:
	s_mov_b64 s[16:17], 0
	s_and_saveexec_b64 s[4:5], s[18:19]
	s_xor_b64 s[14:15], exec, s[4:5]
	s_cbranch_execz .LBB108_427
; %bb.414:
	s_mov_b64 s[18:19], 0
	s_and_saveexec_b64 s[4:5], s[6:7]
	s_xor_b64 s[16:17], exec, s[4:5]
	s_cbranch_execz .LBB108_425
; %bb.415:
	s_and_saveexec_b64 s[4:5], s[2:3]
	s_xor_b64 s[2:3], exec, s[4:5]
; %bb.416:
	v_and_b32_e32 v1, 0x8000, v37
	v_mov_b32_e32 v2, 0x8000
	v_mov_b32_e32 v3, 0xffff
	v_cmp_eq_u32_e32 vcc, 0, v1
	v_cndmask_b32_e32 v1, v2, v3, vcc
	v_xor_b32_e32 v46, v1, v37
; %bb.417:
	s_or_b64 exec, exec, s[2:3]
	s_mov_b64 s[2:3], exec
	v_readlane_b32 s4, v52, 6
	v_readlane_b32 s5, v52, 7
	;; [unrolled: 1-line block ×3, first 2 shown]
	s_and_b64 s[4:5], s[2:3], s[4:5]
	v_readlane_b32 s43, v52, 10
	s_mov_b64 exec, s[4:5]
; %bb.418:
	v_mov_b32_e32 v1, 0
	ds_write_b32 v1, v1 offset:4108
; %bb.419:
	s_or_b64 exec, exec, s[2:3]
	v_mov_b32_e32 v4, 0
	s_waitcnt lgkmcnt(0)
	s_barrier
	s_mov_b64 s[2:3], exec
	v_readlane_b32 s4, v52, 17
	v_readlane_b32 s5, v52, 18
	s_and_b64 s[4:5], s[2:3], s[4:5]
	s_mov_b64 exec, s[4:5]
	s_cbranch_execz .LBB108_421
; %bb.420:
	global_load_ushort v4, v[5:6], off
.LBB108_421:
	s_or_b64 exec, exec, s[2:3]
	v_readlane_b32 s4, v52, 4
	v_readlane_b32 s5, v52, 5
	s_load_dword s2, s[4:5], 0x15c
	s_load_dword s3, s[4:5], 0x23c
	;; [unrolled: 1-line block ×4, first 2 shown]
	v_readlane_b32 s4, v52, 8
	s_add_i32 s30, s36, 63
	s_waitcnt lgkmcnt(0)
	s_mul_i32 s2, s2, s4
	s_mul_i32 s4, s3, s4
	s_mov_b32 s3, 0
	s_andn2_b32 s30, s30, 63
	s_lshl_b64 s[6:7], s[2:3], 1
	v_readlane_b32 s8, v52, 2
	v_mov_b32_e32 v8, 0xffff
	v_mov_b32_e32 v9, 0x8000
	v_cmp_lt_i16_e32 vcc, -1, v46
	v_readlane_b32 s9, v52, 3
	s_add_u32 s35, s8, s6
	s_mov_b32 s5, s3
	v_cndmask_b32_e32 v1, v8, v9, vcc
	v_lshlrev_b32_e32 v2, 16, v46
	s_addc_u32 s38, s9, s7
	s_lshl_b64 s[2:3], s[4:5], 3
	v_readlane_b32 s4, v52, 0
	v_xor_b32_sdwa v1, v1, v46 dst_sel:DWORD dst_unused:UNUSED_PAD src0_sel:DWORD src1_sel:WORD_0
	v_cmp_o_f32_e32 vcc, v2, v2
	v_readlane_b32 s5, v52, 1
	s_add_u32 s39, s4, s2
	v_cndmask_b32_e32 v7, v8, v1, vcc
	s_addc_u32 s40, s5, s3
	v_cmp_gt_u32_e32 vcc, s30, v0
	s_mov_b64 s[2:3], -1
	s_mov_b64 s[8:9], 0
	s_mov_b64 s[4:5], 0
	s_and_saveexec_b64 s[18:19], vcc
	s_cbranch_execnz .LBB108_432
; %bb.422:
	s_or_b64 exec, exec, s[18:19]
	s_and_saveexec_b64 s[6:7], s[2:3]
	s_cbranch_execnz .LBB108_449
.LBB108_423:
	s_or_b64 exec, exec, s[6:7]
	s_and_saveexec_b64 s[0:1], s[4:5]
	s_xor_b64 s[0:1], exec, s[0:1]
	s_cbranch_execnz .LBB108_474
.LBB108_424:
	s_or_b64 exec, exec, s[0:1]
	s_and_b64 s[18:19], s[8:9], exec
.LBB108_425:
	s_andn2_saveexec_b64 s[0:1], s[16:17]
	s_cbranch_execnz .LBB108_476
.LBB108_426:
	s_or_b64 exec, exec, s[0:1]
	s_and_b64 s[16:17], s[18:19], exec
.LBB108_427:
	s_andn2_saveexec_b64 s[0:1], s[14:15]
	s_cbranch_execnz .LBB108_475
.LBB108_428:
	s_or_b64 exec, exec, s[0:1]
	s_and_b64 s[14:15], s[16:17], exec
.LBB108_429:
	s_andn2_saveexec_b64 s[0:1], s[12:13]
	s_cbranch_execnz .LBB108_470
.LBB108_430:
	s_or_b64 exec, exec, s[0:1]
	s_and_b64 s[12:13], s[14:15], exec
	s_andn2_saveexec_b64 s[0:1], s[10:11]
	s_cbranch_execz .LBB108_409
.LBB108_431:
	s_or_b64 s[12:13], s[12:13], exec
	s_trap 2
	s_or_b64 exec, exec, s[0:1]
	s_and_saveexec_b64 s[0:1], s[12:13]
	s_cbranch_execnz .LBB108_410
	s_branch .LBB108_411
.LBB108_432:
	v_add_u32_e32 v1, s48, v0
	v_mul_lo_u32 v1, s50, v1
	s_mov_b64 s[20:21], 0
	v_mov_b32_e32 v2, 0
	v_mov_b32_e32 v3, v0
                                        ; implicit-def: $sgpr22_sgpr23
                                        ; implicit-def: $vgpr11
	s_branch .LBB108_434
.LBB108_433:                            ;   in Loop: Header=BB108_434 Depth=1
	s_or_b64 exec, exec, s[24:25]
	s_xor_b64 s[4:5], s[6:7], -1
	s_and_b64 s[2:3], exec, s[2:3]
	s_or_b64 s[20:21], s[2:3], s[20:21]
	s_andn2_b64 s[2:3], s[22:23], exec
	s_and_b64 s[4:5], s[4:5], exec
	s_or_b64 s[22:23], s[2:3], s[4:5]
	v_mov_b32_e32 v3, v10
	s_waitcnt vmcnt(0)
	v_mov_b32_e32 v4, v12
	s_andn2_b64 exec, exec, s[20:21]
	s_cbranch_execz .LBB108_448
.LBB108_434:                            ; =>This Inner Loop Header: Depth=1
	v_add_u32_e32 v10, s48, v3
	v_cmp_gt_u32_e64 s[4:5], s36, v10
	v_mov_b32_e32 v12, 0
	s_and_saveexec_b64 s[2:3], s[4:5]
	s_cbranch_execz .LBB108_436
; %bb.435:                              ;   in Loop: Header=BB108_434 Depth=1
	v_lshlrev_b64 v[12:13], 1, v[1:2]
	v_mov_b32_e32 v14, s44
	v_add_co_u32_e64 v12, s[4:5], s33, v12
	v_addc_co_u32_e64 v13, s[4:5], v14, v13, s[4:5]
	global_load_ushort v12, v[12:13], off
.LBB108_436:                            ;   in Loop: Header=BB108_434 Depth=1
	s_or_b64 exec, exec, s[2:3]
	v_cmp_gt_u32_e64 s[4:5], s36, v3
	s_mov_b64 s[24:25], 0
	s_and_saveexec_b64 s[2:3], s[4:5]
	s_cbranch_execz .LBB108_438
; %bb.437:                              ;   in Loop: Header=BB108_434 Depth=1
	s_waitcnt vmcnt(0)
	v_cmp_lt_i16_e64 s[4:5], -1, v4
	v_cndmask_b32_e64 v13, v8, v9, s[4:5]
	v_lshlrev_b32_e32 v14, 16, v4
	v_xor_b32_sdwa v13, v13, v4 dst_sel:DWORD dst_unused:UNUSED_PAD src0_sel:DWORD src1_sel:WORD_0
	v_cmp_o_f32_e64 s[4:5], v14, v14
	v_cndmask_b32_e64 v13, v8, v13, s[4:5]
	v_cmp_gt_u32_e64 s[4:5], v13, v7
	v_cndmask_b32_e64 v14, 0, 1, s[4:5]
	v_cmp_lt_u32_e64 s[4:5], v13, v7
	v_cndmask_b32_e64 v13, 0, 1, s[4:5]
	v_cndmask_b32_e64 v13, v13, v14, s[42:43]
	v_and_b32_e32 v13, 1, v13
	v_cmp_eq_u32_e64 s[4:5], 1, v13
	s_and_b64 s[24:25], s[4:5], exec
.LBB108_438:                            ;   in Loop: Header=BB108_434 Depth=1
	s_or_b64 exec, exec, s[2:3]
	v_cndmask_b32_e64 v13, 0, 1, s[24:25]
	v_cmp_ne_u32_e64 s[4:5], 0, v13
	s_cmp_lg_u64 s[4:5], 0
	s_cselect_b64 s[2:3], -1, 0
	s_and_b64 s[6:7], s[0:1], s[2:3]
	s_and_saveexec_b64 s[2:3], s[6:7]
	s_cbranch_execz .LBB108_442
; %bb.439:                              ;   in Loop: Header=BB108_434 Depth=1
	s_mov_b64 s[28:29], exec
	s_waitcnt lgkmcnt(0)
	v_mbcnt_lo_u32_b32 v11, s28, 0
	v_mbcnt_hi_u32_b32 v11, s29, v11
	s_bcnt1_i32_b64 s41, s[4:5]
	v_cmp_eq_u32_e64 s[6:7], 0, v11
                                        ; implicit-def: $vgpr13
	s_and_saveexec_b64 s[26:27], s[6:7]
; %bb.440:                              ;   in Loop: Header=BB108_434 Depth=1
	s_bcnt1_i32_b64 s6, s[28:29]
	s_mul_i32 s6, s41, s6
	v_mov_b32_e32 v13, s6
	ds_add_rtn_u32 v13, v2, v13 offset:4108
; %bb.441:                              ;   in Loop: Header=BB108_434 Depth=1
	s_or_b64 exec, exec, s[26:27]
	s_waitcnt lgkmcnt(0)
	v_readfirstlane_b32 s6, v13
	v_mov_b32_e32 v13, s6
	v_mad_u32_u24 v11, s41, v11, v13
.LBB108_442:                            ;   in Loop: Header=BB108_434 Depth=1
	s_or_b64 exec, exec, s[2:3]
	s_waitcnt lgkmcnt(0)
	ds_bpermute_b32 v11, v20, v11
	s_mov_b64 s[2:3], -1
	s_mov_b64 s[26:27], -1
	s_and_saveexec_b64 s[6:7], s[24:25]
	s_cbranch_execz .LBB108_446
; %bb.443:                              ;   in Loop: Header=BB108_434 Depth=1
	v_and_b32_e32 v14, s4, v22
	v_and_b32_e32 v13, s5, v21
	v_bcnt_u32_b32 v14, v14, 0
	v_bcnt_u32_b32 v13, v13, v14
	s_waitcnt lgkmcnt(0)
	v_add_u32_e32 v13, v11, v13
	v_cmp_gt_u32_e64 s[4:5], s37, v13
	s_mov_b64 s[24:25], 0
	s_and_saveexec_b64 s[26:27], s[4:5]
	s_cbranch_execz .LBB108_445
; %bb.444:                              ;   in Loop: Header=BB108_434 Depth=1
	v_mul_lo_u32 v14, v13, s34
	v_mov_b32_e32 v15, v2
	v_mul_lo_u32 v13, v13, s31
	v_mov_b32_e32 v16, s38
	v_lshlrev_b64 v[14:15], 1, v[14:15]
	s_mov_b64 s[24:25], exec
	v_add_co_u32_e64 v14, s[4:5], s35, v14
	v_addc_co_u32_e64 v15, s[4:5], v16, v15, s[4:5]
	s_waitcnt vmcnt(0)
	global_store_short v[14:15], v4, off
	v_mov_b32_e32 v14, v2
	v_lshlrev_b64 v[13:14], 3, v[13:14]
	v_mov_b32_e32 v15, s40
	v_add_co_u32_e64 v13, s[4:5], s39, v13
	v_mov_b32_e32 v4, v2
	v_addc_co_u32_e64 v14, s[4:5], v15, v14, s[4:5]
	global_store_dwordx2 v[13:14], v[3:4], off
.LBB108_445:                            ;   in Loop: Header=BB108_434 Depth=1
	s_or_b64 exec, exec, s[26:27]
	s_orn2_b64 s[26:27], s[24:25], exec
.LBB108_446:                            ;   in Loop: Header=BB108_434 Depth=1
	s_or_b64 exec, exec, s[6:7]
	s_mov_b64 s[6:7], -1
	s_and_saveexec_b64 s[24:25], s[26:27]
	s_cbranch_execz .LBB108_433
; %bb.447:                              ;   in Loop: Header=BB108_434 Depth=1
	v_cmp_le_u32_e64 s[4:5], s30, v10
	v_add_u32_e32 v1, s49, v1
	s_xor_b64 s[6:7], exec, -1
	s_orn2_b64 s[2:3], s[4:5], exec
	s_branch .LBB108_433
.LBB108_448:
	s_or_b64 exec, exec, s[20:21]
	s_mov_b64 s[4:5], exec
	s_orn2_b64 s[2:3], s[22:23], exec
	s_or_b64 exec, exec, s[18:19]
	s_and_saveexec_b64 s[6:7], s[2:3]
	s_cbranch_execz .LBB108_423
.LBB108_449:
	v_mov_b32_e32 v1, 0
	s_waitcnt vmcnt(0) lgkmcnt(0)
	s_barrier
	s_mov_b64 s[2:3], exec
	v_readlane_b32 s8, v52, 17
	v_readlane_b32 s9, v52, 18
	s_and_b64 s[8:9], s[2:3], s[8:9]
	s_mov_b64 exec, s[8:9]
	s_cbranch_execz .LBB108_451
; %bb.450:
	global_load_ushort v1, v[5:6], off
.LBB108_451:
	s_or_b64 exec, exec, s[2:3]
	s_mov_b64 s[2:3], 0
	s_and_saveexec_b64 s[8:9], vcc
	s_cbranch_execz .LBB108_473
; %bb.452:
	v_add_u32_e32 v2, s48, v0
	v_mul_lo_u32 v2, s50, v2
	s_mov_b64 s[18:19], 0
	v_mov_b32_e32 v3, 0
	v_mov_b32_e32 v4, 0xffff
	;; [unrolled: 1-line block ×3, first 2 shown]
                                        ; implicit-def: $sgpr20_sgpr21
                                        ; implicit-def: $vgpr8
	s_branch .LBB108_455
.LBB108_453:                            ;   in Loop: Header=BB108_455 Depth=1
	s_or_b64 exec, exec, s[24:25]
	s_orn2_b64 s[26:27], s[28:29], exec
	s_orn2_b64 s[24:25], s[22:23], exec
.LBB108_454:                            ;   in Loop: Header=BB108_455 Depth=1
	s_or_b64 exec, exec, s[2:3]
	s_xor_b64 s[2:3], s[26:27], -1
	s_and_b64 s[22:23], exec, s[24:25]
	s_or_b64 s[18:19], s[22:23], s[18:19]
	s_andn2_b64 s[20:21], s[20:21], exec
	s_and_b64 s[2:3], s[2:3], exec
	s_or_b64 s[20:21], s[20:21], s[2:3]
	v_mov_b32_e32 v0, v6
	s_waitcnt vmcnt(0)
	v_mov_b32_e32 v1, v9
	s_andn2_b64 exec, exec, s[18:19]
	s_cbranch_execz .LBB108_471
.LBB108_455:                            ; =>This Inner Loop Header: Depth=1
	v_add_u32_e32 v6, s48, v0
	v_cmp_gt_u32_e32 vcc, s36, v6
	v_mov_b32_e32 v9, 0
	s_and_saveexec_b64 s[2:3], vcc
	s_cbranch_execz .LBB108_457
; %bb.456:                              ;   in Loop: Header=BB108_455 Depth=1
	v_lshlrev_b64 v[9:10], 1, v[2:3]
	v_mov_b32_e32 v11, s44
	v_add_co_u32_e32 v9, vcc, s33, v9
	v_addc_co_u32_e32 v10, vcc, v11, v10, vcc
	global_load_ushort v9, v[9:10], off
.LBB108_457:                            ;   in Loop: Header=BB108_455 Depth=1
	s_or_b64 exec, exec, s[2:3]
	v_cmp_gt_u32_e32 vcc, s36, v0
	s_mov_b64 s[22:23], 0
	s_and_saveexec_b64 s[2:3], vcc
	s_cbranch_execz .LBB108_459
; %bb.458:                              ;   in Loop: Header=BB108_455 Depth=1
	s_waitcnt vmcnt(0)
	v_cmp_lt_i16_e32 vcc, -1, v1
	v_cndmask_b32_e32 v10, v4, v5, vcc
	v_lshlrev_b32_e32 v11, 16, v1
	v_xor_b32_sdwa v10, v10, v1 dst_sel:DWORD dst_unused:UNUSED_PAD src0_sel:DWORD src1_sel:WORD_0
	v_cmp_o_f32_e32 vcc, v11, v11
	v_cndmask_b32_e32 v10, v4, v10, vcc
	v_cmp_eq_u32_e32 vcc, v10, v7
	s_and_b64 s[22:23], vcc, exec
.LBB108_459:                            ;   in Loop: Header=BB108_455 Depth=1
	s_or_b64 exec, exec, s[2:3]
	v_cndmask_b32_e64 v10, 0, 1, s[22:23]
	v_cmp_ne_u32_e32 vcc, 0, v10
	s_cmp_lg_u64 vcc, 0
	s_cselect_b64 s[2:3], -1, 0
	s_and_b64 s[2:3], s[0:1], s[2:3]
	s_and_saveexec_b64 s[24:25], s[2:3]
	s_cbranch_execz .LBB108_463
; %bb.460:                              ;   in Loop: Header=BB108_455 Depth=1
	s_mov_b64 s[28:29], exec
	v_mbcnt_lo_u32_b32 v8, s28, 0
	v_mbcnt_hi_u32_b32 v8, s29, v8
	s_bcnt1_i32_b64 s41, vcc
	v_cmp_eq_u32_e64 s[2:3], 0, v8
                                        ; implicit-def: $vgpr10
	s_and_saveexec_b64 s[26:27], s[2:3]
; %bb.461:                              ;   in Loop: Header=BB108_455 Depth=1
	s_bcnt1_i32_b64 s2, s[28:29]
	s_mul_i32 s2, s41, s2
	v_mov_b32_e32 v10, s2
	ds_add_rtn_u32 v10, v3, v10 offset:4108
; %bb.462:                              ;   in Loop: Header=BB108_455 Depth=1
	s_or_b64 exec, exec, s[26:27]
	s_waitcnt lgkmcnt(0)
	v_readfirstlane_b32 s2, v10
	v_mov_b32_e32 v10, s2
	v_mad_u32_u24 v8, s41, v8, v10
.LBB108_463:                            ;   in Loop: Header=BB108_455 Depth=1
	s_or_b64 exec, exec, s[24:25]
	ds_bpermute_b32 v8, v20, v8
	s_cmp_eq_u64 vcc, 0
	s_cselect_b64 s[26:27], -1, 0
	s_mov_b64 s[24:25], -1
	s_waitcnt lgkmcnt(0)
	v_cmp_gt_u32_e64 s[2:3], s37, v8
	s_or_b64 s[28:29], s[26:27], s[2:3]
	s_mov_b64 s[26:27], -1
	s_and_saveexec_b64 s[2:3], s[28:29]
	s_cbranch_execz .LBB108_454
; %bb.464:                              ;   in Loop: Header=BB108_455 Depth=1
	v_and_b32_e32 v11, vcc_lo, v22
	v_and_b32_e32 v10, vcc_hi, v21
	v_bcnt_u32_b32 v11, v11, 0
	v_bcnt_u32_b32 v10, v10, v11
	v_sub_u32_e32 v11, s37, v8
	v_cmp_gt_u32_e32 vcc, v11, v10
	s_and_b64 s[42:43], s[22:23], vcc
	s_mov_b64 s[22:23], -1
	s_mov_b64 s[28:29], -1
	s_and_saveexec_b64 s[24:25], s[42:43]
	s_cbranch_execz .LBB108_468
; %bb.465:                              ;   in Loop: Header=BB108_455 Depth=1
	v_add_u32_e32 v10, v8, v10
	v_cmp_gt_u32_e32 vcc, s37, v10
	s_mov_b64 s[26:27], 0
	s_and_saveexec_b64 s[28:29], vcc
	s_cbranch_execz .LBB108_467
; %bb.466:                              ;   in Loop: Header=BB108_455 Depth=1
	v_mul_lo_u32 v11, v10, s34
	v_mov_b32_e32 v12, v3
	v_mul_lo_u32 v10, v10, s31
	v_mov_b32_e32 v13, s38
	v_lshlrev_b64 v[11:12], 1, v[11:12]
	s_mov_b64 s[26:27], exec
	v_add_co_u32_e32 v11, vcc, s35, v11
	v_addc_co_u32_e32 v12, vcc, v13, v12, vcc
	s_waitcnt vmcnt(0)
	global_store_short v[11:12], v1, off
	v_mov_b32_e32 v11, v3
	v_lshlrev_b64 v[10:11], 3, v[10:11]
	v_mov_b32_e32 v12, s40
	v_add_co_u32_e32 v10, vcc, s39, v10
	v_mov_b32_e32 v1, v3
	v_addc_co_u32_e32 v11, vcc, v12, v11, vcc
	global_store_dwordx2 v[10:11], v[0:1], off
.LBB108_467:                            ;   in Loop: Header=BB108_455 Depth=1
	s_or_b64 exec, exec, s[28:29]
	s_xor_b64 s[28:29], exec, -1
	s_orn2_b64 s[26:27], s[26:27], exec
.LBB108_468:                            ;   in Loop: Header=BB108_455 Depth=1
	s_or_b64 exec, exec, s[24:25]
	s_and_saveexec_b64 s[24:25], s[26:27]
	s_cbranch_execz .LBB108_453
; %bb.469:                              ;   in Loop: Header=BB108_455 Depth=1
	v_cmp_le_u32_e32 vcc, s30, v6
	v_add_u32_e32 v2, s49, v2
	s_or_b64 s[28:29], s[28:29], exec
	s_orn2_b64 s[22:23], vcc, exec
	s_branch .LBB108_453
.LBB108_470:
	s_or_b64 s[14:15], s[14:15], exec
	s_trap 2
	s_branch .LBB108_430
.LBB108_471:
	s_or_b64 exec, exec, s[18:19]
	s_mov_b64 s[0:1], 0
	s_and_saveexec_b64 s[2:3], s[20:21]
	s_xor_b64 s[2:3], exec, s[2:3]
	s_cbranch_execnz .LBB108_477
.LBB108_472:
	s_or_b64 exec, exec, s[2:3]
	s_and_b64 s[2:3], s[0:1], exec
.LBB108_473:
	s_or_b64 exec, exec, s[8:9]
	s_and_b64 s[8:9], s[2:3], exec
	s_andn2_b64 s[4:5], s[4:5], exec
	s_or_b64 exec, exec, s[6:7]
	s_and_saveexec_b64 s[0:1], s[4:5]
	s_xor_b64 s[0:1], exec, s[0:1]
	s_cbranch_execz .LBB108_424
.LBB108_474:
	s_trap 2
	s_or_b64 s[8:9], s[8:9], exec
	s_branch .LBB108_424
.LBB108_475:
	s_or_b64 s[16:17], s[16:17], exec
	s_trap 2
	s_branch .LBB108_428
.LBB108_476:
	s_trap 2
	s_or_b64 s[18:19], s[18:19], exec
	s_branch .LBB108_426
.LBB108_477:
	s_mov_b64 s[0:1], exec
	s_trap 2
	s_branch .LBB108_472
	.section	.rodata,"a",@progbits
	.p2align	6, 0x0
	.amdhsa_kernel _ZN2at6native6sbtopk10gatherTopKIN3c108BFloat16EjLi1ELb0EEEvNS_4cuda6detail10TensorInfoIKT_T0_EESA_SA_bSA_SA_NS7_IS8_SA_EESA_NS7_IlSA_EESA_PS8_
		.amdhsa_group_segment_fixed_size 4112
		.amdhsa_private_segment_fixed_size 0
		.amdhsa_kernarg_size 952
		.amdhsa_user_sgpr_count 6
		.amdhsa_user_sgpr_private_segment_buffer 1
		.amdhsa_user_sgpr_dispatch_ptr 0
		.amdhsa_user_sgpr_queue_ptr 0
		.amdhsa_user_sgpr_kernarg_segment_ptr 1
		.amdhsa_user_sgpr_dispatch_id 0
		.amdhsa_user_sgpr_flat_scratch_init 0
		.amdhsa_user_sgpr_private_segment_size 0
		.amdhsa_uses_dynamic_stack 0
		.amdhsa_system_sgpr_private_segment_wavefront_offset 0
		.amdhsa_system_sgpr_workgroup_id_x 1
		.amdhsa_system_sgpr_workgroup_id_y 1
		.amdhsa_system_sgpr_workgroup_id_z 1
		.amdhsa_system_sgpr_workgroup_info 0
		.amdhsa_system_vgpr_workitem_id 0
		.amdhsa_next_free_vgpr 53
		.amdhsa_next_free_sgpr 96
		.amdhsa_reserve_vcc 1
		.amdhsa_reserve_flat_scratch 0
		.amdhsa_float_round_mode_32 0
		.amdhsa_float_round_mode_16_64 0
		.amdhsa_float_denorm_mode_32 3
		.amdhsa_float_denorm_mode_16_64 3
		.amdhsa_dx10_clamp 1
		.amdhsa_ieee_mode 1
		.amdhsa_fp16_overflow 0
		.amdhsa_exception_fp_ieee_invalid_op 0
		.amdhsa_exception_fp_denorm_src 0
		.amdhsa_exception_fp_ieee_div_zero 0
		.amdhsa_exception_fp_ieee_overflow 0
		.amdhsa_exception_fp_ieee_underflow 0
		.amdhsa_exception_fp_ieee_inexact 0
		.amdhsa_exception_int_div_zero 0
	.end_amdhsa_kernel
	.section	.text._ZN2at6native6sbtopk10gatherTopKIN3c108BFloat16EjLi1ELb0EEEvNS_4cuda6detail10TensorInfoIKT_T0_EESA_SA_bSA_SA_NS7_IS8_SA_EESA_NS7_IlSA_EESA_PS8_,"axG",@progbits,_ZN2at6native6sbtopk10gatherTopKIN3c108BFloat16EjLi1ELb0EEEvNS_4cuda6detail10TensorInfoIKT_T0_EESA_SA_bSA_SA_NS7_IS8_SA_EESA_NS7_IlSA_EESA_PS8_,comdat
.Lfunc_end108:
	.size	_ZN2at6native6sbtopk10gatherTopKIN3c108BFloat16EjLi1ELb0EEEvNS_4cuda6detail10TensorInfoIKT_T0_EESA_SA_bSA_SA_NS7_IS8_SA_EESA_NS7_IlSA_EESA_PS8_, .Lfunc_end108-_ZN2at6native6sbtopk10gatherTopKIN3c108BFloat16EjLi1ELb0EEEvNS_4cuda6detail10TensorInfoIKT_T0_EESA_SA_bSA_SA_NS7_IS8_SA_EESA_NS7_IlSA_EESA_PS8_
                                        ; -- End function
	.set _ZN2at6native6sbtopk10gatherTopKIN3c108BFloat16EjLi1ELb0EEEvNS_4cuda6detail10TensorInfoIKT_T0_EESA_SA_bSA_SA_NS7_IS8_SA_EESA_NS7_IlSA_EESA_PS8_.num_vgpr, 53
	.set _ZN2at6native6sbtopk10gatherTopKIN3c108BFloat16EjLi1ELb0EEEvNS_4cuda6detail10TensorInfoIKT_T0_EESA_SA_bSA_SA_NS7_IS8_SA_EESA_NS7_IlSA_EESA_PS8_.num_agpr, 0
	.set _ZN2at6native6sbtopk10gatherTopKIN3c108BFloat16EjLi1ELb0EEEvNS_4cuda6detail10TensorInfoIKT_T0_EESA_SA_bSA_SA_NS7_IS8_SA_EESA_NS7_IlSA_EESA_PS8_.numbered_sgpr, 96
	.set _ZN2at6native6sbtopk10gatherTopKIN3c108BFloat16EjLi1ELb0EEEvNS_4cuda6detail10TensorInfoIKT_T0_EESA_SA_bSA_SA_NS7_IS8_SA_EESA_NS7_IlSA_EESA_PS8_.num_named_barrier, 0
	.set _ZN2at6native6sbtopk10gatherTopKIN3c108BFloat16EjLi1ELb0EEEvNS_4cuda6detail10TensorInfoIKT_T0_EESA_SA_bSA_SA_NS7_IS8_SA_EESA_NS7_IlSA_EESA_PS8_.private_seg_size, 0
	.set _ZN2at6native6sbtopk10gatherTopKIN3c108BFloat16EjLi1ELb0EEEvNS_4cuda6detail10TensorInfoIKT_T0_EESA_SA_bSA_SA_NS7_IS8_SA_EESA_NS7_IlSA_EESA_PS8_.uses_vcc, 1
	.set _ZN2at6native6sbtopk10gatherTopKIN3c108BFloat16EjLi1ELb0EEEvNS_4cuda6detail10TensorInfoIKT_T0_EESA_SA_bSA_SA_NS7_IS8_SA_EESA_NS7_IlSA_EESA_PS8_.uses_flat_scratch, 0
	.set _ZN2at6native6sbtopk10gatherTopKIN3c108BFloat16EjLi1ELb0EEEvNS_4cuda6detail10TensorInfoIKT_T0_EESA_SA_bSA_SA_NS7_IS8_SA_EESA_NS7_IlSA_EESA_PS8_.has_dyn_sized_stack, 0
	.set _ZN2at6native6sbtopk10gatherTopKIN3c108BFloat16EjLi1ELb0EEEvNS_4cuda6detail10TensorInfoIKT_T0_EESA_SA_bSA_SA_NS7_IS8_SA_EESA_NS7_IlSA_EESA_PS8_.has_recursion, 0
	.set _ZN2at6native6sbtopk10gatherTopKIN3c108BFloat16EjLi1ELb0EEEvNS_4cuda6detail10TensorInfoIKT_T0_EESA_SA_bSA_SA_NS7_IS8_SA_EESA_NS7_IlSA_EESA_PS8_.has_indirect_call, 0
	.section	.AMDGPU.csdata,"",@progbits
; Kernel info:
; codeLenInByte = 16936
; TotalNumSgprs: 100
; NumVgprs: 53
; ScratchSize: 0
; MemoryBound: 0
; FloatMode: 240
; IeeeMode: 1
; LDSByteSize: 4112 bytes/workgroup (compile time only)
; SGPRBlocks: 12
; VGPRBlocks: 13
; NumSGPRsForWavesPerEU: 100
; NumVGPRsForWavesPerEU: 53
; Occupancy: 4
; WaveLimiterHint : 1
; COMPUTE_PGM_RSRC2:SCRATCH_EN: 0
; COMPUTE_PGM_RSRC2:USER_SGPR: 6
; COMPUTE_PGM_RSRC2:TRAP_HANDLER: 0
; COMPUTE_PGM_RSRC2:TGID_X_EN: 1
; COMPUTE_PGM_RSRC2:TGID_Y_EN: 1
; COMPUTE_PGM_RSRC2:TGID_Z_EN: 1
; COMPUTE_PGM_RSRC2:TIDIG_COMP_CNT: 0
	.section	.text._ZN2at6native6mbtopk23computeBlockDigitCountsIN3c108BFloat16EjjLi2EEEvNS_4cuda6detail10TensorInfoIKT_T0_EEjPjjSA_iijT1_PSD_Ps,"axG",@progbits,_ZN2at6native6mbtopk23computeBlockDigitCountsIN3c108BFloat16EjjLi2EEEvNS_4cuda6detail10TensorInfoIKT_T0_EEjPjjSA_iijT1_PSD_Ps,comdat
	.protected	_ZN2at6native6mbtopk23computeBlockDigitCountsIN3c108BFloat16EjjLi2EEEvNS_4cuda6detail10TensorInfoIKT_T0_EEjPjjSA_iijT1_PSD_Ps ; -- Begin function _ZN2at6native6mbtopk23computeBlockDigitCountsIN3c108BFloat16EjjLi2EEEvNS_4cuda6detail10TensorInfoIKT_T0_EEjPjjSA_iijT1_PSD_Ps
	.globl	_ZN2at6native6mbtopk23computeBlockDigitCountsIN3c108BFloat16EjjLi2EEEvNS_4cuda6detail10TensorInfoIKT_T0_EEjPjjSA_iijT1_PSD_Ps
	.p2align	8
	.type	_ZN2at6native6mbtopk23computeBlockDigitCountsIN3c108BFloat16EjjLi2EEEvNS_4cuda6detail10TensorInfoIKT_T0_EEjPjjSA_iijT1_PSD_Ps,@function
_ZN2at6native6mbtopk23computeBlockDigitCountsIN3c108BFloat16EjjLi2EEEvNS_4cuda6detail10TensorInfoIKT_T0_EEjPjjSA_iijT1_PSD_Ps: ; @_ZN2at6native6mbtopk23computeBlockDigitCountsIN3c108BFloat16EjjLi2EEEvNS_4cuda6detail10TensorInfoIKT_T0_EEjPjjSA_iijT1_PSD_Ps
; %bb.0:
	s_load_dwordx2 s[10:11], s[4:5], 0xf8
	s_load_dwordx4 s[12:15], s[4:5], 0xe8
	s_load_dwordx2 s[0:1], s[4:5], 0x110
	s_waitcnt lgkmcnt(0)
	v_cvt_f32_u32_e32 v1, s10
	s_sub_i32 s2, 0, s10
	s_mul_i32 s1, s1, s8
	s_add_i32 s1, s1, s7
	v_rcp_iflag_f32_e32 v1, v1
	s_mul_i32 s16, s1, s0
	s_add_i32 s16, s16, s6
	s_mov_b32 s7, 0
	v_mul_f32_e32 v1, 0x4f7ffffe, v1
	v_cvt_u32_f32_e32 v1, v1
	v_readfirstlane_b32 s0, v1
	s_mul_i32 s2, s2, s0
	s_mul_hi_u32 s1, s0, s2
	s_add_i32 s0, s0, s1
	s_mul_hi_u32 s0, s16, s0
	s_mul_i32 s1, s0, s10
	s_sub_i32 s1, s16, s1
	s_add_i32 s2, s0, 1
	s_sub_i32 s3, s1, s10
	s_cmp_ge_u32 s1, s10
	s_cselect_b32 s0, s2, s0
	s_cselect_b32 s1, s3, s1
	s_add_i32 s2, s0, 1
	s_cmp_ge_u32 s1, s10
	s_cselect_b32 s6, s2, s0
	s_cmp_ge_u32 s6, s12
	s_cbranch_scc1 .LBB109_27
; %bb.1:
	s_load_dword s12, s[4:5], 0xc
	s_load_dwordx4 s[0:3], s[4:5], 0x100
	s_lshl_b64 s[8:9], s[6:7], 2
	s_movk_i32 s7, 0x100
	v_cmp_gt_u32_e32 vcc, s7, v0
	s_waitcnt lgkmcnt(0)
	v_cvt_f32_u32_e32 v1, s12
	s_add_u32 s0, s0, s8
	s_addc_u32 s1, s1, s9
	v_lshlrev_b32_e32 v3, 2, v0
	v_rcp_iflag_f32_e32 v1, v1
	v_mul_f32_e32 v1, 0x4f7ffffe, v1
	v_cvt_u32_f32_e32 v1, v1
	v_readfirstlane_b32 s18, v1
	s_and_saveexec_b64 s[8:9], vcc
; %bb.2:
	v_mov_b32_e32 v1, 0
	ds_write_b32 v3, v1
; %bb.3:
	s_or_b64 exec, exec, s[8:9]
	s_load_dword s8, s[4:5], 0xd8
	s_mul_i32 s7, s6, s10
	s_sub_i32 s7, s16, s7
	s_add_i32 s9, s7, 1
	s_mul_i32 s7, s15, s7
	s_lshl_b32 s17, s7, 8
	s_waitcnt lgkmcnt(0)
	s_sub_i32 s7, s8, s17
	s_add_u32 s20, s7, 0xff
	s_addc_u32 s21, 0, 0
	s_lshr_b64 s[20:21], s[20:21], 8
	s_cmp_lt_u32 s9, s10
	s_cselect_b32 s15, s15, s20
	s_cmp_lt_i32 s15, 1
	s_mov_b32 s7, 0
	s_barrier
	s_cbranch_scc1 .LBB109_25
; %bb.4:
	s_sub_i32 s9, 0, s12
	s_mul_i32 s9, s9, s18
	s_mul_hi_u32 s9, s18, s9
	s_add_i32 s9, s18, s9
	s_load_dwordx2 s[18:19], s[4:5], 0x6c
	s_load_dwordx2 s[20:21], s[4:5], 0x0
	s_mul_hi_u32 s4, s6, s9
	s_load_dword s9, s[0:1], 0x0
	s_mul_i32 s0, s4, s12
	s_sub_i32 s0, s6, s0
	s_add_i32 s1, s4, 1
	s_sub_i32 s5, s0, s12
	s_cmp_ge_u32 s0, s12
	s_cselect_b32 s1, s1, s4
	s_cselect_b32 s0, s5, s0
	s_add_i32 s4, s1, 1
	s_cmp_ge_u32 s0, s12
	s_cselect_b32 s0, s4, s1
	s_mul_i32 s1, s0, s12
	s_sub_i32 s1, s6, s1
	s_waitcnt lgkmcnt(0)
	s_mul_i32 s1, s1, s19
	s_mul_i32 s0, s0, s18
	s_add_i32 s6, s0, s1
	s_lshl_b64 s[0:1], s[6:7], 1
	s_add_u32 s6, s20, s0
	s_addc_u32 s10, s21, s1
	s_and_b32 s12, s14, 0xff
	s_cmp_lt_u32 s15, 4
	s_cbranch_scc1 .LBB109_19
; %bb.5:
	v_add_u32_e32 v1, s17, v0
	v_add_u32_e32 v2, 0x200, v1
	;; [unrolled: 1-line block ×3, first 2 shown]
	v_mul_lo_u32 v6, s13, v2
	v_add_u32_e32 v2, 0x100, v1
	v_mul_lo_u32 v5, s13, v4
	v_mul_lo_u32 v7, s13, v2
	v_mul_lo_u32 v8, s13, v1
	s_and_b32 s7, s15, 0x7ffffffc
	s_lshl_b32 s14, s13, 10
	s_mov_b32 s18, 0
	v_mov_b32_e32 v2, 0
	v_mov_b32_e32 v9, 1
	;; [unrolled: 1-line block ×4, first 2 shown]
	s_mov_b32 s19, 0
	s_branch .LBB109_7
.LBB109_6:                              ;   in Loop: Header=BB109_7 Depth=1
	s_or_b64 exec, exec, s[4:5]
	s_add_i32 s19, s19, 4
	s_add_i32 s18, s18, s14
	s_cmp_eq_u32 s7, s19
	v_add_u32_e32 v4, 0x400, v4
	s_cbranch_scc1 .LBB109_19
.LBB109_7:                              ; =>This Inner Loop Header: Depth=1
	v_add_u32_e32 v1, 0xfffffd00, v4
	v_cmp_gt_u32_e64 s[0:1], s8, v1
	s_and_saveexec_b64 s[4:5], s[0:1]
	s_cbranch_execz .LBB109_10
; %bb.8:                                ;   in Loop: Header=BB109_7 Depth=1
	v_add_u32_e32 v1, s18, v8
	v_lshlrev_b64 v[12:13], 1, v[1:2]
	v_mov_b32_e32 v1, s10
	v_add_co_u32_e64 v12, s[0:1], s6, v12
	v_addc_co_u32_e64 v13, s[0:1], v1, v13, s[0:1]
	global_load_ushort v1, v[12:13], off
	s_waitcnt vmcnt(0)
	v_cmp_lt_i16_e64 s[0:1], -1, v1
	v_cndmask_b32_e64 v12, v10, v11, s[0:1]
	v_lshlrev_b32_e32 v13, 16, v1
	v_xor_b32_sdwa v1, v12, v1 dst_sel:DWORD dst_unused:UNUSED_PAD src0_sel:DWORD src1_sel:WORD_0
	v_cmp_o_f32_e64 s[0:1], v13, v13
	v_cndmask_b32_e64 v1, v10, v1, s[0:1]
	v_xor_b32_e32 v12, s9, v1
	v_and_b32_e32 v12, s11, v12
	v_cmp_eq_u32_e64 s[0:1], 0, v12
	s_and_b64 exec, exec, s[0:1]
; %bb.9:                                ;   in Loop: Header=BB109_7 Depth=1
	v_bfe_u32 v1, v1, s12, 8
	v_lshlrev_b32_e32 v1, 2, v1
	ds_add_u32 v1, v9
.LBB109_10:                             ;   in Loop: Header=BB109_7 Depth=1
	s_or_b64 exec, exec, s[4:5]
	v_add_u32_e32 v1, 0xfffffe00, v4
	v_cmp_gt_u32_e64 s[0:1], s8, v1
	s_and_saveexec_b64 s[4:5], s[0:1]
	s_cbranch_execz .LBB109_13
; %bb.11:                               ;   in Loop: Header=BB109_7 Depth=1
	v_add_u32_e32 v1, s18, v7
	v_lshlrev_b64 v[12:13], 1, v[1:2]
	v_mov_b32_e32 v1, s10
	v_add_co_u32_e64 v12, s[0:1], s6, v12
	v_addc_co_u32_e64 v13, s[0:1], v1, v13, s[0:1]
	global_load_ushort v1, v[12:13], off
	s_waitcnt vmcnt(0)
	v_cmp_lt_i16_e64 s[0:1], -1, v1
	v_cndmask_b32_e64 v12, v10, v11, s[0:1]
	v_lshlrev_b32_e32 v13, 16, v1
	v_xor_b32_sdwa v1, v12, v1 dst_sel:DWORD dst_unused:UNUSED_PAD src0_sel:DWORD src1_sel:WORD_0
	v_cmp_o_f32_e64 s[0:1], v13, v13
	v_cndmask_b32_e64 v1, v10, v1, s[0:1]
	v_xor_b32_e32 v12, s9, v1
	v_and_b32_e32 v12, s11, v12
	v_cmp_eq_u32_e64 s[0:1], 0, v12
	s_and_b64 exec, exec, s[0:1]
; %bb.12:                               ;   in Loop: Header=BB109_7 Depth=1
	v_bfe_u32 v1, v1, s12, 8
	v_lshlrev_b32_e32 v1, 2, v1
	ds_add_u32 v1, v9
.LBB109_13:                             ;   in Loop: Header=BB109_7 Depth=1
	s_or_b64 exec, exec, s[4:5]
	v_add_u32_e32 v1, 0xffffff00, v4
	v_cmp_gt_u32_e64 s[0:1], s8, v1
	s_and_saveexec_b64 s[4:5], s[0:1]
	s_cbranch_execz .LBB109_16
; %bb.14:                               ;   in Loop: Header=BB109_7 Depth=1
	v_add_u32_e32 v1, s18, v6
	v_lshlrev_b64 v[12:13], 1, v[1:2]
	v_mov_b32_e32 v1, s10
	v_add_co_u32_e64 v12, s[0:1], s6, v12
	v_addc_co_u32_e64 v13, s[0:1], v1, v13, s[0:1]
	global_load_ushort v1, v[12:13], off
	s_waitcnt vmcnt(0)
	v_cmp_lt_i16_e64 s[0:1], -1, v1
	v_cndmask_b32_e64 v12, v10, v11, s[0:1]
	v_lshlrev_b32_e32 v13, 16, v1
	v_xor_b32_sdwa v1, v12, v1 dst_sel:DWORD dst_unused:UNUSED_PAD src0_sel:DWORD src1_sel:WORD_0
	v_cmp_o_f32_e64 s[0:1], v13, v13
	v_cndmask_b32_e64 v1, v10, v1, s[0:1]
	v_xor_b32_e32 v12, s9, v1
	v_and_b32_e32 v12, s11, v12
	v_cmp_eq_u32_e64 s[0:1], 0, v12
	s_and_b64 exec, exec, s[0:1]
; %bb.15:                               ;   in Loop: Header=BB109_7 Depth=1
	v_bfe_u32 v1, v1, s12, 8
	v_lshlrev_b32_e32 v1, 2, v1
	ds_add_u32 v1, v9
.LBB109_16:                             ;   in Loop: Header=BB109_7 Depth=1
	s_or_b64 exec, exec, s[4:5]
	v_cmp_gt_u32_e64 s[0:1], s8, v4
	s_and_saveexec_b64 s[4:5], s[0:1]
	s_cbranch_execz .LBB109_6
; %bb.17:                               ;   in Loop: Header=BB109_7 Depth=1
	v_add_u32_e32 v1, s18, v5
	v_lshlrev_b64 v[12:13], 1, v[1:2]
	v_mov_b32_e32 v1, s10
	v_add_co_u32_e64 v12, s[0:1], s6, v12
	v_addc_co_u32_e64 v13, s[0:1], v1, v13, s[0:1]
	global_load_ushort v1, v[12:13], off
	s_waitcnt vmcnt(0)
	v_cmp_lt_i16_e64 s[0:1], -1, v1
	v_cndmask_b32_e64 v12, v10, v11, s[0:1]
	v_lshlrev_b32_e32 v13, 16, v1
	v_xor_b32_sdwa v1, v12, v1 dst_sel:DWORD dst_unused:UNUSED_PAD src0_sel:DWORD src1_sel:WORD_0
	v_cmp_o_f32_e64 s[0:1], v13, v13
	v_cndmask_b32_e64 v1, v10, v1, s[0:1]
	v_xor_b32_e32 v12, s9, v1
	v_and_b32_e32 v12, s11, v12
	v_cmp_eq_u32_e64 s[0:1], 0, v12
	s_and_b64 exec, exec, s[0:1]
	s_cbranch_execz .LBB109_6
; %bb.18:                               ;   in Loop: Header=BB109_7 Depth=1
	v_bfe_u32 v1, v1, s12, 8
	v_lshlrev_b32_e32 v1, 2, v1
	ds_add_u32 v1, v9
	s_branch .LBB109_6
.LBB109_19:
	s_and_b32 s14, s15, 3
	s_cmp_eq_u32 s14, 0
	s_cbranch_scc1 .LBB109_25
; %bb.20:
	s_lshl_b32 s0, s7, 8
	s_add_i32 s0, s0, s17
	v_add_u32_e32 v4, s0, v0
	v_mul_lo_u32 v1, s13, v4
	s_lshl_b32 s7, s13, 8
	v_mov_b32_e32 v2, 0
	v_mov_b32_e32 v5, 1
	;; [unrolled: 1-line block ×4, first 2 shown]
	s_branch .LBB109_22
.LBB109_21:                             ;   in Loop: Header=BB109_22 Depth=1
	s_or_b64 exec, exec, s[4:5]
	s_add_i32 s14, s14, -1
	v_add_u32_e32 v1, s7, v1
	s_cmp_lg_u32 s14, 0
	v_add_u32_e32 v4, 0x100, v4
	s_cbranch_scc0 .LBB109_25
.LBB109_22:                             ; =>This Inner Loop Header: Depth=1
	v_cmp_gt_u32_e64 s[0:1], s8, v4
	s_and_saveexec_b64 s[4:5], s[0:1]
	s_cbranch_execz .LBB109_21
; %bb.23:                               ;   in Loop: Header=BB109_22 Depth=1
	v_lshlrev_b64 v[8:9], 1, v[1:2]
	v_mov_b32_e32 v10, s10
	v_add_co_u32_e64 v8, s[0:1], s6, v8
	v_addc_co_u32_e64 v9, s[0:1], v10, v9, s[0:1]
	global_load_ushort v8, v[8:9], off
	s_waitcnt vmcnt(0)
	v_cmp_lt_i16_e64 s[0:1], -1, v8
	v_cndmask_b32_e64 v9, v6, v7, s[0:1]
	v_lshlrev_b32_e32 v10, 16, v8
	v_xor_b32_sdwa v8, v9, v8 dst_sel:DWORD dst_unused:UNUSED_PAD src0_sel:DWORD src1_sel:WORD_0
	v_cmp_o_f32_e64 s[0:1], v10, v10
	v_cndmask_b32_e64 v8, v6, v8, s[0:1]
	v_xor_b32_e32 v9, s9, v8
	v_and_b32_e32 v9, s11, v9
	v_cmp_eq_u32_e64 s[0:1], 0, v9
	s_and_b64 exec, exec, s[0:1]
	s_cbranch_execz .LBB109_21
; %bb.24:                               ;   in Loop: Header=BB109_22 Depth=1
	v_bfe_u32 v8, v8, s12, 8
	v_lshlrev_b32_e32 v8, 2, v8
	ds_add_u32 v8, v5
	s_branch .LBB109_21
.LBB109_25:
	s_waitcnt lgkmcnt(0)
	s_barrier
	s_and_saveexec_b64 s[0:1], vcc
	s_cbranch_execz .LBB109_27
; %bb.26:
	v_lshl_or_b32 v0, s16, 8, v0
	v_mov_b32_e32 v1, 0
	ds_read_b32 v3, v3
	v_lshlrev_b64 v[0:1], 1, v[0:1]
	v_mov_b32_e32 v2, s3
	v_add_co_u32_e32 v0, vcc, s2, v0
	v_addc_co_u32_e32 v1, vcc, v2, v1, vcc
	s_waitcnt lgkmcnt(0)
	global_store_short v[0:1], v3, off
.LBB109_27:
	s_endpgm
	.section	.rodata,"a",@progbits
	.p2align	6, 0x0
	.amdhsa_kernel _ZN2at6native6mbtopk23computeBlockDigitCountsIN3c108BFloat16EjjLi2EEEvNS_4cuda6detail10TensorInfoIKT_T0_EEjPjjSA_iijT1_PSD_Ps
		.amdhsa_group_segment_fixed_size 1024
		.amdhsa_private_segment_fixed_size 0
		.amdhsa_kernarg_size 528
		.amdhsa_user_sgpr_count 6
		.amdhsa_user_sgpr_private_segment_buffer 1
		.amdhsa_user_sgpr_dispatch_ptr 0
		.amdhsa_user_sgpr_queue_ptr 0
		.amdhsa_user_sgpr_kernarg_segment_ptr 1
		.amdhsa_user_sgpr_dispatch_id 0
		.amdhsa_user_sgpr_flat_scratch_init 0
		.amdhsa_user_sgpr_private_segment_size 0
		.amdhsa_uses_dynamic_stack 0
		.amdhsa_system_sgpr_private_segment_wavefront_offset 0
		.amdhsa_system_sgpr_workgroup_id_x 1
		.amdhsa_system_sgpr_workgroup_id_y 1
		.amdhsa_system_sgpr_workgroup_id_z 1
		.amdhsa_system_sgpr_workgroup_info 0
		.amdhsa_system_vgpr_workitem_id 0
		.amdhsa_next_free_vgpr 14
		.amdhsa_next_free_sgpr 22
		.amdhsa_reserve_vcc 1
		.amdhsa_reserve_flat_scratch 0
		.amdhsa_float_round_mode_32 0
		.amdhsa_float_round_mode_16_64 0
		.amdhsa_float_denorm_mode_32 3
		.amdhsa_float_denorm_mode_16_64 3
		.amdhsa_dx10_clamp 1
		.amdhsa_ieee_mode 1
		.amdhsa_fp16_overflow 0
		.amdhsa_exception_fp_ieee_invalid_op 0
		.amdhsa_exception_fp_denorm_src 0
		.amdhsa_exception_fp_ieee_div_zero 0
		.amdhsa_exception_fp_ieee_overflow 0
		.amdhsa_exception_fp_ieee_underflow 0
		.amdhsa_exception_fp_ieee_inexact 0
		.amdhsa_exception_int_div_zero 0
	.end_amdhsa_kernel
	.section	.text._ZN2at6native6mbtopk23computeBlockDigitCountsIN3c108BFloat16EjjLi2EEEvNS_4cuda6detail10TensorInfoIKT_T0_EEjPjjSA_iijT1_PSD_Ps,"axG",@progbits,_ZN2at6native6mbtopk23computeBlockDigitCountsIN3c108BFloat16EjjLi2EEEvNS_4cuda6detail10TensorInfoIKT_T0_EEjPjjSA_iijT1_PSD_Ps,comdat
.Lfunc_end109:
	.size	_ZN2at6native6mbtopk23computeBlockDigitCountsIN3c108BFloat16EjjLi2EEEvNS_4cuda6detail10TensorInfoIKT_T0_EEjPjjSA_iijT1_PSD_Ps, .Lfunc_end109-_ZN2at6native6mbtopk23computeBlockDigitCountsIN3c108BFloat16EjjLi2EEEvNS_4cuda6detail10TensorInfoIKT_T0_EEjPjjSA_iijT1_PSD_Ps
                                        ; -- End function
	.set _ZN2at6native6mbtopk23computeBlockDigitCountsIN3c108BFloat16EjjLi2EEEvNS_4cuda6detail10TensorInfoIKT_T0_EEjPjjSA_iijT1_PSD_Ps.num_vgpr, 14
	.set _ZN2at6native6mbtopk23computeBlockDigitCountsIN3c108BFloat16EjjLi2EEEvNS_4cuda6detail10TensorInfoIKT_T0_EEjPjjSA_iijT1_PSD_Ps.num_agpr, 0
	.set _ZN2at6native6mbtopk23computeBlockDigitCountsIN3c108BFloat16EjjLi2EEEvNS_4cuda6detail10TensorInfoIKT_T0_EEjPjjSA_iijT1_PSD_Ps.numbered_sgpr, 22
	.set _ZN2at6native6mbtopk23computeBlockDigitCountsIN3c108BFloat16EjjLi2EEEvNS_4cuda6detail10TensorInfoIKT_T0_EEjPjjSA_iijT1_PSD_Ps.num_named_barrier, 0
	.set _ZN2at6native6mbtopk23computeBlockDigitCountsIN3c108BFloat16EjjLi2EEEvNS_4cuda6detail10TensorInfoIKT_T0_EEjPjjSA_iijT1_PSD_Ps.private_seg_size, 0
	.set _ZN2at6native6mbtopk23computeBlockDigitCountsIN3c108BFloat16EjjLi2EEEvNS_4cuda6detail10TensorInfoIKT_T0_EEjPjjSA_iijT1_PSD_Ps.uses_vcc, 1
	.set _ZN2at6native6mbtopk23computeBlockDigitCountsIN3c108BFloat16EjjLi2EEEvNS_4cuda6detail10TensorInfoIKT_T0_EEjPjjSA_iijT1_PSD_Ps.uses_flat_scratch, 0
	.set _ZN2at6native6mbtopk23computeBlockDigitCountsIN3c108BFloat16EjjLi2EEEvNS_4cuda6detail10TensorInfoIKT_T0_EEjPjjSA_iijT1_PSD_Ps.has_dyn_sized_stack, 0
	.set _ZN2at6native6mbtopk23computeBlockDigitCountsIN3c108BFloat16EjjLi2EEEvNS_4cuda6detail10TensorInfoIKT_T0_EEjPjjSA_iijT1_PSD_Ps.has_recursion, 0
	.set _ZN2at6native6mbtopk23computeBlockDigitCountsIN3c108BFloat16EjjLi2EEEvNS_4cuda6detail10TensorInfoIKT_T0_EEjPjjSA_iijT1_PSD_Ps.has_indirect_call, 0
	.section	.AMDGPU.csdata,"",@progbits
; Kernel info:
; codeLenInByte = 1508
; TotalNumSgprs: 26
; NumVgprs: 14
; ScratchSize: 0
; MemoryBound: 0
; FloatMode: 240
; IeeeMode: 1
; LDSByteSize: 1024 bytes/workgroup (compile time only)
; SGPRBlocks: 3
; VGPRBlocks: 3
; NumSGPRsForWavesPerEU: 26
; NumVGPRsForWavesPerEU: 14
; Occupancy: 10
; WaveLimiterHint : 1
; COMPUTE_PGM_RSRC2:SCRATCH_EN: 0
; COMPUTE_PGM_RSRC2:USER_SGPR: 6
; COMPUTE_PGM_RSRC2:TRAP_HANDLER: 0
; COMPUTE_PGM_RSRC2:TGID_X_EN: 1
; COMPUTE_PGM_RSRC2:TGID_Y_EN: 1
; COMPUTE_PGM_RSRC2:TGID_Z_EN: 1
; COMPUTE_PGM_RSRC2:TIDIG_COMP_CNT: 0
	.section	.text._ZN2at6native6mbtopk10gatherTopKIN3c108BFloat16EjLi2EEEvNS_4cuda6detail10TensorInfoIKT_T0_EESA_SA_bjSA_NS7_IS8_SA_EESA_NS7_IlSA_EESA_jjPS8_PjSF_j,"axG",@progbits,_ZN2at6native6mbtopk10gatherTopKIN3c108BFloat16EjLi2EEEvNS_4cuda6detail10TensorInfoIKT_T0_EESA_SA_bjSA_NS7_IS8_SA_EESA_NS7_IlSA_EESA_jjPS8_PjSF_j,comdat
	.protected	_ZN2at6native6mbtopk10gatherTopKIN3c108BFloat16EjLi2EEEvNS_4cuda6detail10TensorInfoIKT_T0_EESA_SA_bjSA_NS7_IS8_SA_EESA_NS7_IlSA_EESA_jjPS8_PjSF_j ; -- Begin function _ZN2at6native6mbtopk10gatherTopKIN3c108BFloat16EjLi2EEEvNS_4cuda6detail10TensorInfoIKT_T0_EESA_SA_bjSA_NS7_IS8_SA_EESA_NS7_IlSA_EESA_jjPS8_PjSF_j
	.globl	_ZN2at6native6mbtopk10gatherTopKIN3c108BFloat16EjLi2EEEvNS_4cuda6detail10TensorInfoIKT_T0_EESA_SA_bjSA_NS7_IS8_SA_EESA_NS7_IlSA_EESA_jjPS8_PjSF_j
	.p2align	8
	.type	_ZN2at6native6mbtopk10gatherTopKIN3c108BFloat16EjLi2EEEvNS_4cuda6detail10TensorInfoIKT_T0_EESA_SA_bjSA_NS7_IS8_SA_EESA_NS7_IlSA_EESA_jjPS8_PjSF_j,@function
_ZN2at6native6mbtopk10gatherTopKIN3c108BFloat16EjLi2EEEvNS_4cuda6detail10TensorInfoIKT_T0_EESA_SA_bjSA_NS7_IS8_SA_EESA_NS7_IlSA_EESA_jjPS8_PjSF_j: ; @_ZN2at6native6mbtopk10gatherTopKIN3c108BFloat16EjLi2EEEvNS_4cuda6detail10TensorInfoIKT_T0_EESA_SA_bjSA_NS7_IS8_SA_EESA_NS7_IlSA_EESA_jjPS8_PjSF_j
; %bb.0:
	s_load_dwordx2 s[0:1], s[4:5], 0x2d8
	s_load_dword s2, s[4:5], 0x2d0
	s_waitcnt lgkmcnt(0)
	s_mul_i32 s1, s1, s8
	s_add_i32 s1, s1, s7
	s_mul_i32 s0, s1, s0
	s_add_i32 s0, s0, s6
	s_cmp_ge_u32 s0, s2
	s_cbranch_scc1 .LBB110_40
; %bb.1:
	s_load_dwordx8 s[8:15], s[4:5], 0x2a8
	s_load_dword s41, s[4:5], 0xc
	s_load_dword s33, s[4:5], 0x1dc
	s_load_dwordx2 s[6:7], s[4:5], 0x1d0
	s_load_dword s40, s[4:5], 0xfc
	s_mov_b32 s21, 0
	s_waitcnt lgkmcnt(0)
	v_cvt_f32_u32_e32 v1, s10
	v_cvt_f32_u32_e32 v2, s41
	s_sub_i32 s1, 0, s10
	v_cvt_f32_u32_e32 v3, s40
	v_rcp_iflag_f32_e32 v1, v1
	v_rcp_iflag_f32_e32 v2, v2
	v_mul_f32_e32 v1, 0x4f7ffffe, v1
	v_cvt_u32_f32_e32 v1, v1
	v_mul_f32_e32 v2, 0x4f7ffffe, v2
	v_cvt_u32_f32_e32 v2, v2
	v_readfirstlane_b32 s2, v1
	s_mul_i32 s1, s1, s2
	s_mul_hi_u32 s1, s2, s1
	s_add_i32 s2, s2, s1
	s_mul_hi_u32 s1, s0, s2
	s_mul_i32 s2, s1, s10
	s_sub_i32 s2, s0, s2
	s_add_i32 s3, s1, 1
	s_sub_i32 s11, s2, s10
	s_cmp_ge_u32 s2, s10
	s_cselect_b32 s1, s3, s1
	s_cselect_b32 s2, s11, s2
	s_add_i32 s3, s1, 1
	s_cmp_ge_u32 s2, s10
	v_rcp_iflag_f32_e32 v1, v3
	s_cselect_b32 s20, s3, s1
	v_readfirstlane_b32 s1, v2
	v_cvt_f32_u32_e32 v2, s33
	v_mul_f32_e32 v1, 0x4f7ffffe, v1
	s_mul_i32 s16, s20, s10
	v_cvt_u32_f32_e32 v1, v1
	v_rcp_iflag_f32_e32 v2, v2
	s_sub_i32 s11, s0, s16
	s_sub_i32 s0, 0, s41
	s_mul_i32 s0, s0, s1
	s_mul_hi_u32 s0, s1, s0
	s_add_i32 s2, s1, s0
	v_readfirstlane_b32 s1, v1
	v_mul_f32_e32 v1, 0x4f7ffffe, v2
	v_cvt_u32_f32_e32 v1, v1
	s_sub_i32 s0, 0, s40
	s_mul_i32 s0, s0, s1
	s_mul_hi_u32 s0, s1, s0
	s_add_i32 s3, s1, s0
	s_sub_i32 s0, 0, s33
	v_readfirstlane_b32 s1, v1
	s_mul_i32 s0, s0, s1
	s_mul_hi_u32 s0, s1, s0
	s_add_i32 s17, s1, s0
	s_lshl_b64 s[0:1], s[20:21], 1
	s_add_u32 s0, s12, s0
	s_addc_u32 s1, s13, s1
	v_mov_b32_e32 v1, 0
	global_load_ushort v1, v1, s[0:1]
	s_load_dwordx2 s[28:29], s[4:5], 0x15c
	s_load_dwordx2 s[22:23], s[4:5], 0xf0
	;; [unrolled: 1-line block ×5, first 2 shown]
	v_cmp_ne_u32_e64 s[0:1], 0, v0
	s_mul_hi_u32 s45, s20, s2
	s_mul_hi_u32 s44, s20, s3
	;; [unrolled: 1-line block ×3, first 2 shown]
	v_cmp_eq_u32_e64 s[2:3], 0, v0
	s_waitcnt vmcnt(0)
	v_readfirstlane_b32 s42, v1
	s_and_saveexec_b64 s[12:13], s[2:3]
	s_cbranch_execz .LBB110_17
; %bb.2:
	s_load_dwordx2 s[34:35], s[4:5], 0x2c8
	s_mov_b32 s17, s21
	s_lshl_b64 s[36:37], s[16:17], 2
	s_add_u32 s16, s14, s36
	s_addc_u32 s17, s15, s37
	s_waitcnt lgkmcnt(0)
	s_add_u32 s18, s34, s36
	s_addc_u32 s19, s35, s37
	s_cmp_lt_u32 s10, 4
	s_cbranch_scc1 .LBB110_14
; %bb.3:
	s_mov_b32 s46, s21
	s_mov_b32 s47, s21
	;; [unrolled: 1-line block ×3, first 2 shown]
.LBB110_4:                              ; =>This Inner Loop Header: Depth=1
	s_add_u32 s38, s14, s36
	s_addc_u32 s39, s15, s37
	s_load_dwordx4 s[16:19], s[38:39], 0x0
	s_add_u32 s38, s34, s36
	s_addc_u32 s39, s35, s37
	s_cmp_ge_u32 s48, s11
	s_cbranch_scc0 .LBB110_11
; %bb.5:                                ;   in Loop: Header=BB110_4 Depth=1
	s_add_i32 s49, s48, 1
	s_cmp_ge_u32 s49, s11
	s_cbranch_scc0 .LBB110_12
.LBB110_6:                              ;   in Loop: Header=BB110_4 Depth=1
	s_add_i32 s49, s49, 1
	s_cmp_ge_u32 s49, s11
	s_cbranch_scc0 .LBB110_13
.LBB110_7:                              ;   in Loop: Header=BB110_4 Depth=1
	s_add_i32 s49, s49, 1
	s_cmp_ge_u32 s49, s11
	s_cbranch_scc1 .LBB110_9
.LBB110_8:                              ;   in Loop: Header=BB110_4 Depth=1
	s_load_dword s38, s[38:39], 0xc
	s_waitcnt lgkmcnt(0)
	s_add_i32 s21, s21, s19
	s_add_i32 s46, s38, s46
.LBB110_9:                              ;   in Loop: Header=BB110_4 Depth=1
	s_waitcnt lgkmcnt(0)
	s_add_i32 s16, s16, s47
	s_add_i32 s16, s16, s17
	;; [unrolled: 1-line block ×4, first 2 shown]
	s_add_u32 s14, s14, 16
	s_addc_u32 s15, s15, 0
	s_add_u32 s34, s34, 16
	s_addc_u32 s35, s35, 0
	s_add_i32 s39, s49, 4
	s_add_u32 s18, s34, s36
	s_addc_u32 s19, s35, s37
	s_add_u32 s16, s14, s36
	s_addc_u32 s17, s15, s37
	s_add_i32 s38, s49, 1
	s_cmp_ge_u32 s39, s10
	s_cbranch_scc1 .LBB110_15
; %bb.10:                               ;   in Loop: Header=BB110_4 Depth=1
	s_mov_b32 s48, s38
	s_branch .LBB110_4
.LBB110_11:                             ;   in Loop: Header=BB110_4 Depth=1
	s_load_dword s49, s[38:39], 0x0
	s_waitcnt lgkmcnt(0)
	s_add_i32 s21, s16, s21
	s_add_i32 s46, s49, s46
	;; [unrolled: 1-line block ×3, first 2 shown]
	s_cmp_ge_u32 s49, s11
	s_cbranch_scc1 .LBB110_6
.LBB110_12:                             ;   in Loop: Header=BB110_4 Depth=1
	s_load_dword s50, s[38:39], 0x4
	s_waitcnt lgkmcnt(0)
	s_add_i32 s21, s21, s17
	s_add_i32 s46, s50, s46
	;; [unrolled: 1-line block ×3, first 2 shown]
	s_cmp_ge_u32 s49, s11
	s_cbranch_scc1 .LBB110_7
.LBB110_13:                             ;   in Loop: Header=BB110_4 Depth=1
	s_load_dword s50, s[38:39], 0x8
	s_waitcnt lgkmcnt(0)
	s_add_i32 s21, s21, s18
	s_add_i32 s46, s50, s46
	;; [unrolled: 1-line block ×3, first 2 shown]
	s_cmp_ge_u32 s49, s11
	s_cbranch_scc0 .LBB110_8
	s_branch .LBB110_9
.LBB110_14:
	s_mov_b32 s46, 0
	s_mov_b32 s47, 0
	;; [unrolled: 1-line block ×3, first 2 shown]
	s_cmp_ge_u32 s14, s10
	s_cbranch_scc0 .LBB110_38
	s_branch .LBB110_16
.LBB110_15:
	s_add_i32 s14, s48, 4
	s_cmp_ge_u32 s14, s10
	s_cbranch_scc0 .LBB110_38
.LBB110_16:
	v_mov_b32_e32 v1, s46
	v_mov_b32_e32 v2, s47
	;; [unrolled: 1-line block ×4, first 2 shown]
	ds_write_b96 v4, v[1:3] offset:1056
.LBB110_17:
	s_or_b64 exec, exec, s[12:13]
	s_load_dwordx4 s[12:15], s[4:5], 0xd8
	s_mul_i32 s16, s9, s11
	s_lshl_b32 s34, s16, 8
	s_waitcnt lgkmcnt(0)
	s_add_i32 s15, s11, 1
	s_mov_b32 s11, 0
	s_sub_i32 s16, s12, s34
	s_add_u32 s16, s16, 0xff
	s_addc_u32 s17, 0, 0
	s_lshr_b64 s[16:17], s[16:17], 8
	s_cmp_lt_u32 s15, s10
	s_cselect_b32 s9, s9, s16
	s_cmp_eq_u32 s9, 0
	s_barrier
	s_cbranch_scc1 .LBB110_40
; %bb.18:
	s_mul_i32 s10, s45, s41
	s_sub_i32 s10, s20, s10
	s_add_i32 s15, s45, 1
	s_sub_i32 s16, s10, s41
	s_cmp_ge_u32 s10, s41
	s_cselect_b32 s15, s15, s45
	s_cselect_b32 s10, s16, s10
	s_add_i32 s16, s15, 1
	s_cmp_ge_u32 s10, s41
	s_cselect_b32 s10, s16, s15
	s_mul_i32 s15, s10, s41
	s_sub_i32 s15, s20, s15
	s_mul_i32 s15, s15, s31
	s_mul_i32 s10, s10, s30
	s_add_i32 s10, s10, s15
	s_mul_i32 s15, s44, s40
	s_sub_i32 s15, s20, s15
	s_add_i32 s16, s44, 1
	s_sub_i32 s17, s15, s40
	s_cmp_ge_u32 s15, s40
	s_cselect_b32 s16, s16, s44
	s_cselect_b32 s15, s17, s15
	s_add_i32 s17, s16, 1
	s_cmp_ge_u32 s15, s40
	s_cselect_b32 s15, s17, s16
	s_mul_i32 s16, s15, s40
	s_sub_i32 s16, s20, s16
	s_mul_i32 s16, s16, s29
	s_mul_i32 s15, s15, s28
	s_add_i32 s18, s15, s16
	;; [unrolled: 15-line block ×3, first 2 shown]
	s_lshl_b64 s[16:17], s[10:11], 1
	s_add_u32 s15, s24, s16
	s_mov_b32 s19, s11
	s_addc_u32 s16, s25, s17
	s_lshl_b64 s[18:19], s[18:19], 1
	s_add_u32 s17, s22, s18
	s_mov_b32 s21, s11
	v_mov_b32_e32 v5, 0
	s_addc_u32 s18, s23, s19
	s_lshl_b64 s[10:11], s[20:21], 3
	ds_read_b96 v[1:3], v5 offset:1056
	s_add_u32 s19, s6, s10
	s_addc_u32 s20, s7, s11
	s_and_b32 s10, 0xffff, s42
	s_sext_i32_i16 s6, s42
	s_cmp_gt_i32 s6, -1
	s_mov_b32 s6, 0x8000
	s_cselect_b32 s11, s6, 0xffff
	s_lshl_b32 s6, s42, 16
	v_cmp_o_f32_e64 s[6:7], s6, s6
	s_xor_b32 s10, s11, s10
	s_waitcnt lgkmcnt(0)
	v_add_u32_e32 v2, v1, v2
	v_lshrrev_b32_e32 v1, 3, v0
	s_and_b64 s[6:7], s[6:7], exec
	v_and_b32_e32 v1, 28, v1
	s_cselect_b32 s21, s10, 0xffff
	s_bitcmp1_b32 s14, 0
	s_load_dword s10, s[4:5], 0xe8
	s_load_dword s14, s[4:5], 0x1c8
	v_lshl_add_u32 v6, v0, 2, v1
	v_lshrrev_b32_e32 v1, 1, v0
	v_and_b32_e32 v7, 0x7c, v1
	v_add_u32_e32 v1, -1, v0
	v_lshrrev_b32_e32 v4, 3, v1
	v_cmp_gt_u32_e64 s[4:5], 64, v0
	v_lshlrev_b32_e32 v8, 4, v0
	v_and_b32_e32 v4, 0x1ffffffc, v4
	v_add_u32_e32 v0, s34, v0
	v_lshl_add_u32 v9, v1, 2, v4
	s_waitcnt lgkmcnt(0)
	v_mul_lo_u32 v4, s10, v0
	v_mbcnt_lo_u32_b32 v1, -1, 0
	s_cselect_b64 s[6:7], -1, 0
	s_lshl_b32 s22, s10, 8
	v_mov_b32_e32 v10, 0xffff
	v_mov_b32_e32 v11, 0x8000
	v_mbcnt_hi_u32_b32 v12, -1, v1
                                        ; implicit-def: $vgpr13
	s_branch .LBB110_21
.LBB110_19:                             ;   in Loop: Header=BB110_21 Depth=1
	s_or_b64 exec, exec, s[10:11]
	v_add_u32_e32 v2, v16, v2
.LBB110_20:                             ;   in Loop: Header=BB110_21 Depth=1
	s_add_i32 s9, s9, -1
	v_add_u32_e32 v3, v15, v3
	v_add_u32_e32 v4, s22, v4
	s_cmp_lg_u32 s9, 0
	v_add_u32_e32 v0, 0x100, v0
	s_cbranch_scc0 .LBB110_40
.LBB110_21:                             ; =>This Inner Loop Header: Depth=1
	v_cmp_gt_u32_e32 vcc, s12, v0
	v_mov_b32_e32 v1, 0
	v_mov_b32_e32 v14, 0
	s_and_saveexec_b64 s[10:11], vcc
	s_cbranch_execz .LBB110_23
; %bb.22:                               ;   in Loop: Header=BB110_21 Depth=1
	v_lshlrev_b64 v[13:14], 1, v[4:5]
	v_mov_b32_e32 v1, s16
	v_add_co_u32_e32 v13, vcc, s15, v13
	v_addc_co_u32_e32 v14, vcc, v1, v14, vcc
	global_load_ushort v13, v[13:14], off
	s_waitcnt vmcnt(0)
	v_cmp_lt_i16_e32 vcc, -1, v13
	v_cndmask_b32_e32 v1, v10, v11, vcc
	v_lshlrev_b32_e32 v14, 16, v13
	v_xor_b32_sdwa v1, v1, v13 dst_sel:DWORD dst_unused:UNUSED_PAD src0_sel:DWORD src1_sel:WORD_0
	v_cmp_o_f32_e32 vcc, v14, v14
	v_cndmask_b32_e32 v14, v10, v1, vcc
	v_cmp_lt_u32_e32 vcc, s21, v14
	v_cndmask_b32_e64 v1, 0, 1, vcc
	v_cmp_gt_u32_e32 vcc, s21, v14
	v_cndmask_b32_e64 v15, 0, 1, vcc
	v_cndmask_b32_e64 v1, v15, v1, s[6:7]
	v_cmp_eq_u32_e32 vcc, s21, v14
	v_and_b32_e32 v1, 1, v1
	v_cndmask_b32_e64 v14, 0, 1, vcc
.LBB110_23:                             ;   in Loop: Header=BB110_21 Depth=1
	s_or_b64 exec, exec, s[10:11]
	ds_write_b32 v6, v1
	s_waitcnt vmcnt(0) lgkmcnt(0)
	s_barrier
	s_and_saveexec_b64 s[10:11], s[4:5]
	s_cbranch_execz .LBB110_25
; %bb.24:                               ;   in Loop: Header=BB110_21 Depth=1
	v_add_u32_e32 v19, v7, v8
	ds_read2_b32 v[15:16], v19 offset1:1
	ds_read2_b32 v[17:18], v19 offset0:2 offset1:3
	v_and_b32_e32 v20, 15, v12
	v_cmp_ne_u32_e32 vcc, 0, v20
	s_waitcnt lgkmcnt(1)
	v_add_u32_e32 v16, v16, v15
	s_waitcnt lgkmcnt(0)
	v_add3_u32 v16, v16, v17, v18
	v_bfe_i32 v18, v12, 4, 1
	; wave barrier
	s_nop 0
	v_mov_b32_dpp v17, v16 row_shr:1 row_mask:0xf bank_mask:0xf
	v_cndmask_b32_e32 v17, 0, v17, vcc
	v_add_u32_e32 v16, v17, v16
	v_cmp_lt_u32_e32 vcc, 1, v20
	s_nop 0
	v_mov_b32_dpp v17, v16 row_shr:2 row_mask:0xf bank_mask:0xf
	v_cndmask_b32_e32 v17, 0, v17, vcc
	v_add_u32_e32 v16, v16, v17
	v_cmp_lt_u32_e32 vcc, 3, v20
	s_nop 0
	v_mov_b32_dpp v17, v16 row_shr:4 row_mask:0xf bank_mask:0xf
	v_cndmask_b32_e32 v17, 0, v17, vcc
	v_add_u32_e32 v16, v16, v17
	v_cmp_lt_u32_e32 vcc, 7, v20
	s_nop 0
	v_mov_b32_dpp v17, v16 row_shr:8 row_mask:0xf bank_mask:0xf
	v_cndmask_b32_e32 v17, 0, v17, vcc
	v_add_u32_e32 v16, v16, v17
	v_cmp_lt_u32_e32 vcc, 31, v12
	s_nop 0
	v_mov_b32_dpp v17, v16 row_bcast:15 row_mask:0xf bank_mask:0xf
	v_and_b32_e32 v17, v18, v17
	v_add_u32_e32 v16, v16, v17
	v_and_b32_e32 v18, 64, v12
	s_nop 0
	v_mov_b32_dpp v17, v16 row_bcast:31 row_mask:0xf bank_mask:0xf
	v_cndmask_b32_e32 v17, 0, v17, vcc
	v_add_u32_e32 v16, v16, v17
	v_add_u32_e32 v17, -1, v12
	v_cmp_lt_i32_e32 vcc, v17, v18
	v_cndmask_b32_e32 v17, v17, v12, vcc
	v_lshlrev_b32_e32 v17, 2, v17
	ds_bpermute_b32 v16, v17, v16
	s_waitcnt lgkmcnt(0)
	v_add_u32_e32 v15, v16, v15
	v_cndmask_b32_e64 v17, v15, v1, s[2:3]
	ds_write_b32 v19, v17
	; wave barrier
	ds_read2_b32 v[15:16], v19 offset0:1 offset1:2
	ds_read_b32 v18, v19 offset:12
	s_waitcnt lgkmcnt(1)
	v_add_u32_e32 v15, v15, v17
	v_add_u32_e32 v16, v16, v15
	ds_write2_b32 v19, v15, v16 offset0:1 offset1:2
	s_waitcnt lgkmcnt(1)
	v_add_u32_e32 v15, v18, v16
	ds_write_b32 v19, v15 offset:12
.LBB110_25:                             ;   in Loop: Header=BB110_21 Depth=1
	s_or_b64 exec, exec, s[10:11]
	v_mov_b32_e32 v16, 0
	s_waitcnt lgkmcnt(0)
	s_barrier
	s_and_saveexec_b64 s[10:11], s[0:1]
; %bb.26:                               ;   in Loop: Header=BB110_21 Depth=1
	ds_read_b32 v16, v9
; %bb.27:                               ;   in Loop: Header=BB110_21 Depth=1
	s_or_b64 exec, exec, s[10:11]
	ds_read_b32 v15, v5 offset:1048
	v_cmp_ne_u32_e32 vcc, 0, v1
	s_waitcnt lgkmcnt(0)
	s_barrier
	s_and_saveexec_b64 s[10:11], vcc
	s_cbranch_execz .LBB110_29
; %bb.28:                               ;   in Loop: Header=BB110_21 Depth=1
	v_add_u32_e32 v1, v16, v3
	v_mul_lo_u32 v16, v1, s14
	v_mov_b32_e32 v17, v5
	v_mov_b32_e32 v18, s18
	;; [unrolled: 1-line block ×3, first 2 shown]
	v_lshlrev_b64 v[16:17], 1, v[16:17]
	v_add_co_u32_e32 v16, vcc, s17, v16
	v_addc_co_u32_e32 v17, vcc, v18, v17, vcc
	v_mul_lo_u32 v18, v1, s8
	global_store_short v[16:17], v13, off
	v_mov_b32_e32 v1, v5
	v_lshlrev_b64 v[16:17], 3, v[18:19]
	v_mov_b32_e32 v18, s20
	v_add_co_u32_e32 v16, vcc, s19, v16
	v_addc_co_u32_e32 v17, vcc, v18, v17, vcc
	global_store_dwordx2 v[16:17], v[0:1], off
.LBB110_29:                             ;   in Loop: Header=BB110_21 Depth=1
	s_or_b64 exec, exec, s[10:11]
	v_cmp_le_u32_e32 vcc, s13, v2
	s_cbranch_vccnz .LBB110_20
; %bb.30:                               ;   in Loop: Header=BB110_21 Depth=1
	ds_write_b32 v6, v14
	s_waitcnt vmcnt(0) lgkmcnt(0)
	s_barrier
	s_and_saveexec_b64 s[10:11], s[4:5]
	s_cbranch_execz .LBB110_32
; %bb.31:                               ;   in Loop: Header=BB110_21 Depth=1
	v_add_u32_e32 v1, v7, v8
	ds_read2_b32 v[16:17], v1 offset1:1
	ds_read2_b32 v[18:19], v1 offset0:2 offset1:3
	v_and_b32_e32 v20, 15, v12
	v_cmp_ne_u32_e32 vcc, 0, v20
	s_waitcnt lgkmcnt(1)
	v_add_u32_e32 v17, v17, v16
	s_waitcnt lgkmcnt(0)
	v_add3_u32 v17, v17, v18, v19
	v_bfe_i32 v19, v12, 4, 1
	; wave barrier
	s_nop 0
	v_mov_b32_dpp v18, v17 row_shr:1 row_mask:0xf bank_mask:0xf
	v_cndmask_b32_e32 v18, 0, v18, vcc
	v_add_u32_e32 v17, v18, v17
	v_cmp_lt_u32_e32 vcc, 1, v20
	s_nop 0
	v_mov_b32_dpp v18, v17 row_shr:2 row_mask:0xf bank_mask:0xf
	v_cndmask_b32_e32 v18, 0, v18, vcc
	v_add_u32_e32 v17, v17, v18
	v_cmp_lt_u32_e32 vcc, 3, v20
	;; [unrolled: 5-line block ×4, first 2 shown]
	s_nop 0
	v_mov_b32_dpp v18, v17 row_bcast:15 row_mask:0xf bank_mask:0xf
	v_and_b32_e32 v18, v19, v18
	v_add_u32_e32 v17, v17, v18
	v_and_b32_e32 v19, 64, v12
	s_nop 0
	v_mov_b32_dpp v18, v17 row_bcast:31 row_mask:0xf bank_mask:0xf
	v_cndmask_b32_e32 v18, 0, v18, vcc
	v_add_u32_e32 v17, v17, v18
	v_add_u32_e32 v18, -1, v12
	v_cmp_lt_i32_e32 vcc, v18, v19
	v_cndmask_b32_e32 v18, v18, v12, vcc
	v_lshlrev_b32_e32 v18, 2, v18
	ds_bpermute_b32 v17, v18, v17
	s_waitcnt lgkmcnt(0)
	v_add_u32_e32 v16, v17, v16
	v_cndmask_b32_e64 v18, v16, v14, s[2:3]
	ds_write_b32 v1, v18
	; wave barrier
	ds_read2_b32 v[16:17], v1 offset0:1 offset1:2
	ds_read_b32 v19, v1 offset:12
	s_waitcnt lgkmcnt(1)
	v_add_u32_e32 v16, v16, v18
	v_add_u32_e32 v17, v17, v16
	ds_write2_b32 v1, v16, v17 offset0:1 offset1:2
	s_waitcnt lgkmcnt(1)
	v_add_u32_e32 v16, v19, v17
	ds_write_b32 v1, v16 offset:12
.LBB110_32:                             ;   in Loop: Header=BB110_21 Depth=1
	s_or_b64 exec, exec, s[10:11]
	v_mov_b32_e32 v1, 0
	s_waitcnt lgkmcnt(0)
	s_barrier
	s_and_saveexec_b64 s[10:11], s[0:1]
; %bb.33:                               ;   in Loop: Header=BB110_21 Depth=1
	ds_read_b32 v1, v9
; %bb.34:                               ;   in Loop: Header=BB110_21 Depth=1
	s_or_b64 exec, exec, s[10:11]
	ds_read_b32 v16, v5 offset:1048
	v_cmp_ne_u32_e32 vcc, 0, v14
	s_waitcnt lgkmcnt(0)
	s_barrier
	s_and_saveexec_b64 s[10:11], vcc
	s_cbranch_execz .LBB110_19
; %bb.35:                               ;   in Loop: Header=BB110_21 Depth=1
	v_add_u32_e32 v1, v1, v2
	v_cmp_gt_u32_e32 vcc, s13, v1
	s_and_b64 exec, exec, vcc
	s_cbranch_execz .LBB110_19
; %bb.36:                               ;   in Loop: Header=BB110_21 Depth=1
	v_mul_lo_u32 v17, v1, s14
	v_mov_b32_e32 v18, v5
	v_mul_lo_u32 v19, v1, s8
	v_mov_b32_e32 v14, s18
	v_lshlrev_b64 v[17:18], 1, v[17:18]
	v_mov_b32_e32 v20, v5
	v_add_co_u32_e32 v17, vcc, s17, v17
	v_addc_co_u32_e32 v18, vcc, v14, v18, vcc
	global_store_short v[17:18], v13, off
	v_lshlrev_b64 v[17:18], 3, v[19:20]
	v_mov_b32_e32 v14, s20
	v_add_co_u32_e32 v17, vcc, s19, v17
	v_mov_b32_e32 v1, v5
	v_addc_co_u32_e32 v18, vcc, v14, v18, vcc
	global_store_dwordx2 v[17:18], v[0:1], off
	s_branch .LBB110_19
.LBB110_37:                             ;   in Loop: Header=BB110_38 Depth=1
	s_add_u32 s16, s16, 4
	s_addc_u32 s17, s17, 0
	s_waitcnt lgkmcnt(0)
	s_add_i32 s47, s15, s47
	s_add_u32 s18, s18, 4
	s_addc_u32 s19, s19, 0
	s_add_i32 s14, s14, 1
	s_cmp_lt_u32 s14, s10
	s_cbranch_scc0 .LBB110_16
.LBB110_38:                             ; =>This Inner Loop Header: Depth=1
	s_load_dword s15, s[16:17], 0x0
	s_cmp_ge_u32 s14, s11
	s_cbranch_scc1 .LBB110_37
; %bb.39:                               ;   in Loop: Header=BB110_38 Depth=1
	s_load_dword s34, s[18:19], 0x0
	s_waitcnt lgkmcnt(0)
	s_add_i32 s21, s15, s21
	s_add_i32 s46, s34, s46
	s_branch .LBB110_37
.LBB110_40:
	s_endpgm
	.section	.rodata,"a",@progbits
	.p2align	6, 0x0
	.amdhsa_kernel _ZN2at6native6mbtopk10gatherTopKIN3c108BFloat16EjLi2EEEvNS_4cuda6detail10TensorInfoIKT_T0_EESA_SA_bjSA_NS7_IS8_SA_EESA_NS7_IlSA_EESA_jjPS8_PjSF_j
		.amdhsa_group_segment_fixed_size 1068
		.amdhsa_private_segment_fixed_size 0
		.amdhsa_kernarg_size 984
		.amdhsa_user_sgpr_count 6
		.amdhsa_user_sgpr_private_segment_buffer 1
		.amdhsa_user_sgpr_dispatch_ptr 0
		.amdhsa_user_sgpr_queue_ptr 0
		.amdhsa_user_sgpr_kernarg_segment_ptr 1
		.amdhsa_user_sgpr_dispatch_id 0
		.amdhsa_user_sgpr_flat_scratch_init 0
		.amdhsa_user_sgpr_private_segment_size 0
		.amdhsa_uses_dynamic_stack 0
		.amdhsa_system_sgpr_private_segment_wavefront_offset 0
		.amdhsa_system_sgpr_workgroup_id_x 1
		.amdhsa_system_sgpr_workgroup_id_y 1
		.amdhsa_system_sgpr_workgroup_id_z 1
		.amdhsa_system_sgpr_workgroup_info 0
		.amdhsa_system_vgpr_workitem_id 0
		.amdhsa_next_free_vgpr 21
		.amdhsa_next_free_sgpr 51
		.amdhsa_reserve_vcc 1
		.amdhsa_reserve_flat_scratch 0
		.amdhsa_float_round_mode_32 0
		.amdhsa_float_round_mode_16_64 0
		.amdhsa_float_denorm_mode_32 3
		.amdhsa_float_denorm_mode_16_64 3
		.amdhsa_dx10_clamp 1
		.amdhsa_ieee_mode 1
		.amdhsa_fp16_overflow 0
		.amdhsa_exception_fp_ieee_invalid_op 0
		.amdhsa_exception_fp_denorm_src 0
		.amdhsa_exception_fp_ieee_div_zero 0
		.amdhsa_exception_fp_ieee_overflow 0
		.amdhsa_exception_fp_ieee_underflow 0
		.amdhsa_exception_fp_ieee_inexact 0
		.amdhsa_exception_int_div_zero 0
	.end_amdhsa_kernel
	.section	.text._ZN2at6native6mbtopk10gatherTopKIN3c108BFloat16EjLi2EEEvNS_4cuda6detail10TensorInfoIKT_T0_EESA_SA_bjSA_NS7_IS8_SA_EESA_NS7_IlSA_EESA_jjPS8_PjSF_j,"axG",@progbits,_ZN2at6native6mbtopk10gatherTopKIN3c108BFloat16EjLi2EEEvNS_4cuda6detail10TensorInfoIKT_T0_EESA_SA_bjSA_NS7_IS8_SA_EESA_NS7_IlSA_EESA_jjPS8_PjSF_j,comdat
.Lfunc_end110:
	.size	_ZN2at6native6mbtopk10gatherTopKIN3c108BFloat16EjLi2EEEvNS_4cuda6detail10TensorInfoIKT_T0_EESA_SA_bjSA_NS7_IS8_SA_EESA_NS7_IlSA_EESA_jjPS8_PjSF_j, .Lfunc_end110-_ZN2at6native6mbtopk10gatherTopKIN3c108BFloat16EjLi2EEEvNS_4cuda6detail10TensorInfoIKT_T0_EESA_SA_bjSA_NS7_IS8_SA_EESA_NS7_IlSA_EESA_jjPS8_PjSF_j
                                        ; -- End function
	.set _ZN2at6native6mbtopk10gatherTopKIN3c108BFloat16EjLi2EEEvNS_4cuda6detail10TensorInfoIKT_T0_EESA_SA_bjSA_NS7_IS8_SA_EESA_NS7_IlSA_EESA_jjPS8_PjSF_j.num_vgpr, 21
	.set _ZN2at6native6mbtopk10gatherTopKIN3c108BFloat16EjLi2EEEvNS_4cuda6detail10TensorInfoIKT_T0_EESA_SA_bjSA_NS7_IS8_SA_EESA_NS7_IlSA_EESA_jjPS8_PjSF_j.num_agpr, 0
	.set _ZN2at6native6mbtopk10gatherTopKIN3c108BFloat16EjLi2EEEvNS_4cuda6detail10TensorInfoIKT_T0_EESA_SA_bjSA_NS7_IS8_SA_EESA_NS7_IlSA_EESA_jjPS8_PjSF_j.numbered_sgpr, 51
	.set _ZN2at6native6mbtopk10gatherTopKIN3c108BFloat16EjLi2EEEvNS_4cuda6detail10TensorInfoIKT_T0_EESA_SA_bjSA_NS7_IS8_SA_EESA_NS7_IlSA_EESA_jjPS8_PjSF_j.num_named_barrier, 0
	.set _ZN2at6native6mbtopk10gatherTopKIN3c108BFloat16EjLi2EEEvNS_4cuda6detail10TensorInfoIKT_T0_EESA_SA_bjSA_NS7_IS8_SA_EESA_NS7_IlSA_EESA_jjPS8_PjSF_j.private_seg_size, 0
	.set _ZN2at6native6mbtopk10gatherTopKIN3c108BFloat16EjLi2EEEvNS_4cuda6detail10TensorInfoIKT_T0_EESA_SA_bjSA_NS7_IS8_SA_EESA_NS7_IlSA_EESA_jjPS8_PjSF_j.uses_vcc, 1
	.set _ZN2at6native6mbtopk10gatherTopKIN3c108BFloat16EjLi2EEEvNS_4cuda6detail10TensorInfoIKT_T0_EESA_SA_bjSA_NS7_IS8_SA_EESA_NS7_IlSA_EESA_jjPS8_PjSF_j.uses_flat_scratch, 0
	.set _ZN2at6native6mbtopk10gatherTopKIN3c108BFloat16EjLi2EEEvNS_4cuda6detail10TensorInfoIKT_T0_EESA_SA_bjSA_NS7_IS8_SA_EESA_NS7_IlSA_EESA_jjPS8_PjSF_j.has_dyn_sized_stack, 0
	.set _ZN2at6native6mbtopk10gatherTopKIN3c108BFloat16EjLi2EEEvNS_4cuda6detail10TensorInfoIKT_T0_EESA_SA_bjSA_NS7_IS8_SA_EESA_NS7_IlSA_EESA_jjPS8_PjSF_j.has_recursion, 0
	.set _ZN2at6native6mbtopk10gatherTopKIN3c108BFloat16EjLi2EEEvNS_4cuda6detail10TensorInfoIKT_T0_EESA_SA_bjSA_NS7_IS8_SA_EESA_NS7_IlSA_EESA_jjPS8_PjSF_j.has_indirect_call, 0
	.section	.AMDGPU.csdata,"",@progbits
; Kernel info:
; codeLenInByte = 2524
; TotalNumSgprs: 55
; NumVgprs: 21
; ScratchSize: 0
; MemoryBound: 0
; FloatMode: 240
; IeeeMode: 1
; LDSByteSize: 1068 bytes/workgroup (compile time only)
; SGPRBlocks: 6
; VGPRBlocks: 5
; NumSGPRsForWavesPerEU: 55
; NumVGPRsForWavesPerEU: 21
; Occupancy: 10
; WaveLimiterHint : 1
; COMPUTE_PGM_RSRC2:SCRATCH_EN: 0
; COMPUTE_PGM_RSRC2:USER_SGPR: 6
; COMPUTE_PGM_RSRC2:TRAP_HANDLER: 0
; COMPUTE_PGM_RSRC2:TGID_X_EN: 1
; COMPUTE_PGM_RSRC2:TGID_Y_EN: 1
; COMPUTE_PGM_RSRC2:TGID_Z_EN: 1
; COMPUTE_PGM_RSRC2:TIDIG_COMP_CNT: 0
	.section	.text._ZN2at6native6sbtopk10gatherTopKIN3c108BFloat16EjLi2ELb0EEEvNS_4cuda6detail10TensorInfoIKT_T0_EESA_SA_bSA_SA_NS7_IS8_SA_EESA_NS7_IlSA_EESA_PS8_,"axG",@progbits,_ZN2at6native6sbtopk10gatherTopKIN3c108BFloat16EjLi2ELb0EEEvNS_4cuda6detail10TensorInfoIKT_T0_EESA_SA_bSA_SA_NS7_IS8_SA_EESA_NS7_IlSA_EESA_PS8_,comdat
	.protected	_ZN2at6native6sbtopk10gatherTopKIN3c108BFloat16EjLi2ELb0EEEvNS_4cuda6detail10TensorInfoIKT_T0_EESA_SA_bSA_SA_NS7_IS8_SA_EESA_NS7_IlSA_EESA_PS8_ ; -- Begin function _ZN2at6native6sbtopk10gatherTopKIN3c108BFloat16EjLi2ELb0EEEvNS_4cuda6detail10TensorInfoIKT_T0_EESA_SA_bSA_SA_NS7_IS8_SA_EESA_NS7_IlSA_EESA_PS8_
	.globl	_ZN2at6native6sbtopk10gatherTopKIN3c108BFloat16EjLi2ELb0EEEvNS_4cuda6detail10TensorInfoIKT_T0_EESA_SA_bSA_SA_NS7_IS8_SA_EESA_NS7_IlSA_EESA_PS8_
	.p2align	8
	.type	_ZN2at6native6sbtopk10gatherTopKIN3c108BFloat16EjLi2ELb0EEEvNS_4cuda6detail10TensorInfoIKT_T0_EESA_SA_bSA_SA_NS7_IS8_SA_EESA_NS7_IlSA_EESA_PS8_,@function
_ZN2at6native6sbtopk10gatherTopKIN3c108BFloat16EjLi2ELb0EEEvNS_4cuda6detail10TensorInfoIKT_T0_EESA_SA_bSA_SA_NS7_IS8_SA_EESA_NS7_IlSA_EESA_PS8_: ; @_ZN2at6native6sbtopk10gatherTopKIN3c108BFloat16EjLi2ELb0EEEvNS_4cuda6detail10TensorInfoIKT_T0_EESA_SA_bSA_SA_NS7_IS8_SA_EESA_NS7_IlSA_EESA_PS8_
; %bb.0:
	s_load_dwordx2 s[14:15], s[4:5], 0x2b8
	s_load_dwordx4 s[36:39], s[4:5], 0xd8
	s_add_u32 s12, s4, 0x2b8
	s_addc_u32 s13, s5, 0
	s_waitcnt lgkmcnt(0)
	s_mul_i32 s0, s15, s8
	s_add_i32 s0, s0, s7
	s_mul_i32 s0, s0, s14
	s_add_i32 s16, s0, s6
	s_cmp_ge_u32 s16, s39
	s_cbranch_scc1 .LBB111_411
; %bb.1:
	s_load_dwordx2 s[8:9], s[4:5], 0x23c
                                        ; implicit-def: $vgpr52 : SGPR spill to VGPR lane
	s_load_dword s15, s[4:5], 0xc
	s_load_dword s53, s[4:5], 0xe8
	s_load_dwordx2 s[2:3], s[4:5], 0x6c
	s_load_dwordx2 s[0:1], s[4:5], 0x0
	s_load_dword s10, s[4:5], 0x1dc
	s_load_dword s11, s[4:5], 0xfc
	s_waitcnt lgkmcnt(0)
	v_cvt_f32_u32_e32 v1, s15
	s_mov_b32 s49, 0
	v_writelane_b32 v52, s8, 0
	v_writelane_b32 v52, s9, 1
	s_load_dwordx2 s[8:9], s[4:5], 0x1d0
	v_rcp_iflag_f32_e32 v1, v1
	v_cvt_f32_u32_e32 v2, s11
	v_mul_f32_e32 v1, 0x4f7ffffe, v1
	s_waitcnt lgkmcnt(0)
	v_writelane_b32 v52, s8, 2
	v_writelane_b32 v52, s9, 3
	s_load_dwordx2 s[8:9], s[4:5], 0x15c
	v_cvt_u32_f32_e32 v1, v1
	v_rcp_iflag_f32_e32 v2, v2
	s_waitcnt lgkmcnt(0)
	v_writelane_b32 v52, s8, 4
	v_writelane_b32 v52, s9, 5
	;; [unrolled: 1-line block ×4, first 2 shown]
	s_load_dwordx2 s[4:5], s[4:5], 0xf0
	v_readfirstlane_b32 s7, v1
	v_mul_f32_e32 v1, 0x4f7ffffe, v2
	v_cvt_f32_u32_e32 v2, s10
	v_cvt_u32_f32_e32 v1, v1
	s_waitcnt lgkmcnt(0)
	v_writelane_b32 v52, s4, 8
	v_writelane_b32 v52, s5, 9
	v_rcp_iflag_f32_e32 v2, v2
	s_sub_i32 s5, 0, s15
	s_mul_i32 s5, s5, s7
	s_mul_hi_u32 s5, s7, s5
	s_add_i32 s7, s7, s5
	v_readfirstlane_b32 s8, v1
	v_mul_f32_e32 v1, 0x4f7ffffe, v2
	s_mul_hi_u32 s5, s16, s7
	s_sub_i32 s7, 0, s11
	v_cvt_u32_f32_e32 v1, v1
	s_mul_i32 s7, s7, s8
	s_mul_hi_u32 s7, s8, s7
	s_add_i32 s8, s8, s7
	s_mul_hi_u32 s4, s16, s8
	s_sub_i32 s7, 0, s10
	v_readfirstlane_b32 s8, v1
	s_mul_i32 s7, s7, s8
	v_writelane_b32 v52, s11, 10
	s_mul_hi_u32 s7, s8, s7
	v_writelane_b32 v52, s4, 11
	s_add_i32 s8, s8, s7
	v_writelane_b32 v52, s10, 12
	s_mul_hi_u32 s4, s16, s8
	v_writelane_b32 v52, s4, 13
	v_cmp_eq_u32_e64 s[10:11], 0, v0
	s_mov_b64 s[8:9], exec
	v_writelane_b32 v52, s10, 14
	v_writelane_b32 v52, s11, 15
	s_and_b64 s[10:11], s[8:9], s[10:11]
	s_mov_b64 exec, s[10:11]
; %bb.2:
	v_mov_b32_e32 v1, 0
	v_mov_b32_e32 v2, s36
	;; [unrolled: 1-line block ×3, first 2 shown]
	ds_write_b96 v1, v[1:3] offset:4096
; %bb.3:
	s_or_b64 exec, exec, s[8:9]
	s_mul_i32 s7, s5, s15
	s_sub_i32 s7, s16, s7
	s_add_i32 s8, s5, 1
	s_sub_i32 s9, s7, s15
	s_cmp_ge_u32 s7, s15
	s_cselect_b32 s5, s8, s5
	s_cselect_b32 s7, s9, s7
	s_add_i32 s8, s5, 1
	s_cmp_ge_u32 s7, s15
	s_cselect_b32 s5, s8, s5
	s_mul_i32 s4, s5, s15
	s_sub_i32 s4, s16, s4
	s_mul_i32 s4, s4, s3
	s_mul_i32 s2, s5, s2
	s_add_i32 s48, s2, s4
	s_lshl_b64 s[2:3], s[48:49], 1
	s_add_u32 s33, s0, s2
	s_addc_u32 s48, s1, s3
	s_waitcnt lgkmcnt(0)
	s_barrier
	s_load_dword s0, s[12:13], 0xc
	s_bitcmp1_b32 s38, 0
	v_writelane_b32 v52, s16, 16
	s_cselect_b64 s[2:3], -1, 0
	v_writelane_b32 v52, s2, 17
	v_writelane_b32 v52, s3, 18
	s_xor_b64 s[2:3], s[2:3], -1
	v_mbcnt_lo_u32_b32 v1, -1, 0
	v_writelane_b32 v52, s2, 19
	v_mbcnt_hi_u32_b32 v24, -1, v1
	v_writelane_b32 v52, s3, 20
	s_waitcnt lgkmcnt(0)
	s_and_b32 s52, s0, 0xffff
	v_cmp_gt_u32_e32 vcc, 64, v0
	v_cmp_gt_i32_e64 s[2:3], 4, v24
	s_lshl_b32 s55, s52, 2
	s_bfe_u32 s4, s0, 0xa0006
	s_and_b64 s[2:3], vcc, s[2:3]
	v_writelane_b32 v52, s2, 21
	s_cmpk_gt_u32 s36, 0x600
	v_writelane_b32 v52, s3, 22
	s_cselect_b64 s[2:3], -1, 0
	v_mul_lo_u32 v7, s53, v0
	v_writelane_b32 v52, s2, 23
	v_writelane_b32 v52, s3, 24
	v_cmp_gt_u32_e64 s[2:3], s36, v0
	v_mov_b32_e32 v9, 0
	v_writelane_b32 v52, s2, 25
	s_cmp_gt_u32 s52, 63
	v_mov_b32_e32 v8, v9
	v_writelane_b32 v52, s3, 26
	s_cselect_b64 s[2:3], -1, 0
	v_lshlrev_b64 v[1:2], 1, v[7:8]
	v_writelane_b32 v52, s2, 27
	v_writelane_b32 v52, s3, 28
	v_cmp_gt_u32_e64 s[2:3], 2, v0
	v_mov_b32_e32 v3, s48
	v_add_co_u32_e32 v5, vcc, s33, v1
	v_writelane_b32 v52, s2, 29
	v_addc_co_u32_e32 v6, vcc, v3, v2, vcc
	v_writelane_b32 v52, s3, 30
	s_add_i32 s2, s52, -1
	v_lshlrev_b64 v[2:3], v24, -1
	v_writelane_b32 v52, s2, 31
	s_add_i32 s2, s2, s36
	v_not_b32_e32 v22, v2
	v_lshrrev_b32_e32 v2, 2, v0
	s_cmp_lt_u32 s6, s14
	v_and_b32_e32 v2, 0xf0, v2
	s_cselect_b32 s3, 12, 18
	v_or_b32_e32 v27, 0xc00, v2
	s_add_u32 s6, s12, s3
	v_add_u32_e32 v2, 2, v0
	s_addc_u32 s7, s13, 0
	v_max_u32_e32 v2, s36, v2
	v_writelane_b32 v52, s6, 32
	v_xad_u32 v2, v0, -1, v2
	v_not_b32_e32 v21, v3
	v_writelane_b32 v52, s7, 33
	v_add_u32_e32 v3, -2, v2
	v_cmp_lt_u32_e64 s[6:7], 31, v2
	v_lshrrev_b32_e32 v4, 1, v3
	v_writelane_b32 v52, s6, 34
	v_add_u32_e32 v4, 1, v4
	v_writelane_b32 v52, s7, 35
	v_cmp_lt_u32_e64 s[6:7], 13, v3
	v_and_b32_e32 v12, 7, v4
	v_writelane_b32 v52, s6, 36
	v_writelane_b32 v52, s7, 37
	v_cmp_ne_u32_e64 s[6:7], 0, v12
	v_and_b32_e32 v28, -2, v2
	v_writelane_b32 v52, s6, 38
	v_writelane_b32 v52, s7, 39
	v_cmp_ne_u32_e64 s[6:7], v2, v28
	v_cvt_f32_u32_e32 v2, s55
	s_add_i32 s3, s4, -1
	s_bfe_u32 s5, s52, 0x30006
	s_and_b32 s3, s3, 0xffff
	v_rcp_iflag_f32_e32 v2, v2
	v_writelane_b32 v52, s6, 40
	s_cmp_gt_u32 s3, 6
	v_writelane_b32 v52, s7, 41
	s_cselect_b64 s[6:7], -1, 0
	v_mul_f32_e32 v2, 0x4f7ffffe, v2
	v_writelane_b32 v52, s6, 42
	s_and_b32 s21, s4, 0x3f8
	v_cvt_u32_f32_e32 v2, v2
	v_writelane_b32 v52, s7, 43
	s_cmp_lg_u32 s5, 0
	v_writelane_b32 v52, s5, 44
	s_cselect_b64 s[4:5], -1, 0
	v_writelane_b32 v52, s4, 45
	v_writelane_b32 v52, s5, 46
	s_sub_i32 s3, 0, s55
	v_readfirstlane_b32 s4, v2
	s_mul_i32 s3, s3, s4
	s_mul_hi_u32 s3, s4, s3
	s_add_i32 s3, s4, s3
	v_writelane_b32 v52, s3, 47
	s_mul_hi_u32 s3, s36, s3
	s_mul_i32 s3, s3, s55
	v_cvt_f32_u32_e32 v2, s52
	s_sub_i32 s3, s36, s3
	s_sub_i32 s4, s3, s55
	s_cmp_ge_u32 s3, s55
	v_and_b32_e32 v30, -8, v4
	s_cselect_b32 s3, s4, s3
	v_rcp_iflag_f32_e32 v4, v2
	s_sub_i32 s4, s3, s55
	s_cmp_ge_u32 s3, s55
	s_cselect_b32 s3, s4, s3
	v_lshlrev_b32_e32 v23, 2, v0
	s_sub_i32 s23, s36, s3
	v_mul_f32_e32 v4, 0x4f7ffffe, v4
	v_cmp_gt_u32_e64 s[4:5], s23, v23
	v_cvt_u32_f32_e32 v4, v4
	v_add_u32_e32 v31, s23, v0
	v_writelane_b32 v52, s4, 48
	v_writelane_b32 v52, s5, 49
	v_cmp_gt_u32_e64 s[4:5], s36, v31
	v_writelane_b32 v52, s4, 50
	v_writelane_b32 v52, s5, 51
	s_sub_i32 s4, 0, s52
	v_readfirstlane_b32 s5, v4
	s_mul_i32 s4, s4, s5
	v_mul_lo_u32 v8, v31, s53
	s_mul_hi_u32 s4, s5, s4
	s_add_i32 s4, s5, s4
	v_writelane_b32 v52, s4, 52
	s_mul_hi_u32 s4, s2, s4
	s_mul_i32 s4, s4, s52
	v_lshlrev_b64 v[2:3], 1, v[8:9]
	s_sub_i32 s4, s2, s4
	s_sub_i32 s5, s4, s52
	v_add_co_u32_e32 v10, vcc, s33, v2
	s_cmp_ge_u32 s4, s52
	v_mul_lo_u32 v2, s53, v23
	s_cselect_b32 s4, s5, s4
	s_sub_i32 s5, s4, s52
	s_cmp_ge_u32 s4, s52
	s_cselect_b32 s4, s5, s4
	v_add_u32_e32 v33, s53, v2
	v_or_b32_e32 v2, 2, v23
	s_sub_i32 s22, s2, s4
	v_mul_lo_u32 v34, s53, v2
	v_or_b32_e32 v2, 3, v23
	s_add_i32 s2, s52, s36
	v_mul_lo_u32 v35, s53, v2
	v_add_u32_e32 v2, s2, v0
	v_subrev_u32_e32 v2, s3, v2
	v_mul_lo_u32 v36, s53, v2
	v_cmp_gt_u32_e64 s[4:5], s22, v0
	v_lshlrev_b32_e32 v25, 1, v0
	v_lshlrev_b32_e32 v1, 2, v24
	v_mov_b32_e32 v8, s48
	v_writelane_b32 v52, s4, 53
	s_mul_i32 s54, s53, s52
	v_cmp_eq_u32_e64 s[0:1], 0, v24
	v_add_u32_e32 v26, 0xc00, v25
	v_and_b32_e32 v20, 0x100, v1
	v_add_u32_e32 v29, v0, v28
	s_mov_b32 s20, s53
	v_addc_co_u32_e32 v11, vcc, v8, v3, vcc
	v_writelane_b32 v52, s5, 54
	v_lshlrev_b32_e32 v32, 2, v12
	s_lshl_b32 s10, s54, 2
	s_lshl_b32 s11, s52, 3
	;; [unrolled: 1-line block ×3, first 2 shown]
	v_or_b32_e32 v38, 0xc00, v1
	s_mov_b32 s38, 14
	s_mov_b64 s[62:63], 0
	v_lshlrev_b32_e32 v39, 2, v7
	v_lshlrev_b32_e32 v40, 3, v0
	v_mov_b32_e32 v47, s37
	v_mov_b32_e32 v41, 0xffff
	;; [unrolled: 1-line block ×3, first 2 shown]
	v_mov_b32_e32 v43, -1
	v_mov_b32_e32 v44, 0x5040100
	v_mov_b32_e32 v46, 0
	;; [unrolled: 1-line block ×4, first 2 shown]
                                        ; implicit-def: $sgpr64_sgpr65
                                        ; implicit-def: $sgpr66_sgpr67
                                        ; implicit-def: $sgpr70_sgpr71
                                        ; implicit-def: $sgpr72_sgpr73
                                        ; implicit-def: $sgpr68_sgpr69
                                        ; implicit-def: $sgpr74_sgpr75
                                        ; implicit-def: $sgpr76_sgpr77
                                        ; implicit-def: $sgpr78_sgpr79
                                        ; implicit-def: $sgpr80_sgpr81
                                        ; implicit-def: $sgpr82_sgpr83
	s_branch .LBB111_6
.LBB111_4:                              ;   in Loop: Header=BB111_6 Depth=1
	s_or_b64 exec, exec, s[14:15]
	s_andn2_b64 s[8:9], s[82:83], exec
	s_and_b64 s[12:13], s[12:13], exec
	s_or_b64 s[82:83], s[8:9], s[12:13]
	s_andn2_b64 s[80:81], s[80:81], exec
	s_andn2_b64 s[78:79], s[78:79], exec
	;; [unrolled: 1-line block ×4, first 2 shown]
	s_orn2_b64 s[6:7], s[6:7], exec
	v_mov_b32_e32 v47, v4
.LBB111_5:                              ;   in Loop: Header=BB111_6 Depth=1
	s_or_b64 exec, exec, s[2:3]
	s_and_b64 s[2:3], exec, s[6:7]
	s_or_b64 s[62:63], s[2:3], s[62:63]
	s_andn2_b64 s[2:3], s[68:69], exec
	s_and_b64 s[6:7], s[82:83], exec
	s_or_b64 s[68:69], s[2:3], s[6:7]
	s_andn2_b64 s[2:3], s[72:73], exec
	s_and_b64 s[6:7], s[80:81], exec
	;; [unrolled: 3-line block ×5, first 2 shown]
	s_or_b64 s[64:65], s[2:3], s[6:7]
	s_andn2_b64 exec, exec, s[62:63]
	s_cbranch_execz .LBB111_407
.LBB111_6:                              ; =>This Loop Header: Depth=1
                                        ;     Child Loop BB111_11 Depth 2
                                        ;     Child Loop BB111_32 Depth 2
	;; [unrolled: 1-line block ×26, first 2 shown]
	ds_read_b64 v[1:2], v9 offset:4096
	s_waitcnt lgkmcnt(0)
	v_readfirstlane_b32 s5, v1
	s_cmp_lg_u32 s5, 0
	s_cbranch_scc1 .LBB111_51
; %bb.7:                                ;   in Loop: Header=BB111_6 Depth=1
	v_readlane_b32 s2, v52, 23
	v_readlane_b32 s3, v52, 24
	s_and_b64 vcc, exec, s[2:3]
	s_cbranch_vccz .LBB111_19
; %bb.8:                                ;   in Loop: Header=BB111_6 Depth=1
	s_movk_i32 s2, 0x601
	v_cmp_gt_u32_e32 vcc, s2, v2
	s_mov_b64 s[12:13], 0
	s_mov_b64 s[2:3], 0
	s_cbranch_vccz .LBB111_20
; %bb.9:                                ;   in Loop: Header=BB111_6 Depth=1
	v_readlane_b32 s2, v52, 32
	v_readlane_b32 s3, v52, 33
	s_nop 4
	global_load_ushort v1, v9, s[2:3]
	global_load_ushort v4, v[5:6], off
	s_mov_b64 s[2:3], 0
	v_mov_b32_e32 v3, v0
	s_waitcnt vmcnt(1)
	v_add_u32_e32 v2, v0, v1
	v_mul_lo_u32 v8, s53, v2
	v_mul_lo_u32 v2, s53, v1
	s_branch .LBB111_11
.LBB111_10:                             ;   in Loop: Header=BB111_11 Depth=2
	s_or_b64 exec, exec, s[6:7]
	v_add_u32_e32 v8, v8, v2
	v_mov_b32_e32 v4, v12
	s_andn2_b64 exec, exec, s[2:3]
	s_cbranch_execz .LBB111_26
.LBB111_11:                             ;   Parent Loop BB111_6 Depth=1
                                        ; =>  This Inner Loop Header: Depth=2
	v_add_u32_e32 v3, v3, v1
	v_cmp_gt_u32_e64 s[6:7], s36, v3
	v_cmp_le_u32_e32 vcc, s36, v3
	s_waitcnt lgkmcnt(0)
	v_mov_b32_e32 v13, 0
	v_mov_b32_e32 v12, 0
	s_and_saveexec_b64 s[14:15], s[6:7]
	s_cbranch_execz .LBB111_13
; %bb.12:                               ;   in Loop: Header=BB111_11 Depth=2
	v_lshlrev_b64 v[14:15], 1, v[8:9]
	v_mov_b32_e32 v12, s48
	v_add_co_u32_e64 v14, s[6:7], s33, v14
	v_addc_co_u32_e64 v15, s[6:7], v12, v15, s[6:7]
	global_load_ushort v12, v[14:15], off
.LBB111_13:                             ;   in Loop: Header=BB111_11 Depth=2
	s_or_b64 exec, exec, s[14:15]
	s_waitcnt vmcnt(0)
	v_cmp_lt_i16_e64 s[6:7], -1, v4
	v_cndmask_b32_e64 v14, v41, v42, s[6:7]
	v_lshlrev_b32_e32 v15, 16, v4
	v_cmp_o_f32_e64 s[6:7], v15, v15
	v_xor_b32_sdwa v14, v14, v4 dst_sel:DWORD dst_unused:UNUSED_PAD src0_sel:DWORD src1_sel:WORD_0
	v_cndmask_b32_e64 v14, v41, v14, s[6:7]
	v_and_b32_e32 v14, v14, v45
	v_cmp_eq_u32_e64 s[26:27], v14, v37
	s_cmp_lg_u64 s[26:27], 0
	s_cselect_b64 s[6:7], -1, 0
	s_and_b64 s[6:7], s[0:1], s[6:7]
	s_and_saveexec_b64 s[14:15], s[6:7]
	s_cbranch_execz .LBB111_17
; %bb.14:                               ;   in Loop: Header=BB111_11 Depth=2
	s_mov_b64 s[16:17], exec
	v_mbcnt_lo_u32_b32 v13, s16, 0
	v_mbcnt_hi_u32_b32 v13, s17, v13
	s_bcnt1_i32_b64 s5, s[26:27]
	v_cmp_eq_u32_e64 s[6:7], 0, v13
                                        ; implicit-def: $vgpr14
	s_and_saveexec_b64 s[8:9], s[6:7]
; %bb.15:                               ;   in Loop: Header=BB111_11 Depth=2
	s_bcnt1_i32_b64 s6, s[16:17]
	s_mul_i32 s6, s5, s6
	v_mov_b32_e32 v14, s6
	ds_add_rtn_u32 v14, v9, v14 offset:4104
; %bb.16:                               ;   in Loop: Header=BB111_11 Depth=2
	s_or_b64 exec, exec, s[8:9]
	s_waitcnt lgkmcnt(0)
	v_readfirstlane_b32 s6, v14
	v_mov_b32_e32 v14, s6
	v_mad_u32_u24 v13, s5, v13, v14
.LBB111_17:                             ;   in Loop: Header=BB111_11 Depth=2
	s_or_b64 exec, exec, s[14:15]
	ds_bpermute_b32 v13, v20, v13
	s_and_b64 s[6:7], exec, vcc
	s_or_b64 s[2:3], s[6:7], s[2:3]
	s_and_saveexec_b64 s[6:7], s[26:27]
	s_cbranch_execz .LBB111_10
; %bb.18:                               ;   in Loop: Header=BB111_11 Depth=2
	v_and_b32_e32 v15, s26, v22
	v_and_b32_e32 v14, s27, v21
	v_bcnt_u32_b32 v15, v15, 0
	v_bcnt_u32_b32 v14, v14, v15
	v_lshlrev_b32_e32 v14, 1, v14
	s_waitcnt lgkmcnt(0)
	v_lshl_add_u32 v13, v13, 1, v14
	ds_write_b16 v13, v4
	s_branch .LBB111_10
.LBB111_19:                             ;   in Loop: Header=BB111_6 Depth=1
	s_mov_b64 s[12:13], -1
	s_mov_b64 s[2:3], 0
.LBB111_20:                             ;   in Loop: Header=BB111_6 Depth=1
	s_and_b64 vcc, exec, s[12:13]
	s_cbranch_vccz .LBB111_49
.LBB111_21:                             ;   in Loop: Header=BB111_6 Depth=1
	s_mov_b64 s[26:27], exec
	v_readlane_b32 s2, v52, 25
	v_readlane_b32 s3, v52, 26
	s_and_b64 s[2:3], s[26:27], s[2:3]
	s_mov_b64 exec, s[2:3]
	s_cbranch_execz .LBB111_46
; %bb.22:                               ;   in Loop: Header=BB111_6 Depth=1
	v_readlane_b32 s2, v52, 32
	v_readlane_b32 s3, v52, 33
	s_nop 4
	global_load_ushort v1, v9, s[2:3]
	global_load_ushort v16, v[5:6], off
	s_waitcnt vmcnt(1)
	v_add_u32_e32 v12, v0, v1
	v_readfirstlane_b32 s5, v1
	v_cmp_gt_u32_e32 vcc, s36, v12
	v_mov_b32_e32 v1, v0
	s_and_saveexec_b64 s[30:31], vcc
	s_cbranch_execz .LBB111_45
; %bb.23:                               ;   in Loop: Header=BB111_6 Depth=1
	s_mov_b64 s[6:7], 0
	s_mul_i32 s8, s53, s5
                                        ; implicit-def: $vgpr1
                                        ; implicit-def: $vgpr3
                                        ; implicit-def: $vgpr2
	s_mov_b64 s[2:3], exec
	v_readlane_b32 s12, v52, 34
	v_readlane_b32 s13, v52, 35
	s_and_b64 s[12:13], s[2:3], s[12:13]
	s_xor_b64 s[34:35], s[12:13], s[2:3]
	s_mov_b64 exec, s[12:13]
	s_cbranch_execnz .LBB111_29
; %bb.24:                               ;   in Loop: Header=BB111_6 Depth=1
	s_andn2_saveexec_b64 s[2:3], s[34:35]
	s_cbranch_execnz .LBB111_40
.LBB111_25:                             ;   in Loop: Header=BB111_6 Depth=1
	s_or_b64 exec, exec, s[2:3]
	s_and_saveexec_b64 s[2:3], s[6:7]
	s_cbranch_execnz .LBB111_41
	s_branch .LBB111_44
.LBB111_26:                             ;   in Loop: Header=BB111_6 Depth=1
	s_or_b64 exec, exec, s[2:3]
	s_waitcnt lgkmcnt(0)
	s_barrier
	s_mov_b64 s[2:3], exec
	v_readlane_b32 s6, v52, 14
	v_readlane_b32 s7, v52, 15
	s_and_b64 s[6:7], s[2:3], s[6:7]
	s_mov_b64 exec, s[6:7]
	s_cbranch_execz .LBB111_28
; %bb.27:                               ;   in Loop: Header=BB111_6 Depth=1
	ds_read_b32 v1, v9 offset:4104
	s_waitcnt lgkmcnt(0)
	ds_write_b32 v9, v1 offset:4096
.LBB111_28:                             ;   in Loop: Header=BB111_6 Depth=1
	s_or_b64 exec, exec, s[2:3]
	s_waitcnt lgkmcnt(0)
	s_barrier
	s_mov_b64 s[2:3], -1
	s_and_b64 vcc, exec, s[12:13]
	s_cbranch_vccnz .LBB111_21
	s_branch .LBB111_49
.LBB111_29:                             ;   in Loop: Header=BB111_6 Depth=1
	v_cvt_f32_u32_e32 v1, s5
	s_sub_i32 s3, 0, s5
	v_add_u32_e32 v2, s5, v12
	v_max_u32_e32 v2, s36, v2
	v_rcp_iflag_f32_e32 v1, v1
	s_lshl_b32 s2, s5, 1
	v_sub_u32_e32 v2, v2, v0
	v_cmp_ne_u32_e32 vcc, s2, v2
	v_mul_f32_e32 v1, 0x4f7ffffe, v1
	v_cvt_u32_f32_e32 v1, v1
	v_cndmask_b32_e64 v8, 0, 1, vcc
	v_or_b32_e32 v8, s2, v8
	v_sub_u32_e32 v2, v2, v8
	v_mul_lo_u32 v3, s3, v1
	s_not_b32 s6, s8
	s_ashr_i32 s14, s6, 31
	s_abs_i32 s9, s8
	v_mul_hi_u32 v3, v1, v3
	v_mul_lo_u32 v4, s53, v12
	s_cmp_eq_u32 s5, 1
	s_cselect_b64 s[12:13], -1, 0
	v_add_u32_e32 v1, v1, v3
	v_mul_hi_u32 v3, v2, v1
	v_xor_b32_e32 v4, s14, v4
	s_mov_b64 s[2:3], -1
                                        ; implicit-def: $vgpr1
	v_mul_lo_u32 v8, v3, s5
	v_add_u32_e32 v13, 1, v3
	v_sub_u32_e32 v2, v2, v8
	v_subrev_u32_e32 v8, s5, v2
	v_cmp_le_u32_e64 s[6:7], s5, v2
	v_cndmask_b32_e64 v3, v3, v13, s[6:7]
	v_cndmask_b32_e64 v2, v2, v8, s[6:7]
	v_add_u32_e32 v8, 1, v3
	v_cmp_le_u32_e64 s[6:7], s5, v2
	v_cndmask_b32_e64 v2, v3, v8, s[6:7]
	v_addc_co_u32_e32 v2, vcc, 0, v2, vcc
	v_mul_hi_u32 v3, s9, v2
	v_mul_lo_u32 v2, s9, v2
	v_cmp_eq_u32_e32 vcc, 0, v3
	v_cmp_le_u32_e64 s[6:7], v2, v4
	s_and_b64 s[12:13], vcc, s[12:13]
	s_and_b64 s[12:13], s[12:13], s[6:7]
	v_mov_b32_e32 v3, v0
	s_and_saveexec_b64 s[6:7], s[12:13]
	s_cbranch_execz .LBB111_39
; %bb.30:                               ;   in Loop: Header=BB111_6 Depth=1
	v_add_u32_e32 v13, 1, v12
	v_mov_b32_e32 v15, v13
	s_waitcnt vmcnt(0)
	v_lshlrev_b32_e32 v17, 16, v16
	v_mov_b32_e32 v1, 0
	v_mov_b32_e32 v14, v12
                                        ; implicit-def: $vgpr16
	s_mov_b64 s[40:41], exec
	v_readlane_b32 s2, v52, 36
	v_readlane_b32 s3, v52, 37
	s_and_b64 s[2:3], s[40:41], s[2:3]
	s_mov_b64 exec, s[2:3]
	s_cbranch_execz .LBB111_34
; %bb.31:                               ;   in Loop: Header=BB111_6 Depth=1
	v_mov_b32_e32 v15, v13
	s_mov_b32 s2, 0
	s_mov_b64 s[84:85], 0
	v_mov_b32_e32 v48, v30
	v_mov_b32_e32 v49, v25
	;; [unrolled: 1-line block ×3, first 2 shown]
	s_mov_b32 s3, 0x5040100
.LBB111_32:                             ;   Parent Loop BB111_6 Depth=1
                                        ; =>  This Inner Loop Header: Depth=2
	v_mul_lo_u32 v8, v14, s53
	v_mul_lo_u32 v1, v15, s20
	v_mov_b32_e32 v13, s48
	v_add_u32_e32 v48, -8, v48
	v_lshlrev_b64 v[2:3], 1, v[8:9]
	s_add_i32 s2, s2, 16
	v_add_co_u32_e32 v18, vcc, s33, v2
	v_mov_b32_e32 v2, v9
	v_lshlrev_b64 v[1:2], 1, v[1:2]
	v_addc_co_u32_e32 v19, vcc, v13, v3, vcc
	v_add_co_u32_e32 v1, vcc, s33, v1
	v_addc_co_u32_e32 v2, vcc, v13, v2, vcc
	global_load_ushort v3, v[18:19], off
	s_nop 0
	global_load_ushort v18, v[1:2], off
	v_add_u32_e32 v2, 2, v15
	v_mul_lo_u32 v2, v2, s20
	s_waitcnt vmcnt(1)
	v_alignbit_b32 v1, v3, v17, 16
	v_add_u32_e32 v3, 2, v14
	v_mul_lo_u32 v8, v3, s53
	v_lshlrev_b64 v[3:4], 1, v[8:9]
	v_add_co_u32_e32 v16, vcc, s33, v3
	v_mov_b32_e32 v3, v9
	v_lshlrev_b64 v[2:3], 1, v[2:3]
	v_addc_co_u32_e32 v17, vcc, v13, v4, vcc
	v_add_co_u32_e32 v2, vcc, s33, v2
	v_addc_co_u32_e32 v3, vcc, v13, v3, vcc
	global_load_ushort v4, v[16:17], off
	global_load_ushort v19, v[2:3], off
	v_add_u32_e32 v3, 4, v15
	v_mul_lo_u32 v3, v3, s20
	s_waitcnt vmcnt(1)
	v_perm_b32 v2, v4, v18, s3
	v_add_u32_e32 v4, 4, v14
	v_mul_lo_u32 v8, v4, s53
	v_mov_b32_e32 v4, v9
	v_lshlrev_b64 v[3:4], 1, v[3:4]
	v_lshlrev_b64 v[16:17], 1, v[8:9]
	v_add_co_u32_e32 v16, vcc, s33, v16
	v_addc_co_u32_e32 v17, vcc, v13, v17, vcc
	v_add_co_u32_e32 v3, vcc, s33, v3
	v_addc_co_u32_e32 v4, vcc, v13, v4, vcc
	global_load_ushort v8, v[16:17], off
	s_nop 0
	global_load_ushort v4, v[3:4], off
	v_add_u32_e32 v16, 6, v15
	v_mul_lo_u32 v16, v16, s20
	s_waitcnt vmcnt(1)
	v_perm_b32 v3, v8, v19, s3
	v_add_u32_e32 v8, 6, v14
	v_mul_lo_u32 v8, v8, s53
	v_lshlrev_b64 v[17:18], 1, v[8:9]
	v_add_co_u32_e32 v50, vcc, s33, v17
	v_mov_b32_e32 v17, v9
	v_lshlrev_b64 v[16:17], 1, v[16:17]
	v_addc_co_u32_e32 v51, vcc, v13, v18, vcc
	v_add_co_u32_e32 v16, vcc, s33, v16
	v_addc_co_u32_e32 v17, vcc, v13, v17, vcc
	global_load_ushort v8, v[50:51], off
	global_load_ushort v18, v[16:17], off
	s_waitcnt vmcnt(1)
	v_perm_b32 v4, v8, v4, s3
	ds_write_b128 v49, v[1:4]
	v_add_u32_e32 v2, 8, v14
	v_mul_lo_u32 v8, v2, s53
	v_add_u32_e32 v1, 8, v15
	v_mul_lo_u32 v1, v1, s20
	v_lshlrev_b64 v[2:3], 1, v[8:9]
	v_add_co_u32_e32 v16, vcc, s33, v2
	v_mov_b32_e32 v2, v9
	v_lshlrev_b64 v[1:2], 1, v[1:2]
	v_addc_co_u32_e32 v17, vcc, v13, v3, vcc
	v_add_co_u32_e32 v1, vcc, s33, v1
	v_addc_co_u32_e32 v2, vcc, v13, v2, vcc
	global_load_ushort v3, v[16:17], off
	global_load_ushort v19, v[1:2], off
	v_add_u32_e32 v2, 10, v15
	v_mul_lo_u32 v2, v2, s20
	s_waitcnt vmcnt(1)
	v_perm_b32 v1, v3, v18, s3
	v_add_u32_e32 v3, 10, v14
	v_mul_lo_u32 v8, v3, s53
	v_lshlrev_b64 v[3:4], 1, v[8:9]
	v_add_co_u32_e32 v16, vcc, s33, v3
	v_mov_b32_e32 v3, v9
	v_lshlrev_b64 v[2:3], 1, v[2:3]
	v_addc_co_u32_e32 v17, vcc, v13, v4, vcc
	v_add_co_u32_e32 v2, vcc, s33, v2
	v_addc_co_u32_e32 v3, vcc, v13, v3, vcc
	global_load_ushort v4, v[16:17], off
	global_load_ushort v18, v[2:3], off
	v_add_u32_e32 v3, 12, v15
	v_mul_lo_u32 v3, v3, s20
	s_waitcnt vmcnt(1)
	v_perm_b32 v2, v4, v19, s3
	v_add_u32_e32 v4, 12, v14
	v_mul_lo_u32 v8, v4, s53
	v_mov_b32_e32 v4, v9
	v_lshlrev_b64 v[3:4], 1, v[3:4]
	v_mov_b32_e32 v19, v9
	v_lshlrev_b64 v[16:17], 1, v[8:9]
	v_add_co_u32_e32 v16, vcc, s33, v16
	v_addc_co_u32_e32 v17, vcc, v13, v17, vcc
	v_add_co_u32_e32 v3, vcc, s33, v3
	v_addc_co_u32_e32 v4, vcc, v13, v4, vcc
	global_load_ushort v8, v[16:17], off
	s_nop 0
	global_load_ushort v4, v[3:4], off
	v_add_u32_e32 v16, 14, v15
	v_add_u32_e32 v15, 16, v15
	s_waitcnt vmcnt(1)
	v_perm_b32 v3, v8, v18, s3
	v_add_u32_e32 v8, 14, v14
	v_mul_lo_u32 v8, v8, s53
	v_mul_lo_u32 v18, v16, s20
	v_add_u32_e32 v14, 16, v14
	v_lshlrev_b64 v[16:17], 1, v[8:9]
	v_lshlrev_b64 v[18:19], 1, v[18:19]
	v_add_co_u32_e32 v16, vcc, s33, v16
	v_addc_co_u32_e32 v17, vcc, v13, v17, vcc
	v_add_co_u32_e32 v18, vcc, s33, v18
	v_addc_co_u32_e32 v19, vcc, v13, v19, vcc
	global_load_ushort v8, v[16:17], off
	s_nop 0
	global_load_ushort v16, v[18:19], off
	v_cmp_eq_u32_e32 vcc, 0, v48
	s_or_b64 s[84:85], vcc, s[84:85]
	s_waitcnt vmcnt(1)
	v_perm_b32 v4, v8, v4, s3
	s_waitcnt vmcnt(0)
	v_perm_b32 v17, v16, v8, s3
	ds_write_b128 v49, v[1:4] offset:16
	v_add_u32_e32 v49, 32, v49
	v_mov_b32_e32 v1, s2
	s_andn2_b64 exec, exec, s[84:85]
	s_cbranch_execnz .LBB111_32
; %bb.33:                               ;   in Loop: Header=BB111_6 Depth=1
	s_or_b64 exec, exec, s[84:85]
.LBB111_34:                             ;   in Loop: Header=BB111_6 Depth=1
	s_or_b64 exec, exec, s[40:41]
	s_mov_b64 s[2:3], exec
	v_readlane_b32 s12, v52, 38
	v_readlane_b32 s13, v52, 39
	s_and_b64 s[12:13], s[2:3], s[12:13]
	s_mov_b64 exec, s[12:13]
	s_cbranch_execz .LBB111_38
; %bb.35:                               ;   in Loop: Header=BB111_6 Depth=1
	v_lshl_add_u32 v1, v1, 1, v25
	s_mov_b64 s[12:13], 0
	v_mov_b32_e32 v2, v32
	s_mov_b32 s9, 0x5040100
.LBB111_36:                             ;   Parent Loop BB111_6 Depth=1
                                        ; =>  This Inner Loop Header: Depth=2
	v_mul_lo_u32 v8, v14, s53
	v_mul_lo_u32 v3, v15, s20
	v_mov_b32_e32 v4, v9
	v_mov_b32_e32 v13, s48
	v_lshlrev_b64 v[18:19], 1, v[8:9]
	v_lshlrev_b64 v[3:4], 1, v[3:4]
	v_add_co_u32_e32 v18, vcc, s33, v18
	v_addc_co_u32_e32 v19, vcc, v13, v19, vcc
	v_add_co_u32_e32 v3, vcc, s33, v3
	v_addc_co_u32_e32 v4, vcc, v13, v4, vcc
	global_load_ushort v8, v[18:19], off
	global_load_ushort v16, v[3:4], off
	v_add_u32_e32 v2, -4, v2
	v_cmp_eq_u32_e32 vcc, 0, v2
	v_add_u32_e32 v15, 2, v15
	v_add_u32_e32 v14, 2, v14
	s_or_b64 s[12:13], vcc, s[12:13]
	s_waitcnt vmcnt(1)
	v_alignbit_b32 v4, v8, v17, 16
	s_waitcnt vmcnt(0)
	v_perm_b32 v3, v16, v8, s9
	ds_write_b32 v1, v4
	v_add_u32_e32 v1, 4, v1
	v_mov_b32_e32 v17, v3
	s_andn2_b64 exec, exec, s[12:13]
	s_cbranch_execnz .LBB111_36
; %bb.37:                               ;   in Loop: Header=BB111_6 Depth=1
	s_or_b64 exec, exec, s[12:13]
.LBB111_38:                             ;   in Loop: Header=BB111_6 Depth=1
	s_or_b64 exec, exec, s[2:3]
	v_readlane_b32 s2, v52, 40
	v_add_u32_e32 v12, v12, v28
	v_readlane_b32 s3, v52, 41
	v_add_u32_e32 v1, -1, v12
	s_orn2_b64 s[2:3], s[2:3], exec
	v_mov_b32_e32 v3, v29
.LBB111_39:                             ;   in Loop: Header=BB111_6 Depth=1
	s_or_b64 exec, exec, s[6:7]
	v_mov_b32_e32 v2, s8
	s_and_b64 s[6:7], s[2:3], exec
	s_andn2_saveexec_b64 s[2:3], s[34:35]
	s_cbranch_execz .LBB111_25
.LBB111_40:                             ;   in Loop: Header=BB111_6 Depth=1
	v_mov_b32_e32 v2, s8
	s_or_b64 s[6:7], s[6:7], exec
	v_mov_b32_e32 v3, v0
	s_or_b64 exec, exec, s[2:3]
	s_and_saveexec_b64 s[2:3], s[6:7]
	s_cbranch_execz .LBB111_44
.LBB111_41:                             ;   in Loop: Header=BB111_6 Depth=1
	v_mul_lo_u32 v8, s53, v12
	s_sub_i32 s8, 0, s5
	s_mov_b64 s[6:7], 0
.LBB111_42:                             ;   Parent Loop BB111_6 Depth=1
                                        ; =>  This Inner Loop Header: Depth=2
	v_mov_b32_e32 v4, v12
	v_lshlrev_b64 v[12:13], 1, v[8:9]
	v_mov_b32_e32 v14, s48
	v_add_co_u32_e32 v12, vcc, s33, v12
	v_addc_co_u32_e32 v13, vcc, v14, v13, vcc
	s_waitcnt vmcnt(0)
	v_mov_b32_e32 v1, v16
	global_load_ushort v16, v[12:13], off
	v_add_u32_e32 v12, s5, v4
	v_lshlrev_b32_e32 v3, 1, v3
	v_cmp_le_u32_e32 vcc, s36, v12
	ds_write_b16 v3, v1
	v_add_u32_e32 v8, v8, v2
	s_or_b64 s[6:7], vcc, s[6:7]
	v_mov_b32_e32 v3, v4
	s_andn2_b64 exec, exec, s[6:7]
	s_cbranch_execnz .LBB111_42
; %bb.43:                               ;   in Loop: Header=BB111_6 Depth=1
	s_or_b64 exec, exec, s[6:7]
	v_add_u32_e32 v1, s8, v12
.LBB111_44:                             ;   in Loop: Header=BB111_6 Depth=1
	s_or_b64 exec, exec, s[2:3]
.LBB111_45:                             ;   in Loop: Header=BB111_6 Depth=1
	s_or_b64 exec, exec, s[30:31]
	v_lshlrev_b32_e32 v1, 1, v1
	s_waitcnt vmcnt(0)
	ds_write_b16 v1, v16
.LBB111_46:                             ;   in Loop: Header=BB111_6 Depth=1
	s_or_b64 exec, exec, s[26:27]
	s_waitcnt lgkmcnt(0)
	s_barrier
	s_mov_b64 s[2:3], exec
	v_readlane_b32 s6, v52, 14
	v_readlane_b32 s7, v52, 15
	s_and_b64 s[6:7], s[2:3], s[6:7]
	s_mov_b64 exec, s[6:7]
; %bb.47:                               ;   in Loop: Header=BB111_6 Depth=1
	v_mov_b32_e32 v1, s36
	ds_write_b32 v9, v1 offset:4096
; %bb.48:                               ;   in Loop: Header=BB111_6 Depth=1
	s_or_b64 exec, exec, s[2:3]
	s_mov_b64 s[2:3], -1
	s_waitcnt lgkmcnt(0)
	s_barrier
.LBB111_49:                             ;   in Loop: Header=BB111_6 Depth=1
	s_mov_b32 s5, 0
	s_and_b64 vcc, exec, s[2:3]
	s_cbranch_vccz .LBB111_51
; %bb.50:                               ;   in Loop: Header=BB111_6 Depth=1
	ds_read_b32 v1, v9 offset:4096
	s_waitcnt lgkmcnt(0)
	v_readfirstlane_b32 s5, v1
.LBB111_51:                             ;   in Loop: Header=BB111_6 Depth=1
	s_cmp_lt_i32 s5, 1
	s_mov_b64 s[2:3], -1
                                        ; implicit-def: $vgpr1
	s_cbranch_scc1 .LBB111_61
; %bb.52:                               ;   in Loop: Header=BB111_6 Depth=1
	s_and_b64 vcc, exec, s[2:3]
	s_cbranch_vccnz .LBB111_72
.LBB111_53:                             ;   in Loop: Header=BB111_6 Depth=1
	s_lshl_b32 s5, s49, 6
	s_and_saveexec_b64 s[2:3], s[0:1]
.LBB111_54:                             ;   in Loop: Header=BB111_6 Depth=1
	v_lshl_add_u32 v8, s5, 2, v27
	ds_write_b128 v8, v[1:4]
.LBB111_55:                             ;   in Loop: Header=BB111_6 Depth=1
	s_or_b64 exec, exec, s[2:3]
	s_waitcnt lgkmcnt(0)
	s_barrier
	s_mov_b64 s[2:3], exec
	v_readlane_b32 s6, v52, 21
	v_readlane_b32 s7, v52, 22
	s_and_b64 s[6:7], s[2:3], s[6:7]
	s_mov_b64 exec, s[6:7]
	s_cbranch_execz .LBB111_86
; %bb.56:                               ;   in Loop: Header=BB111_6 Depth=1
	v_readlane_b32 s6, v52, 27
	v_readlane_b32 s7, v52, 28
	s_andn2_b64 vcc, exec, s[6:7]
	v_mov_b32_e32 v1, 0
	s_cbranch_vccnz .LBB111_85
; %bb.57:                               ;   in Loop: Header=BB111_6 Depth=1
	v_readlane_b32 s6, v52, 42
	v_readlane_b32 s7, v52, 43
	s_andn2_b64 vcc, exec, s[6:7]
	s_cbranch_vccnz .LBB111_81
; %bb.58:                               ;   in Loop: Header=BB111_6 Depth=1
	v_lshl_add_u32 v2, s49, 8, v38
	s_mov_b32 s6, 0
	v_mov_b32_e32 v1, 0
.LBB111_59:                             ;   Parent Loop BB111_6 Depth=1
                                        ; =>  This Inner Loop Header: Depth=2
	ds_read2_b32 v[3:4], v2 offset1:4
	ds_read2_b32 v[12:13], v2 offset0:8 offset1:12
	s_add_i32 s6, s6, 8
	s_cmp_eq_u32 s21, s6
	s_waitcnt lgkmcnt(1)
	v_add3_u32 v1, v3, v1, v4
	ds_read2_b32 v[3:4], v2 offset0:16 offset1:20
	s_waitcnt lgkmcnt(1)
	v_add3_u32 v1, v12, v1, v13
	s_waitcnt lgkmcnt(0)
	v_add3_u32 v1, v3, v1, v4
	ds_read2_b32 v[3:4], v2 offset0:24 offset1:28
	v_add_u32_e32 v2, 0x80, v2
	s_waitcnt lgkmcnt(0)
	v_add3_u32 v1, v3, v1, v4
	s_cbranch_scc0 .LBB111_59
; %bb.60:                               ;   in Loop: Header=BB111_6 Depth=1
	s_mov_b32 s6, s21
	s_branch .LBB111_82
.LBB111_61:                             ;   in Loop: Header=BB111_6 Depth=1
	v_mov_b32_e32 v1, 0
	v_mov_b32_e32 v2, 0
	;; [unrolled: 1-line block ×4, first 2 shown]
	s_mov_b64 s[84:85], exec
	v_readlane_b32 s2, v52, 48
	v_readlane_b32 s3, v52, 49
	s_and_b64 s[2:3], s[84:85], s[2:3]
	s_mov_b64 exec, s[2:3]
	s_cbranch_execz .LBB111_65
; %bb.62:                               ;   in Loop: Header=BB111_6 Depth=1
	s_mov_b32 s2, 0
	s_mov_b64 s[86:87], 0
	s_mov_b32 s3, 0
	s_mov_b32 s8, 0
	;; [unrolled: 1-line block ×4, first 2 shown]
	v_mov_b32_e32 v12, v23
.LBB111_63:                             ;   Parent Loop BB111_6 Depth=1
                                        ; =>  This Inner Loop Header: Depth=2
	v_add_u32_e32 v8, s2, v39
	v_lshlrev_b64 v[1:2], 1, v[8:9]
	v_mov_b32_e32 v3, s48
	v_add_co_u32_e32 v1, vcc, s33, v1
	v_addc_co_u32_e32 v2, vcc, v3, v2, vcc
	v_add_u32_e32 v8, s2, v33
	global_load_ushort v4, v[1:2], off
	v_lshlrev_b64 v[1:2], 1, v[8:9]
	v_add_u32_e32 v8, s2, v34
	v_add_co_u32_e32 v1, vcc, s33, v1
	v_addc_co_u32_e32 v2, vcc, v3, v2, vcc
	global_load_ushort v13, v[1:2], off
	v_lshlrev_b64 v[1:2], 1, v[8:9]
	v_add_u32_e32 v8, s2, v35
	v_add_co_u32_e32 v1, vcc, s33, v1
	v_addc_co_u32_e32 v2, vcc, v3, v2, vcc
	;; [unrolled: 5-line block ×3, first 2 shown]
	global_load_ushort v1, v[1:2], off
	s_add_i32 s2, s2, s10
	s_waitcnt vmcnt(3)
	v_cmp_lt_i16_e32 vcc, -1, v4
	v_cndmask_b32_e32 v2, v41, v42, vcc
	v_lshlrev_b32_e32 v3, 16, v4
	v_cmp_o_f32_e32 vcc, v3, v3
	v_xor_b32_sdwa v2, v2, v4 dst_sel:DWORD dst_unused:UNUSED_PAD src0_sel:DWORD src1_sel:WORD_0
	v_cndmask_b32_e32 v2, v41, v2, vcc
	s_waitcnt vmcnt(2)
	v_cmp_lt_i16_e32 vcc, -1, v13
	v_cndmask_b32_e32 v3, v41, v42, vcc
	v_lshlrev_b32_e32 v4, 16, v13
	v_cmp_o_f32_e32 vcc, v4, v4
	v_xor_b32_sdwa v3, v3, v13 dst_sel:DWORD dst_unused:UNUSED_PAD src0_sel:DWORD src1_sel:WORD_0
	v_cndmask_b32_e32 v3, v41, v3, vcc
	s_waitcnt vmcnt(1)
	v_cmp_lt_i16_e32 vcc, -1, v14
	v_cndmask_b32_e32 v4, v41, v42, vcc
	v_lshlrev_b32_e32 v8, 16, v14
	v_cmp_o_f32_e32 vcc, v8, v8
	v_xor_b32_sdwa v4, v4, v14 dst_sel:DWORD dst_unused:UNUSED_PAD src0_sel:DWORD src1_sel:WORD_0
	v_cndmask_b32_e32 v4, v41, v4, vcc
	s_waitcnt vmcnt(0)
	v_cmp_lt_i16_e32 vcc, -1, v1
	v_cndmask_b32_e32 v8, v41, v42, vcc
	v_lshlrev_b32_e32 v13, 16, v1
	v_cmp_o_f32_e32 vcc, v13, v13
	v_xor_b32_sdwa v1, v8, v1 dst_sel:DWORD dst_unused:UNUSED_PAD src0_sel:DWORD src1_sel:WORD_0
	v_and_b32_e32 v8, v2, v45
	v_bfe_u32 v2, v2, s38, 2
	v_cndmask_b32_e32 v1, v41, v1, vcc
	v_cmp_eq_u32_e32 vcc, v8, v37
	v_and_b32_e32 v8, v3, v45
	v_bfe_u32 v3, v3, s38, 2
	v_cmp_eq_u32_e64 s[34:35], 0, v2
	v_cmp_eq_u32_e64 s[6:7], v8, v37
	v_and_b32_e32 v8, v4, v45
	v_bfe_u32 v4, v4, s38, 2
	s_and_b64 s[14:15], vcc, s[34:35]
	v_cmp_eq_u32_e64 s[34:35], 0, v3
	v_cmp_eq_u32_e64 s[26:27], v8, v37
	v_and_b32_e32 v8, v1, v45
	v_bfe_u32 v1, v1, s38, 2
	s_and_b64 s[16:17], s[6:7], s[34:35]
	v_cmp_eq_u32_e64 s[34:35], 0, v4
	v_cmp_eq_u32_e64 s[30:31], v8, v37
	s_and_b64 s[18:19], s[26:27], s[34:35]
	v_cmp_eq_u32_e64 s[34:35], 0, v1
	v_cndmask_b32_e64 v8, 0, 1, s[14:15]
	s_and_b64 s[24:25], s[30:31], s[34:35]
	v_cmp_ne_u32_e64 s[34:35], 0, v8
	v_cndmask_b32_e64 v8, 0, 1, s[16:17]
	s_bcnt1_i32_b64 s13, s[34:35]
	v_cmp_ne_u32_e64 s[34:35], 0, v8
	v_cndmask_b32_e64 v8, 0, 1, s[18:19]
	s_bcnt1_i32_b64 s14, s[34:35]
	;; [unrolled: 3-line block ×3, first 2 shown]
	v_cmp_ne_u32_e64 s[34:35], 0, v8
	s_add_i32 s12, s12, s13
	s_bcnt1_i32_b64 s16, s[34:35]
	s_add_i32 s12, s12, s14
	v_cmp_eq_u32_e64 s[34:35], 1, v2
	s_add_i32 s12, s12, s15
	s_and_b64 s[14:15], vcc, s[34:35]
	v_cmp_eq_u32_e64 s[34:35], 1, v3
	s_add_i32 s12, s12, s16
	s_and_b64 s[16:17], s[6:7], s[34:35]
	v_cmp_eq_u32_e64 s[34:35], 1, v4
	s_and_b64 s[18:19], s[26:27], s[34:35]
	v_cmp_eq_u32_e64 s[34:35], 1, v1
	v_cndmask_b32_e64 v8, 0, 1, s[14:15]
	s_and_b64 s[24:25], s[30:31], s[34:35]
	v_cmp_ne_u32_e64 s[34:35], 0, v8
	v_cndmask_b32_e64 v8, 0, 1, s[16:17]
	s_bcnt1_i32_b64 s13, s[34:35]
	v_cmp_ne_u32_e64 s[34:35], 0, v8
	v_cndmask_b32_e64 v8, 0, 1, s[18:19]
	s_bcnt1_i32_b64 s14, s[34:35]
	;; [unrolled: 3-line block ×3, first 2 shown]
	v_cmp_ne_u32_e64 s[34:35], 0, v8
	s_add_i32 s9, s9, s13
	s_bcnt1_i32_b64 s16, s[34:35]
	s_add_i32 s9, s9, s14
	v_cmp_eq_u32_e64 s[34:35], 2, v2
	s_add_i32 s9, s9, s15
	s_and_b64 s[14:15], vcc, s[34:35]
	v_cmp_eq_u32_e64 s[34:35], 2, v3
	s_add_i32 s9, s9, s16
	s_and_b64 s[16:17], s[6:7], s[34:35]
	v_cmp_eq_u32_e64 s[34:35], 2, v4
	s_and_b64 s[18:19], s[26:27], s[34:35]
	v_cmp_eq_u32_e64 s[34:35], 2, v1
	v_cndmask_b32_e64 v8, 0, 1, s[14:15]
	s_and_b64 s[24:25], s[30:31], s[34:35]
	v_cmp_ne_u32_e64 s[34:35], 0, v8
	v_cndmask_b32_e64 v8, 0, 1, s[16:17]
	s_bcnt1_i32_b64 s13, s[34:35]
	v_cmp_ne_u32_e64 s[34:35], 0, v8
	v_cndmask_b32_e64 v8, 0, 1, s[18:19]
	s_bcnt1_i32_b64 s14, s[34:35]
	;; [unrolled: 3-line block ×3, first 2 shown]
	v_cmp_ne_u32_e64 s[34:35], 0, v8
	s_add_i32 s8, s8, s13
	s_bcnt1_i32_b64 s16, s[34:35]
	s_add_i32 s8, s8, s14
	v_cmp_eq_u32_e64 s[34:35], 3, v2
	s_add_i32 s8, s8, s15
	s_and_b64 s[14:15], vcc, s[34:35]
	v_cmp_eq_u32_e32 vcc, 3, v3
	s_and_b64 s[6:7], s[6:7], vcc
	v_cmp_eq_u32_e32 vcc, 3, v4
	s_add_i32 s8, s8, s16
	s_and_b64 s[16:17], s[26:27], vcc
	v_cmp_eq_u32_e32 vcc, 3, v1
	v_cndmask_b32_e64 v1, 0, 1, s[14:15]
	s_and_b64 s[18:19], s[30:31], vcc
	v_cmp_ne_u32_e32 vcc, 0, v1
	v_cndmask_b32_e64 v1, 0, 1, s[6:7]
	s_bcnt1_i32_b64 s13, vcc
	v_cmp_ne_u32_e32 vcc, 0, v1
	v_cndmask_b32_e64 v1, 0, 1, s[16:17]
	s_bcnt1_i32_b64 s6, vcc
	v_cmp_ne_u32_e32 vcc, 0, v1
	v_cndmask_b32_e64 v1, 0, 1, s[18:19]
	s_add_i32 s3, s3, s13
	s_bcnt1_i32_b64 s7, vcc
	v_cmp_ne_u32_e32 vcc, 0, v1
	s_add_i32 s3, s3, s6
	s_bcnt1_i32_b64 s14, vcc
	s_add_i32 s3, s3, s7
	s_add_i32 s3, s3, s14
	v_cmp_le_u32_e32 vcc, s23, v12
	s_or_b64 s[86:87], vcc, s[86:87]
	v_mov_b32_e32 v1, s12
	v_mov_b32_e32 v2, s9
	;; [unrolled: 1-line block ×4, first 2 shown]
	s_andn2_b64 exec, exec, s[86:87]
	s_cbranch_execnz .LBB111_63
; %bb.64:                               ;   in Loop: Header=BB111_6 Depth=1
	s_or_b64 exec, exec, s[86:87]
.LBB111_65:                             ;   in Loop: Header=BB111_6 Depth=1
	s_or_b64 exec, exec, s[84:85]
	s_mov_b64 s[2:3], exec
	v_readlane_b32 s6, v52, 50
	v_readlane_b32 s7, v52, 51
	s_and_b64 s[6:7], s[2:3], s[6:7]
	s_mov_b64 exec, s[6:7]
	s_cbranch_execz .LBB111_71
; %bb.66:                               ;   in Loop: Header=BB111_6 Depth=1
	global_load_ushort v14, v[10:11], off
	s_mov_b64 s[12:13], 0
	v_mov_b32_e32 v8, v36
	v_mov_b32_e32 v12, v31
	s_branch .LBB111_68
.LBB111_67:                             ;   in Loop: Header=BB111_68 Depth=2
	s_or_b64 exec, exec, s[14:15]
	s_and_b64 s[6:7], exec, vcc
	s_waitcnt vmcnt(0)
	v_cmp_lt_i16_e32 vcc, -1, v14
	v_cndmask_b32_e32 v15, v41, v42, vcc
	v_lshlrev_b32_e32 v16, 16, v14
	v_cmp_o_f32_e32 vcc, v16, v16
	v_xor_b32_sdwa v14, v15, v14 dst_sel:DWORD dst_unused:UNUSED_PAD src0_sel:DWORD src1_sel:WORD_0
	v_cndmask_b32_e32 v14, v41, v14, vcc
	v_and_b32_e32 v15, v14, v45
	v_bfe_u32 v14, v14, s38, 2
	s_or_b64 s[12:13], s[6:7], s[12:13]
	v_cmp_eq_u32_e32 vcc, v15, v37
	v_cmp_eq_u32_e64 s[6:7], 0, v14
	s_and_b64 s[6:7], vcc, s[6:7]
	v_cndmask_b32_e64 v15, 0, 1, s[6:7]
	v_cmp_ne_u32_e64 s[6:7], 0, v15
	s_bcnt1_i32_b64 s6, s[6:7]
	v_add_u32_e32 v1, s6, v1
	v_cmp_eq_u32_e64 s[6:7], 1, v14
	s_and_b64 s[6:7], vcc, s[6:7]
	v_cndmask_b32_e64 v15, 0, 1, s[6:7]
	v_cmp_ne_u32_e64 s[6:7], 0, v15
	s_bcnt1_i32_b64 s6, s[6:7]
	v_add_u32_e32 v2, s6, v2
	;; [unrolled: 6-line block ×3, first 2 shown]
	v_cmp_eq_u32_e64 s[6:7], 3, v14
	s_and_b64 s[6:7], vcc, s[6:7]
	v_cndmask_b32_e64 v14, 0, 1, s[6:7]
	v_cmp_ne_u32_e32 vcc, 0, v14
	s_bcnt1_i32_b64 s6, vcc
	v_add_u32_e32 v4, s6, v4
	v_add_u32_e32 v8, s54, v8
	v_mov_b32_e32 v14, v13
	s_andn2_b64 exec, exec, s[12:13]
	s_cbranch_execz .LBB111_70
.LBB111_68:                             ;   Parent Loop BB111_6 Depth=1
                                        ; =>  This Inner Loop Header: Depth=2
	v_add_u32_e32 v12, s52, v12
	v_cmp_gt_u32_e64 s[6:7], s36, v12
	v_cmp_le_u32_e32 vcc, s36, v12
	v_mov_b32_e32 v13, 0
	s_and_saveexec_b64 s[14:15], s[6:7]
	s_cbranch_execz .LBB111_67
; %bb.69:                               ;   in Loop: Header=BB111_68 Depth=2
	v_lshlrev_b64 v[15:16], 1, v[8:9]
	v_mov_b32_e32 v13, s48
	v_add_co_u32_e64 v15, s[6:7], s33, v15
	v_addc_co_u32_e64 v16, s[6:7], v13, v16, s[6:7]
	global_load_ushort v13, v[15:16], off
	s_branch .LBB111_67
.LBB111_70:                             ;   in Loop: Header=BB111_6 Depth=1
	s_or_b64 exec, exec, s[12:13]
.LBB111_71:                             ;   in Loop: Header=BB111_6 Depth=1
	s_or_b64 exec, exec, s[2:3]
	s_branch .LBB111_53
.LBB111_72:                             ;   in Loop: Header=BB111_6 Depth=1
	v_readlane_b32 s2, v52, 47
	s_mul_hi_u32 s2, s5, s2
	s_mul_i32 s2, s2, s55
	s_sub_i32 s2, s5, s2
	s_sub_i32 s3, s2, s55
	s_cmp_ge_u32 s2, s55
	s_cselect_b32 s2, s3, s2
	s_sub_i32 s3, s2, s55
	s_cmp_ge_u32 s2, s55
	s_cselect_b32 s2, s3, s2
	s_sub_i32 s2, s5, s2
	v_cmp_gt_u32_e32 vcc, s2, v23
	v_mov_b32_e32 v1, 0
	v_mov_b32_e32 v2, 0
	;; [unrolled: 1-line block ×4, first 2 shown]
	s_and_saveexec_b64 s[84:85], vcc
	s_cbranch_execz .LBB111_76
; %bb.73:                               ;   in Loop: Header=BB111_6 Depth=1
	s_mov_b32 s3, 0
	s_mov_b64 s[86:87], 0
	v_mov_b32_e32 v8, v40
	s_mov_b32 s8, 0
	s_mov_b32 s9, 0
	s_mov_b32 s12, 0
	v_mov_b32_e32 v12, v23
.LBB111_74:                             ;   Parent Loop BB111_6 Depth=1
                                        ; =>  This Inner Loop Header: Depth=2
	ds_read_b64 v[1:2], v8
	v_add_u32_e32 v12, s55, v12
	v_add_u32_e32 v8, s11, v8
	s_waitcnt lgkmcnt(0)
	v_cmp_lt_i16_e32 vcc, -1, v1
	v_cndmask_b32_e32 v3, v41, v42, vcc
	v_lshlrev_b32_e32 v4, 16, v1
	v_cmp_o_f32_e32 vcc, v4, v4
	v_xor_b32_sdwa v3, v3, v1 dst_sel:DWORD dst_unused:UNUSED_PAD src0_sel:DWORD src1_sel:WORD_0
	v_cndmask_b32_e32 v3, v41, v3, vcc
	v_cmp_gt_i16_sdwa vcc, v1, v43 src0_sel:WORD_1 src1_sel:DWORD
	v_cndmask_b32_e32 v4, v41, v42, vcc
	v_and_b32_e32 v13, 0xffff0000, v1
	v_cmp_o_f32_e32 vcc, v13, v13
	v_xor_b32_sdwa v1, v4, v1 dst_sel:DWORD dst_unused:UNUSED_PAD src0_sel:DWORD src1_sel:WORD_1
	v_cndmask_b32_e32 v1, v41, v1, vcc
	v_cmp_lt_i16_e32 vcc, -1, v2
	v_cndmask_b32_e32 v4, v41, v42, vcc
	v_lshlrev_b32_e32 v13, 16, v2
	v_cmp_o_f32_e32 vcc, v13, v13
	v_xor_b32_sdwa v4, v4, v2 dst_sel:DWORD dst_unused:UNUSED_PAD src0_sel:DWORD src1_sel:WORD_0
	v_cndmask_b32_e32 v4, v41, v4, vcc
	v_cmp_gt_i16_sdwa vcc, v2, v43 src0_sel:WORD_1 src1_sel:DWORD
	v_cndmask_b32_e32 v13, v41, v42, vcc
	v_and_b32_e32 v14, 0xffff0000, v2
	v_cmp_o_f32_e32 vcc, v14, v14
	v_xor_b32_sdwa v2, v13, v2 dst_sel:DWORD dst_unused:UNUSED_PAD src0_sel:DWORD src1_sel:WORD_1
	v_and_b32_e32 v13, v3, v45
	v_bfe_u32 v3, v3, s38, 2
	v_cndmask_b32_e32 v2, v41, v2, vcc
	v_cmp_eq_u32_e32 vcc, v13, v37
	v_and_b32_e32 v13, v1, v45
	v_bfe_u32 v1, v1, s38, 2
	v_cmp_eq_u32_e64 s[34:35], 0, v3
	v_cmp_eq_u32_e64 s[6:7], v13, v37
	v_and_b32_e32 v13, v4, v45
	v_bfe_u32 v4, v4, s38, 2
	s_and_b64 s[14:15], vcc, s[34:35]
	v_cmp_eq_u32_e64 s[34:35], 0, v1
	v_cmp_eq_u32_e64 s[26:27], v13, v37
	v_and_b32_e32 v13, v2, v45
	v_bfe_u32 v2, v2, s38, 2
	s_and_b64 s[16:17], s[6:7], s[34:35]
	v_cmp_eq_u32_e64 s[34:35], 0, v4
	v_cmp_eq_u32_e64 s[30:31], v13, v37
	s_and_b64 s[18:19], s[26:27], s[34:35]
	v_cmp_eq_u32_e64 s[34:35], 0, v2
	v_cndmask_b32_e64 v13, 0, 1, s[14:15]
	s_and_b64 s[24:25], s[30:31], s[34:35]
	v_cmp_ne_u32_e64 s[34:35], 0, v13
	v_cndmask_b32_e64 v13, 0, 1, s[16:17]
	s_bcnt1_i32_b64 s13, s[34:35]
	v_cmp_ne_u32_e64 s[34:35], 0, v13
	v_cndmask_b32_e64 v13, 0, 1, s[18:19]
	s_bcnt1_i32_b64 s14, s[34:35]
	;; [unrolled: 3-line block ×3, first 2 shown]
	v_cmp_ne_u32_e64 s[34:35], 0, v13
	s_add_i32 s12, s12, s13
	s_bcnt1_i32_b64 s16, s[34:35]
	s_add_i32 s12, s12, s14
	v_cmp_eq_u32_e64 s[34:35], 1, v3
	s_add_i32 s12, s12, s15
	s_and_b64 s[14:15], vcc, s[34:35]
	v_cmp_eq_u32_e64 s[34:35], 1, v1
	s_add_i32 s12, s12, s16
	s_and_b64 s[16:17], s[6:7], s[34:35]
	v_cmp_eq_u32_e64 s[34:35], 1, v4
	s_and_b64 s[18:19], s[26:27], s[34:35]
	v_cmp_eq_u32_e64 s[34:35], 1, v2
	v_cndmask_b32_e64 v13, 0, 1, s[14:15]
	s_and_b64 s[24:25], s[30:31], s[34:35]
	v_cmp_ne_u32_e64 s[34:35], 0, v13
	v_cndmask_b32_e64 v13, 0, 1, s[16:17]
	s_bcnt1_i32_b64 s13, s[34:35]
	v_cmp_ne_u32_e64 s[34:35], 0, v13
	v_cndmask_b32_e64 v13, 0, 1, s[18:19]
	s_bcnt1_i32_b64 s14, s[34:35]
	;; [unrolled: 3-line block ×3, first 2 shown]
	v_cmp_ne_u32_e64 s[34:35], 0, v13
	s_add_i32 s9, s9, s13
	s_bcnt1_i32_b64 s16, s[34:35]
	s_add_i32 s9, s9, s14
	v_cmp_eq_u32_e64 s[34:35], 2, v3
	s_add_i32 s9, s9, s15
	s_and_b64 s[14:15], vcc, s[34:35]
	v_cmp_eq_u32_e64 s[34:35], 2, v1
	s_add_i32 s9, s9, s16
	s_and_b64 s[16:17], s[6:7], s[34:35]
	v_cmp_eq_u32_e64 s[34:35], 2, v4
	s_and_b64 s[18:19], s[26:27], s[34:35]
	v_cmp_eq_u32_e64 s[34:35], 2, v2
	v_cndmask_b32_e64 v13, 0, 1, s[14:15]
	s_and_b64 s[24:25], s[30:31], s[34:35]
	v_cmp_ne_u32_e64 s[34:35], 0, v13
	v_cndmask_b32_e64 v13, 0, 1, s[16:17]
	s_bcnt1_i32_b64 s13, s[34:35]
	v_cmp_ne_u32_e64 s[34:35], 0, v13
	v_cndmask_b32_e64 v13, 0, 1, s[18:19]
	s_bcnt1_i32_b64 s14, s[34:35]
	;; [unrolled: 3-line block ×3, first 2 shown]
	v_cmp_ne_u32_e64 s[34:35], 0, v13
	s_add_i32 s8, s8, s13
	s_bcnt1_i32_b64 s16, s[34:35]
	s_add_i32 s8, s8, s14
	v_cmp_eq_u32_e64 s[34:35], 3, v3
	s_add_i32 s8, s8, s15
	s_and_b64 s[14:15], vcc, s[34:35]
	v_cmp_eq_u32_e32 vcc, 3, v1
	s_and_b64 s[6:7], s[6:7], vcc
	v_cmp_eq_u32_e32 vcc, 3, v4
	s_add_i32 s8, s8, s16
	s_and_b64 s[16:17], s[26:27], vcc
	v_cmp_eq_u32_e32 vcc, 3, v2
	v_cndmask_b32_e64 v1, 0, 1, s[14:15]
	s_and_b64 s[18:19], s[30:31], vcc
	v_cmp_ne_u32_e32 vcc, 0, v1
	v_cndmask_b32_e64 v1, 0, 1, s[6:7]
	s_bcnt1_i32_b64 s13, vcc
	v_cmp_ne_u32_e32 vcc, 0, v1
	v_cndmask_b32_e64 v1, 0, 1, s[16:17]
	s_bcnt1_i32_b64 s6, vcc
	v_cmp_ne_u32_e32 vcc, 0, v1
	v_cndmask_b32_e64 v1, 0, 1, s[18:19]
	s_add_i32 s3, s3, s13
	s_bcnt1_i32_b64 s7, vcc
	v_cmp_ne_u32_e32 vcc, 0, v1
	s_add_i32 s3, s3, s6
	s_bcnt1_i32_b64 s14, vcc
	s_add_i32 s3, s3, s7
	s_add_i32 s3, s3, s14
	v_cmp_le_u32_e32 vcc, s2, v12
	s_or_b64 s[86:87], vcc, s[86:87]
	v_mov_b32_e32 v1, s12
	v_mov_b32_e32 v2, s9
	;; [unrolled: 1-line block ×4, first 2 shown]
	s_andn2_b64 exec, exec, s[86:87]
	s_cbranch_execnz .LBB111_74
; %bb.75:                               ;   in Loop: Header=BB111_6 Depth=1
	s_or_b64 exec, exec, s[86:87]
.LBB111_76:                             ;   in Loop: Header=BB111_6 Depth=1
	s_or_b64 exec, exec, s[84:85]
	v_add_u32_e32 v8, s2, v0
	v_cmp_gt_u32_e32 vcc, s5, v8
	s_and_saveexec_b64 s[14:15], vcc
	s_cbranch_execz .LBB111_80
; %bb.77:                               ;   in Loop: Header=BB111_6 Depth=1
	v_lshlrev_b32_e32 v12, 1, v8
	s_mov_b64 s[16:17], 0
.LBB111_78:                             ;   Parent Loop BB111_6 Depth=1
                                        ; =>  This Inner Loop Header: Depth=2
	ds_read_u16 v13, v12
	v_add_u32_e32 v8, s52, v8
	v_add_u32_e32 v12, s4, v12
	s_waitcnt lgkmcnt(0)
	v_cmp_lt_i16_e32 vcc, -1, v13
	v_cndmask_b32_e32 v14, v41, v42, vcc
	v_lshlrev_b32_e32 v15, 16, v13
	v_cmp_o_f32_e32 vcc, v15, v15
	v_xor_b32_sdwa v13, v14, v13 dst_sel:DWORD dst_unused:UNUSED_PAD src0_sel:DWORD src1_sel:WORD_0
	v_cndmask_b32_e32 v13, v41, v13, vcc
	v_and_b32_e32 v14, v13, v45
	v_bfe_u32 v13, v13, s38, 2
	v_cmp_eq_u32_e32 vcc, v14, v37
	v_cmp_eq_u32_e64 s[6:7], 0, v13
	s_and_b64 s[2:3], vcc, s[6:7]
	v_cndmask_b32_e64 v14, 0, 1, s[2:3]
	v_cmp_ne_u32_e64 s[6:7], 0, v14
	s_bcnt1_i32_b64 s2, s[6:7]
	v_cmp_eq_u32_e64 s[6:7], 1, v13
	v_add_u32_e32 v1, s2, v1
	s_and_b64 s[2:3], vcc, s[6:7]
	v_cndmask_b32_e64 v14, 0, 1, s[2:3]
	v_cmp_ne_u32_e64 s[6:7], 0, v14
	s_bcnt1_i32_b64 s2, s[6:7]
	v_cmp_eq_u32_e64 s[6:7], 2, v13
	v_add_u32_e32 v2, s2, v2
	;; [unrolled: 6-line block ×3, first 2 shown]
	s_and_b64 s[2:3], vcc, s[6:7]
	v_cndmask_b32_e64 v13, 0, 1, s[2:3]
	v_cmp_ne_u32_e32 vcc, 0, v13
	s_bcnt1_i32_b64 s2, vcc
	v_cmp_le_u32_e32 vcc, s5, v8
	v_add_u32_e32 v4, s2, v4
	s_or_b64 s[16:17], vcc, s[16:17]
	s_andn2_b64 exec, exec, s[16:17]
	s_cbranch_execnz .LBB111_78
; %bb.79:                               ;   in Loop: Header=BB111_6 Depth=1
	s_or_b64 exec, exec, s[16:17]
.LBB111_80:                             ;   in Loop: Header=BB111_6 Depth=1
	s_or_b64 exec, exec, s[14:15]
	s_lshl_b32 s5, s49, 6
	s_and_saveexec_b64 s[2:3], s[0:1]
	s_cbranch_execnz .LBB111_54
	s_branch .LBB111_55
.LBB111_81:                             ;   in Loop: Header=BB111_6 Depth=1
	v_mov_b32_e32 v1, 0
	s_mov_b32 s6, 0
.LBB111_82:                             ;   in Loop: Header=BB111_6 Depth=1
	v_readlane_b32 s8, v52, 45
	v_readlane_b32 s9, v52, 46
	s_andn2_b64 vcc, exec, s[8:9]
	s_cbranch_vccnz .LBB111_85
; %bb.83:                               ;   in Loop: Header=BB111_6 Depth=1
	s_lshl_b32 s7, s49, 8
	s_lshl_b32 s6, s6, 4
	s_add_i32 s7, s7, s6
	v_add_u32_e32 v2, s7, v38
	v_readlane_b32 s6, v52, 44
.LBB111_84:                             ;   Parent Loop BB111_6 Depth=1
                                        ; =>  This Inner Loop Header: Depth=2
	ds_read_b32 v3, v2
	s_add_i32 s6, s6, -1
	v_add_u32_e32 v2, 16, v2
	s_cmp_lg_u32 s6, 0
	s_waitcnt lgkmcnt(0)
	v_add_u32_e32 v1, v3, v1
	s_cbranch_scc1 .LBB111_84
.LBB111_85:                             ;   in Loop: Header=BB111_6 Depth=1
	v_add_lshl_u32 v2, s5, v24, 2
	ds_write_b32 v2, v1 offset:3072
.LBB111_86:                             ;   in Loop: Header=BB111_6 Depth=1
	s_or_b64 exec, exec, s[2:3]
	s_lshl_b32 s2, s5, 2
	v_mov_b32_e32 v1, s2
	s_waitcnt lgkmcnt(0)
	s_barrier
	ds_read_b128 v[1:4], v1 offset:3072
	v_readlane_b32 s2, v52, 19
	s_lshl_b32 s50, 3, s38
	v_readlane_b32 s3, v52, 20
	s_not_b32 s51, s50
	s_waitcnt lgkmcnt(0)
	v_readfirstlane_b32 s39, v1
	v_readfirstlane_b32 s5, v2
	;; [unrolled: 1-line block ×4, first 2 shown]
	v_cmp_eq_u32_e64 s[26:27], 1, v47
	s_mov_b64 s[90:91], -1
	s_mov_b64 s[30:31], 0
	s_andn2_b64 vcc, exec, s[2:3]
	s_mov_b64 s[84:85], 0
	s_mov_b64 s[34:35], 0
                                        ; implicit-def: $sgpr86_sgpr87
                                        ; implicit-def: $sgpr88_sgpr89
                                        ; implicit-def: $vgpr4
                                        ; implicit-def: $vgpr1
                                        ; implicit-def: $vgpr3
                                        ; implicit-def: $vgpr2
                                        ; implicit-def: $vgpr8
	s_cbranch_vccnz .LBB111_244
; %bb.87:                               ;   in Loop: Header=BB111_6 Depth=1
	s_cmp_eq_u32 s39, 1
	s_cselect_b64 s[2:3], -1, 0
	s_and_b64 s[6:7], s[2:3], s[26:27]
	s_mov_b64 s[2:3], -1
	v_mov_b32_e32 v3, v37
	v_mov_b32_e32 v2, v45
	v_mov_b32_e32 v8, v46
                                        ; implicit-def: $sgpr88_sgpr89
                                        ; implicit-def: $sgpr86_sgpr87
	s_and_saveexec_b64 s[14:15], s[6:7]
	s_cbranch_execz .LBB111_113
; %bb.88:                               ;   in Loop: Header=BB111_6 Depth=1
	ds_read_b32 v1, v9 offset:4096
	s_waitcnt lgkmcnt(0)
	s_barrier
	v_readfirstlane_b32 s8, v1
	s_mov_b64 s[2:3], exec
	v_readlane_b32 s12, v52, 29
	v_readlane_b32 s13, v52, 30
	s_and_b64 s[12:13], s[2:3], s[12:13]
	s_mov_b64 exec, s[12:13]
; %bb.89:                               ;   in Loop: Header=BB111_6 Depth=1
	ds_write_b16 v26, v9
; %bb.90:                               ;   in Loop: Header=BB111_6 Depth=1
	s_or_b64 exec, exec, s[2:3]
	v_and_b32_e32 v3, s51, v37
	v_or_b32_e32 v2, s50, v45
	s_mov_b64 s[86:87], -1
	s_mov_b64 s[88:89], 0
	s_cmp_eq_u32 s8, 0
	s_mov_b64 s[2:3], 0
	s_mov_b64 s[12:13], -1
	s_waitcnt lgkmcnt(0)
	s_barrier
                                        ; implicit-def: $vgpr8
	s_cbranch_scc1 .LBB111_101
; %bb.91:                               ;   in Loop: Header=BB111_6 Depth=1
	v_readlane_b32 s2, v52, 31
	s_add_i32 s2, s8, s2
	v_readlane_b32 s3, v52, 52
	s_mul_hi_u32 s3, s2, s3
	s_mul_i32 s3, s3, s52
	s_sub_i32 s3, s2, s3
	s_sub_i32 s9, s3, s52
	s_cmp_ge_u32 s3, s52
	s_cselect_b32 s3, s9, s3
	s_sub_i32 s9, s3, s52
	s_cmp_ge_u32 s3, s52
	s_cselect_b32 s3, s9, s3
	s_sub_i32 s9, s2, s3
	v_cmp_gt_u32_e32 vcc, s9, v0
	s_mov_b64 s[12:13], 0
	s_mov_b64 s[2:3], 0
                                        ; implicit-def: $vgpr8
	s_and_saveexec_b64 s[16:17], vcc
	s_cbranch_execz .LBB111_100
; %bb.92:                               ;   in Loop: Header=BB111_6 Depth=1
	v_mov_b32_e32 v1, v25
	v_mov_b32_e32 v4, v0
                                        ; implicit-def: $sgpr18_sgpr19
	s_branch .LBB111_95
.LBB111_93:                             ;   in Loop: Header=BB111_95 Depth=2
	s_or_b64 exec, exec, s[24:25]
	s_waitcnt lgkmcnt(0)
	s_barrier
	ds_read_b32 v8, v9 offset:3072
	s_mov_b64 s[24:25], -1
	s_mov_b64 s[28:29], -1
	s_waitcnt lgkmcnt(0)
	s_barrier
	v_and_b32_e32 v12, 0x7fff, v8
	v_cmp_ne_u32_e32 vcc, 0, v12
	s_cbranch_vccz .LBB111_98
.LBB111_94:                             ;   in Loop: Header=BB111_95 Depth=2
	s_and_b64 s[24:25], exec, s[24:25]
	s_or_b64 s[2:3], s[24:25], s[2:3]
	s_andn2_b64 s[18:19], s[18:19], exec
	s_and_b64 s[24:25], s[28:29], exec
	s_or_b64 s[18:19], s[18:19], s[24:25]
	s_andn2_b64 exec, exec, s[2:3]
	s_cbranch_execz .LBB111_99
.LBB111_95:                             ;   Parent Loop BB111_6 Depth=1
                                        ; =>  This Inner Loop Header: Depth=2
	v_cmp_gt_u32_e32 vcc, s8, v4
	s_and_saveexec_b64 s[24:25], vcc
	s_cbranch_execz .LBB111_93
; %bb.96:                               ;   in Loop: Header=BB111_95 Depth=2
	ds_read_u16 v8, v1
	s_waitcnt lgkmcnt(0)
	v_cmp_lt_i16_e32 vcc, -1, v8
	v_cndmask_b32_e32 v12, v41, v42, vcc
	v_lshlrev_b32_e32 v13, 16, v8
	v_cmp_o_f32_e32 vcc, v13, v13
	v_xor_b32_sdwa v12, v12, v8 dst_sel:DWORD dst_unused:UNUSED_PAD src0_sel:DWORD src1_sel:WORD_0
	v_cndmask_b32_e32 v12, v41, v12, vcc
	v_and_b32_e32 v12, v12, v2
	v_cmp_eq_u32_e32 vcc, v12, v3
	s_and_b64 exec, exec, vcc
	s_cbranch_execz .LBB111_93
; %bb.97:                               ;   in Loop: Header=BB111_95 Depth=2
	s_movk_i32 s28, 0x3f80
	v_perm_b32 v8, v8, s28, v44
	ds_write_b32 v9, v8 offset:3072
	s_branch .LBB111_93
.LBB111_98:                             ;   in Loop: Header=BB111_95 Depth=2
	v_add_u32_e32 v4, s52, v4
	v_cmp_le_u32_e32 vcc, s9, v4
	v_add_u32_e32 v1, s4, v1
	s_mov_b64 s[28:29], 0
	s_orn2_b64 s[24:25], vcc, exec
	s_branch .LBB111_94
.LBB111_99:                             ;   in Loop: Header=BB111_6 Depth=1
	s_or_b64 exec, exec, s[2:3]
	v_lshrrev_b32_e32 v8, 16, v8
	s_and_b64 s[2:3], s[18:19], exec
.LBB111_100:                            ;   in Loop: Header=BB111_6 Depth=1
	s_or_b64 exec, exec, s[16:17]
.LBB111_101:                            ;   in Loop: Header=BB111_6 Depth=1
	s_and_b64 vcc, exec, s[12:13]
	s_cbranch_vccz .LBB111_112
; %bb.102:                              ;   in Loop: Header=BB111_6 Depth=1
                                        ; implicit-def: $vgpr8
	s_mov_b64 s[12:13], exec
	v_readlane_b32 s8, v52, 53
	v_readlane_b32 s9, v52, 54
	s_and_b64 s[8:9], s[12:13], s[8:9]
	s_mov_b64 exec, s[8:9]
	s_cbranch_execz .LBB111_111
; %bb.103:                              ;   in Loop: Header=BB111_6 Depth=1
	s_mov_b64 s[16:17], 0
	v_mov_b32_e32 v8, v7
	v_mov_b32_e32 v1, v0
                                        ; implicit-def: $sgpr18_sgpr19
	s_branch .LBB111_106
.LBB111_104:                            ;   in Loop: Header=BB111_106 Depth=2
	s_or_b64 exec, exec, s[28:29]
	s_waitcnt lgkmcnt(0)
	s_barrier
	ds_read_b32 v4, v9 offset:3072
	s_mov_b64 s[24:25], -1
	s_mov_b64 s[28:29], -1
	s_waitcnt lgkmcnt(0)
	s_barrier
	v_and_b32_e32 v12, 0x7fff, v4
	v_cmp_ne_u32_e32 vcc, 0, v12
	s_cbranch_vccz .LBB111_109
.LBB111_105:                            ;   in Loop: Header=BB111_106 Depth=2
	s_and_b64 s[8:9], exec, s[24:25]
	s_or_b64 s[16:17], s[8:9], s[16:17]
	s_andn2_b64 s[8:9], s[18:19], exec
	s_and_b64 s[18:19], s[28:29], exec
	s_or_b64 s[18:19], s[8:9], s[18:19]
	s_andn2_b64 exec, exec, s[16:17]
	s_cbranch_execz .LBB111_110
.LBB111_106:                            ;   Parent Loop BB111_6 Depth=1
                                        ; =>  This Inner Loop Header: Depth=2
	v_cmp_gt_u32_e32 vcc, s36, v1
	s_and_saveexec_b64 s[28:29], vcc
	s_cbranch_execz .LBB111_104
; %bb.107:                              ;   in Loop: Header=BB111_106 Depth=2
	v_lshlrev_b64 v[12:13], 1, v[8:9]
	v_mov_b32_e32 v4, s48
	v_add_co_u32_e32 v12, vcc, s33, v12
	v_addc_co_u32_e32 v13, vcc, v4, v13, vcc
	global_load_ushort v4, v[12:13], off
	s_waitcnt vmcnt(0)
	v_cmp_lt_i16_e32 vcc, -1, v4
	v_cndmask_b32_e32 v12, v41, v42, vcc
	v_lshlrev_b32_e32 v13, 16, v4
	v_xor_b32_sdwa v12, v12, v4 dst_sel:DWORD dst_unused:UNUSED_PAD src0_sel:DWORD src1_sel:WORD_0
	v_cmp_o_f32_e32 vcc, v13, v13
	v_cndmask_b32_e32 v12, v41, v12, vcc
	v_and_b32_e32 v12, v12, v2
	v_cmp_eq_u32_e32 vcc, v12, v3
	s_and_b64 exec, exec, vcc
	s_cbranch_execz .LBB111_104
; %bb.108:                              ;   in Loop: Header=BB111_106 Depth=2
	s_movk_i32 s8, 0x3f80
	v_perm_b32 v4, v4, s8, v44
	ds_write_b32 v9, v4 offset:3072
	s_branch .LBB111_104
.LBB111_109:                            ;   in Loop: Header=BB111_106 Depth=2
	v_add_u32_e32 v1, s52, v1
	v_cmp_le_u32_e32 vcc, s22, v1
	v_add_u32_e32 v8, s54, v8
	s_mov_b64 s[28:29], 0
	s_orn2_b64 s[24:25], vcc, exec
	s_branch .LBB111_105
.LBB111_110:                            ;   in Loop: Header=BB111_6 Depth=1
	s_or_b64 exec, exec, s[16:17]
	s_andn2_b64 s[2:3], s[2:3], exec
	s_and_b64 s[8:9], s[18:19], exec
	v_lshrrev_b32_e32 v8, 16, v4
	s_or_b64 s[2:3], s[2:3], s[8:9]
.LBB111_111:                            ;   in Loop: Header=BB111_6 Depth=1
	s_or_b64 exec, exec, s[12:13]
	s_mov_b64 s[86:87], 0
	s_mov_b64 s[88:89], -1
.LBB111_112:                            ;   in Loop: Header=BB111_6 Depth=1
	s_orn2_b64 s[2:3], s[2:3], exec
.LBB111_113:                            ;   in Loop: Header=BB111_6 Depth=1
	s_or_b64 exec, exec, s[14:15]
	s_mov_b64 s[90:91], 0
	s_mov_b64 s[84:85], 0
	;; [unrolled: 1-line block ×3, first 2 shown]
                                        ; implicit-def: $vgpr4
                                        ; implicit-def: $vgpr1
	s_and_saveexec_b64 s[92:93], s[2:3]
	s_cbranch_execz .LBB111_243
; %bb.114:                              ;   in Loop: Header=BB111_6 Depth=1
	s_xor_b64 s[8:9], s[6:7], -1
	s_mov_b64 s[6:7], 0
	v_mov_b32_e32 v4, 1
	v_mov_b32_e32 v1, 1
	s_and_saveexec_b64 s[2:3], s[8:9]
	s_cbranch_execz .LBB111_123
; %bb.115:                              ;   in Loop: Header=BB111_6 Depth=1
	v_cmp_ge_u32_e32 vcc, s39, v47
	s_and_saveexec_b64 s[6:7], vcc
	s_xor_b64 s[6:7], exec, s[6:7]
	s_cbranch_execz .LBB111_120
; %bb.116:                              ;   in Loop: Header=BB111_6 Depth=1
	ds_read_b32 v1, v9 offset:4096
	v_and_b32_e32 v3, s51, v3
	v_or_b32_e32 v2, s50, v2
	s_waitcnt lgkmcnt(0)
	v_cmp_ne_u32_e32 vcc, 0, v1
	s_cbranch_vccnz .LBB111_120
; %bb.117:                              ;   in Loop: Header=BB111_6 Depth=1
	s_mov_b64 s[8:9], exec
	v_readlane_b32 s12, v52, 14
	v_readlane_b32 s13, v52, 15
	s_and_b64 s[12:13], s[8:9], s[12:13]
	s_mov_b64 exec, s[12:13]
; %bb.118:                              ;   in Loop: Header=BB111_6 Depth=1
	v_mov_b32_e32 v1, s39
	ds_write_b32 v9, v1 offset:4100
; %bb.119:                              ;   in Loop: Header=BB111_6 Depth=1
	s_or_b64 exec, exec, s[8:9]
	s_waitcnt lgkmcnt(0)
	s_barrier
.LBB111_120:                            ;   in Loop: Header=BB111_6 Depth=1
	s_or_saveexec_b64 s[6:7], s[6:7]
	s_mov_b64 s[12:13], 0
	v_mov_b32_e32 v1, 8
	v_mov_b32_e32 v4, v47
	s_xor_b64 exec, exec, s[6:7]
; %bb.121:                              ;   in Loop: Header=BB111_6 Depth=1
	s_mov_b64 s[12:13], exec
	v_subrev_u32_e32 v4, s39, v47
	v_mov_b32_e32 v1, 0
; %bb.122:                              ;   in Loop: Header=BB111_6 Depth=1
	s_or_b64 exec, exec, s[6:7]
	s_and_b64 s[6:7], s[12:13], exec
.LBB111_123:                            ;   in Loop: Header=BB111_6 Depth=1
	s_or_b64 exec, exec, s[2:3]
	s_mov_b64 s[2:3], -1
                                        ; implicit-def: $sgpr34_sgpr35
                                        ; implicit-def: $sgpr84_sgpr85
	s_and_saveexec_b64 s[8:9], s[6:7]
	s_xor_b64 s[6:7], exec, s[8:9]
	s_cbranch_execz .LBB111_240
; %bb.124:                              ;   in Loop: Header=BB111_6 Depth=1
	s_cmp_eq_u32 s5, 1
	s_cselect_b64 s[2:3], -1, 0
	v_cmp_eq_u32_e32 vcc, 1, v4
	s_and_b64 s[14:15], s[2:3], vcc
	s_mov_b64 s[2:3], -1
                                        ; implicit-def: $sgpr84_sgpr85
                                        ; implicit-def: $sgpr34_sgpr35
	s_and_saveexec_b64 s[16:17], s[14:15]
	s_cbranch_execz .LBB111_150
; %bb.125:                              ;   in Loop: Header=BB111_6 Depth=1
	ds_read_b32 v8, v9 offset:4096
	s_waitcnt lgkmcnt(0)
	s_barrier
	v_readfirstlane_b32 s8, v8
	s_mov_b64 s[2:3], exec
	v_readlane_b32 s12, v52, 29
	v_readlane_b32 s13, v52, 30
	s_and_b64 s[12:13], s[2:3], s[12:13]
	s_mov_b64 exec, s[12:13]
; %bb.126:                              ;   in Loop: Header=BB111_6 Depth=1
	ds_write_b16 v26, v9
; %bb.127:                              ;   in Loop: Header=BB111_6 Depth=1
	s_or_b64 exec, exec, s[2:3]
	v_and_b32_e32 v3, s51, v3
	v_lshl_or_b32 v3, 1, s38, v3
	v_or_b32_e32 v2, s50, v2
	s_mov_b64 s[34:35], -1
	s_mov_b64 s[84:85], 0
	s_cmp_eq_u32 s8, 0
	s_mov_b64 s[12:13], 0
	s_mov_b64 s[2:3], -1
	s_waitcnt lgkmcnt(0)
	s_barrier
                                        ; implicit-def: $vgpr8
	s_cbranch_scc1 .LBB111_138
; %bb.128:                              ;   in Loop: Header=BB111_6 Depth=1
	v_readlane_b32 s2, v52, 31
	s_add_i32 s2, s8, s2
	v_readlane_b32 s3, v52, 52
	s_mul_hi_u32 s3, s2, s3
	s_mul_i32 s3, s3, s52
	s_sub_i32 s3, s2, s3
	s_sub_i32 s9, s3, s52
	s_cmp_ge_u32 s3, s52
	s_cselect_b32 s3, s9, s3
	s_sub_i32 s9, s3, s52
	s_cmp_ge_u32 s3, s52
	s_cselect_b32 s3, s9, s3
	s_sub_i32 s9, s2, s3
	v_cmp_gt_u32_e32 vcc, s9, v0
	s_mov_b64 s[2:3], 0
                                        ; implicit-def: $vgpr8
	s_and_saveexec_b64 s[18:19], vcc
	s_cbranch_execz .LBB111_137
; %bb.129:                              ;   in Loop: Header=BB111_6 Depth=1
	v_mov_b32_e32 v8, v25
	v_mov_b32_e32 v12, v0
                                        ; implicit-def: $sgpr28_sgpr29
	s_branch .LBB111_132
.LBB111_130:                            ;   in Loop: Header=BB111_132 Depth=2
	s_or_b64 exec, exec, s[40:41]
	s_waitcnt lgkmcnt(0)
	s_barrier
	ds_read_b32 v13, v9 offset:3072
	s_mov_b64 s[24:25], -1
	s_mov_b64 s[40:41], -1
	s_waitcnt lgkmcnt(0)
	s_barrier
	v_and_b32_e32 v14, 0x7fff, v13
	v_cmp_ne_u32_e32 vcc, 0, v14
	s_cbranch_vccz .LBB111_135
.LBB111_131:                            ;   in Loop: Header=BB111_132 Depth=2
	s_and_b64 s[24:25], exec, s[24:25]
	s_or_b64 s[12:13], s[24:25], s[12:13]
	s_andn2_b64 s[24:25], s[28:29], exec
	s_and_b64 s[28:29], s[40:41], exec
	s_or_b64 s[28:29], s[24:25], s[28:29]
	s_andn2_b64 exec, exec, s[12:13]
	s_cbranch_execz .LBB111_136
.LBB111_132:                            ;   Parent Loop BB111_6 Depth=1
                                        ; =>  This Inner Loop Header: Depth=2
	v_cmp_gt_u32_e32 vcc, s8, v12
	s_and_saveexec_b64 s[40:41], vcc
	s_cbranch_execz .LBB111_130
; %bb.133:                              ;   in Loop: Header=BB111_132 Depth=2
	ds_read_u16 v13, v8
	s_waitcnt lgkmcnt(0)
	v_cmp_lt_i16_e32 vcc, -1, v13
	v_cndmask_b32_e32 v14, v41, v42, vcc
	v_lshlrev_b32_e32 v15, 16, v13
	v_cmp_o_f32_e32 vcc, v15, v15
	v_xor_b32_sdwa v14, v14, v13 dst_sel:DWORD dst_unused:UNUSED_PAD src0_sel:DWORD src1_sel:WORD_0
	v_cndmask_b32_e32 v14, v41, v14, vcc
	v_and_b32_e32 v14, v14, v2
	v_cmp_eq_u32_e32 vcc, v14, v3
	s_and_b64 exec, exec, vcc
	s_cbranch_execz .LBB111_130
; %bb.134:                              ;   in Loop: Header=BB111_132 Depth=2
	s_movk_i32 s24, 0x3f80
	v_perm_b32 v13, v13, s24, v44
	ds_write_b32 v9, v13 offset:3072
	s_branch .LBB111_130
.LBB111_135:                            ;   in Loop: Header=BB111_132 Depth=2
	v_add_u32_e32 v12, s52, v12
	v_cmp_le_u32_e32 vcc, s9, v12
	v_add_u32_e32 v8, s4, v8
	s_mov_b64 s[40:41], 0
	s_orn2_b64 s[24:25], vcc, exec
	s_branch .LBB111_131
.LBB111_136:                            ;   in Loop: Header=BB111_6 Depth=1
	s_or_b64 exec, exec, s[12:13]
	v_lshrrev_b32_e32 v8, 16, v13
	s_and_b64 s[12:13], s[28:29], exec
.LBB111_137:                            ;   in Loop: Header=BB111_6 Depth=1
	s_or_b64 exec, exec, s[18:19]
.LBB111_138:                            ;   in Loop: Header=BB111_6 Depth=1
	s_and_b64 vcc, exec, s[2:3]
	s_cbranch_vccz .LBB111_149
; %bb.139:                              ;   in Loop: Header=BB111_6 Depth=1
                                        ; implicit-def: $vgpr8
	s_mov_b64 s[2:3], exec
	v_readlane_b32 s8, v52, 53
	v_readlane_b32 s9, v52, 54
	s_and_b64 s[8:9], s[2:3], s[8:9]
	s_mov_b64 exec, s[8:9]
	s_cbranch_execz .LBB111_148
; %bb.140:                              ;   in Loop: Header=BB111_6 Depth=1
	s_mov_b64 s[18:19], 0
	v_mov_b32_e32 v8, v7
	v_mov_b32_e32 v12, v0
                                        ; implicit-def: $sgpr28_sgpr29
	s_branch .LBB111_143
.LBB111_141:                            ;   in Loop: Header=BB111_143 Depth=2
	s_or_b64 exec, exec, s[34:35]
	s_waitcnt lgkmcnt(0)
	s_barrier
	ds_read_b32 v13, v9 offset:3072
	s_mov_b64 s[24:25], -1
	s_mov_b64 s[34:35], -1
	s_waitcnt lgkmcnt(0)
	s_barrier
	v_and_b32_e32 v14, 0x7fff, v13
	v_cmp_eq_u32_e32 vcc, 0, v14
	s_cbranch_vccnz .LBB111_146
.LBB111_142:                            ;   in Loop: Header=BB111_143 Depth=2
	s_and_b64 s[8:9], exec, s[24:25]
	s_or_b64 s[18:19], s[8:9], s[18:19]
	s_andn2_b64 s[8:9], s[28:29], exec
	s_and_b64 s[24:25], s[34:35], exec
	s_or_b64 s[28:29], s[8:9], s[24:25]
	s_andn2_b64 exec, exec, s[18:19]
	s_cbranch_execz .LBB111_147
.LBB111_143:                            ;   Parent Loop BB111_6 Depth=1
                                        ; =>  This Inner Loop Header: Depth=2
	v_cmp_gt_u32_e32 vcc, s36, v12
	s_and_saveexec_b64 s[34:35], vcc
	s_cbranch_execz .LBB111_141
; %bb.144:                              ;   in Loop: Header=BB111_143 Depth=2
	v_lshlrev_b64 v[13:14], 1, v[8:9]
	v_mov_b32_e32 v15, s48
	v_add_co_u32_e32 v13, vcc, s33, v13
	v_addc_co_u32_e32 v14, vcc, v15, v14, vcc
	global_load_ushort v13, v[13:14], off
	s_waitcnt vmcnt(0)
	v_cmp_lt_i16_e32 vcc, -1, v13
	v_cndmask_b32_e32 v14, v41, v42, vcc
	v_lshlrev_b32_e32 v15, 16, v13
	v_xor_b32_sdwa v14, v14, v13 dst_sel:DWORD dst_unused:UNUSED_PAD src0_sel:DWORD src1_sel:WORD_0
	v_cmp_o_f32_e32 vcc, v15, v15
	v_cndmask_b32_e32 v14, v41, v14, vcc
	v_and_b32_e32 v14, v14, v2
	v_cmp_eq_u32_e32 vcc, v14, v3
	s_and_b64 exec, exec, vcc
	s_cbranch_execz .LBB111_141
; %bb.145:                              ;   in Loop: Header=BB111_143 Depth=2
	s_movk_i32 s8, 0x3f80
	v_perm_b32 v13, v13, s8, v44
	ds_write_b32 v9, v13 offset:3072
	s_branch .LBB111_141
.LBB111_146:                            ;   in Loop: Header=BB111_143 Depth=2
	v_add_u32_e32 v12, s52, v12
	v_cmp_le_u32_e32 vcc, s22, v12
	v_add_u32_e32 v8, s54, v8
	s_mov_b64 s[34:35], 0
	s_orn2_b64 s[24:25], vcc, exec
	s_branch .LBB111_142
.LBB111_147:                            ;   in Loop: Header=BB111_6 Depth=1
	s_or_b64 exec, exec, s[18:19]
	s_andn2_b64 s[8:9], s[12:13], exec
	s_and_b64 s[12:13], s[28:29], exec
	v_lshrrev_b32_e32 v8, 16, v13
	s_or_b64 s[12:13], s[8:9], s[12:13]
.LBB111_148:                            ;   in Loop: Header=BB111_6 Depth=1
	s_or_b64 exec, exec, s[2:3]
	s_mov_b64 s[34:35], 0
	s_mov_b64 s[84:85], -1
.LBB111_149:                            ;   in Loop: Header=BB111_6 Depth=1
	s_orn2_b64 s[2:3], s[12:13], exec
.LBB111_150:                            ;   in Loop: Header=BB111_6 Depth=1
	s_or_b64 exec, exec, s[16:17]
	s_mov_b64 s[12:13], 0
	s_and_saveexec_b64 s[94:95], s[2:3]
	s_cbranch_execz .LBB111_239
; %bb.151:                              ;   in Loop: Header=BB111_6 Depth=1
	s_xor_b64 s[8:9], s[14:15], -1
	v_mov_b32_e32 v12, 1
	v_mov_b32_e32 v1, 1
	s_and_saveexec_b64 s[2:3], s[8:9]
	s_cbranch_execz .LBB111_160
; %bb.152:                              ;   in Loop: Header=BB111_6 Depth=1
	v_cmp_ge_u32_e32 vcc, s5, v4
	s_and_saveexec_b64 s[8:9], vcc
	s_xor_b64 s[12:13], exec, s[8:9]
	s_cbranch_execz .LBB111_157
; %bb.153:                              ;   in Loop: Header=BB111_6 Depth=1
	v_and_b32_e32 v1, s51, v3
	v_lshl_or_b32 v3, 1, s38, v1
	ds_read_b32 v1, v9 offset:4096
	v_or_b32_e32 v2, s50, v2
	s_waitcnt lgkmcnt(0)
	v_cmp_ne_u32_e32 vcc, 0, v1
	s_cbranch_vccnz .LBB111_157
; %bb.154:                              ;   in Loop: Header=BB111_6 Depth=1
	s_mov_b64 s[8:9], exec
	v_readlane_b32 s14, v52, 14
	v_readlane_b32 s15, v52, 15
	s_and_b64 s[14:15], s[8:9], s[14:15]
	s_mov_b64 exec, s[14:15]
; %bb.155:                              ;   in Loop: Header=BB111_6 Depth=1
	v_mov_b32_e32 v1, s5
	ds_write_b32 v9, v1 offset:4100
; %bb.156:                              ;   in Loop: Header=BB111_6 Depth=1
	s_or_b64 exec, exec, s[8:9]
	s_waitcnt lgkmcnt(0)
	s_barrier
.LBB111_157:                            ;   in Loop: Header=BB111_6 Depth=1
	s_or_saveexec_b64 s[12:13], s[12:13]
	s_mov_b64 s[14:15], 0
	v_mov_b32_e32 v1, 8
	s_xor_b64 exec, exec, s[12:13]
; %bb.158:                              ;   in Loop: Header=BB111_6 Depth=1
	s_mov_b64 s[14:15], exec
	v_subrev_u32_e32 v4, s5, v4
	v_mov_b32_e32 v1, 0
; %bb.159:                              ;   in Loop: Header=BB111_6 Depth=1
	s_or_b64 exec, exec, s[12:13]
	s_and_b64 s[12:13], s[14:15], exec
	v_mov_b32_e32 v12, v4
.LBB111_160:                            ;   in Loop: Header=BB111_6 Depth=1
	s_or_b64 exec, exec, s[2:3]
	s_mov_b64 s[2:3], -1
                                        ; implicit-def: $sgpr8_sgpr9
                                        ; kill: killed $sgpr8_sgpr9
                                        ; implicit-def: $sgpr42_sgpr43
	s_and_saveexec_b64 s[40:41], s[12:13]
	s_cbranch_execz .LBB111_238
; %bb.161:                              ;   in Loop: Header=BB111_6 Depth=1
	s_cmp_eq_u32 s44, 1
	s_cselect_b64 s[2:3], -1, 0
	v_cmp_eq_u32_e32 vcc, 1, v12
	s_and_b64 s[14:15], s[2:3], vcc
	s_mov_b64 s[2:3], -1
                                        ; implicit-def: $sgpr42_sgpr43
                                        ; implicit-def: $sgpr8_sgpr9
                                        ; kill: killed $sgpr8_sgpr9
	s_and_saveexec_b64 s[16:17], s[14:15]
	s_cbranch_execz .LBB111_187
; %bb.162:                              ;   in Loop: Header=BB111_6 Depth=1
	ds_read_b32 v4, v9 offset:4096
	s_waitcnt lgkmcnt(0)
	s_barrier
	v_readfirstlane_b32 s8, v4
	s_mov_b64 s[2:3], exec
	v_readlane_b32 s12, v52, 29
	v_readlane_b32 s13, v52, 30
	s_and_b64 s[12:13], s[2:3], s[12:13]
	s_mov_b64 exec, s[12:13]
; %bb.163:                              ;   in Loop: Header=BB111_6 Depth=1
	ds_write_b16 v26, v9
; %bb.164:                              ;   in Loop: Header=BB111_6 Depth=1
	s_or_b64 exec, exec, s[2:3]
	s_mov_b64 s[2:3], -1
	v_and_b32_e32 v3, s51, v3
	v_writelane_b32 v52, s2, 55
	v_lshl_or_b32 v3, 2, s38, v3
	v_or_b32_e32 v2, s50, v2
	v_writelane_b32 v52, s3, 56
	s_mov_b64 s[42:43], 0
	s_cmp_eq_u32 s8, 0
	s_mov_b64 s[12:13], 0
	s_mov_b64 s[2:3], -1
	s_waitcnt lgkmcnt(0)
	s_barrier
                                        ; implicit-def: $vgpr8
	s_cbranch_scc1 .LBB111_175
; %bb.165:                              ;   in Loop: Header=BB111_6 Depth=1
	v_readlane_b32 s2, v52, 31
	s_add_i32 s2, s8, s2
	v_readlane_b32 s3, v52, 52
	s_mul_hi_u32 s3, s2, s3
	s_mul_i32 s3, s3, s52
	s_sub_i32 s3, s2, s3
	s_sub_i32 s9, s3, s52
	s_cmp_ge_u32 s3, s52
	s_cselect_b32 s3, s9, s3
	s_sub_i32 s9, s3, s52
	s_cmp_ge_u32 s3, s52
	s_cselect_b32 s3, s9, s3
	s_sub_i32 s9, s2, s3
	v_cmp_gt_u32_e32 vcc, s9, v0
	s_mov_b64 s[2:3], 0
                                        ; implicit-def: $vgpr8
	s_and_saveexec_b64 s[18:19], vcc
	s_cbranch_execz .LBB111_174
; %bb.166:                              ;   in Loop: Header=BB111_6 Depth=1
	v_mov_b32_e32 v4, v25
	v_mov_b32_e32 v8, v0
                                        ; implicit-def: $sgpr28_sgpr29
	s_branch .LBB111_169
.LBB111_167:                            ;   in Loop: Header=BB111_169 Depth=2
	s_or_b64 exec, exec, s[46:47]
	s_waitcnt lgkmcnt(0)
	s_barrier
	ds_read_b32 v13, v9 offset:3072
	s_mov_b64 s[24:25], -1
	s_mov_b64 s[46:47], -1
	s_waitcnt lgkmcnt(0)
	s_barrier
	v_and_b32_e32 v14, 0x7fff, v13
	v_cmp_ne_u32_e32 vcc, 0, v14
	s_cbranch_vccz .LBB111_172
.LBB111_168:                            ;   in Loop: Header=BB111_169 Depth=2
	s_and_b64 s[24:25], exec, s[24:25]
	s_or_b64 s[12:13], s[24:25], s[12:13]
	s_andn2_b64 s[24:25], s[28:29], exec
	s_and_b64 s[28:29], s[46:47], exec
	s_or_b64 s[28:29], s[24:25], s[28:29]
	s_andn2_b64 exec, exec, s[12:13]
	s_cbranch_execz .LBB111_173
.LBB111_169:                            ;   Parent Loop BB111_6 Depth=1
                                        ; =>  This Inner Loop Header: Depth=2
	v_cmp_gt_u32_e32 vcc, s8, v8
	s_and_saveexec_b64 s[46:47], vcc
	s_cbranch_execz .LBB111_167
; %bb.170:                              ;   in Loop: Header=BB111_169 Depth=2
	ds_read_u16 v13, v4
	s_waitcnt lgkmcnt(0)
	v_cmp_lt_i16_e32 vcc, -1, v13
	v_cndmask_b32_e32 v14, v41, v42, vcc
	v_lshlrev_b32_e32 v15, 16, v13
	v_cmp_o_f32_e32 vcc, v15, v15
	v_xor_b32_sdwa v14, v14, v13 dst_sel:DWORD dst_unused:UNUSED_PAD src0_sel:DWORD src1_sel:WORD_0
	v_cndmask_b32_e32 v14, v41, v14, vcc
	v_and_b32_e32 v14, v14, v2
	v_cmp_eq_u32_e32 vcc, v14, v3
	s_and_b64 exec, exec, vcc
	s_cbranch_execz .LBB111_167
; %bb.171:                              ;   in Loop: Header=BB111_169 Depth=2
	s_movk_i32 s24, 0x3f80
	v_perm_b32 v13, v13, s24, v44
	ds_write_b32 v9, v13 offset:3072
	s_branch .LBB111_167
.LBB111_172:                            ;   in Loop: Header=BB111_169 Depth=2
	v_add_u32_e32 v8, s52, v8
	v_cmp_le_u32_e32 vcc, s9, v8
	v_add_u32_e32 v4, s4, v4
	s_mov_b64 s[46:47], 0
	s_orn2_b64 s[24:25], vcc, exec
	s_branch .LBB111_168
.LBB111_173:                            ;   in Loop: Header=BB111_6 Depth=1
	s_or_b64 exec, exec, s[12:13]
	v_lshrrev_b32_e32 v8, 16, v13
	s_and_b64 s[12:13], s[28:29], exec
.LBB111_174:                            ;   in Loop: Header=BB111_6 Depth=1
	s_or_b64 exec, exec, s[18:19]
.LBB111_175:                            ;   in Loop: Header=BB111_6 Depth=1
	s_and_b64 vcc, exec, s[2:3]
	s_cbranch_vccz .LBB111_186
; %bb.176:                              ;   in Loop: Header=BB111_6 Depth=1
                                        ; implicit-def: $vgpr8
	s_mov_b64 s[2:3], exec
	v_readlane_b32 s8, v52, 53
	v_readlane_b32 s9, v52, 54
	s_and_b64 s[8:9], s[2:3], s[8:9]
	s_mov_b64 exec, s[8:9]
	s_cbranch_execz .LBB111_185
; %bb.177:                              ;   in Loop: Header=BB111_6 Depth=1
	s_mov_b64 s[18:19], 0
	v_mov_b32_e32 v8, v7
	v_mov_b32_e32 v4, v0
                                        ; implicit-def: $sgpr28_sgpr29
	s_branch .LBB111_180
.LBB111_178:                            ;   in Loop: Header=BB111_180 Depth=2
	s_or_b64 exec, exec, s[42:43]
	s_waitcnt lgkmcnt(0)
	s_barrier
	ds_read_b32 v13, v9 offset:3072
	s_mov_b64 s[24:25], -1
	s_mov_b64 s[42:43], -1
	s_waitcnt lgkmcnt(0)
	s_barrier
	v_and_b32_e32 v14, 0x7fff, v13
	v_cmp_eq_u32_e32 vcc, 0, v14
	s_cbranch_vccnz .LBB111_183
.LBB111_179:                            ;   in Loop: Header=BB111_180 Depth=2
	s_and_b64 s[8:9], exec, s[24:25]
	s_or_b64 s[18:19], s[8:9], s[18:19]
	s_andn2_b64 s[8:9], s[28:29], exec
	s_and_b64 s[24:25], s[42:43], exec
	s_or_b64 s[28:29], s[8:9], s[24:25]
	s_andn2_b64 exec, exec, s[18:19]
	s_cbranch_execz .LBB111_184
.LBB111_180:                            ;   Parent Loop BB111_6 Depth=1
                                        ; =>  This Inner Loop Header: Depth=2
	v_cmp_gt_u32_e32 vcc, s36, v4
	s_and_saveexec_b64 s[42:43], vcc
	s_cbranch_execz .LBB111_178
; %bb.181:                              ;   in Loop: Header=BB111_180 Depth=2
	v_lshlrev_b64 v[13:14], 1, v[8:9]
	v_mov_b32_e32 v15, s48
	v_add_co_u32_e32 v13, vcc, s33, v13
	v_addc_co_u32_e32 v14, vcc, v15, v14, vcc
	global_load_ushort v13, v[13:14], off
	s_waitcnt vmcnt(0)
	v_cmp_lt_i16_e32 vcc, -1, v13
	v_cndmask_b32_e32 v14, v41, v42, vcc
	v_lshlrev_b32_e32 v15, 16, v13
	v_xor_b32_sdwa v14, v14, v13 dst_sel:DWORD dst_unused:UNUSED_PAD src0_sel:DWORD src1_sel:WORD_0
	v_cmp_o_f32_e32 vcc, v15, v15
	v_cndmask_b32_e32 v14, v41, v14, vcc
	v_and_b32_e32 v14, v14, v2
	v_cmp_eq_u32_e32 vcc, v14, v3
	s_and_b64 exec, exec, vcc
	s_cbranch_execz .LBB111_178
; %bb.182:                              ;   in Loop: Header=BB111_180 Depth=2
	s_movk_i32 s8, 0x3f80
	v_perm_b32 v13, v13, s8, v44
	ds_write_b32 v9, v13 offset:3072
	s_branch .LBB111_178
.LBB111_183:                            ;   in Loop: Header=BB111_180 Depth=2
	v_add_u32_e32 v4, s52, v4
	v_cmp_le_u32_e32 vcc, s22, v4
	v_add_u32_e32 v8, s54, v8
	s_mov_b64 s[42:43], 0
	s_orn2_b64 s[24:25], vcc, exec
	s_branch .LBB111_179
.LBB111_184:                            ;   in Loop: Header=BB111_6 Depth=1
	s_or_b64 exec, exec, s[18:19]
	s_andn2_b64 s[8:9], s[12:13], exec
	s_and_b64 s[12:13], s[28:29], exec
	v_lshrrev_b32_e32 v8, 16, v13
	s_or_b64 s[12:13], s[8:9], s[12:13]
.LBB111_185:                            ;   in Loop: Header=BB111_6 Depth=1
	s_or_b64 exec, exec, s[2:3]
	s_mov_b64 s[2:3], 0
	v_writelane_b32 v52, s2, 55
	s_mov_b64 s[42:43], -1
	v_writelane_b32 v52, s3, 56
.LBB111_186:                            ;   in Loop: Header=BB111_6 Depth=1
	s_orn2_b64 s[2:3], s[12:13], exec
.LBB111_187:                            ;   in Loop: Header=BB111_6 Depth=1
	s_or_b64 exec, exec, s[16:17]
	s_mov_b64 s[12:13], 0
	s_and_saveexec_b64 s[46:47], s[2:3]
	s_cbranch_execz .LBB111_237
; %bb.188:                              ;   in Loop: Header=BB111_6 Depth=1
	s_xor_b64 s[8:9], s[14:15], -1
	v_mov_b32_e32 v4, 1
	v_mov_b32_e32 v1, 1
	s_and_saveexec_b64 s[2:3], s[8:9]
	s_cbranch_execz .LBB111_197
; %bb.189:                              ;   in Loop: Header=BB111_6 Depth=1
	v_cmp_ge_u32_e32 vcc, s44, v12
	s_and_saveexec_b64 s[8:9], vcc
	s_xor_b64 s[12:13], exec, s[8:9]
	s_cbranch_execz .LBB111_194
; %bb.190:                              ;   in Loop: Header=BB111_6 Depth=1
	v_and_b32_e32 v1, s51, v3
	v_lshl_or_b32 v3, 2, s38, v1
	ds_read_b32 v1, v9 offset:4096
	v_or_b32_e32 v2, s50, v2
	s_waitcnt lgkmcnt(0)
	v_cmp_ne_u32_e32 vcc, 0, v1
	s_cbranch_vccnz .LBB111_194
; %bb.191:                              ;   in Loop: Header=BB111_6 Depth=1
	s_mov_b64 s[8:9], exec
	v_readlane_b32 s14, v52, 14
	v_readlane_b32 s15, v52, 15
	s_and_b64 s[14:15], s[8:9], s[14:15]
	s_mov_b64 exec, s[14:15]
; %bb.192:                              ;   in Loop: Header=BB111_6 Depth=1
	v_mov_b32_e32 v1, s44
	ds_write_b32 v9, v1 offset:4100
; %bb.193:                              ;   in Loop: Header=BB111_6 Depth=1
	s_or_b64 exec, exec, s[8:9]
	s_waitcnt lgkmcnt(0)
	s_barrier
.LBB111_194:                            ;   in Loop: Header=BB111_6 Depth=1
	s_or_saveexec_b64 s[12:13], s[12:13]
	s_mov_b64 s[14:15], 0
	v_mov_b32_e32 v1, 8
	s_xor_b64 exec, exec, s[12:13]
; %bb.195:                              ;   in Loop: Header=BB111_6 Depth=1
	s_mov_b64 s[14:15], exec
	v_subrev_u32_e32 v12, s44, v12
	v_mov_b32_e32 v1, 0
; %bb.196:                              ;   in Loop: Header=BB111_6 Depth=1
	s_or_b64 exec, exec, s[12:13]
	s_and_b64 s[12:13], s[14:15], exec
	v_mov_b32_e32 v4, v12
.LBB111_197:                            ;   in Loop: Header=BB111_6 Depth=1
	s_or_b64 exec, exec, s[2:3]
	s_mov_b64 s[2:3], -1
                                        ; implicit-def: $sgpr28_sgpr29
                                        ; implicit-def: $sgpr18_sgpr19
	s_and_saveexec_b64 s[14:15], s[12:13]
	s_cbranch_execz .LBB111_236
; %bb.198:                              ;   in Loop: Header=BB111_6 Depth=1
	s_cmp_eq_u32 s45, 1
	s_cselect_b64 s[2:3], -1, 0
	v_cmp_eq_u32_e32 vcc, 1, v4
	s_mov_b64 s[56:57], -1
	s_and_b64 s[2:3], s[2:3], vcc
                                        ; implicit-def: $sgpr28_sgpr29
                                        ; implicit-def: $sgpr18_sgpr19
	s_mov_b64 s[12:13], exec
	v_writelane_b32 v52, s2, 57
	v_writelane_b32 v52, s3, 58
	s_and_b64 s[2:3], s[12:13], s[2:3]
	s_mov_b64 exec, s[2:3]
	s_cbranch_execz .LBB111_224
; %bb.199:                              ;   in Loop: Header=BB111_6 Depth=1
	ds_read_b32 v8, v9 offset:4096
	s_waitcnt lgkmcnt(0)
	s_barrier
	v_readfirstlane_b32 s16, v8
	s_mov_b64 s[2:3], exec
	v_readlane_b32 s8, v52, 29
	v_readlane_b32 s9, v52, 30
	s_and_b64 s[8:9], s[2:3], s[8:9]
	s_mov_b64 exec, s[8:9]
; %bb.200:                              ;   in Loop: Header=BB111_6 Depth=1
	ds_write_b16 v26, v9
; %bb.201:                              ;   in Loop: Header=BB111_6 Depth=1
	s_or_b64 exec, exec, s[2:3]
	v_or_b32_e32 v3, s50, v3
	v_or_b32_e32 v2, s50, v2
	s_mov_b64 s[18:19], -1
	s_mov_b64 s[28:29], 0
	s_cmp_eq_u32 s16, 0
	s_mov_b64 s[2:3], 0
	s_waitcnt lgkmcnt(0)
	s_barrier
                                        ; implicit-def: $vgpr8
	s_cbranch_scc1 .LBB111_212
; %bb.202:                              ;   in Loop: Header=BB111_6 Depth=1
	v_readlane_b32 s2, v52, 31
	s_add_i32 s2, s16, s2
	v_readlane_b32 s3, v52, 52
	s_mul_hi_u32 s3, s2, s3
	s_mul_i32 s3, s3, s52
	s_sub_i32 s3, s2, s3
	s_sub_i32 s8, s3, s52
	s_cmp_ge_u32 s3, s52
	s_cselect_b32 s3, s8, s3
	s_sub_i32 s8, s3, s52
	s_cmp_ge_u32 s3, s52
	s_cselect_b32 s3, s8, s3
	s_sub_i32 s17, s2, s3
	v_cmp_gt_u32_e32 vcc, s17, v0
	s_mov_b64 s[56:57], 0
	s_mov_b64 s[2:3], 0
                                        ; implicit-def: $vgpr8
	s_and_saveexec_b64 s[58:59], vcc
	s_cbranch_execz .LBB111_211
; %bb.203:                              ;   in Loop: Header=BB111_6 Depth=1
	v_mov_b32_e32 v8, v25
	v_mov_b32_e32 v12, v0
                                        ; implicit-def: $sgpr60_sgpr61
	s_branch .LBB111_206
.LBB111_204:                            ;   in Loop: Header=BB111_206 Depth=2
	s_or_b64 exec, exec, s[24:25]
	s_waitcnt lgkmcnt(0)
	s_barrier
	ds_read_b32 v13, v9 offset:3072
	s_mov_b64 s[24:25], -1
	s_mov_b64 s[8:9], -1
	s_waitcnt lgkmcnt(0)
	s_barrier
	v_and_b32_e32 v14, 0x7fff, v13
	v_cmp_ne_u32_e32 vcc, 0, v14
	s_cbranch_vccz .LBB111_209
.LBB111_205:                            ;   in Loop: Header=BB111_206 Depth=2
	s_and_b64 s[24:25], exec, s[24:25]
	s_or_b64 s[2:3], s[24:25], s[2:3]
	s_andn2_b64 s[24:25], s[60:61], exec
	s_and_b64 s[8:9], s[8:9], exec
	s_or_b64 s[60:61], s[24:25], s[8:9]
	s_andn2_b64 exec, exec, s[2:3]
	s_cbranch_execz .LBB111_210
.LBB111_206:                            ;   Parent Loop BB111_6 Depth=1
                                        ; =>  This Inner Loop Header: Depth=2
	v_cmp_gt_u32_e32 vcc, s16, v12
	s_and_saveexec_b64 s[24:25], vcc
	s_cbranch_execz .LBB111_204
; %bb.207:                              ;   in Loop: Header=BB111_206 Depth=2
	ds_read_u16 v13, v8
	s_waitcnt lgkmcnt(0)
	v_cmp_lt_i16_e32 vcc, -1, v13
	v_cndmask_b32_e32 v14, v41, v42, vcc
	v_lshlrev_b32_e32 v15, 16, v13
	v_cmp_o_f32_e32 vcc, v15, v15
	v_xor_b32_sdwa v14, v14, v13 dst_sel:DWORD dst_unused:UNUSED_PAD src0_sel:DWORD src1_sel:WORD_0
	v_cndmask_b32_e32 v14, v41, v14, vcc
	v_and_b32_e32 v14, v14, v2
	v_cmp_eq_u32_e32 vcc, v14, v3
	s_and_b64 exec, exec, vcc
	s_cbranch_execz .LBB111_204
; %bb.208:                              ;   in Loop: Header=BB111_206 Depth=2
	s_movk_i32 s8, 0x3f80
	v_perm_b32 v13, v13, s8, v44
	ds_write_b32 v9, v13 offset:3072
	s_branch .LBB111_204
.LBB111_209:                            ;   in Loop: Header=BB111_206 Depth=2
	v_add_u32_e32 v12, s52, v12
	v_cmp_le_u32_e32 vcc, s17, v12
	v_add_u32_e32 v8, s4, v8
	s_mov_b64 s[8:9], 0
	s_orn2_b64 s[24:25], vcc, exec
	s_branch .LBB111_205
.LBB111_210:                            ;   in Loop: Header=BB111_6 Depth=1
	s_or_b64 exec, exec, s[2:3]
	v_lshrrev_b32_e32 v8, 16, v13
	s_and_b64 s[2:3], s[60:61], exec
.LBB111_211:                            ;   in Loop: Header=BB111_6 Depth=1
	s_or_b64 exec, exec, s[58:59]
.LBB111_212:                            ;   in Loop: Header=BB111_6 Depth=1
	s_and_b64 vcc, exec, s[56:57]
	s_cbranch_vccz .LBB111_223
; %bb.213:                              ;   in Loop: Header=BB111_6 Depth=1
                                        ; implicit-def: $vgpr8
	s_mov_b64 s[18:19], exec
	v_readlane_b32 s8, v52, 53
	v_readlane_b32 s9, v52, 54
	s_and_b64 s[8:9], s[18:19], s[8:9]
	s_mov_b64 exec, s[8:9]
	s_cbranch_execz .LBB111_222
; %bb.214:                              ;   in Loop: Header=BB111_6 Depth=1
	s_mov_b64 s[28:29], 0
	v_mov_b32_e32 v8, v7
	v_mov_b32_e32 v12, v0
                                        ; implicit-def: $sgpr56_sgpr57
	s_branch .LBB111_217
.LBB111_215:                            ;   in Loop: Header=BB111_217 Depth=2
	s_or_b64 exec, exec, s[58:59]
	s_waitcnt lgkmcnt(0)
	s_barrier
	ds_read_b32 v13, v9 offset:3072
	s_mov_b64 s[24:25], -1
	s_mov_b64 s[8:9], -1
	s_waitcnt lgkmcnt(0)
	s_barrier
	v_and_b32_e32 v14, 0x7fff, v13
	v_cmp_eq_u32_e32 vcc, 0, v14
	s_cbranch_vccnz .LBB111_220
.LBB111_216:                            ;   in Loop: Header=BB111_217 Depth=2
	s_and_b64 s[16:17], exec, s[24:25]
	s_or_b64 s[28:29], s[16:17], s[28:29]
	s_andn2_b64 s[16:17], s[56:57], exec
	s_and_b64 s[8:9], s[8:9], exec
	s_or_b64 s[56:57], s[16:17], s[8:9]
	s_andn2_b64 exec, exec, s[28:29]
	s_cbranch_execz .LBB111_221
.LBB111_217:                            ;   Parent Loop BB111_6 Depth=1
                                        ; =>  This Inner Loop Header: Depth=2
	v_cmp_gt_u32_e32 vcc, s36, v12
	s_and_saveexec_b64 s[58:59], vcc
	s_cbranch_execz .LBB111_215
; %bb.218:                              ;   in Loop: Header=BB111_217 Depth=2
	v_lshlrev_b64 v[13:14], 1, v[8:9]
	v_mov_b32_e32 v15, s48
	v_add_co_u32_e32 v13, vcc, s33, v13
	v_addc_co_u32_e32 v14, vcc, v15, v14, vcc
	global_load_ushort v13, v[13:14], off
	s_waitcnt vmcnt(0)
	v_cmp_lt_i16_e32 vcc, -1, v13
	v_cndmask_b32_e32 v14, v41, v42, vcc
	v_lshlrev_b32_e32 v15, 16, v13
	v_xor_b32_sdwa v14, v14, v13 dst_sel:DWORD dst_unused:UNUSED_PAD src0_sel:DWORD src1_sel:WORD_0
	v_cmp_o_f32_e32 vcc, v15, v15
	v_cndmask_b32_e32 v14, v41, v14, vcc
	v_and_b32_e32 v14, v14, v2
	v_cmp_eq_u32_e32 vcc, v14, v3
	s_and_b64 exec, exec, vcc
	s_cbranch_execz .LBB111_215
; %bb.219:                              ;   in Loop: Header=BB111_217 Depth=2
	s_movk_i32 s8, 0x3f80
	v_perm_b32 v13, v13, s8, v44
	ds_write_b32 v9, v13 offset:3072
	s_branch .LBB111_215
.LBB111_220:                            ;   in Loop: Header=BB111_217 Depth=2
	v_add_u32_e32 v12, s52, v12
	v_cmp_le_u32_e32 vcc, s22, v12
	v_add_u32_e32 v8, s54, v8
	s_mov_b64 s[8:9], 0
	s_orn2_b64 s[24:25], vcc, exec
	s_branch .LBB111_216
.LBB111_221:                            ;   in Loop: Header=BB111_6 Depth=1
	s_or_b64 exec, exec, s[28:29]
	s_andn2_b64 s[2:3], s[2:3], exec
	s_and_b64 s[8:9], s[56:57], exec
	v_lshrrev_b32_e32 v8, 16, v13
	s_or_b64 s[2:3], s[2:3], s[8:9]
.LBB111_222:                            ;   in Loop: Header=BB111_6 Depth=1
	s_or_b64 exec, exec, s[18:19]
	s_mov_b64 s[18:19], 0
	s_mov_b64 s[28:29], -1
.LBB111_223:                            ;   in Loop: Header=BB111_6 Depth=1
	s_orn2_b64 s[56:57], s[2:3], exec
.LBB111_224:                            ;   in Loop: Header=BB111_6 Depth=1
	s_or_b64 exec, exec, s[12:13]
	s_mov_b64 s[12:13], 0
	s_and_saveexec_b64 s[2:3], s[56:57]
	s_cbranch_execz .LBB111_235
; %bb.225:                              ;   in Loop: Header=BB111_6 Depth=1
	v_readlane_b32 s8, v52, 57
	v_readlane_b32 s9, v52, 58
	s_xor_b64 s[8:9], s[8:9], -1
	v_mov_b32_e32 v1, 1
	v_mov_b32_e32 v12, 1
	s_and_saveexec_b64 s[12:13], s[8:9]
	s_cbranch_execz .LBB111_234
; %bb.226:                              ;   in Loop: Header=BB111_6 Depth=1
	v_cmp_ge_u32_e32 vcc, s45, v4
	s_and_saveexec_b64 s[8:9], vcc
	s_xor_b64 s[16:17], exec, s[8:9]
	s_cbranch_execz .LBB111_231
; %bb.227:                              ;   in Loop: Header=BB111_6 Depth=1
	ds_read_b32 v1, v9 offset:4096
	v_or_b32_e32 v3, s50, v3
	v_or_b32_e32 v2, s50, v2
	s_waitcnt lgkmcnt(0)
	v_cmp_ne_u32_e32 vcc, 0, v1
	s_cbranch_vccnz .LBB111_231
; %bb.228:                              ;   in Loop: Header=BB111_6 Depth=1
	s_mov_b64 s[8:9], exec
	v_readlane_b32 s24, v52, 14
	v_readlane_b32 s25, v52, 15
	s_and_b64 s[24:25], s[8:9], s[24:25]
	s_mov_b64 exec, s[24:25]
; %bb.229:                              ;   in Loop: Header=BB111_6 Depth=1
	v_mov_b32_e32 v1, s45
	ds_write_b32 v9, v1 offset:4100
; %bb.230:                              ;   in Loop: Header=BB111_6 Depth=1
	s_or_b64 exec, exec, s[8:9]
	s_waitcnt lgkmcnt(0)
	s_barrier
.LBB111_231:                            ;   in Loop: Header=BB111_6 Depth=1
	s_andn2_saveexec_b64 s[16:17], s[16:17]
; %bb.232:                              ;   in Loop: Header=BB111_6 Depth=1
	v_subrev_u32_e32 v4, s45, v4
; %bb.233:                              ;   in Loop: Header=BB111_6 Depth=1
	s_or_b64 exec, exec, s[16:17]
	v_mov_b32_e32 v1, 8
	v_mov_b32_e32 v12, v4
.LBB111_234:                            ;   in Loop: Header=BB111_6 Depth=1
	s_or_b64 exec, exec, s[12:13]
	s_mov_b64 s[12:13], exec
	v_mov_b32_e32 v4, v12
.LBB111_235:                            ;   in Loop: Header=BB111_6 Depth=1
	s_or_b64 exec, exec, s[2:3]
	s_orn2_b64 s[2:3], s[12:13], exec
.LBB111_236:                            ;   in Loop: Header=BB111_6 Depth=1
	s_or_b64 exec, exec, s[14:15]
	s_andn2_b64 s[8:9], s[42:43], exec
	s_and_b64 s[12:13], s[28:29], exec
	s_or_b64 s[42:43], s[8:9], s[12:13]
	v_readlane_b32 s8, v52, 55
	v_readlane_b32 s9, v52, 56
	s_andn2_b64 s[8:9], s[8:9], exec
	s_and_b64 s[12:13], s[18:19], exec
	s_or_b64 s[8:9], s[8:9], s[12:13]
	v_writelane_b32 v52, s8, 55
	s_and_b64 s[12:13], s[2:3], exec
	v_mov_b32_e32 v12, v4
	v_writelane_b32 v52, s9, 56
.LBB111_237:                            ;   in Loop: Header=BB111_6 Depth=1
	s_or_b64 exec, exec, s[46:47]
	s_orn2_b64 s[2:3], s[12:13], exec
.LBB111_238:                            ;   in Loop: Header=BB111_6 Depth=1
	s_or_b64 exec, exec, s[40:41]
	s_andn2_b64 s[8:9], s[84:85], exec
	s_and_b64 s[12:13], s[42:43], exec
	s_or_b64 s[84:85], s[8:9], s[12:13]
	v_readlane_b32 s12, v52, 55
	v_readlane_b32 s13, v52, 56
	s_andn2_b64 s[8:9], s[34:35], exec
	s_and_b64 s[12:13], s[12:13], exec
	s_or_b64 s[34:35], s[8:9], s[12:13]
	s_and_b64 s[12:13], s[2:3], exec
	v_mov_b32_e32 v4, v12
.LBB111_239:                            ;   in Loop: Header=BB111_6 Depth=1
	s_or_b64 exec, exec, s[94:95]
	s_orn2_b64 s[2:3], s[12:13], exec
.LBB111_240:                            ;   in Loop: Header=BB111_6 Depth=1
	s_or_b64 exec, exec, s[6:7]
	s_mov_b64 s[6:7], 0
	s_mov_b64 s[12:13], 0
	s_and_saveexec_b64 s[8:9], s[2:3]
	s_xor_b64 s[2:3], exec, s[8:9]
; %bb.241:                              ;   in Loop: Header=BB111_6 Depth=1
	v_cmp_eq_u32_e32 vcc, 8, v1
	v_cmp_ne_u32_e64 s[6:7], 8, v1
	s_and_b64 s[12:13], s[6:7], exec
	s_and_b64 s[6:7], vcc, exec
; %bb.242:                              ;   in Loop: Header=BB111_6 Depth=1
	s_or_b64 exec, exec, s[2:3]
	s_andn2_b64 s[2:3], s[88:89], exec
	s_and_b64 s[8:9], s[84:85], exec
	s_or_b64 s[88:89], s[2:3], s[8:9]
	s_andn2_b64 s[2:3], s[86:87], exec
	s_and_b64 s[8:9], s[34:35], exec
	s_or_b64 s[86:87], s[2:3], s[8:9]
	s_and_b64 s[34:35], s[12:13], exec
	s_and_b64 s[84:85], s[6:7], exec
.LBB111_243:                            ;   in Loop: Header=BB111_6 Depth=1
	s_or_b64 exec, exec, s[92:93]
.LBB111_244:                            ;   in Loop: Header=BB111_6 Depth=1
	s_and_b64 vcc, exec, s[90:91]
	s_cbranch_vccz .LBB111_257
; %bb.245:                              ;   in Loop: Header=BB111_6 Depth=1
	s_cmp_eq_u32 s45, 1
	s_cselect_b64 s[2:3], -1, 0
	s_and_b64 s[6:7], s[2:3], s[26:27]
	s_mov_b64 s[2:3], -1
                                        ; implicit-def: $sgpr26_sgpr27
                                        ; implicit-def: $sgpr30_sgpr31
	s_and_saveexec_b64 s[14:15], s[6:7]
	s_cbranch_execz .LBB111_272
; %bb.246:                              ;   in Loop: Header=BB111_6 Depth=1
	ds_read_b32 v1, v9 offset:4096
	s_waitcnt lgkmcnt(0)
	s_barrier
	v_readfirstlane_b32 s40, v1
	s_mov_b64 s[2:3], exec
	v_readlane_b32 s8, v52, 29
	v_readlane_b32 s9, v52, 30
	s_and_b64 s[8:9], s[2:3], s[8:9]
	s_mov_b64 exec, s[8:9]
; %bb.247:                              ;   in Loop: Header=BB111_6 Depth=1
	ds_write_b16 v26, v9
; %bb.248:                              ;   in Loop: Header=BB111_6 Depth=1
	s_or_b64 exec, exec, s[2:3]
	v_or_b32_e32 v37, s50, v37
	v_or_b32_e32 v45, s50, v45
	s_mov_b64 s[30:31], -1
	s_mov_b64 s[26:27], 0
	s_cmp_eq_u32 s40, 0
	s_mov_b64 s[12:13], 0
	s_mov_b64 s[2:3], -1
	s_waitcnt lgkmcnt(0)
	s_barrier
                                        ; implicit-def: $vgpr46
	s_cbranch_scc1 .LBB111_260
; %bb.249:                              ;   in Loop: Header=BB111_6 Depth=1
	v_readlane_b32 s2, v52, 31
	s_add_i32 s2, s40, s2
	v_readlane_b32 s3, v52, 52
	s_mul_hi_u32 s3, s2, s3
	s_mul_i32 s3, s3, s52
	s_sub_i32 s3, s2, s3
	s_sub_i32 s8, s3, s52
	s_cmp_ge_u32 s3, s52
	s_cselect_b32 s3, s8, s3
	s_sub_i32 s8, s3, s52
	s_cmp_ge_u32 s3, s52
	s_cselect_b32 s3, s8, s3
	s_sub_i32 s41, s2, s3
	v_cmp_gt_u32_e32 vcc, s41, v0
	s_mov_b64 s[2:3], 0
                                        ; implicit-def: $vgpr46
	s_and_saveexec_b64 s[16:17], vcc
	s_cbranch_execz .LBB111_259
; %bb.250:                              ;   in Loop: Header=BB111_6 Depth=1
	v_mov_b32_e32 v1, v25
	v_mov_b32_e32 v2, v0
                                        ; implicit-def: $sgpr18_sgpr19
	s_branch .LBB111_253
.LBB111_251:                            ;   in Loop: Header=BB111_253 Depth=2
	s_or_b64 exec, exec, s[28:29]
	s_waitcnt lgkmcnt(0)
	s_barrier
	ds_read_b32 v3, v9 offset:3072
	s_mov_b64 s[24:25], -1
	s_mov_b64 s[8:9], -1
	s_waitcnt lgkmcnt(0)
	s_barrier
	v_and_b32_e32 v4, 0x7fff, v3
	v_cmp_ne_u32_e32 vcc, 0, v4
	s_cbranch_vccz .LBB111_256
.LBB111_252:                            ;   in Loop: Header=BB111_253 Depth=2
	s_and_b64 s[24:25], exec, s[24:25]
	s_or_b64 s[12:13], s[24:25], s[12:13]
	s_andn2_b64 s[18:19], s[18:19], exec
	s_and_b64 s[8:9], s[8:9], exec
	s_or_b64 s[18:19], s[18:19], s[8:9]
	s_andn2_b64 exec, exec, s[12:13]
	s_cbranch_execz .LBB111_258
.LBB111_253:                            ;   Parent Loop BB111_6 Depth=1
                                        ; =>  This Inner Loop Header: Depth=2
	v_cmp_gt_u32_e32 vcc, s40, v2
	s_and_saveexec_b64 s[28:29], vcc
	s_cbranch_execz .LBB111_251
; %bb.254:                              ;   in Loop: Header=BB111_253 Depth=2
	ds_read_u16 v3, v1
	s_waitcnt lgkmcnt(0)
	v_cmp_lt_i16_e32 vcc, -1, v3
	v_cndmask_b32_e32 v4, v41, v42, vcc
	v_lshlrev_b32_e32 v8, 16, v3
	v_cmp_o_f32_e32 vcc, v8, v8
	v_xor_b32_sdwa v4, v4, v3 dst_sel:DWORD dst_unused:UNUSED_PAD src0_sel:DWORD src1_sel:WORD_0
	v_cndmask_b32_e32 v4, v41, v4, vcc
	v_and_b32_e32 v4, v4, v45
	v_cmp_eq_u32_e32 vcc, v4, v37
	s_and_b64 exec, exec, vcc
	s_cbranch_execz .LBB111_251
; %bb.255:                              ;   in Loop: Header=BB111_253 Depth=2
	s_movk_i32 s8, 0x3f80
	v_perm_b32 v3, v3, s8, v44
	ds_write_b32 v9, v3 offset:3072
	s_branch .LBB111_251
.LBB111_256:                            ;   in Loop: Header=BB111_253 Depth=2
	v_add_u32_e32 v2, s52, v2
	v_cmp_le_u32_e32 vcc, s41, v2
	v_add_u32_e32 v1, s4, v1
	s_mov_b64 s[8:9], 0
	s_orn2_b64 s[24:25], vcc, exec
	s_branch .LBB111_252
.LBB111_257:                            ;   in Loop: Header=BB111_6 Depth=1
	s_mov_b64 s[26:27], 0
	v_mov_b32_e32 v37, v3
	v_mov_b32_e32 v45, v2
	;; [unrolled: 1-line block ×3, first 2 shown]
	s_and_saveexec_b64 s[2:3], s[84:85]
	s_cbranch_execnz .LBB111_403
	s_branch .LBB111_404
.LBB111_258:                            ;   in Loop: Header=BB111_6 Depth=1
	s_or_b64 exec, exec, s[12:13]
	v_lshrrev_b32_e32 v46, 16, v3
	s_and_b64 s[12:13], s[18:19], exec
.LBB111_259:                            ;   in Loop: Header=BB111_6 Depth=1
	s_or_b64 exec, exec, s[16:17]
.LBB111_260:                            ;   in Loop: Header=BB111_6 Depth=1
	s_and_b64 vcc, exec, s[2:3]
	s_cbranch_vccz .LBB111_271
; %bb.261:                              ;   in Loop: Header=BB111_6 Depth=1
                                        ; implicit-def: $vgpr46
	s_mov_b64 s[2:3], exec
	v_readlane_b32 s8, v52, 53
	v_readlane_b32 s9, v52, 54
	s_and_b64 s[8:9], s[2:3], s[8:9]
	s_mov_b64 exec, s[8:9]
	s_cbranch_execz .LBB111_270
; %bb.262:                              ;   in Loop: Header=BB111_6 Depth=1
	s_mov_b64 s[16:17], 0
	v_mov_b32_e32 v8, v7
	v_mov_b32_e32 v1, v0
                                        ; implicit-def: $sgpr18_sgpr19
	s_branch .LBB111_265
.LBB111_263:                            ;   in Loop: Header=BB111_265 Depth=2
	s_or_b64 exec, exec, s[26:27]
	s_waitcnt lgkmcnt(0)
	s_barrier
	ds_read_b32 v2, v9 offset:3072
	s_mov_b64 s[24:25], -1
	s_mov_b64 s[8:9], -1
	s_waitcnt lgkmcnt(0)
	s_barrier
	v_and_b32_e32 v3, 0x7fff, v2
	v_cmp_ne_u32_e32 vcc, 0, v3
	s_cbranch_vccz .LBB111_268
.LBB111_264:                            ;   in Loop: Header=BB111_265 Depth=2
	s_and_b64 s[24:25], exec, s[24:25]
	s_or_b64 s[16:17], s[24:25], s[16:17]
	s_andn2_b64 s[18:19], s[18:19], exec
	s_and_b64 s[8:9], s[8:9], exec
	s_or_b64 s[18:19], s[18:19], s[8:9]
	s_andn2_b64 exec, exec, s[16:17]
	s_cbranch_execz .LBB111_269
.LBB111_265:                            ;   Parent Loop BB111_6 Depth=1
                                        ; =>  This Inner Loop Header: Depth=2
	v_cmp_gt_u32_e32 vcc, s36, v1
	s_and_saveexec_b64 s[26:27], vcc
	s_cbranch_execz .LBB111_263
; %bb.266:                              ;   in Loop: Header=BB111_265 Depth=2
	v_lshlrev_b64 v[2:3], 1, v[8:9]
	v_mov_b32_e32 v4, s48
	v_add_co_u32_e32 v2, vcc, s33, v2
	v_addc_co_u32_e32 v3, vcc, v4, v3, vcc
	global_load_ushort v2, v[2:3], off
	s_waitcnt vmcnt(0)
	v_cmp_lt_i16_e32 vcc, -1, v2
	v_cndmask_b32_e32 v3, v41, v42, vcc
	v_lshlrev_b32_e32 v4, 16, v2
	v_xor_b32_sdwa v3, v3, v2 dst_sel:DWORD dst_unused:UNUSED_PAD src0_sel:DWORD src1_sel:WORD_0
	v_cmp_o_f32_e32 vcc, v4, v4
	v_cndmask_b32_e32 v3, v41, v3, vcc
	v_and_b32_e32 v3, v3, v45
	v_cmp_eq_u32_e32 vcc, v3, v37
	s_and_b64 exec, exec, vcc
	s_cbranch_execz .LBB111_263
; %bb.267:                              ;   in Loop: Header=BB111_265 Depth=2
	s_movk_i32 s8, 0x3f80
	v_perm_b32 v2, v2, s8, v44
	ds_write_b32 v9, v2 offset:3072
	s_branch .LBB111_263
.LBB111_268:                            ;   in Loop: Header=BB111_265 Depth=2
	v_add_u32_e32 v1, s52, v1
	v_cmp_le_u32_e32 vcc, s22, v1
	v_add_u32_e32 v8, s54, v8
	s_mov_b64 s[8:9], 0
	s_orn2_b64 s[24:25], vcc, exec
	s_branch .LBB111_264
.LBB111_269:                            ;   in Loop: Header=BB111_6 Depth=1
	s_or_b64 exec, exec, s[16:17]
	s_andn2_b64 s[8:9], s[12:13], exec
	s_and_b64 s[12:13], s[18:19], exec
	v_lshrrev_b32_e32 v46, 16, v2
	s_or_b64 s[12:13], s[8:9], s[12:13]
.LBB111_270:                            ;   in Loop: Header=BB111_6 Depth=1
	s_or_b64 exec, exec, s[2:3]
	s_mov_b64 s[30:31], 0
	s_mov_b64 s[26:27], -1
.LBB111_271:                            ;   in Loop: Header=BB111_6 Depth=1
	s_orn2_b64 s[2:3], s[12:13], exec
.LBB111_272:                            ;   in Loop: Header=BB111_6 Depth=1
	s_or_b64 exec, exec, s[14:15]
                                        ; implicit-def: $vgpr4
                                        ; implicit-def: $vgpr1
	s_and_saveexec_b64 s[86:87], s[2:3]
	s_cbranch_execz .LBB111_402
; %bb.273:                              ;   in Loop: Header=BB111_6 Depth=1
	s_xor_b64 s[8:9], s[6:7], -1
	s_mov_b64 s[6:7], 0
	v_mov_b32_e32 v4, 1
	v_mov_b32_e32 v1, 1
	s_and_saveexec_b64 s[2:3], s[8:9]
	s_cbranch_execz .LBB111_282
; %bb.274:                              ;   in Loop: Header=BB111_6 Depth=1
	v_cmp_ge_u32_e32 vcc, s45, v47
	s_and_saveexec_b64 s[6:7], vcc
	s_xor_b64 s[6:7], exec, s[6:7]
	s_cbranch_execz .LBB111_279
; %bb.275:                              ;   in Loop: Header=BB111_6 Depth=1
	ds_read_b32 v1, v9 offset:4096
	v_or_b32_e32 v37, s50, v37
	v_or_b32_e32 v45, s50, v45
	s_waitcnt lgkmcnt(0)
	v_cmp_ne_u32_e32 vcc, 0, v1
	s_cbranch_vccnz .LBB111_279
; %bb.276:                              ;   in Loop: Header=BB111_6 Depth=1
	s_mov_b64 s[8:9], exec
	v_readlane_b32 s12, v52, 14
	v_readlane_b32 s13, v52, 15
	s_and_b64 s[12:13], s[8:9], s[12:13]
	s_mov_b64 exec, s[12:13]
; %bb.277:                              ;   in Loop: Header=BB111_6 Depth=1
	v_mov_b32_e32 v1, s45
	ds_write_b32 v9, v1 offset:4100
; %bb.278:                              ;   in Loop: Header=BB111_6 Depth=1
	s_or_b64 exec, exec, s[8:9]
	s_waitcnt lgkmcnt(0)
	s_barrier
.LBB111_279:                            ;   in Loop: Header=BB111_6 Depth=1
	s_or_saveexec_b64 s[6:7], s[6:7]
	s_mov_b64 s[12:13], 0
	v_mov_b32_e32 v1, 5
	s_xor_b64 exec, exec, s[6:7]
; %bb.280:                              ;   in Loop: Header=BB111_6 Depth=1
	v_subrev_u32_e32 v47, s45, v47
	v_mov_b32_e32 v1, 0
	s_mov_b64 s[12:13], exec
; %bb.281:                              ;   in Loop: Header=BB111_6 Depth=1
	s_or_b64 exec, exec, s[6:7]
	s_and_b64 s[6:7], s[12:13], exec
	v_mov_b32_e32 v4, v47
.LBB111_282:                            ;   in Loop: Header=BB111_6 Depth=1
	s_or_b64 exec, exec, s[2:3]
	s_mov_b64 s[2:3], -1
                                        ; implicit-def: $sgpr88_sgpr89
                                        ; implicit-def: $sgpr90_sgpr91
	s_and_saveexec_b64 s[8:9], s[6:7]
	s_xor_b64 s[6:7], exec, s[8:9]
	s_cbranch_execz .LBB111_399
; %bb.283:                              ;   in Loop: Header=BB111_6 Depth=1
	s_cmp_eq_u32 s44, 1
	s_cselect_b64 s[2:3], -1, 0
	v_cmp_eq_u32_e32 vcc, 1, v4
	s_and_b64 s[14:15], s[2:3], vcc
	s_mov_b64 s[2:3], -1
                                        ; implicit-def: $sgpr90_sgpr91
                                        ; implicit-def: $sgpr88_sgpr89
	s_and_saveexec_b64 s[16:17], s[14:15]
	s_cbranch_execz .LBB111_309
; %bb.284:                              ;   in Loop: Header=BB111_6 Depth=1
	ds_read_b32 v2, v9 offset:4096
	s_waitcnt lgkmcnt(0)
	s_barrier
	v_readfirstlane_b32 s42, v2
	s_mov_b64 s[2:3], exec
	v_readlane_b32 s8, v52, 29
	v_readlane_b32 s9, v52, 30
	s_and_b64 s[8:9], s[2:3], s[8:9]
	s_mov_b64 exec, s[8:9]
; %bb.285:                              ;   in Loop: Header=BB111_6 Depth=1
	ds_write_b16 v26, v9
; %bb.286:                              ;   in Loop: Header=BB111_6 Depth=1
	s_or_b64 exec, exec, s[2:3]
	v_and_b32_e32 v2, s51, v37
	v_lshl_or_b32 v37, 2, s38, v2
	v_or_b32_e32 v45, s50, v45
	s_mov_b64 s[88:89], -1
	s_mov_b64 s[90:91], 0
	s_cmp_eq_u32 s42, 0
	s_mov_b64 s[12:13], 0
	s_mov_b64 s[2:3], -1
	s_waitcnt lgkmcnt(0)
	s_barrier
                                        ; implicit-def: $vgpr46
	s_cbranch_scc1 .LBB111_297
; %bb.287:                              ;   in Loop: Header=BB111_6 Depth=1
	v_readlane_b32 s2, v52, 31
	s_add_i32 s2, s42, s2
	v_readlane_b32 s3, v52, 52
	s_mul_hi_u32 s3, s2, s3
	s_mul_i32 s3, s3, s52
	s_sub_i32 s3, s2, s3
	s_sub_i32 s8, s3, s52
	s_cmp_ge_u32 s3, s52
	s_cselect_b32 s3, s8, s3
	s_sub_i32 s8, s3, s52
	s_cmp_ge_u32 s3, s52
	s_cselect_b32 s3, s8, s3
	s_sub_i32 s43, s2, s3
	v_cmp_gt_u32_e32 vcc, s43, v0
	s_mov_b64 s[2:3], 0
                                        ; implicit-def: $vgpr46
	s_and_saveexec_b64 s[18:19], vcc
	s_cbranch_execz .LBB111_296
; %bb.288:                              ;   in Loop: Header=BB111_6 Depth=1
	v_mov_b32_e32 v2, v25
	v_mov_b32_e32 v3, v0
                                        ; implicit-def: $sgpr28_sgpr29
	s_branch .LBB111_291
.LBB111_289:                            ;   in Loop: Header=BB111_291 Depth=2
	s_or_b64 exec, exec, s[40:41]
	s_waitcnt lgkmcnt(0)
	s_barrier
	ds_read_b32 v8, v9 offset:3072
	s_mov_b64 s[24:25], -1
	s_mov_b64 s[8:9], -1
	s_waitcnt lgkmcnt(0)
	s_barrier
	v_and_b32_e32 v12, 0x7fff, v8
	v_cmp_ne_u32_e32 vcc, 0, v12
	s_cbranch_vccz .LBB111_294
.LBB111_290:                            ;   in Loop: Header=BB111_291 Depth=2
	s_and_b64 s[24:25], exec, s[24:25]
	s_or_b64 s[12:13], s[24:25], s[12:13]
	s_andn2_b64 s[24:25], s[28:29], exec
	s_and_b64 s[8:9], s[8:9], exec
	s_or_b64 s[28:29], s[24:25], s[8:9]
	s_andn2_b64 exec, exec, s[12:13]
	s_cbranch_execz .LBB111_295
.LBB111_291:                            ;   Parent Loop BB111_6 Depth=1
                                        ; =>  This Inner Loop Header: Depth=2
	v_cmp_gt_u32_e32 vcc, s42, v3
	s_and_saveexec_b64 s[40:41], vcc
	s_cbranch_execz .LBB111_289
; %bb.292:                              ;   in Loop: Header=BB111_291 Depth=2
	ds_read_u16 v8, v2
	s_waitcnt lgkmcnt(0)
	v_cmp_lt_i16_e32 vcc, -1, v8
	v_cndmask_b32_e32 v12, v41, v42, vcc
	v_lshlrev_b32_e32 v13, 16, v8
	v_cmp_o_f32_e32 vcc, v13, v13
	v_xor_b32_sdwa v12, v12, v8 dst_sel:DWORD dst_unused:UNUSED_PAD src0_sel:DWORD src1_sel:WORD_0
	v_cndmask_b32_e32 v12, v41, v12, vcc
	v_and_b32_e32 v12, v12, v45
	v_cmp_eq_u32_e32 vcc, v12, v37
	s_and_b64 exec, exec, vcc
	s_cbranch_execz .LBB111_289
; %bb.293:                              ;   in Loop: Header=BB111_291 Depth=2
	s_movk_i32 s8, 0x3f80
	v_perm_b32 v8, v8, s8, v44
	ds_write_b32 v9, v8 offset:3072
	s_branch .LBB111_289
.LBB111_294:                            ;   in Loop: Header=BB111_291 Depth=2
	v_add_u32_e32 v3, s52, v3
	v_cmp_le_u32_e32 vcc, s43, v3
	v_add_u32_e32 v2, s4, v2
	s_mov_b64 s[8:9], 0
	s_orn2_b64 s[24:25], vcc, exec
	s_branch .LBB111_290
.LBB111_295:                            ;   in Loop: Header=BB111_6 Depth=1
	s_or_b64 exec, exec, s[12:13]
	v_lshrrev_b32_e32 v46, 16, v8
	s_and_b64 s[12:13], s[28:29], exec
.LBB111_296:                            ;   in Loop: Header=BB111_6 Depth=1
	s_or_b64 exec, exec, s[18:19]
.LBB111_297:                            ;   in Loop: Header=BB111_6 Depth=1
	s_and_b64 vcc, exec, s[2:3]
	s_cbranch_vccz .LBB111_308
; %bb.298:                              ;   in Loop: Header=BB111_6 Depth=1
                                        ; implicit-def: $vgpr46
	s_mov_b64 s[2:3], exec
	v_readlane_b32 s8, v52, 53
	v_readlane_b32 s9, v52, 54
	s_and_b64 s[8:9], s[2:3], s[8:9]
	s_mov_b64 exec, s[8:9]
	s_cbranch_execz .LBB111_307
; %bb.299:                              ;   in Loop: Header=BB111_6 Depth=1
	s_mov_b64 s[18:19], 0
	v_mov_b32_e32 v8, v7
	v_mov_b32_e32 v2, v0
                                        ; implicit-def: $sgpr28_sgpr29
	s_branch .LBB111_302
.LBB111_300:                            ;   in Loop: Header=BB111_302 Depth=2
	s_or_b64 exec, exec, s[40:41]
	s_waitcnt lgkmcnt(0)
	s_barrier
	ds_read_b32 v3, v9 offset:3072
	s_mov_b64 s[24:25], -1
	s_mov_b64 s[8:9], -1
	s_waitcnt lgkmcnt(0)
	s_barrier
	v_and_b32_e32 v12, 0x7fff, v3
	v_cmp_eq_u32_e32 vcc, 0, v12
	s_cbranch_vccnz .LBB111_305
.LBB111_301:                            ;   in Loop: Header=BB111_302 Depth=2
	s_and_b64 s[24:25], exec, s[24:25]
	s_or_b64 s[18:19], s[24:25], s[18:19]
	s_andn2_b64 s[24:25], s[28:29], exec
	s_and_b64 s[8:9], s[8:9], exec
	s_or_b64 s[28:29], s[24:25], s[8:9]
	s_andn2_b64 exec, exec, s[18:19]
	s_cbranch_execz .LBB111_306
.LBB111_302:                            ;   Parent Loop BB111_6 Depth=1
                                        ; =>  This Inner Loop Header: Depth=2
	v_cmp_gt_u32_e32 vcc, s36, v2
	s_and_saveexec_b64 s[40:41], vcc
	s_cbranch_execz .LBB111_300
; %bb.303:                              ;   in Loop: Header=BB111_302 Depth=2
	v_lshlrev_b64 v[12:13], 1, v[8:9]
	v_mov_b32_e32 v3, s48
	v_add_co_u32_e32 v12, vcc, s33, v12
	v_addc_co_u32_e32 v13, vcc, v3, v13, vcc
	global_load_ushort v3, v[12:13], off
	s_waitcnt vmcnt(0)
	v_cmp_lt_i16_e32 vcc, -1, v3
	v_cndmask_b32_e32 v12, v41, v42, vcc
	v_lshlrev_b32_e32 v13, 16, v3
	v_xor_b32_sdwa v12, v12, v3 dst_sel:DWORD dst_unused:UNUSED_PAD src0_sel:DWORD src1_sel:WORD_0
	v_cmp_o_f32_e32 vcc, v13, v13
	v_cndmask_b32_e32 v12, v41, v12, vcc
	v_and_b32_e32 v12, v12, v45
	v_cmp_eq_u32_e32 vcc, v12, v37
	s_and_b64 exec, exec, vcc
	s_cbranch_execz .LBB111_300
; %bb.304:                              ;   in Loop: Header=BB111_302 Depth=2
	s_movk_i32 s8, 0x3f80
	v_perm_b32 v3, v3, s8, v44
	ds_write_b32 v9, v3 offset:3072
	s_branch .LBB111_300
.LBB111_305:                            ;   in Loop: Header=BB111_302 Depth=2
	v_add_u32_e32 v2, s52, v2
	v_cmp_le_u32_e32 vcc, s22, v2
	v_add_u32_e32 v8, s54, v8
	s_mov_b64 s[8:9], 0
	s_orn2_b64 s[24:25], vcc, exec
	s_branch .LBB111_301
.LBB111_306:                            ;   in Loop: Header=BB111_6 Depth=1
	s_or_b64 exec, exec, s[18:19]
	s_andn2_b64 s[8:9], s[12:13], exec
	s_and_b64 s[12:13], s[28:29], exec
	v_lshrrev_b32_e32 v46, 16, v3
	s_or_b64 s[12:13], s[8:9], s[12:13]
.LBB111_307:                            ;   in Loop: Header=BB111_6 Depth=1
	s_or_b64 exec, exec, s[2:3]
	s_mov_b64 s[88:89], 0
	s_mov_b64 s[90:91], -1
.LBB111_308:                            ;   in Loop: Header=BB111_6 Depth=1
	s_orn2_b64 s[2:3], s[12:13], exec
.LBB111_309:                            ;   in Loop: Header=BB111_6 Depth=1
	s_or_b64 exec, exec, s[16:17]
	s_mov_b64 s[12:13], 0
	s_and_saveexec_b64 s[92:93], s[2:3]
	s_cbranch_execz .LBB111_398
; %bb.310:                              ;   in Loop: Header=BB111_6 Depth=1
	s_xor_b64 s[8:9], s[14:15], -1
	v_mov_b32_e32 v2, 1
	v_mov_b32_e32 v1, 1
	s_and_saveexec_b64 s[2:3], s[8:9]
	s_cbranch_execz .LBB111_319
; %bb.311:                              ;   in Loop: Header=BB111_6 Depth=1
	v_cmp_ge_u32_e32 vcc, s44, v4
	s_and_saveexec_b64 s[8:9], vcc
	s_xor_b64 s[12:13], exec, s[8:9]
	s_cbranch_execz .LBB111_316
; %bb.312:                              ;   in Loop: Header=BB111_6 Depth=1
	v_and_b32_e32 v1, s51, v37
	v_lshl_or_b32 v37, 2, s38, v1
	ds_read_b32 v1, v9 offset:4096
	v_or_b32_e32 v45, s50, v45
	s_waitcnt lgkmcnt(0)
	v_cmp_ne_u32_e32 vcc, 0, v1
	s_cbranch_vccnz .LBB111_316
; %bb.313:                              ;   in Loop: Header=BB111_6 Depth=1
	s_mov_b64 s[8:9], exec
	v_readlane_b32 s14, v52, 14
	v_readlane_b32 s15, v52, 15
	s_and_b64 s[14:15], s[8:9], s[14:15]
	s_mov_b64 exec, s[14:15]
; %bb.314:                              ;   in Loop: Header=BB111_6 Depth=1
	v_mov_b32_e32 v1, s44
	ds_write_b32 v9, v1 offset:4100
; %bb.315:                              ;   in Loop: Header=BB111_6 Depth=1
	s_or_b64 exec, exec, s[8:9]
	s_waitcnt lgkmcnt(0)
	s_barrier
.LBB111_316:                            ;   in Loop: Header=BB111_6 Depth=1
	s_or_saveexec_b64 s[12:13], s[12:13]
	s_mov_b64 s[14:15], 0
	v_mov_b32_e32 v1, 5
	s_xor_b64 exec, exec, s[12:13]
; %bb.317:                              ;   in Loop: Header=BB111_6 Depth=1
	v_subrev_u32_e32 v4, s44, v4
	v_mov_b32_e32 v1, 0
	s_mov_b64 s[14:15], exec
; %bb.318:                              ;   in Loop: Header=BB111_6 Depth=1
	s_or_b64 exec, exec, s[12:13]
	s_and_b64 s[12:13], s[14:15], exec
	v_mov_b32_e32 v2, v4
.LBB111_319:                            ;   in Loop: Header=BB111_6 Depth=1
	s_or_b64 exec, exec, s[2:3]
	s_mov_b64 s[2:3], -1
                                        ; implicit-def: $sgpr40_sgpr41
                                        ; implicit-def: $sgpr42_sgpr43
	s_and_saveexec_b64 s[94:95], s[12:13]
	s_cbranch_execz .LBB111_397
; %bb.320:                              ;   in Loop: Header=BB111_6 Depth=1
	s_cmp_eq_u32 s5, 1
	s_cselect_b64 s[2:3], -1, 0
	v_cmp_eq_u32_e32 vcc, 1, v2
	s_and_b64 s[14:15], s[2:3], vcc
	s_mov_b64 s[2:3], -1
                                        ; implicit-def: $sgpr42_sgpr43
                                        ; implicit-def: $sgpr40_sgpr41
	s_and_saveexec_b64 s[16:17], s[14:15]
	s_cbranch_execz .LBB111_346
; %bb.321:                              ;   in Loop: Header=BB111_6 Depth=1
	ds_read_b32 v3, v9 offset:4096
	s_waitcnt lgkmcnt(0)
	s_barrier
	v_readfirstlane_b32 s46, v3
	s_mov_b64 s[2:3], exec
	v_readlane_b32 s8, v52, 29
	v_readlane_b32 s9, v52, 30
	s_and_b64 s[8:9], s[2:3], s[8:9]
	s_mov_b64 exec, s[8:9]
; %bb.322:                              ;   in Loop: Header=BB111_6 Depth=1
	ds_write_b16 v26, v9
; %bb.323:                              ;   in Loop: Header=BB111_6 Depth=1
	s_or_b64 exec, exec, s[2:3]
	v_and_b32_e32 v3, s51, v37
	v_lshl_or_b32 v37, 1, s38, v3
	v_or_b32_e32 v45, s50, v45
	s_mov_b64 s[40:41], -1
	s_mov_b64 s[42:43], 0
	s_cmp_eq_u32 s46, 0
	s_mov_b64 s[12:13], 0
	s_mov_b64 s[2:3], -1
	s_waitcnt lgkmcnt(0)
	s_barrier
                                        ; implicit-def: $vgpr46
	s_cbranch_scc1 .LBB111_334
; %bb.324:                              ;   in Loop: Header=BB111_6 Depth=1
	v_readlane_b32 s2, v52, 31
	s_add_i32 s2, s46, s2
	v_readlane_b32 s3, v52, 52
	s_mul_hi_u32 s3, s2, s3
	s_mul_i32 s3, s3, s52
	s_sub_i32 s3, s2, s3
	s_sub_i32 s8, s3, s52
	s_cmp_ge_u32 s3, s52
	s_cselect_b32 s3, s8, s3
	s_sub_i32 s8, s3, s52
	s_cmp_ge_u32 s3, s52
	s_cselect_b32 s3, s8, s3
	s_sub_i32 s47, s2, s3
	v_cmp_gt_u32_e32 vcc, s47, v0
	s_mov_b64 s[2:3], 0
                                        ; implicit-def: $vgpr46
	s_and_saveexec_b64 s[18:19], vcc
	s_cbranch_execz .LBB111_333
; %bb.325:                              ;   in Loop: Header=BB111_6 Depth=1
	v_mov_b32_e32 v3, v25
	v_mov_b32_e32 v4, v0
                                        ; implicit-def: $sgpr28_sgpr29
	s_branch .LBB111_328
.LBB111_326:                            ;   in Loop: Header=BB111_328 Depth=2
	s_or_b64 exec, exec, s[44:45]
	s_waitcnt lgkmcnt(0)
	s_barrier
	ds_read_b32 v8, v9 offset:3072
	s_mov_b64 s[24:25], -1
	s_mov_b64 s[8:9], -1
	s_waitcnt lgkmcnt(0)
	s_barrier
	v_and_b32_e32 v12, 0x7fff, v8
	v_cmp_ne_u32_e32 vcc, 0, v12
	s_cbranch_vccz .LBB111_331
.LBB111_327:                            ;   in Loop: Header=BB111_328 Depth=2
	s_and_b64 s[24:25], exec, s[24:25]
	s_or_b64 s[12:13], s[24:25], s[12:13]
	s_andn2_b64 s[24:25], s[28:29], exec
	s_and_b64 s[8:9], s[8:9], exec
	s_or_b64 s[28:29], s[24:25], s[8:9]
	s_andn2_b64 exec, exec, s[12:13]
	s_cbranch_execz .LBB111_332
.LBB111_328:                            ;   Parent Loop BB111_6 Depth=1
                                        ; =>  This Inner Loop Header: Depth=2
	v_cmp_gt_u32_e32 vcc, s46, v4
	s_and_saveexec_b64 s[44:45], vcc
	s_cbranch_execz .LBB111_326
; %bb.329:                              ;   in Loop: Header=BB111_328 Depth=2
	ds_read_u16 v8, v3
	s_waitcnt lgkmcnt(0)
	v_cmp_lt_i16_e32 vcc, -1, v8
	v_cndmask_b32_e32 v12, v41, v42, vcc
	v_lshlrev_b32_e32 v13, 16, v8
	v_cmp_o_f32_e32 vcc, v13, v13
	v_xor_b32_sdwa v12, v12, v8 dst_sel:DWORD dst_unused:UNUSED_PAD src0_sel:DWORD src1_sel:WORD_0
	v_cndmask_b32_e32 v12, v41, v12, vcc
	v_and_b32_e32 v12, v12, v45
	v_cmp_eq_u32_e32 vcc, v12, v37
	s_and_b64 exec, exec, vcc
	s_cbranch_execz .LBB111_326
; %bb.330:                              ;   in Loop: Header=BB111_328 Depth=2
	s_movk_i32 s8, 0x3f80
	v_perm_b32 v8, v8, s8, v44
	ds_write_b32 v9, v8 offset:3072
	s_branch .LBB111_326
.LBB111_331:                            ;   in Loop: Header=BB111_328 Depth=2
	v_add_u32_e32 v4, s52, v4
	v_cmp_le_u32_e32 vcc, s47, v4
	v_add_u32_e32 v3, s4, v3
	s_mov_b64 s[8:9], 0
	s_orn2_b64 s[24:25], vcc, exec
	s_branch .LBB111_327
.LBB111_332:                            ;   in Loop: Header=BB111_6 Depth=1
	s_or_b64 exec, exec, s[12:13]
	v_lshrrev_b32_e32 v46, 16, v8
	s_and_b64 s[12:13], s[28:29], exec
.LBB111_333:                            ;   in Loop: Header=BB111_6 Depth=1
	s_or_b64 exec, exec, s[18:19]
.LBB111_334:                            ;   in Loop: Header=BB111_6 Depth=1
	s_and_b64 vcc, exec, s[2:3]
	s_cbranch_vccz .LBB111_345
; %bb.335:                              ;   in Loop: Header=BB111_6 Depth=1
                                        ; implicit-def: $vgpr46
	s_mov_b64 s[2:3], exec
	v_readlane_b32 s8, v52, 53
	v_readlane_b32 s9, v52, 54
	s_and_b64 s[8:9], s[2:3], s[8:9]
	s_mov_b64 exec, s[8:9]
	s_cbranch_execz .LBB111_344
; %bb.336:                              ;   in Loop: Header=BB111_6 Depth=1
	s_mov_b64 s[18:19], 0
	v_mov_b32_e32 v8, v7
	v_mov_b32_e32 v3, v0
                                        ; implicit-def: $sgpr28_sgpr29
	s_branch .LBB111_339
.LBB111_337:                            ;   in Loop: Header=BB111_339 Depth=2
	s_or_b64 exec, exec, s[40:41]
	s_waitcnt lgkmcnt(0)
	s_barrier
	ds_read_b32 v4, v9 offset:3072
	s_mov_b64 s[24:25], -1
	s_mov_b64 s[8:9], -1
	s_waitcnt lgkmcnt(0)
	s_barrier
	v_and_b32_e32 v12, 0x7fff, v4
	v_cmp_eq_u32_e32 vcc, 0, v12
	s_cbranch_vccnz .LBB111_342
.LBB111_338:                            ;   in Loop: Header=BB111_339 Depth=2
	s_and_b64 s[24:25], exec, s[24:25]
	s_or_b64 s[18:19], s[24:25], s[18:19]
	s_andn2_b64 s[24:25], s[28:29], exec
	s_and_b64 s[8:9], s[8:9], exec
	s_or_b64 s[28:29], s[24:25], s[8:9]
	s_andn2_b64 exec, exec, s[18:19]
	s_cbranch_execz .LBB111_343
.LBB111_339:                            ;   Parent Loop BB111_6 Depth=1
                                        ; =>  This Inner Loop Header: Depth=2
	v_cmp_gt_u32_e32 vcc, s36, v3
	s_and_saveexec_b64 s[40:41], vcc
	s_cbranch_execz .LBB111_337
; %bb.340:                              ;   in Loop: Header=BB111_339 Depth=2
	v_lshlrev_b64 v[12:13], 1, v[8:9]
	v_mov_b32_e32 v4, s48
	v_add_co_u32_e32 v12, vcc, s33, v12
	v_addc_co_u32_e32 v13, vcc, v4, v13, vcc
	global_load_ushort v4, v[12:13], off
	s_waitcnt vmcnt(0)
	v_cmp_lt_i16_e32 vcc, -1, v4
	v_cndmask_b32_e32 v12, v41, v42, vcc
	v_lshlrev_b32_e32 v13, 16, v4
	v_xor_b32_sdwa v12, v12, v4 dst_sel:DWORD dst_unused:UNUSED_PAD src0_sel:DWORD src1_sel:WORD_0
	v_cmp_o_f32_e32 vcc, v13, v13
	v_cndmask_b32_e32 v12, v41, v12, vcc
	v_and_b32_e32 v12, v12, v45
	v_cmp_eq_u32_e32 vcc, v12, v37
	s_and_b64 exec, exec, vcc
	s_cbranch_execz .LBB111_337
; %bb.341:                              ;   in Loop: Header=BB111_339 Depth=2
	s_movk_i32 s8, 0x3f80
	v_perm_b32 v4, v4, s8, v44
	ds_write_b32 v9, v4 offset:3072
	s_branch .LBB111_337
.LBB111_342:                            ;   in Loop: Header=BB111_339 Depth=2
	v_add_u32_e32 v3, s52, v3
	v_cmp_le_u32_e32 vcc, s22, v3
	v_add_u32_e32 v8, s54, v8
	s_mov_b64 s[8:9], 0
	s_orn2_b64 s[24:25], vcc, exec
	s_branch .LBB111_338
.LBB111_343:                            ;   in Loop: Header=BB111_6 Depth=1
	s_or_b64 exec, exec, s[18:19]
	s_andn2_b64 s[8:9], s[12:13], exec
	s_and_b64 s[12:13], s[28:29], exec
	v_lshrrev_b32_e32 v46, 16, v4
	s_or_b64 s[12:13], s[8:9], s[12:13]
.LBB111_344:                            ;   in Loop: Header=BB111_6 Depth=1
	s_or_b64 exec, exec, s[2:3]
	s_mov_b64 s[40:41], 0
	s_mov_b64 s[42:43], -1
.LBB111_345:                            ;   in Loop: Header=BB111_6 Depth=1
	s_orn2_b64 s[2:3], s[12:13], exec
.LBB111_346:                            ;   in Loop: Header=BB111_6 Depth=1
	s_or_b64 exec, exec, s[16:17]
	s_mov_b64 s[12:13], 0
	s_and_saveexec_b64 s[44:45], s[2:3]
	s_cbranch_execz .LBB111_396
; %bb.347:                              ;   in Loop: Header=BB111_6 Depth=1
	s_xor_b64 s[8:9], s[14:15], -1
	v_mov_b32_e32 v3, 1
	v_mov_b32_e32 v1, 1
	s_and_saveexec_b64 s[2:3], s[8:9]
	s_cbranch_execz .LBB111_356
; %bb.348:                              ;   in Loop: Header=BB111_6 Depth=1
	v_cmp_ge_u32_e32 vcc, s5, v2
	s_and_saveexec_b64 s[8:9], vcc
	s_xor_b64 s[12:13], exec, s[8:9]
	s_cbranch_execz .LBB111_353
; %bb.349:                              ;   in Loop: Header=BB111_6 Depth=1
	v_and_b32_e32 v1, s51, v37
	v_lshl_or_b32 v37, 1, s38, v1
	ds_read_b32 v1, v9 offset:4096
	v_or_b32_e32 v45, s50, v45
	s_waitcnt lgkmcnt(0)
	v_cmp_ne_u32_e32 vcc, 0, v1
	s_cbranch_vccnz .LBB111_353
; %bb.350:                              ;   in Loop: Header=BB111_6 Depth=1
	s_mov_b64 s[8:9], exec
	v_readlane_b32 s14, v52, 14
	v_readlane_b32 s15, v52, 15
	s_and_b64 s[14:15], s[8:9], s[14:15]
	s_mov_b64 exec, s[14:15]
; %bb.351:                              ;   in Loop: Header=BB111_6 Depth=1
	v_mov_b32_e32 v1, s5
	ds_write_b32 v9, v1 offset:4100
; %bb.352:                              ;   in Loop: Header=BB111_6 Depth=1
	s_or_b64 exec, exec, s[8:9]
	s_waitcnt lgkmcnt(0)
	s_barrier
.LBB111_353:                            ;   in Loop: Header=BB111_6 Depth=1
	s_or_saveexec_b64 s[12:13], s[12:13]
	s_mov_b64 s[14:15], 0
	v_mov_b32_e32 v1, 5
	s_xor_b64 exec, exec, s[12:13]
; %bb.354:                              ;   in Loop: Header=BB111_6 Depth=1
	v_subrev_u32_e32 v2, s5, v2
	v_mov_b32_e32 v1, 0
	s_mov_b64 s[14:15], exec
; %bb.355:                              ;   in Loop: Header=BB111_6 Depth=1
	s_or_b64 exec, exec, s[12:13]
	s_and_b64 s[12:13], s[14:15], exec
	v_mov_b32_e32 v3, v2
.LBB111_356:                            ;   in Loop: Header=BB111_6 Depth=1
	s_or_b64 exec, exec, s[2:3]
	s_mov_b64 s[2:3], -1
                                        ; implicit-def: $sgpr16_sgpr17
                                        ; implicit-def: $sgpr14_sgpr15
	s_and_saveexec_b64 s[46:47], s[12:13]
	s_cbranch_execz .LBB111_395
; %bb.357:                              ;   in Loop: Header=BB111_6 Depth=1
	s_cmp_eq_u32 s39, 1
	s_cselect_b64 s[2:3], -1, 0
	v_cmp_eq_u32_e32 vcc, 1, v3
	s_mov_b64 s[12:13], -1
	s_and_b64 s[2:3], s[2:3], vcc
                                        ; implicit-def: $sgpr16_sgpr17
                                        ; implicit-def: $sgpr14_sgpr15
	s_mov_b64 s[28:29], exec
	v_writelane_b32 v52, s2, 55
	v_writelane_b32 v52, s3, 56
	s_and_b64 s[2:3], s[28:29], s[2:3]
	s_mov_b64 exec, s[2:3]
	s_cbranch_execz .LBB111_383
; %bb.358:                              ;   in Loop: Header=BB111_6 Depth=1
	ds_read_b32 v2, v9 offset:4096
	s_waitcnt lgkmcnt(0)
	s_barrier
	v_readfirstlane_b32 s5, v2
	s_mov_b64 s[2:3], exec
	v_readlane_b32 s8, v52, 29
	v_readlane_b32 s9, v52, 30
	s_and_b64 s[8:9], s[2:3], s[8:9]
	s_mov_b64 exec, s[8:9]
; %bb.359:                              ;   in Loop: Header=BB111_6 Depth=1
	ds_write_b16 v26, v9
; %bb.360:                              ;   in Loop: Header=BB111_6 Depth=1
	s_or_b64 exec, exec, s[2:3]
	v_and_b32_e32 v37, s51, v37
	v_or_b32_e32 v45, s50, v45
	s_mov_b64 s[14:15], -1
	s_mov_b64 s[16:17], 0
	s_cmp_eq_u32 s5, 0
	s_mov_b64 s[12:13], 0
	s_mov_b64 s[2:3], -1
	s_waitcnt lgkmcnt(0)
	s_barrier
                                        ; implicit-def: $vgpr46
	s_cbranch_scc1 .LBB111_371
; %bb.361:                              ;   in Loop: Header=BB111_6 Depth=1
	v_readlane_b32 s2, v52, 31
	s_add_i32 s2, s5, s2
	v_readlane_b32 s3, v52, 52
	s_mul_hi_u32 s3, s2, s3
	s_mul_i32 s3, s3, s52
	s_sub_i32 s3, s2, s3
	s_sub_i32 s8, s3, s52
	s_cmp_ge_u32 s3, s52
	s_cselect_b32 s3, s8, s3
	s_sub_i32 s8, s3, s52
	s_cmp_ge_u32 s3, s52
	s_cselect_b32 s3, s8, s3
	s_sub_i32 s18, s2, s3
	v_cmp_gt_u32_e32 vcc, s18, v0
	s_mov_b64 s[2:3], 0
                                        ; implicit-def: $vgpr46
	s_and_saveexec_b64 s[56:57], vcc
	s_cbranch_execz .LBB111_370
; %bb.362:                              ;   in Loop: Header=BB111_6 Depth=1
	v_mov_b32_e32 v2, v25
	v_mov_b32_e32 v4, v0
                                        ; implicit-def: $sgpr58_sgpr59
	s_branch .LBB111_365
.LBB111_363:                            ;   in Loop: Header=BB111_365 Depth=2
	s_or_b64 exec, exec, s[60:61]
	s_waitcnt lgkmcnt(0)
	s_barrier
	ds_read_b32 v8, v9 offset:3072
	s_mov_b64 s[24:25], -1
	s_mov_b64 s[8:9], -1
	s_waitcnt lgkmcnt(0)
	s_barrier
	v_and_b32_e32 v12, 0x7fff, v8
	v_cmp_ne_u32_e32 vcc, 0, v12
	s_cbranch_vccz .LBB111_368
.LBB111_364:                            ;   in Loop: Header=BB111_365 Depth=2
	s_and_b64 s[24:25], exec, s[24:25]
	s_or_b64 s[12:13], s[24:25], s[12:13]
	s_andn2_b64 s[24:25], s[58:59], exec
	s_and_b64 s[8:9], s[8:9], exec
	s_or_b64 s[58:59], s[24:25], s[8:9]
	s_andn2_b64 exec, exec, s[12:13]
	s_cbranch_execz .LBB111_369
.LBB111_365:                            ;   Parent Loop BB111_6 Depth=1
                                        ; =>  This Inner Loop Header: Depth=2
	v_cmp_gt_u32_e32 vcc, s5, v4
	s_and_saveexec_b64 s[60:61], vcc
	s_cbranch_execz .LBB111_363
; %bb.366:                              ;   in Loop: Header=BB111_365 Depth=2
	ds_read_u16 v8, v2
	s_waitcnt lgkmcnt(0)
	v_cmp_lt_i16_e32 vcc, -1, v8
	v_cndmask_b32_e32 v12, v41, v42, vcc
	v_lshlrev_b32_e32 v13, 16, v8
	v_cmp_o_f32_e32 vcc, v13, v13
	v_xor_b32_sdwa v12, v12, v8 dst_sel:DWORD dst_unused:UNUSED_PAD src0_sel:DWORD src1_sel:WORD_0
	v_cndmask_b32_e32 v12, v41, v12, vcc
	v_and_b32_e32 v12, v12, v45
	v_cmp_eq_u32_e32 vcc, v12, v37
	s_and_b64 exec, exec, vcc
	s_cbranch_execz .LBB111_363
; %bb.367:                              ;   in Loop: Header=BB111_365 Depth=2
	s_movk_i32 s8, 0x3f80
	v_perm_b32 v8, v8, s8, v44
	ds_write_b32 v9, v8 offset:3072
	s_branch .LBB111_363
.LBB111_368:                            ;   in Loop: Header=BB111_365 Depth=2
	v_add_u32_e32 v4, s52, v4
	v_cmp_le_u32_e32 vcc, s18, v4
	v_add_u32_e32 v2, s4, v2
	s_mov_b64 s[8:9], 0
	s_orn2_b64 s[24:25], vcc, exec
	s_branch .LBB111_364
.LBB111_369:                            ;   in Loop: Header=BB111_6 Depth=1
	s_or_b64 exec, exec, s[12:13]
	v_lshrrev_b32_e32 v46, 16, v8
	s_and_b64 s[12:13], s[58:59], exec
.LBB111_370:                            ;   in Loop: Header=BB111_6 Depth=1
	s_or_b64 exec, exec, s[56:57]
.LBB111_371:                            ;   in Loop: Header=BB111_6 Depth=1
	s_and_b64 vcc, exec, s[2:3]
	s_cbranch_vccz .LBB111_382
; %bb.372:                              ;   in Loop: Header=BB111_6 Depth=1
                                        ; implicit-def: $vgpr46
	s_mov_b64 s[2:3], exec
	v_readlane_b32 s8, v52, 53
	v_readlane_b32 s9, v52, 54
	s_and_b64 s[8:9], s[2:3], s[8:9]
	s_mov_b64 exec, s[8:9]
	s_cbranch_execz .LBB111_381
; %bb.373:                              ;   in Loop: Header=BB111_6 Depth=1
	s_mov_b64 s[14:15], 0
	v_mov_b32_e32 v8, v7
	v_mov_b32_e32 v2, v0
                                        ; implicit-def: $sgpr16_sgpr17
	s_branch .LBB111_376
.LBB111_374:                            ;   in Loop: Header=BB111_376 Depth=2
	s_or_b64 exec, exec, s[56:57]
	s_waitcnt lgkmcnt(0)
	s_barrier
	ds_read_b32 v4, v9 offset:3072
	s_mov_b64 s[24:25], -1
	s_mov_b64 s[8:9], -1
	s_waitcnt lgkmcnt(0)
	s_barrier
	v_and_b32_e32 v12, 0x7fff, v4
	v_cmp_eq_u32_e32 vcc, 0, v12
	s_cbranch_vccnz .LBB111_379
.LBB111_375:                            ;   in Loop: Header=BB111_376 Depth=2
	s_and_b64 s[18:19], exec, s[24:25]
	s_or_b64 s[14:15], s[18:19], s[14:15]
	s_andn2_b64 s[16:17], s[16:17], exec
	s_and_b64 s[8:9], s[8:9], exec
	s_or_b64 s[16:17], s[16:17], s[8:9]
	s_andn2_b64 exec, exec, s[14:15]
	s_cbranch_execz .LBB111_380
.LBB111_376:                            ;   Parent Loop BB111_6 Depth=1
                                        ; =>  This Inner Loop Header: Depth=2
	v_cmp_gt_u32_e32 vcc, s36, v2
	s_and_saveexec_b64 s[56:57], vcc
	s_cbranch_execz .LBB111_374
; %bb.377:                              ;   in Loop: Header=BB111_376 Depth=2
	v_lshlrev_b64 v[12:13], 1, v[8:9]
	v_mov_b32_e32 v4, s48
	v_add_co_u32_e32 v12, vcc, s33, v12
	v_addc_co_u32_e32 v13, vcc, v4, v13, vcc
	global_load_ushort v4, v[12:13], off
	s_waitcnt vmcnt(0)
	v_cmp_lt_i16_e32 vcc, -1, v4
	v_cndmask_b32_e32 v12, v41, v42, vcc
	v_lshlrev_b32_e32 v13, 16, v4
	v_xor_b32_sdwa v12, v12, v4 dst_sel:DWORD dst_unused:UNUSED_PAD src0_sel:DWORD src1_sel:WORD_0
	v_cmp_o_f32_e32 vcc, v13, v13
	v_cndmask_b32_e32 v12, v41, v12, vcc
	v_and_b32_e32 v12, v12, v45
	v_cmp_eq_u32_e32 vcc, v12, v37
	s_and_b64 exec, exec, vcc
	s_cbranch_execz .LBB111_374
; %bb.378:                              ;   in Loop: Header=BB111_376 Depth=2
	s_movk_i32 s5, 0x3f80
	v_perm_b32 v4, v4, s5, v44
	ds_write_b32 v9, v4 offset:3072
	s_branch .LBB111_374
.LBB111_379:                            ;   in Loop: Header=BB111_376 Depth=2
	v_add_u32_e32 v2, s52, v2
	v_cmp_le_u32_e32 vcc, s22, v2
	v_add_u32_e32 v8, s54, v8
	s_mov_b64 s[8:9], 0
	s_orn2_b64 s[24:25], vcc, exec
	s_branch .LBB111_375
.LBB111_380:                            ;   in Loop: Header=BB111_6 Depth=1
	s_or_b64 exec, exec, s[14:15]
	s_andn2_b64 s[8:9], s[12:13], exec
	s_and_b64 s[12:13], s[16:17], exec
	v_lshrrev_b32_e32 v46, 16, v4
	s_or_b64 s[12:13], s[8:9], s[12:13]
.LBB111_381:                            ;   in Loop: Header=BB111_6 Depth=1
	s_or_b64 exec, exec, s[2:3]
	s_mov_b64 s[14:15], 0
	s_mov_b64 s[16:17], -1
.LBB111_382:                            ;   in Loop: Header=BB111_6 Depth=1
	s_orn2_b64 s[12:13], s[12:13], exec
.LBB111_383:                            ;   in Loop: Header=BB111_6 Depth=1
	s_or_b64 exec, exec, s[28:29]
	s_mov_b64 s[24:25], 0
	s_and_saveexec_b64 s[2:3], s[12:13]
	s_cbranch_execz .LBB111_394
; %bb.384:                              ;   in Loop: Header=BB111_6 Depth=1
	v_readlane_b32 s8, v52, 55
	v_readlane_b32 s9, v52, 56
	s_xor_b64 s[8:9], s[8:9], -1
	v_mov_b32_e32 v1, 1
	v_mov_b32_e32 v2, 1
	s_and_saveexec_b64 s[12:13], s[8:9]
	s_cbranch_execz .LBB111_393
; %bb.385:                              ;   in Loop: Header=BB111_6 Depth=1
	v_cmp_ge_u32_e32 vcc, s39, v3
	s_and_saveexec_b64 s[8:9], vcc
	s_xor_b64 s[18:19], exec, s[8:9]
	s_cbranch_execz .LBB111_390
; %bb.386:                              ;   in Loop: Header=BB111_6 Depth=1
	ds_read_b32 v1, v9 offset:4096
	v_and_b32_e32 v37, s51, v37
	v_or_b32_e32 v45, s50, v45
	s_waitcnt lgkmcnt(0)
	v_cmp_ne_u32_e32 vcc, 0, v1
	s_cbranch_vccnz .LBB111_390
; %bb.387:                              ;   in Loop: Header=BB111_6 Depth=1
	s_mov_b64 s[8:9], exec
	v_readlane_b32 s24, v52, 14
	v_readlane_b32 s25, v52, 15
	s_and_b64 s[24:25], s[8:9], s[24:25]
	s_mov_b64 exec, s[24:25]
; %bb.388:                              ;   in Loop: Header=BB111_6 Depth=1
	v_mov_b32_e32 v1, s39
	ds_write_b32 v9, v1 offset:4100
; %bb.389:                              ;   in Loop: Header=BB111_6 Depth=1
	s_or_b64 exec, exec, s[8:9]
	s_waitcnt lgkmcnt(0)
	s_barrier
.LBB111_390:                            ;   in Loop: Header=BB111_6 Depth=1
	s_andn2_saveexec_b64 s[18:19], s[18:19]
; %bb.391:                              ;   in Loop: Header=BB111_6 Depth=1
	v_subrev_u32_e32 v3, s39, v3
; %bb.392:                              ;   in Loop: Header=BB111_6 Depth=1
	s_or_b64 exec, exec, s[18:19]
	v_mov_b32_e32 v1, 5
	v_mov_b32_e32 v2, v3
.LBB111_393:                            ;   in Loop: Header=BB111_6 Depth=1
	s_or_b64 exec, exec, s[12:13]
	s_mov_b64 s[24:25], exec
	v_mov_b32_e32 v3, v2
.LBB111_394:                            ;   in Loop: Header=BB111_6 Depth=1
	s_or_b64 exec, exec, s[2:3]
	s_orn2_b64 s[2:3], s[24:25], exec
.LBB111_395:                            ;   in Loop: Header=BB111_6 Depth=1
	s_or_b64 exec, exec, s[46:47]
	s_andn2_b64 s[8:9], s[42:43], exec
	s_and_b64 s[12:13], s[16:17], exec
	s_or_b64 s[42:43], s[8:9], s[12:13]
	s_andn2_b64 s[8:9], s[40:41], exec
	s_and_b64 s[12:13], s[14:15], exec
	s_or_b64 s[40:41], s[8:9], s[12:13]
	s_and_b64 s[12:13], s[2:3], exec
	v_mov_b32_e32 v2, v3
.LBB111_396:                            ;   in Loop: Header=BB111_6 Depth=1
	s_or_b64 exec, exec, s[44:45]
	s_orn2_b64 s[2:3], s[12:13], exec
.LBB111_397:                            ;   in Loop: Header=BB111_6 Depth=1
	s_or_b64 exec, exec, s[94:95]
	s_andn2_b64 s[8:9], s[90:91], exec
	s_and_b64 s[12:13], s[42:43], exec
	s_or_b64 s[90:91], s[8:9], s[12:13]
	s_andn2_b64 s[8:9], s[88:89], exec
	s_and_b64 s[12:13], s[40:41], exec
	s_or_b64 s[88:89], s[8:9], s[12:13]
	s_and_b64 s[12:13], s[2:3], exec
	v_mov_b32_e32 v4, v2
.LBB111_398:                            ;   in Loop: Header=BB111_6 Depth=1
	s_or_b64 exec, exec, s[92:93]
	s_orn2_b64 s[2:3], s[12:13], exec
.LBB111_399:                            ;   in Loop: Header=BB111_6 Depth=1
	s_or_b64 exec, exec, s[6:7]
	s_mov_b64 s[6:7], s[84:85]
	s_mov_b64 s[12:13], s[34:35]
	s_and_saveexec_b64 s[14:15], s[2:3]
; %bb.400:                              ;   in Loop: Header=BB111_6 Depth=1
	v_cmp_ne_u32_e64 s[6:7], 5, v1
	v_cmp_eq_u32_e32 vcc, 5, v1
	s_andn2_b64 s[2:3], s[34:35], exec
	s_and_b64 s[6:7], s[6:7], exec
	s_or_b64 s[12:13], s[2:3], s[6:7]
	s_andn2_b64 s[2:3], s[84:85], exec
	s_and_b64 s[6:7], vcc, exec
	s_or_b64 s[6:7], s[2:3], s[6:7]
; %bb.401:                              ;   in Loop: Header=BB111_6 Depth=1
	s_or_b64 exec, exec, s[14:15]
	s_andn2_b64 s[2:3], s[26:27], exec
	s_and_b64 s[8:9], s[90:91], exec
	s_or_b64 s[26:27], s[2:3], s[8:9]
	s_andn2_b64 s[2:3], s[30:31], exec
	s_and_b64 s[8:9], s[88:89], exec
	s_or_b64 s[30:31], s[2:3], s[8:9]
	;; [unrolled: 3-line block ×4, first 2 shown]
.LBB111_402:                            ;   in Loop: Header=BB111_6 Depth=1
	s_or_b64 exec, exec, s[86:87]
	s_mov_b64 s[86:87], 0
	s_mov_b64 s[88:89], 0
	s_and_saveexec_b64 s[2:3], s[84:85]
.LBB111_403:                            ;   in Loop: Header=BB111_6 Depth=1
	v_mov_b32_e32 v1, 0
	s_or_b64 s[34:35], s[34:35], exec
.LBB111_404:                            ;   in Loop: Header=BB111_6 Depth=1
	s_or_b64 exec, exec, s[2:3]
	s_andn2_b64 s[2:3], s[80:81], exec
	s_and_b64 s[8:9], s[26:27], exec
	s_or_b64 s[80:81], s[2:3], s[8:9]
	s_andn2_b64 s[2:3], s[78:79], exec
	s_and_b64 s[8:9], s[30:31], exec
	s_or_b64 s[78:79], s[2:3], s[8:9]
	;; [unrolled: 3-line block ×3, first 2 shown]
	s_andn2_b64 s[2:3], s[74:75], exec
	s_and_b64 s[8:9], s[86:87], exec
	s_mov_b64 s[6:7], -1
	s_andn2_b64 s[82:83], s[82:83], exec
	s_or_b64 s[74:75], s[2:3], s[8:9]
	v_mov_b32_e32 v47, v4
	s_and_saveexec_b64 s[2:3], s[34:35]
	s_xor_b64 s[2:3], exec, s[2:3]
	s_cbranch_execz .LBB111_5
; %bb.405:                              ;   in Loop: Header=BB111_6 Depth=1
	v_cmp_eq_u32_e32 vcc, 0, v1
	s_mov_b64 s[12:13], -1
	s_and_saveexec_b64 s[14:15], vcc
	s_cbranch_execz .LBB111_4
; %bb.406:                              ;   in Loop: Header=BB111_6 Depth=1
	s_xor_b32 s49, s49, 1
	s_add_i32 s5, s38, -2
	s_cmp_eq_u32 s38, 0
	s_cselect_b64 s[6:7], -1, 0
	s_xor_b64 s[12:13], exec, -1
	s_orn2_b64 s[6:7], s[6:7], exec
	s_mov_b32 s38, s5
	s_branch .LBB111_4
.LBB111_407:
	s_or_b64 exec, exec, s[62:63]
	s_xor_b64 s[6:7], s[72:73], -1
	s_xor_b64 s[18:19], s[70:71], -1
	;; [unrolled: 1-line block ×5, first 2 shown]
	s_mov_b64 s[12:13], 0
	s_and_saveexec_b64 s[10:11], s[4:5]
	s_xor_b64 s[10:11], exec, s[10:11]
	s_cbranch_execnz .LBB111_412
; %bb.408:
	s_andn2_saveexec_b64 s[0:1], s[10:11]
	s_cbranch_execnz .LBB111_431
.LBB111_409:
	s_or_b64 exec, exec, s[0:1]
	s_and_saveexec_b64 s[0:1], s[12:13]
.LBB111_410:
	; divergent unreachable
.LBB111_411:
	s_endpgm
.LBB111_412:
	s_mov_b64 s[14:15], 0
	s_and_saveexec_b64 s[4:5], s[8:9]
	s_xor_b64 s[12:13], exec, s[4:5]
	s_cbranch_execz .LBB111_429
; %bb.413:
	s_mov_b64 s[16:17], 0
	s_and_saveexec_b64 s[4:5], s[18:19]
	s_xor_b64 s[14:15], exec, s[4:5]
	s_cbranch_execz .LBB111_427
; %bb.414:
	;; [unrolled: 5-line block ×3, first 2 shown]
	s_and_saveexec_b64 s[4:5], s[2:3]
	s_xor_b64 s[2:3], exec, s[4:5]
; %bb.416:
	v_and_b32_e32 v1, 0x8000, v37
	v_mov_b32_e32 v2, 0x8000
	v_mov_b32_e32 v3, 0xffff
	v_cmp_eq_u32_e32 vcc, 0, v1
	v_cndmask_b32_e32 v1, v2, v3, vcc
	v_xor_b32_e32 v46, v1, v37
; %bb.417:
	s_or_b64 exec, exec, s[2:3]
	s_mov_b64 s[2:3], exec
	v_readlane_b32 s4, v52, 14
	v_readlane_b32 s5, v52, 15
	;; [unrolled: 1-line block ×3, first 2 shown]
	s_and_b64 s[4:5], s[2:3], s[4:5]
	v_readlane_b32 s43, v52, 18
	v_readlane_b32 s6, v52, 16
	s_mov_b64 exec, s[4:5]
; %bb.418:
	v_mov_b32_e32 v1, 0
	ds_write_b32 v1, v1 offset:4108
; %bb.419:
	s_or_b64 exec, exec, s[2:3]
	v_mov_b32_e32 v4, 0
	s_waitcnt lgkmcnt(0)
	s_barrier
	s_mov_b64 s[2:3], exec
	v_readlane_b32 s4, v52, 25
	v_readlane_b32 s5, v52, 26
	s_and_b64 s[4:5], s[2:3], s[4:5]
	s_mov_b64 exec, s[4:5]
	s_cbranch_execz .LBB111_421
; %bb.420:
	global_load_ushort v4, v[5:6], off
.LBB111_421:
	s_or_b64 exec, exec, s[2:3]
	v_readlane_b32 s5, v52, 10
	v_readlane_b32 s7, v52, 11
	s_mul_i32 s2, s7, s5
	s_add_i32 s30, s36, 63
	s_sub_i32 s2, s6, s2
	s_andn2_b32 s30, s30, 63
	s_add_i32 s3, s7, 1
	s_sub_i32 s4, s2, s5
	s_cmp_ge_u32 s2, s5
	s_cselect_b32 s3, s3, s7
	s_cselect_b32 s2, s4, s2
	s_add_i32 s4, s3, 1
	s_cmp_ge_u32 s2, s5
	s_cselect_b32 s2, s4, s3
	s_mul_i32 s3, s2, s5
	v_readlane_b32 s4, v52, 4
	s_sub_i32 s3, s6, s3
	v_readlane_b32 s5, v52, 5
	s_mul_i32 s3, s3, s5
	s_mul_i32 s2, s2, s4
	v_readlane_b32 s7, v52, 12
	v_readlane_b32 s8, v52, 13
	s_add_i32 s2, s2, s3
	s_mul_i32 s3, s8, s7
	s_sub_i32 s3, s6, s3
	s_add_i32 s4, s8, 1
	s_sub_i32 s5, s3, s7
	s_cmp_ge_u32 s3, s7
	s_cselect_b32 s4, s4, s8
	s_cselect_b32 s3, s5, s3
	s_add_i32 s5, s4, 1
	s_cmp_ge_u32 s3, s7
	s_cselect_b32 s3, s5, s4
	s_mul_i32 s4, s3, s7
	s_sub_i32 s4, s6, s4
	v_readlane_b32 s6, v52, 0
	v_readlane_b32 s7, v52, 1
	s_mul_i32 s4, s4, s7
	s_mul_i32 s3, s3, s6
	s_add_i32 s4, s3, s4
	s_mov_b32 s3, 0
	s_lshl_b64 s[6:7], s[2:3], 1
	v_readlane_b32 s8, v52, 8
	v_readlane_b32 s9, v52, 9
	s_add_u32 s31, s8, s6
	s_mov_b32 s5, s3
	s_addc_u32 s34, s9, s7
	s_lshl_b64 s[2:3], s[4:5], 3
	v_readlane_b32 s4, v52, 2
	v_readlane_b32 s5, v52, 3
	s_add_u32 s35, s4, s2
	s_addc_u32 s38, s5, s3
	v_readlane_b32 s2, v52, 6
	v_readlane_b32 s3, v52, 7
	s_load_dword s39, s[2:3], 0x1c8
	s_load_dword s40, s[2:3], 0x2a8
	v_mov_b32_e32 v8, 0xffff
	v_mov_b32_e32 v9, 0x8000
	v_cmp_lt_i16_e32 vcc, -1, v46
	v_cndmask_b32_e32 v1, v8, v9, vcc
	v_lshlrev_b32_e32 v2, 16, v46
	v_xor_b32_sdwa v1, v1, v46 dst_sel:DWORD dst_unused:UNUSED_PAD src0_sel:DWORD src1_sel:WORD_0
	v_cmp_o_f32_e32 vcc, v2, v2
	v_cndmask_b32_e32 v7, v8, v1, vcc
	v_cmp_gt_u32_e32 vcc, s30, v0
	s_mov_b64 s[2:3], -1
	s_mov_b64 s[8:9], 0
	s_mov_b64 s[4:5], 0
	s_and_saveexec_b64 s[18:19], vcc
	s_cbranch_execnz .LBB111_432
; %bb.422:
	s_or_b64 exec, exec, s[18:19]
	s_and_saveexec_b64 s[6:7], s[2:3]
	s_cbranch_execnz .LBB111_449
.LBB111_423:
	s_or_b64 exec, exec, s[6:7]
	s_and_saveexec_b64 s[0:1], s[4:5]
	s_xor_b64 s[0:1], exec, s[0:1]
	s_cbranch_execnz .LBB111_474
.LBB111_424:
	s_or_b64 exec, exec, s[0:1]
	s_and_b64 s[18:19], s[8:9], exec
.LBB111_425:
	s_andn2_saveexec_b64 s[0:1], s[16:17]
	s_cbranch_execnz .LBB111_476
.LBB111_426:
	s_or_b64 exec, exec, s[0:1]
	s_and_b64 s[16:17], s[18:19], exec
.LBB111_427:
	s_andn2_saveexec_b64 s[0:1], s[14:15]
	s_cbranch_execnz .LBB111_475
.LBB111_428:
	s_or_b64 exec, exec, s[0:1]
	s_and_b64 s[14:15], s[16:17], exec
.LBB111_429:
	s_andn2_saveexec_b64 s[0:1], s[12:13]
	s_cbranch_execnz .LBB111_470
.LBB111_430:
	s_or_b64 exec, exec, s[0:1]
	s_and_b64 s[12:13], s[14:15], exec
	s_andn2_saveexec_b64 s[0:1], s[10:11]
	s_cbranch_execz .LBB111_409
.LBB111_431:
	s_or_b64 s[12:13], s[12:13], exec
	s_trap 2
	s_or_b64 exec, exec, s[0:1]
	s_and_saveexec_b64 s[0:1], s[12:13]
	s_cbranch_execnz .LBB111_410
	s_branch .LBB111_411
.LBB111_432:
	v_add_u32_e32 v1, s52, v0
	v_mul_lo_u32 v1, s53, v1
	s_mov_b64 s[20:21], 0
	v_mov_b32_e32 v2, 0
	v_mov_b32_e32 v3, v0
                                        ; implicit-def: $sgpr22_sgpr23
                                        ; implicit-def: $vgpr11
	s_branch .LBB111_434
.LBB111_433:                            ;   in Loop: Header=BB111_434 Depth=1
	s_or_b64 exec, exec, s[24:25]
	s_xor_b64 s[4:5], s[6:7], -1
	s_and_b64 s[2:3], exec, s[2:3]
	s_or_b64 s[20:21], s[2:3], s[20:21]
	s_andn2_b64 s[2:3], s[22:23], exec
	s_and_b64 s[4:5], s[4:5], exec
	s_or_b64 s[22:23], s[2:3], s[4:5]
	v_mov_b32_e32 v3, v10
	s_waitcnt vmcnt(0)
	v_mov_b32_e32 v4, v12
	s_andn2_b64 exec, exec, s[20:21]
	s_cbranch_execz .LBB111_448
.LBB111_434:                            ; =>This Inner Loop Header: Depth=1
	v_add_u32_e32 v10, s52, v3
	v_cmp_gt_u32_e64 s[4:5], s36, v10
	v_mov_b32_e32 v12, 0
	s_and_saveexec_b64 s[2:3], s[4:5]
	s_cbranch_execz .LBB111_436
; %bb.435:                              ;   in Loop: Header=BB111_434 Depth=1
	v_lshlrev_b64 v[12:13], 1, v[1:2]
	v_mov_b32_e32 v14, s48
	v_add_co_u32_e64 v12, s[4:5], s33, v12
	v_addc_co_u32_e64 v13, s[4:5], v14, v13, s[4:5]
	global_load_ushort v12, v[12:13], off
.LBB111_436:                            ;   in Loop: Header=BB111_434 Depth=1
	s_or_b64 exec, exec, s[2:3]
	v_cmp_gt_u32_e64 s[4:5], s36, v3
	s_mov_b64 s[24:25], 0
	s_and_saveexec_b64 s[2:3], s[4:5]
	s_cbranch_execz .LBB111_438
; %bb.437:                              ;   in Loop: Header=BB111_434 Depth=1
	s_waitcnt vmcnt(0)
	v_cmp_lt_i16_e64 s[4:5], -1, v4
	v_cndmask_b32_e64 v13, v8, v9, s[4:5]
	v_lshlrev_b32_e32 v14, 16, v4
	v_xor_b32_sdwa v13, v13, v4 dst_sel:DWORD dst_unused:UNUSED_PAD src0_sel:DWORD src1_sel:WORD_0
	v_cmp_o_f32_e64 s[4:5], v14, v14
	v_cndmask_b32_e64 v13, v8, v13, s[4:5]
	v_cmp_gt_u32_e64 s[4:5], v13, v7
	v_cndmask_b32_e64 v14, 0, 1, s[4:5]
	v_cmp_lt_u32_e64 s[4:5], v13, v7
	v_cndmask_b32_e64 v13, 0, 1, s[4:5]
	v_cndmask_b32_e64 v13, v13, v14, s[42:43]
	v_and_b32_e32 v13, 1, v13
	v_cmp_eq_u32_e64 s[4:5], 1, v13
	s_and_b64 s[24:25], s[4:5], exec
.LBB111_438:                            ;   in Loop: Header=BB111_434 Depth=1
	s_or_b64 exec, exec, s[2:3]
	v_cndmask_b32_e64 v13, 0, 1, s[24:25]
	v_cmp_ne_u32_e64 s[4:5], 0, v13
	s_cmp_lg_u64 s[4:5], 0
	s_cselect_b64 s[2:3], -1, 0
	s_and_b64 s[6:7], s[0:1], s[2:3]
	s_and_saveexec_b64 s[2:3], s[6:7]
	s_cbranch_execz .LBB111_442
; %bb.439:                              ;   in Loop: Header=BB111_434 Depth=1
	s_mov_b64 s[28:29], exec
	s_waitcnt lgkmcnt(0)
	v_mbcnt_lo_u32_b32 v11, s28, 0
	v_mbcnt_hi_u32_b32 v11, s29, v11
	s_bcnt1_i32_b64 s41, s[4:5]
	v_cmp_eq_u32_e64 s[6:7], 0, v11
                                        ; implicit-def: $vgpr13
	s_and_saveexec_b64 s[26:27], s[6:7]
; %bb.440:                              ;   in Loop: Header=BB111_434 Depth=1
	s_bcnt1_i32_b64 s6, s[28:29]
	s_mul_i32 s6, s41, s6
	v_mov_b32_e32 v13, s6
	ds_add_rtn_u32 v13, v2, v13 offset:4108
; %bb.441:                              ;   in Loop: Header=BB111_434 Depth=1
	s_or_b64 exec, exec, s[26:27]
	s_waitcnt lgkmcnt(0)
	v_readfirstlane_b32 s6, v13
	v_mov_b32_e32 v13, s6
	v_mad_u32_u24 v11, s41, v11, v13
.LBB111_442:                            ;   in Loop: Header=BB111_434 Depth=1
	s_or_b64 exec, exec, s[2:3]
	s_waitcnt lgkmcnt(0)
	ds_bpermute_b32 v11, v20, v11
	s_mov_b64 s[2:3], -1
	s_mov_b64 s[26:27], -1
	s_and_saveexec_b64 s[6:7], s[24:25]
	s_cbranch_execz .LBB111_446
; %bb.443:                              ;   in Loop: Header=BB111_434 Depth=1
	v_and_b32_e32 v14, s4, v22
	v_and_b32_e32 v13, s5, v21
	v_bcnt_u32_b32 v14, v14, 0
	v_bcnt_u32_b32 v13, v13, v14
	s_waitcnt lgkmcnt(0)
	v_add_u32_e32 v13, v11, v13
	v_cmp_gt_u32_e64 s[4:5], s37, v13
	s_mov_b64 s[24:25], 0
	s_and_saveexec_b64 s[26:27], s[4:5]
	s_cbranch_execz .LBB111_445
; %bb.444:                              ;   in Loop: Header=BB111_434 Depth=1
	v_mul_lo_u32 v14, v13, s39
	v_mov_b32_e32 v15, v2
	v_mul_lo_u32 v13, v13, s40
	v_mov_b32_e32 v16, s34
	v_lshlrev_b64 v[14:15], 1, v[14:15]
	s_mov_b64 s[24:25], exec
	v_add_co_u32_e64 v14, s[4:5], s31, v14
	v_addc_co_u32_e64 v15, s[4:5], v16, v15, s[4:5]
	s_waitcnt vmcnt(0)
	global_store_short v[14:15], v4, off
	v_mov_b32_e32 v14, v2
	v_lshlrev_b64 v[13:14], 3, v[13:14]
	v_mov_b32_e32 v15, s38
	v_add_co_u32_e64 v13, s[4:5], s35, v13
	v_mov_b32_e32 v4, v2
	v_addc_co_u32_e64 v14, s[4:5], v15, v14, s[4:5]
	global_store_dwordx2 v[13:14], v[3:4], off
.LBB111_445:                            ;   in Loop: Header=BB111_434 Depth=1
	s_or_b64 exec, exec, s[26:27]
	s_orn2_b64 s[26:27], s[24:25], exec
.LBB111_446:                            ;   in Loop: Header=BB111_434 Depth=1
	s_or_b64 exec, exec, s[6:7]
	s_mov_b64 s[6:7], -1
	s_and_saveexec_b64 s[24:25], s[26:27]
	s_cbranch_execz .LBB111_433
; %bb.447:                              ;   in Loop: Header=BB111_434 Depth=1
	v_cmp_le_u32_e64 s[4:5], s30, v10
	v_add_u32_e32 v1, s54, v1
	s_xor_b64 s[6:7], exec, -1
	s_orn2_b64 s[2:3], s[4:5], exec
	s_branch .LBB111_433
.LBB111_448:
	s_or_b64 exec, exec, s[20:21]
	s_mov_b64 s[4:5], exec
	s_orn2_b64 s[2:3], s[22:23], exec
	s_or_b64 exec, exec, s[18:19]
	s_and_saveexec_b64 s[6:7], s[2:3]
	s_cbranch_execz .LBB111_423
.LBB111_449:
	v_mov_b32_e32 v1, 0
	s_waitcnt vmcnt(0) lgkmcnt(0)
	s_barrier
	s_mov_b64 s[2:3], exec
	v_readlane_b32 s8, v52, 25
	v_readlane_b32 s9, v52, 26
	s_and_b64 s[8:9], s[2:3], s[8:9]
	s_mov_b64 exec, s[8:9]
	s_cbranch_execz .LBB111_451
; %bb.450:
	global_load_ushort v1, v[5:6], off
.LBB111_451:
	s_or_b64 exec, exec, s[2:3]
	s_mov_b64 s[2:3], 0
	s_and_saveexec_b64 s[8:9], vcc
	s_cbranch_execz .LBB111_473
; %bb.452:
	v_add_u32_e32 v2, s52, v0
	v_mul_lo_u32 v2, s53, v2
	s_mov_b64 s[18:19], 0
	v_mov_b32_e32 v3, 0
	v_mov_b32_e32 v4, 0xffff
	;; [unrolled: 1-line block ×3, first 2 shown]
                                        ; implicit-def: $sgpr20_sgpr21
                                        ; implicit-def: $vgpr8
	s_branch .LBB111_455
.LBB111_453:                            ;   in Loop: Header=BB111_455 Depth=1
	s_or_b64 exec, exec, s[24:25]
	s_orn2_b64 s[26:27], s[28:29], exec
	s_orn2_b64 s[24:25], s[22:23], exec
.LBB111_454:                            ;   in Loop: Header=BB111_455 Depth=1
	s_or_b64 exec, exec, s[2:3]
	s_xor_b64 s[2:3], s[26:27], -1
	s_and_b64 s[22:23], exec, s[24:25]
	s_or_b64 s[18:19], s[22:23], s[18:19]
	s_andn2_b64 s[20:21], s[20:21], exec
	s_and_b64 s[2:3], s[2:3], exec
	s_or_b64 s[20:21], s[20:21], s[2:3]
	v_mov_b32_e32 v0, v6
	s_waitcnt vmcnt(0)
	v_mov_b32_e32 v1, v9
	s_andn2_b64 exec, exec, s[18:19]
	s_cbranch_execz .LBB111_471
.LBB111_455:                            ; =>This Inner Loop Header: Depth=1
	v_add_u32_e32 v6, s52, v0
	v_cmp_gt_u32_e32 vcc, s36, v6
	v_mov_b32_e32 v9, 0
	s_and_saveexec_b64 s[2:3], vcc
	s_cbranch_execz .LBB111_457
; %bb.456:                              ;   in Loop: Header=BB111_455 Depth=1
	v_lshlrev_b64 v[9:10], 1, v[2:3]
	v_mov_b32_e32 v11, s48
	v_add_co_u32_e32 v9, vcc, s33, v9
	v_addc_co_u32_e32 v10, vcc, v11, v10, vcc
	global_load_ushort v9, v[9:10], off
.LBB111_457:                            ;   in Loop: Header=BB111_455 Depth=1
	s_or_b64 exec, exec, s[2:3]
	v_cmp_gt_u32_e32 vcc, s36, v0
	s_mov_b64 s[22:23], 0
	s_and_saveexec_b64 s[2:3], vcc
	s_cbranch_execz .LBB111_459
; %bb.458:                              ;   in Loop: Header=BB111_455 Depth=1
	s_waitcnt vmcnt(0)
	v_cmp_lt_i16_e32 vcc, -1, v1
	v_cndmask_b32_e32 v10, v4, v5, vcc
	v_lshlrev_b32_e32 v11, 16, v1
	v_xor_b32_sdwa v10, v10, v1 dst_sel:DWORD dst_unused:UNUSED_PAD src0_sel:DWORD src1_sel:WORD_0
	v_cmp_o_f32_e32 vcc, v11, v11
	v_cndmask_b32_e32 v10, v4, v10, vcc
	v_cmp_eq_u32_e32 vcc, v10, v7
	s_and_b64 s[22:23], vcc, exec
.LBB111_459:                            ;   in Loop: Header=BB111_455 Depth=1
	s_or_b64 exec, exec, s[2:3]
	v_cndmask_b32_e64 v10, 0, 1, s[22:23]
	v_cmp_ne_u32_e32 vcc, 0, v10
	s_cmp_lg_u64 vcc, 0
	s_cselect_b64 s[2:3], -1, 0
	s_and_b64 s[2:3], s[0:1], s[2:3]
	s_and_saveexec_b64 s[24:25], s[2:3]
	s_cbranch_execz .LBB111_463
; %bb.460:                              ;   in Loop: Header=BB111_455 Depth=1
	s_mov_b64 s[28:29], exec
	v_mbcnt_lo_u32_b32 v8, s28, 0
	v_mbcnt_hi_u32_b32 v8, s29, v8
	s_bcnt1_i32_b64 s41, vcc
	v_cmp_eq_u32_e64 s[2:3], 0, v8
                                        ; implicit-def: $vgpr10
	s_and_saveexec_b64 s[26:27], s[2:3]
; %bb.461:                              ;   in Loop: Header=BB111_455 Depth=1
	s_bcnt1_i32_b64 s2, s[28:29]
	s_mul_i32 s2, s41, s2
	v_mov_b32_e32 v10, s2
	ds_add_rtn_u32 v10, v3, v10 offset:4108
; %bb.462:                              ;   in Loop: Header=BB111_455 Depth=1
	s_or_b64 exec, exec, s[26:27]
	s_waitcnt lgkmcnt(0)
	v_readfirstlane_b32 s2, v10
	v_mov_b32_e32 v10, s2
	v_mad_u32_u24 v8, s41, v8, v10
.LBB111_463:                            ;   in Loop: Header=BB111_455 Depth=1
	s_or_b64 exec, exec, s[24:25]
	ds_bpermute_b32 v8, v20, v8
	s_cmp_eq_u64 vcc, 0
	s_cselect_b64 s[26:27], -1, 0
	s_mov_b64 s[24:25], -1
	s_waitcnt lgkmcnt(0)
	v_cmp_gt_u32_e64 s[2:3], s37, v8
	s_or_b64 s[28:29], s[26:27], s[2:3]
	s_mov_b64 s[26:27], -1
	s_and_saveexec_b64 s[2:3], s[28:29]
	s_cbranch_execz .LBB111_454
; %bb.464:                              ;   in Loop: Header=BB111_455 Depth=1
	v_and_b32_e32 v11, vcc_lo, v22
	v_and_b32_e32 v10, vcc_hi, v21
	v_bcnt_u32_b32 v11, v11, 0
	v_bcnt_u32_b32 v10, v10, v11
	v_sub_u32_e32 v11, s37, v8
	v_cmp_gt_u32_e32 vcc, v11, v10
	s_and_b64 s[42:43], s[22:23], vcc
	s_mov_b64 s[22:23], -1
	s_mov_b64 s[28:29], -1
	s_and_saveexec_b64 s[24:25], s[42:43]
	s_cbranch_execz .LBB111_468
; %bb.465:                              ;   in Loop: Header=BB111_455 Depth=1
	v_add_u32_e32 v10, v8, v10
	v_cmp_gt_u32_e32 vcc, s37, v10
	s_mov_b64 s[26:27], 0
	s_and_saveexec_b64 s[28:29], vcc
	s_cbranch_execz .LBB111_467
; %bb.466:                              ;   in Loop: Header=BB111_455 Depth=1
	v_mul_lo_u32 v11, v10, s39
	v_mov_b32_e32 v12, v3
	v_mul_lo_u32 v10, v10, s40
	v_mov_b32_e32 v13, s34
	v_lshlrev_b64 v[11:12], 1, v[11:12]
	s_mov_b64 s[26:27], exec
	v_add_co_u32_e32 v11, vcc, s31, v11
	v_addc_co_u32_e32 v12, vcc, v13, v12, vcc
	s_waitcnt vmcnt(0)
	global_store_short v[11:12], v1, off
	v_mov_b32_e32 v11, v3
	v_lshlrev_b64 v[10:11], 3, v[10:11]
	v_mov_b32_e32 v12, s38
	v_add_co_u32_e32 v10, vcc, s35, v10
	v_mov_b32_e32 v1, v3
	v_addc_co_u32_e32 v11, vcc, v12, v11, vcc
	global_store_dwordx2 v[10:11], v[0:1], off
.LBB111_467:                            ;   in Loop: Header=BB111_455 Depth=1
	s_or_b64 exec, exec, s[28:29]
	s_xor_b64 s[28:29], exec, -1
	s_orn2_b64 s[26:27], s[26:27], exec
.LBB111_468:                            ;   in Loop: Header=BB111_455 Depth=1
	s_or_b64 exec, exec, s[24:25]
	s_and_saveexec_b64 s[24:25], s[26:27]
	s_cbranch_execz .LBB111_453
; %bb.469:                              ;   in Loop: Header=BB111_455 Depth=1
	v_cmp_le_u32_e32 vcc, s30, v6
	v_add_u32_e32 v2, s54, v2
	s_or_b64 s[28:29], s[28:29], exec
	s_orn2_b64 s[22:23], vcc, exec
	s_branch .LBB111_453
.LBB111_470:
	s_or_b64 s[14:15], s[14:15], exec
	s_trap 2
	s_branch .LBB111_430
.LBB111_471:
	s_or_b64 exec, exec, s[18:19]
	s_mov_b64 s[0:1], 0
	s_and_saveexec_b64 s[2:3], s[20:21]
	s_xor_b64 s[2:3], exec, s[2:3]
	s_cbranch_execnz .LBB111_477
.LBB111_472:
	s_or_b64 exec, exec, s[2:3]
	s_and_b64 s[2:3], s[0:1], exec
.LBB111_473:
	s_or_b64 exec, exec, s[8:9]
	s_and_b64 s[8:9], s[2:3], exec
	s_andn2_b64 s[4:5], s[4:5], exec
	s_or_b64 exec, exec, s[6:7]
	s_and_saveexec_b64 s[0:1], s[4:5]
	s_xor_b64 s[0:1], exec, s[0:1]
	s_cbranch_execz .LBB111_424
.LBB111_474:
	s_trap 2
	s_or_b64 s[8:9], s[8:9], exec
	s_branch .LBB111_424
.LBB111_475:
	s_or_b64 s[16:17], s[16:17], exec
	s_trap 2
	s_branch .LBB111_428
.LBB111_476:
	s_trap 2
	s_or_b64 s[18:19], s[18:19], exec
	s_branch .LBB111_426
.LBB111_477:
	s_mov_b64 s[0:1], exec
	s_trap 2
	s_branch .LBB111_472
	.section	.rodata,"a",@progbits
	.p2align	6, 0x0
	.amdhsa_kernel _ZN2at6native6sbtopk10gatherTopKIN3c108BFloat16EjLi2ELb0EEEvNS_4cuda6detail10TensorInfoIKT_T0_EESA_SA_bSA_SA_NS7_IS8_SA_EESA_NS7_IlSA_EESA_PS8_
		.amdhsa_group_segment_fixed_size 4112
		.amdhsa_private_segment_fixed_size 0
		.amdhsa_kernarg_size 952
		.amdhsa_user_sgpr_count 6
		.amdhsa_user_sgpr_private_segment_buffer 1
		.amdhsa_user_sgpr_dispatch_ptr 0
		.amdhsa_user_sgpr_queue_ptr 0
		.amdhsa_user_sgpr_kernarg_segment_ptr 1
		.amdhsa_user_sgpr_dispatch_id 0
		.amdhsa_user_sgpr_flat_scratch_init 0
		.amdhsa_user_sgpr_private_segment_size 0
		.amdhsa_uses_dynamic_stack 0
		.amdhsa_system_sgpr_private_segment_wavefront_offset 0
		.amdhsa_system_sgpr_workgroup_id_x 1
		.amdhsa_system_sgpr_workgroup_id_y 1
		.amdhsa_system_sgpr_workgroup_id_z 1
		.amdhsa_system_sgpr_workgroup_info 0
		.amdhsa_system_vgpr_workitem_id 0
		.amdhsa_next_free_vgpr 53
		.amdhsa_next_free_sgpr 96
		.amdhsa_reserve_vcc 1
		.amdhsa_reserve_flat_scratch 0
		.amdhsa_float_round_mode_32 0
		.amdhsa_float_round_mode_16_64 0
		.amdhsa_float_denorm_mode_32 3
		.amdhsa_float_denorm_mode_16_64 3
		.amdhsa_dx10_clamp 1
		.amdhsa_ieee_mode 1
		.amdhsa_fp16_overflow 0
		.amdhsa_exception_fp_ieee_invalid_op 0
		.amdhsa_exception_fp_denorm_src 0
		.amdhsa_exception_fp_ieee_div_zero 0
		.amdhsa_exception_fp_ieee_overflow 0
		.amdhsa_exception_fp_ieee_underflow 0
		.amdhsa_exception_fp_ieee_inexact 0
		.amdhsa_exception_int_div_zero 0
	.end_amdhsa_kernel
	.section	.text._ZN2at6native6sbtopk10gatherTopKIN3c108BFloat16EjLi2ELb0EEEvNS_4cuda6detail10TensorInfoIKT_T0_EESA_SA_bSA_SA_NS7_IS8_SA_EESA_NS7_IlSA_EESA_PS8_,"axG",@progbits,_ZN2at6native6sbtopk10gatherTopKIN3c108BFloat16EjLi2ELb0EEEvNS_4cuda6detail10TensorInfoIKT_T0_EESA_SA_bSA_SA_NS7_IS8_SA_EESA_NS7_IlSA_EESA_PS8_,comdat
.Lfunc_end111:
	.size	_ZN2at6native6sbtopk10gatherTopKIN3c108BFloat16EjLi2ELb0EEEvNS_4cuda6detail10TensorInfoIKT_T0_EESA_SA_bSA_SA_NS7_IS8_SA_EESA_NS7_IlSA_EESA_PS8_, .Lfunc_end111-_ZN2at6native6sbtopk10gatherTopKIN3c108BFloat16EjLi2ELb0EEEvNS_4cuda6detail10TensorInfoIKT_T0_EESA_SA_bSA_SA_NS7_IS8_SA_EESA_NS7_IlSA_EESA_PS8_
                                        ; -- End function
	.set _ZN2at6native6sbtopk10gatherTopKIN3c108BFloat16EjLi2ELb0EEEvNS_4cuda6detail10TensorInfoIKT_T0_EESA_SA_bSA_SA_NS7_IS8_SA_EESA_NS7_IlSA_EESA_PS8_.num_vgpr, 53
	.set _ZN2at6native6sbtopk10gatherTopKIN3c108BFloat16EjLi2ELb0EEEvNS_4cuda6detail10TensorInfoIKT_T0_EESA_SA_bSA_SA_NS7_IS8_SA_EESA_NS7_IlSA_EESA_PS8_.num_agpr, 0
	.set _ZN2at6native6sbtopk10gatherTopKIN3c108BFloat16EjLi2ELb0EEEvNS_4cuda6detail10TensorInfoIKT_T0_EESA_SA_bSA_SA_NS7_IS8_SA_EESA_NS7_IlSA_EESA_PS8_.numbered_sgpr, 96
	.set _ZN2at6native6sbtopk10gatherTopKIN3c108BFloat16EjLi2ELb0EEEvNS_4cuda6detail10TensorInfoIKT_T0_EESA_SA_bSA_SA_NS7_IS8_SA_EESA_NS7_IlSA_EESA_PS8_.num_named_barrier, 0
	.set _ZN2at6native6sbtopk10gatherTopKIN3c108BFloat16EjLi2ELb0EEEvNS_4cuda6detail10TensorInfoIKT_T0_EESA_SA_bSA_SA_NS7_IS8_SA_EESA_NS7_IlSA_EESA_PS8_.private_seg_size, 0
	.set _ZN2at6native6sbtopk10gatherTopKIN3c108BFloat16EjLi2ELb0EEEvNS_4cuda6detail10TensorInfoIKT_T0_EESA_SA_bSA_SA_NS7_IS8_SA_EESA_NS7_IlSA_EESA_PS8_.uses_vcc, 1
	.set _ZN2at6native6sbtopk10gatherTopKIN3c108BFloat16EjLi2ELb0EEEvNS_4cuda6detail10TensorInfoIKT_T0_EESA_SA_bSA_SA_NS7_IS8_SA_EESA_NS7_IlSA_EESA_PS8_.uses_flat_scratch, 0
	.set _ZN2at6native6sbtopk10gatherTopKIN3c108BFloat16EjLi2ELb0EEEvNS_4cuda6detail10TensorInfoIKT_T0_EESA_SA_bSA_SA_NS7_IS8_SA_EESA_NS7_IlSA_EESA_PS8_.has_dyn_sized_stack, 0
	.set _ZN2at6native6sbtopk10gatherTopKIN3c108BFloat16EjLi2ELb0EEEvNS_4cuda6detail10TensorInfoIKT_T0_EESA_SA_bSA_SA_NS7_IS8_SA_EESA_NS7_IlSA_EESA_PS8_.has_recursion, 0
	.set _ZN2at6native6sbtopk10gatherTopKIN3c108BFloat16EjLi2ELb0EEEvNS_4cuda6detail10TensorInfoIKT_T0_EESA_SA_bSA_SA_NS7_IS8_SA_EESA_NS7_IlSA_EESA_PS8_.has_indirect_call, 0
	.section	.AMDGPU.csdata,"",@progbits
; Kernel info:
; codeLenInByte = 17400
; TotalNumSgprs: 100
; NumVgprs: 53
; ScratchSize: 0
; MemoryBound: 0
; FloatMode: 240
; IeeeMode: 1
; LDSByteSize: 4112 bytes/workgroup (compile time only)
; SGPRBlocks: 12
; VGPRBlocks: 13
; NumSGPRsForWavesPerEU: 100
; NumVGPRsForWavesPerEU: 53
; Occupancy: 4
; WaveLimiterHint : 1
; COMPUTE_PGM_RSRC2:SCRATCH_EN: 0
; COMPUTE_PGM_RSRC2:USER_SGPR: 6
; COMPUTE_PGM_RSRC2:TRAP_HANDLER: 0
; COMPUTE_PGM_RSRC2:TGID_X_EN: 1
; COMPUTE_PGM_RSRC2:TGID_Y_EN: 1
; COMPUTE_PGM_RSRC2:TGID_Z_EN: 1
; COMPUTE_PGM_RSRC2:TIDIG_COMP_CNT: 0
	.section	.text._ZN2at6native6mbtopk23computeBlockDigitCountsIN3c108BFloat16EjjLi3EEEvNS_4cuda6detail10TensorInfoIKT_T0_EEjPjjSA_iijT1_PSD_Ps,"axG",@progbits,_ZN2at6native6mbtopk23computeBlockDigitCountsIN3c108BFloat16EjjLi3EEEvNS_4cuda6detail10TensorInfoIKT_T0_EEjPjjSA_iijT1_PSD_Ps,comdat
	.protected	_ZN2at6native6mbtopk23computeBlockDigitCountsIN3c108BFloat16EjjLi3EEEvNS_4cuda6detail10TensorInfoIKT_T0_EEjPjjSA_iijT1_PSD_Ps ; -- Begin function _ZN2at6native6mbtopk23computeBlockDigitCountsIN3c108BFloat16EjjLi3EEEvNS_4cuda6detail10TensorInfoIKT_T0_EEjPjjSA_iijT1_PSD_Ps
	.globl	_ZN2at6native6mbtopk23computeBlockDigitCountsIN3c108BFloat16EjjLi3EEEvNS_4cuda6detail10TensorInfoIKT_T0_EEjPjjSA_iijT1_PSD_Ps
	.p2align	8
	.type	_ZN2at6native6mbtopk23computeBlockDigitCountsIN3c108BFloat16EjjLi3EEEvNS_4cuda6detail10TensorInfoIKT_T0_EEjPjjSA_iijT1_PSD_Ps,@function
_ZN2at6native6mbtopk23computeBlockDigitCountsIN3c108BFloat16EjjLi3EEEvNS_4cuda6detail10TensorInfoIKT_T0_EEjPjjSA_iijT1_PSD_Ps: ; @_ZN2at6native6mbtopk23computeBlockDigitCountsIN3c108BFloat16EjjLi3EEEvNS_4cuda6detail10TensorInfoIKT_T0_EEjPjjSA_iijT1_PSD_Ps
; %bb.0:
	s_load_dwordx2 s[10:11], s[4:5], 0xf8
	s_load_dwordx4 s[12:15], s[4:5], 0xe8
	s_load_dwordx2 s[0:1], s[4:5], 0x110
	s_waitcnt lgkmcnt(0)
	v_cvt_f32_u32_e32 v1, s10
	s_sub_i32 s2, 0, s10
	s_mul_i32 s1, s1, s8
	s_add_i32 s1, s1, s7
	v_rcp_iflag_f32_e32 v1, v1
	s_mul_i32 s18, s1, s0
	s_add_i32 s18, s18, s6
	s_mov_b32 s7, 0
	v_mul_f32_e32 v1, 0x4f7ffffe, v1
	v_cvt_u32_f32_e32 v1, v1
	v_readfirstlane_b32 s0, v1
	s_mul_i32 s2, s2, s0
	s_mul_hi_u32 s1, s0, s2
	s_add_i32 s0, s0, s1
	s_mul_hi_u32 s0, s18, s0
	s_mul_i32 s1, s0, s10
	s_sub_i32 s1, s18, s1
	s_add_i32 s2, s0, 1
	s_sub_i32 s3, s1, s10
	s_cmp_ge_u32 s1, s10
	s_cselect_b32 s0, s2, s0
	s_cselect_b32 s1, s3, s1
	s_add_i32 s2, s0, 1
	s_cmp_ge_u32 s1, s10
	s_cselect_b32 s6, s2, s0
	s_cmp_ge_u32 s6, s12
	s_cbranch_scc1 .LBB112_27
; %bb.1:
	s_load_dwordx2 s[8:9], s[4:5], 0xc
	s_load_dwordx4 s[0:3], s[4:5], 0x100
	s_lshl_b64 s[16:17], s[6:7], 2
	s_movk_i32 s7, 0x100
	v_cmp_gt_u32_e32 vcc, s7, v0
	s_waitcnt lgkmcnt(0)
	v_cvt_f32_u32_e32 v1, s9
	v_cvt_f32_u32_e32 v2, s8
	s_add_u32 s0, s0, s16
	s_addc_u32 s1, s1, s17
	v_rcp_iflag_f32_e32 v1, v1
	s_sub_i32 s12, 0, s9
	v_rcp_iflag_f32_e32 v2, v2
	v_lshlrev_b32_e32 v3, 2, v0
	v_mul_f32_e32 v1, 0x4f7ffffe, v1
	v_cvt_u32_f32_e32 v1, v1
	v_mul_f32_e32 v2, 0x4f7ffffe, v2
	v_cvt_u32_f32_e32 v2, v2
	v_readfirstlane_b32 s16, v1
	s_mul_i32 s12, s12, s16
	s_mul_hi_u32 s12, s16, s12
	s_add_i32 s16, s16, s12
	s_mul_hi_u32 s12, s6, s16
	s_mul_i32 s16, s12, s9
	s_sub_i32 s16, s6, s16
	s_add_i32 s17, s12, 1
	s_sub_i32 s19, s16, s9
	s_cmp_ge_u32 s16, s9
	s_cselect_b32 s12, s17, s12
	s_cselect_b32 s16, s19, s16
	s_add_i32 s17, s12, 1
	s_cmp_ge_u32 s16, s9
	v_readfirstlane_b32 s20, v2
	s_cselect_b32 s19, s17, s12
	s_and_saveexec_b64 s[16:17], vcc
; %bb.2:
	v_mov_b32_e32 v1, 0
	ds_write_b32 v3, v1
; %bb.3:
	s_or_b64 exec, exec, s[16:17]
	s_load_dword s12, s[4:5], 0xd8
	s_mul_i32 s7, s6, s10
	s_sub_i32 s7, s18, s7
	s_add_i32 s17, s7, 1
	s_mul_i32 s7, s15, s7
	s_lshl_b32 s16, s7, 8
	s_waitcnt lgkmcnt(0)
	s_sub_i32 s7, s12, s16
	s_add_u32 s22, s7, 0xff
	s_addc_u32 s23, 0, 0
	s_lshr_b64 s[22:23], s[22:23], 8
	s_cmp_lt_u32 s17, s10
	s_cselect_b32 s15, s15, s22
	s_cmp_lt_i32 s15, 1
	s_mov_b32 s7, 0
	s_barrier
	s_cbranch_scc1 .LBB112_25
; %bb.4:
	s_sub_i32 s10, 0, s8
	s_mul_i32 s10, s10, s20
	s_mul_hi_u32 s10, s20, s10
	s_add_i32 s10, s20, s10
	s_load_dwordx4 s[20:23], s[4:5], 0x6c
	s_load_dwordx2 s[24:25], s[4:5], 0x0
	s_mul_hi_u32 s4, s19, s10
	s_load_dword s10, s[0:1], 0x0
	s_mul_i32 s1, s4, s8
	s_mul_i32 s0, s19, s9
	s_sub_i32 s1, s19, s1
	s_sub_i32 s0, s6, s0
	s_add_i32 s5, s4, 1
	s_sub_i32 s6, s1, s8
	s_cmp_ge_u32 s1, s8
	s_cselect_b32 s4, s5, s4
	s_cselect_b32 s1, s6, s1
	s_add_i32 s5, s4, 1
	s_cmp_ge_u32 s1, s8
	s_cselect_b32 s1, s5, s4
	s_mul_i32 s4, s1, s8
	s_sub_i32 s4, s19, s4
	s_waitcnt lgkmcnt(0)
	s_mul_i32 s0, s0, s22
	s_mul_i32 s4, s4, s21
	s_add_i32 s0, s4, s0
	s_mul_i32 s1, s1, s20
	s_add_i32 s6, s0, s1
	s_lshl_b64 s[0:1], s[6:7], 1
	s_add_u32 s6, s24, s0
	s_addc_u32 s8, s25, s1
	s_and_b32 s9, s14, 0xff
	s_cmp_lt_u32 s15, 4
	s_cbranch_scc1 .LBB112_19
; %bb.5:
	v_add_u32_e32 v1, s16, v0
	v_add_u32_e32 v2, 0x200, v1
	;; [unrolled: 1-line block ×3, first 2 shown]
	v_mul_lo_u32 v6, s13, v2
	v_add_u32_e32 v2, 0x100, v1
	v_mul_lo_u32 v5, s13, v4
	v_mul_lo_u32 v7, s13, v2
	v_mul_lo_u32 v8, s13, v1
	s_and_b32 s7, s15, 0x7ffffffc
	s_lshl_b32 s14, s13, 10
	s_mov_b32 s17, 0
	v_mov_b32_e32 v2, 0
	v_mov_b32_e32 v9, 1
	;; [unrolled: 1-line block ×4, first 2 shown]
	s_mov_b32 s19, 0
	s_branch .LBB112_7
.LBB112_6:                              ;   in Loop: Header=BB112_7 Depth=1
	s_or_b64 exec, exec, s[4:5]
	s_add_i32 s19, s19, 4
	s_add_i32 s17, s17, s14
	s_cmp_eq_u32 s7, s19
	v_add_u32_e32 v4, 0x400, v4
	s_cbranch_scc1 .LBB112_19
.LBB112_7:                              ; =>This Inner Loop Header: Depth=1
	v_add_u32_e32 v1, 0xfffffd00, v4
	v_cmp_gt_u32_e64 s[0:1], s12, v1
	s_and_saveexec_b64 s[4:5], s[0:1]
	s_cbranch_execz .LBB112_10
; %bb.8:                                ;   in Loop: Header=BB112_7 Depth=1
	v_add_u32_e32 v1, s17, v8
	v_lshlrev_b64 v[12:13], 1, v[1:2]
	v_mov_b32_e32 v1, s8
	v_add_co_u32_e64 v12, s[0:1], s6, v12
	v_addc_co_u32_e64 v13, s[0:1], v1, v13, s[0:1]
	global_load_ushort v1, v[12:13], off
	s_waitcnt vmcnt(0)
	v_cmp_lt_i16_e64 s[0:1], -1, v1
	v_cndmask_b32_e64 v12, v10, v11, s[0:1]
	v_lshlrev_b32_e32 v13, 16, v1
	v_xor_b32_sdwa v1, v12, v1 dst_sel:DWORD dst_unused:UNUSED_PAD src0_sel:DWORD src1_sel:WORD_0
	v_cmp_o_f32_e64 s[0:1], v13, v13
	v_cndmask_b32_e64 v1, v10, v1, s[0:1]
	v_xor_b32_e32 v12, s10, v1
	v_and_b32_e32 v12, s11, v12
	v_cmp_eq_u32_e64 s[0:1], 0, v12
	s_and_b64 exec, exec, s[0:1]
; %bb.9:                                ;   in Loop: Header=BB112_7 Depth=1
	v_bfe_u32 v1, v1, s9, 8
	v_lshlrev_b32_e32 v1, 2, v1
	ds_add_u32 v1, v9
.LBB112_10:                             ;   in Loop: Header=BB112_7 Depth=1
	s_or_b64 exec, exec, s[4:5]
	v_add_u32_e32 v1, 0xfffffe00, v4
	v_cmp_gt_u32_e64 s[0:1], s12, v1
	s_and_saveexec_b64 s[4:5], s[0:1]
	s_cbranch_execz .LBB112_13
; %bb.11:                               ;   in Loop: Header=BB112_7 Depth=1
	v_add_u32_e32 v1, s17, v7
	v_lshlrev_b64 v[12:13], 1, v[1:2]
	v_mov_b32_e32 v1, s8
	v_add_co_u32_e64 v12, s[0:1], s6, v12
	v_addc_co_u32_e64 v13, s[0:1], v1, v13, s[0:1]
	global_load_ushort v1, v[12:13], off
	s_waitcnt vmcnt(0)
	v_cmp_lt_i16_e64 s[0:1], -1, v1
	v_cndmask_b32_e64 v12, v10, v11, s[0:1]
	v_lshlrev_b32_e32 v13, 16, v1
	v_xor_b32_sdwa v1, v12, v1 dst_sel:DWORD dst_unused:UNUSED_PAD src0_sel:DWORD src1_sel:WORD_0
	v_cmp_o_f32_e64 s[0:1], v13, v13
	v_cndmask_b32_e64 v1, v10, v1, s[0:1]
	v_xor_b32_e32 v12, s10, v1
	v_and_b32_e32 v12, s11, v12
	v_cmp_eq_u32_e64 s[0:1], 0, v12
	s_and_b64 exec, exec, s[0:1]
; %bb.12:                               ;   in Loop: Header=BB112_7 Depth=1
	v_bfe_u32 v1, v1, s9, 8
	v_lshlrev_b32_e32 v1, 2, v1
	ds_add_u32 v1, v9
.LBB112_13:                             ;   in Loop: Header=BB112_7 Depth=1
	s_or_b64 exec, exec, s[4:5]
	v_add_u32_e32 v1, 0xffffff00, v4
	v_cmp_gt_u32_e64 s[0:1], s12, v1
	s_and_saveexec_b64 s[4:5], s[0:1]
	s_cbranch_execz .LBB112_16
; %bb.14:                               ;   in Loop: Header=BB112_7 Depth=1
	v_add_u32_e32 v1, s17, v6
	v_lshlrev_b64 v[12:13], 1, v[1:2]
	v_mov_b32_e32 v1, s8
	v_add_co_u32_e64 v12, s[0:1], s6, v12
	v_addc_co_u32_e64 v13, s[0:1], v1, v13, s[0:1]
	global_load_ushort v1, v[12:13], off
	s_waitcnt vmcnt(0)
	v_cmp_lt_i16_e64 s[0:1], -1, v1
	v_cndmask_b32_e64 v12, v10, v11, s[0:1]
	v_lshlrev_b32_e32 v13, 16, v1
	v_xor_b32_sdwa v1, v12, v1 dst_sel:DWORD dst_unused:UNUSED_PAD src0_sel:DWORD src1_sel:WORD_0
	v_cmp_o_f32_e64 s[0:1], v13, v13
	v_cndmask_b32_e64 v1, v10, v1, s[0:1]
	v_xor_b32_e32 v12, s10, v1
	v_and_b32_e32 v12, s11, v12
	v_cmp_eq_u32_e64 s[0:1], 0, v12
	s_and_b64 exec, exec, s[0:1]
; %bb.15:                               ;   in Loop: Header=BB112_7 Depth=1
	v_bfe_u32 v1, v1, s9, 8
	v_lshlrev_b32_e32 v1, 2, v1
	ds_add_u32 v1, v9
.LBB112_16:                             ;   in Loop: Header=BB112_7 Depth=1
	s_or_b64 exec, exec, s[4:5]
	v_cmp_gt_u32_e64 s[0:1], s12, v4
	s_and_saveexec_b64 s[4:5], s[0:1]
	s_cbranch_execz .LBB112_6
; %bb.17:                               ;   in Loop: Header=BB112_7 Depth=1
	v_add_u32_e32 v1, s17, v5
	v_lshlrev_b64 v[12:13], 1, v[1:2]
	v_mov_b32_e32 v1, s8
	v_add_co_u32_e64 v12, s[0:1], s6, v12
	v_addc_co_u32_e64 v13, s[0:1], v1, v13, s[0:1]
	global_load_ushort v1, v[12:13], off
	s_waitcnt vmcnt(0)
	v_cmp_lt_i16_e64 s[0:1], -1, v1
	v_cndmask_b32_e64 v12, v10, v11, s[0:1]
	v_lshlrev_b32_e32 v13, 16, v1
	v_xor_b32_sdwa v1, v12, v1 dst_sel:DWORD dst_unused:UNUSED_PAD src0_sel:DWORD src1_sel:WORD_0
	v_cmp_o_f32_e64 s[0:1], v13, v13
	v_cndmask_b32_e64 v1, v10, v1, s[0:1]
	v_xor_b32_e32 v12, s10, v1
	v_and_b32_e32 v12, s11, v12
	v_cmp_eq_u32_e64 s[0:1], 0, v12
	s_and_b64 exec, exec, s[0:1]
	s_cbranch_execz .LBB112_6
; %bb.18:                               ;   in Loop: Header=BB112_7 Depth=1
	v_bfe_u32 v1, v1, s9, 8
	v_lshlrev_b32_e32 v1, 2, v1
	ds_add_u32 v1, v9
	s_branch .LBB112_6
.LBB112_19:
	s_and_b32 s14, s15, 3
	s_cmp_eq_u32 s14, 0
	s_cbranch_scc1 .LBB112_25
; %bb.20:
	s_lshl_b32 s0, s7, 8
	s_add_i32 s0, s0, s16
	v_add_u32_e32 v4, s0, v0
	v_mul_lo_u32 v1, s13, v4
	s_lshl_b32 s7, s13, 8
	v_mov_b32_e32 v2, 0
	v_mov_b32_e32 v5, 1
	;; [unrolled: 1-line block ×4, first 2 shown]
	s_branch .LBB112_22
.LBB112_21:                             ;   in Loop: Header=BB112_22 Depth=1
	s_or_b64 exec, exec, s[4:5]
	s_add_i32 s14, s14, -1
	v_add_u32_e32 v1, s7, v1
	s_cmp_lg_u32 s14, 0
	v_add_u32_e32 v4, 0x100, v4
	s_cbranch_scc0 .LBB112_25
.LBB112_22:                             ; =>This Inner Loop Header: Depth=1
	v_cmp_gt_u32_e64 s[0:1], s12, v4
	s_and_saveexec_b64 s[4:5], s[0:1]
	s_cbranch_execz .LBB112_21
; %bb.23:                               ;   in Loop: Header=BB112_22 Depth=1
	v_lshlrev_b64 v[8:9], 1, v[1:2]
	v_mov_b32_e32 v10, s8
	v_add_co_u32_e64 v8, s[0:1], s6, v8
	v_addc_co_u32_e64 v9, s[0:1], v10, v9, s[0:1]
	global_load_ushort v8, v[8:9], off
	s_waitcnt vmcnt(0)
	v_cmp_lt_i16_e64 s[0:1], -1, v8
	v_cndmask_b32_e64 v9, v6, v7, s[0:1]
	v_lshlrev_b32_e32 v10, 16, v8
	v_xor_b32_sdwa v8, v9, v8 dst_sel:DWORD dst_unused:UNUSED_PAD src0_sel:DWORD src1_sel:WORD_0
	v_cmp_o_f32_e64 s[0:1], v10, v10
	v_cndmask_b32_e64 v8, v6, v8, s[0:1]
	v_xor_b32_e32 v9, s10, v8
	v_and_b32_e32 v9, s11, v9
	v_cmp_eq_u32_e64 s[0:1], 0, v9
	s_and_b64 exec, exec, s[0:1]
	s_cbranch_execz .LBB112_21
; %bb.24:                               ;   in Loop: Header=BB112_22 Depth=1
	v_bfe_u32 v8, v8, s9, 8
	v_lshlrev_b32_e32 v8, 2, v8
	ds_add_u32 v8, v5
	s_branch .LBB112_21
.LBB112_25:
	s_waitcnt lgkmcnt(0)
	s_barrier
	s_and_saveexec_b64 s[0:1], vcc
	s_cbranch_execz .LBB112_27
; %bb.26:
	v_lshl_or_b32 v0, s18, 8, v0
	v_mov_b32_e32 v1, 0
	ds_read_b32 v3, v3
	v_lshlrev_b64 v[0:1], 1, v[0:1]
	v_mov_b32_e32 v2, s3
	v_add_co_u32_e32 v0, vcc, s2, v0
	v_addc_co_u32_e32 v1, vcc, v2, v1, vcc
	s_waitcnt lgkmcnt(0)
	global_store_short v[0:1], v3, off
.LBB112_27:
	s_endpgm
	.section	.rodata,"a",@progbits
	.p2align	6, 0x0
	.amdhsa_kernel _ZN2at6native6mbtopk23computeBlockDigitCountsIN3c108BFloat16EjjLi3EEEvNS_4cuda6detail10TensorInfoIKT_T0_EEjPjjSA_iijT1_PSD_Ps
		.amdhsa_group_segment_fixed_size 1024
		.amdhsa_private_segment_fixed_size 0
		.amdhsa_kernarg_size 528
		.amdhsa_user_sgpr_count 6
		.amdhsa_user_sgpr_private_segment_buffer 1
		.amdhsa_user_sgpr_dispatch_ptr 0
		.amdhsa_user_sgpr_queue_ptr 0
		.amdhsa_user_sgpr_kernarg_segment_ptr 1
		.amdhsa_user_sgpr_dispatch_id 0
		.amdhsa_user_sgpr_flat_scratch_init 0
		.amdhsa_user_sgpr_private_segment_size 0
		.amdhsa_uses_dynamic_stack 0
		.amdhsa_system_sgpr_private_segment_wavefront_offset 0
		.amdhsa_system_sgpr_workgroup_id_x 1
		.amdhsa_system_sgpr_workgroup_id_y 1
		.amdhsa_system_sgpr_workgroup_id_z 1
		.amdhsa_system_sgpr_workgroup_info 0
		.amdhsa_system_vgpr_workitem_id 0
		.amdhsa_next_free_vgpr 14
		.amdhsa_next_free_sgpr 26
		.amdhsa_reserve_vcc 1
		.amdhsa_reserve_flat_scratch 0
		.amdhsa_float_round_mode_32 0
		.amdhsa_float_round_mode_16_64 0
		.amdhsa_float_denorm_mode_32 3
		.amdhsa_float_denorm_mode_16_64 3
		.amdhsa_dx10_clamp 1
		.amdhsa_ieee_mode 1
		.amdhsa_fp16_overflow 0
		.amdhsa_exception_fp_ieee_invalid_op 0
		.amdhsa_exception_fp_denorm_src 0
		.amdhsa_exception_fp_ieee_div_zero 0
		.amdhsa_exception_fp_ieee_overflow 0
		.amdhsa_exception_fp_ieee_underflow 0
		.amdhsa_exception_fp_ieee_inexact 0
		.amdhsa_exception_int_div_zero 0
	.end_amdhsa_kernel
	.section	.text._ZN2at6native6mbtopk23computeBlockDigitCountsIN3c108BFloat16EjjLi3EEEvNS_4cuda6detail10TensorInfoIKT_T0_EEjPjjSA_iijT1_PSD_Ps,"axG",@progbits,_ZN2at6native6mbtopk23computeBlockDigitCountsIN3c108BFloat16EjjLi3EEEvNS_4cuda6detail10TensorInfoIKT_T0_EEjPjjSA_iijT1_PSD_Ps,comdat
.Lfunc_end112:
	.size	_ZN2at6native6mbtopk23computeBlockDigitCountsIN3c108BFloat16EjjLi3EEEvNS_4cuda6detail10TensorInfoIKT_T0_EEjPjjSA_iijT1_PSD_Ps, .Lfunc_end112-_ZN2at6native6mbtopk23computeBlockDigitCountsIN3c108BFloat16EjjLi3EEEvNS_4cuda6detail10TensorInfoIKT_T0_EEjPjjSA_iijT1_PSD_Ps
                                        ; -- End function
	.set _ZN2at6native6mbtopk23computeBlockDigitCountsIN3c108BFloat16EjjLi3EEEvNS_4cuda6detail10TensorInfoIKT_T0_EEjPjjSA_iijT1_PSD_Ps.num_vgpr, 14
	.set _ZN2at6native6mbtopk23computeBlockDigitCountsIN3c108BFloat16EjjLi3EEEvNS_4cuda6detail10TensorInfoIKT_T0_EEjPjjSA_iijT1_PSD_Ps.num_agpr, 0
	.set _ZN2at6native6mbtopk23computeBlockDigitCountsIN3c108BFloat16EjjLi3EEEvNS_4cuda6detail10TensorInfoIKT_T0_EEjPjjSA_iijT1_PSD_Ps.numbered_sgpr, 26
	.set _ZN2at6native6mbtopk23computeBlockDigitCountsIN3c108BFloat16EjjLi3EEEvNS_4cuda6detail10TensorInfoIKT_T0_EEjPjjSA_iijT1_PSD_Ps.num_named_barrier, 0
	.set _ZN2at6native6mbtopk23computeBlockDigitCountsIN3c108BFloat16EjjLi3EEEvNS_4cuda6detail10TensorInfoIKT_T0_EEjPjjSA_iijT1_PSD_Ps.private_seg_size, 0
	.set _ZN2at6native6mbtopk23computeBlockDigitCountsIN3c108BFloat16EjjLi3EEEvNS_4cuda6detail10TensorInfoIKT_T0_EEjPjjSA_iijT1_PSD_Ps.uses_vcc, 1
	.set _ZN2at6native6mbtopk23computeBlockDigitCountsIN3c108BFloat16EjjLi3EEEvNS_4cuda6detail10TensorInfoIKT_T0_EEjPjjSA_iijT1_PSD_Ps.uses_flat_scratch, 0
	.set _ZN2at6native6mbtopk23computeBlockDigitCountsIN3c108BFloat16EjjLi3EEEvNS_4cuda6detail10TensorInfoIKT_T0_EEjPjjSA_iijT1_PSD_Ps.has_dyn_sized_stack, 0
	.set _ZN2at6native6mbtopk23computeBlockDigitCountsIN3c108BFloat16EjjLi3EEEvNS_4cuda6detail10TensorInfoIKT_T0_EEjPjjSA_iijT1_PSD_Ps.has_recursion, 0
	.set _ZN2at6native6mbtopk23computeBlockDigitCountsIN3c108BFloat16EjjLi3EEEvNS_4cuda6detail10TensorInfoIKT_T0_EEjPjjSA_iijT1_PSD_Ps.has_indirect_call, 0
	.section	.AMDGPU.csdata,"",@progbits
; Kernel info:
; codeLenInByte = 1608
; TotalNumSgprs: 30
; NumVgprs: 14
; ScratchSize: 0
; MemoryBound: 0
; FloatMode: 240
; IeeeMode: 1
; LDSByteSize: 1024 bytes/workgroup (compile time only)
; SGPRBlocks: 3
; VGPRBlocks: 3
; NumSGPRsForWavesPerEU: 30
; NumVGPRsForWavesPerEU: 14
; Occupancy: 10
; WaveLimiterHint : 1
; COMPUTE_PGM_RSRC2:SCRATCH_EN: 0
; COMPUTE_PGM_RSRC2:USER_SGPR: 6
; COMPUTE_PGM_RSRC2:TRAP_HANDLER: 0
; COMPUTE_PGM_RSRC2:TGID_X_EN: 1
; COMPUTE_PGM_RSRC2:TGID_Y_EN: 1
; COMPUTE_PGM_RSRC2:TGID_Z_EN: 1
; COMPUTE_PGM_RSRC2:TIDIG_COMP_CNT: 0
	.section	.text._ZN2at6native6mbtopk10gatherTopKIN3c108BFloat16EjLi3EEEvNS_4cuda6detail10TensorInfoIKT_T0_EESA_SA_bjSA_NS7_IS8_SA_EESA_NS7_IlSA_EESA_jjPS8_PjSF_j,"axG",@progbits,_ZN2at6native6mbtopk10gatherTopKIN3c108BFloat16EjLi3EEEvNS_4cuda6detail10TensorInfoIKT_T0_EESA_SA_bjSA_NS7_IS8_SA_EESA_NS7_IlSA_EESA_jjPS8_PjSF_j,comdat
	.protected	_ZN2at6native6mbtopk10gatherTopKIN3c108BFloat16EjLi3EEEvNS_4cuda6detail10TensorInfoIKT_T0_EESA_SA_bjSA_NS7_IS8_SA_EESA_NS7_IlSA_EESA_jjPS8_PjSF_j ; -- Begin function _ZN2at6native6mbtopk10gatherTopKIN3c108BFloat16EjLi3EEEvNS_4cuda6detail10TensorInfoIKT_T0_EESA_SA_bjSA_NS7_IS8_SA_EESA_NS7_IlSA_EESA_jjPS8_PjSF_j
	.globl	_ZN2at6native6mbtopk10gatherTopKIN3c108BFloat16EjLi3EEEvNS_4cuda6detail10TensorInfoIKT_T0_EESA_SA_bjSA_NS7_IS8_SA_EESA_NS7_IlSA_EESA_jjPS8_PjSF_j
	.p2align	8
	.type	_ZN2at6native6mbtopk10gatherTopKIN3c108BFloat16EjLi3EEEvNS_4cuda6detail10TensorInfoIKT_T0_EESA_SA_bjSA_NS7_IS8_SA_EESA_NS7_IlSA_EESA_jjPS8_PjSF_j,@function
_ZN2at6native6mbtopk10gatherTopKIN3c108BFloat16EjLi3EEEvNS_4cuda6detail10TensorInfoIKT_T0_EESA_SA_bjSA_NS7_IS8_SA_EESA_NS7_IlSA_EESA_jjPS8_PjSF_j: ; @_ZN2at6native6mbtopk10gatherTopKIN3c108BFloat16EjLi3EEEvNS_4cuda6detail10TensorInfoIKT_T0_EESA_SA_bjSA_NS7_IS8_SA_EESA_NS7_IlSA_EESA_jjPS8_PjSF_j
; %bb.0:
	s_load_dwordx2 s[0:1], s[4:5], 0x2d8
	s_load_dword s2, s[4:5], 0x2d0
	s_waitcnt lgkmcnt(0)
	s_mul_i32 s1, s1, s8
	s_add_i32 s1, s1, s7
	s_mul_i32 s0, s1, s0
	s_add_i32 s0, s0, s6
	s_cmp_ge_u32 s0, s2
	s_cbranch_scc1 .LBB113_40
; %bb.1:
	s_load_dwordx8 s[8:15], s[4:5], 0x2a8
	s_load_dwordx2 s[36:37], s[4:5], 0xc
	s_load_dwordx2 s[40:41], s[4:5], 0xfc
	;; [unrolled: 1-line block ×4, first 2 shown]
	s_mov_b32 s39, 0
	s_waitcnt lgkmcnt(0)
	v_cvt_f32_u32_e32 v1, s10
	s_sub_i32 s1, 0, s10
	v_cvt_f32_u32_e32 v2, s37
	v_rcp_iflag_f32_e32 v1, v1
	v_rcp_iflag_f32_e32 v2, v2
	v_mul_f32_e32 v1, 0x4f7ffffe, v1
	v_cvt_u32_f32_e32 v1, v1
	v_mul_f32_e32 v2, 0x4f7ffffe, v2
	v_cvt_u32_f32_e32 v2, v2
	v_readfirstlane_b32 s2, v1
	s_mul_i32 s1, s1, s2
	s_mul_hi_u32 s1, s2, s1
	s_add_i32 s2, s2, s1
	s_mul_hi_u32 s1, s0, s2
	s_mul_i32 s2, s1, s10
	s_sub_i32 s2, s0, s2
	s_add_i32 s3, s1, 1
	s_sub_i32 s11, s2, s10
	s_cmp_ge_u32 s2, s10
	s_cselect_b32 s1, s3, s1
	s_cselect_b32 s2, s11, s2
	s_add_i32 s3, s1, 1
	s_cmp_ge_u32 s2, s10
	s_cselect_b32 s38, s3, s1
	v_cvt_f32_u32_e32 v1, s36
	s_mul_i32 s28, s38, s10
	s_sub_i32 s1, 0, s37
	s_sub_i32 s11, s0, s28
	v_readfirstlane_b32 s0, v2
	s_mul_i32 s1, s1, s0
	s_mul_hi_u32 s1, s0, s1
	v_rcp_iflag_f32_e32 v1, v1
	s_add_i32 s0, s0, s1
	v_cvt_f32_u32_e32 v2, s41
	s_mul_hi_u32 s0, s38, s0
	s_mul_i32 s1, s0, s37
	s_sub_i32 s1, s38, s1
	v_mul_f32_e32 v1, 0x4f7ffffe, v1
	s_add_i32 s2, s0, 1
	s_sub_i32 s3, s1, s37
	v_cvt_u32_f32_e32 v1, v1
	v_rcp_iflag_f32_e32 v2, v2
	s_cmp_ge_u32 s1, s37
	s_cselect_b32 s0, s2, s0
	s_cselect_b32 s1, s3, s1
	s_add_i32 s2, s0, 1
	s_cmp_ge_u32 s1, s37
	v_readfirstlane_b32 s1, v1
	v_mul_f32_e32 v1, 0x4f7ffffe, v2
	v_cvt_u32_f32_e32 v1, v1
	s_cselect_b32 s33, s2, s0
	s_sub_i32 s0, 0, s36
	s_mul_i32 s0, s0, s1
	s_mul_hi_u32 s0, s1, s0
	s_add_i32 s2, s1, s0
	v_readfirstlane_b32 s1, v1
	v_cvt_f32_u32_e32 v1, s40
	s_sub_i32 s0, 0, s41
	s_mul_i32 s0, s0, s1
	s_mul_hi_u32 s0, s1, s0
	v_rcp_iflag_f32_e32 v1, v1
	s_add_i32 s1, s1, s0
	v_cvt_f32_u32_e32 v2, s35
	s_mul_hi_u32 s0, s38, s1
	s_mul_i32 s1, s0, s41
	s_sub_i32 s1, s38, s1
	v_mul_f32_e32 v1, 0x4f7ffffe, v1
	s_add_i32 s3, s0, 1
	s_sub_i32 s16, s1, s41
	v_cvt_u32_f32_e32 v1, v1
	v_rcp_iflag_f32_e32 v2, v2
	s_cmp_ge_u32 s1, s41
	s_cselect_b32 s0, s3, s0
	s_cselect_b32 s1, s16, s1
	s_add_i32 s3, s0, 1
	s_cmp_ge_u32 s1, s41
	v_readfirstlane_b32 s1, v1
	v_mul_f32_e32 v1, 0x4f7ffffe, v2
	v_cvt_u32_f32_e32 v1, v1
	s_cselect_b32 s52, s3, s0
	s_sub_i32 s0, 0, s40
	s_mul_i32 s0, s0, s1
	s_mul_hi_u32 s0, s1, s0
	s_add_i32 s3, s1, s0
	v_readfirstlane_b32 s1, v1
	v_cvt_f32_u32_e32 v1, s34
	s_sub_i32 s0, 0, s35
	s_mul_i32 s0, s0, s1
	s_mul_hi_u32 s0, s1, s0
	s_add_i32 s1, s1, s0
	v_rcp_iflag_f32_e32 v1, v1
	s_mul_hi_u32 s0, s38, s1
	s_mul_i32 s1, s0, s35
	s_sub_i32 s1, s38, s1
	s_add_i32 s16, s0, 1
	s_sub_i32 s17, s1, s35
	v_mul_f32_e32 v1, 0x4f7ffffe, v1
	s_cmp_ge_u32 s1, s35
	v_cvt_u32_f32_e32 v1, v1
	s_cselect_b32 s0, s16, s0
	s_cselect_b32 s1, s17, s1
	s_add_i32 s16, s0, 1
	s_cmp_ge_u32 s1, s35
	s_cselect_b32 s53, s16, s0
	s_sub_i32 s0, 0, s34
	v_readfirstlane_b32 s1, v1
	s_mul_i32 s0, s0, s1
	s_mul_hi_u32 s0, s1, s0
	s_add_i32 s29, s1, s0
	s_lshl_b64 s[0:1], s[38:39], 1
	s_add_u32 s0, s12, s0
	s_addc_u32 s1, s13, s1
	v_mov_b32_e32 v1, 0
	global_load_ushort v1, v1, s[0:1]
	s_load_dwordx2 s[44:45], s[4:5], 0x0
	s_load_dwordx4 s[20:23], s[4:5], 0x15c
	s_load_dwordx4 s[16:19], s[4:5], 0x23c
	s_load_dwordx2 s[42:43], s[4:5], 0xf0
	s_load_dwordx4 s[24:27], s[4:5], 0x6c
	v_cmp_ne_u32_e64 s[0:1], 0, v0
	s_mul_hi_u32 s54, s33, s2
	s_waitcnt lgkmcnt(0)
	s_mul_hi_u32 s27, s52, s3
	s_mul_hi_u32 s19, s53, s29
	v_cmp_eq_u32_e64 s[2:3], 0, v0
	s_waitcnt vmcnt(0)
	v_readfirstlane_b32 s23, v1
	s_and_saveexec_b64 s[12:13], s[2:3]
	s_cbranch_execz .LBB113_17
; %bb.2:
	s_load_dwordx2 s[46:47], s[4:5], 0x2c8
	s_mov_b32 s29, s39
	s_lshl_b64 s[48:49], s[28:29], 2
	s_add_u32 s28, s14, s48
	s_addc_u32 s29, s15, s49
	s_waitcnt lgkmcnt(0)
	s_add_u32 s30, s46, s48
	s_addc_u32 s31, s47, s49
	s_cmp_lt_u32 s10, 4
	s_cbranch_scc1 .LBB113_14
; %bb.3:
	s_mov_b32 s55, s39
	s_mov_b32 s56, s39
	;; [unrolled: 1-line block ×3, first 2 shown]
.LBB113_4:                              ; =>This Inner Loop Header: Depth=1
	s_add_u32 s50, s14, s48
	s_addc_u32 s51, s15, s49
	s_load_dwordx4 s[28:31], s[50:51], 0x0
	s_add_u32 s50, s46, s48
	s_addc_u32 s51, s47, s49
	s_cmp_ge_u32 s57, s11
	s_cbranch_scc0 .LBB113_11
; %bb.5:                                ;   in Loop: Header=BB113_4 Depth=1
	s_add_i32 s58, s57, 1
	s_cmp_ge_u32 s58, s11
	s_cbranch_scc0 .LBB113_12
.LBB113_6:                              ;   in Loop: Header=BB113_4 Depth=1
	s_add_i32 s58, s58, 1
	s_cmp_ge_u32 s58, s11
	s_cbranch_scc0 .LBB113_13
.LBB113_7:                              ;   in Loop: Header=BB113_4 Depth=1
	s_add_i32 s58, s58, 1
	s_cmp_ge_u32 s58, s11
	s_cbranch_scc1 .LBB113_9
.LBB113_8:                              ;   in Loop: Header=BB113_4 Depth=1
	s_load_dword s50, s[50:51], 0xc
	s_waitcnt lgkmcnt(0)
	s_add_i32 s39, s39, s31
	s_add_i32 s55, s50, s55
.LBB113_9:                              ;   in Loop: Header=BB113_4 Depth=1
	s_waitcnt lgkmcnt(0)
	s_add_i32 s28, s28, s56
	s_add_i32 s28, s28, s29
	;; [unrolled: 1-line block ×4, first 2 shown]
	s_add_u32 s14, s14, 16
	s_addc_u32 s15, s15, 0
	s_add_u32 s46, s46, 16
	s_addc_u32 s47, s47, 0
	s_add_i32 s51, s58, 4
	s_add_u32 s30, s46, s48
	s_addc_u32 s31, s47, s49
	s_add_u32 s28, s14, s48
	s_addc_u32 s29, s15, s49
	s_add_i32 s50, s58, 1
	s_cmp_ge_u32 s51, s10
	s_cbranch_scc1 .LBB113_15
; %bb.10:                               ;   in Loop: Header=BB113_4 Depth=1
	s_mov_b32 s57, s50
	s_branch .LBB113_4
.LBB113_11:                             ;   in Loop: Header=BB113_4 Depth=1
	s_load_dword s58, s[50:51], 0x0
	s_waitcnt lgkmcnt(0)
	s_add_i32 s39, s28, s39
	s_add_i32 s55, s58, s55
	;; [unrolled: 1-line block ×3, first 2 shown]
	s_cmp_ge_u32 s58, s11
	s_cbranch_scc1 .LBB113_6
.LBB113_12:                             ;   in Loop: Header=BB113_4 Depth=1
	s_load_dword s59, s[50:51], 0x4
	s_waitcnt lgkmcnt(0)
	s_add_i32 s39, s39, s29
	s_add_i32 s55, s59, s55
	;; [unrolled: 1-line block ×3, first 2 shown]
	s_cmp_ge_u32 s58, s11
	s_cbranch_scc1 .LBB113_7
.LBB113_13:                             ;   in Loop: Header=BB113_4 Depth=1
	s_load_dword s59, s[50:51], 0x8
	s_waitcnt lgkmcnt(0)
	s_add_i32 s39, s39, s30
	s_add_i32 s55, s59, s55
	;; [unrolled: 1-line block ×3, first 2 shown]
	s_cmp_ge_u32 s58, s11
	s_cbranch_scc0 .LBB113_8
	s_branch .LBB113_9
.LBB113_14:
	s_mov_b32 s55, 0
	s_mov_b32 s56, 0
	s_mov_b32 s14, 0
	s_cmp_ge_u32 s14, s10
	s_cbranch_scc0 .LBB113_38
	s_branch .LBB113_16
.LBB113_15:
	s_add_i32 s14, s57, 4
	s_cmp_ge_u32 s14, s10
	s_cbranch_scc0 .LBB113_38
.LBB113_16:
	v_mov_b32_e32 v1, s55
	v_mov_b32_e32 v2, s56
	;; [unrolled: 1-line block ×4, first 2 shown]
	ds_write_b96 v4, v[1:3] offset:1056
.LBB113_17:
	s_or_b64 exec, exec, s[12:13]
	s_load_dwordx4 s[12:15], s[4:5], 0xd8
	s_mul_i32 s28, s9, s11
	s_lshl_b32 s28, s28, 8
	s_waitcnt lgkmcnt(0)
	s_add_i32 s15, s11, 1
	s_mov_b32 s11, 0
	s_sub_i32 s29, s12, s28
	s_add_u32 s30, s29, 0xff
	s_addc_u32 s31, 0, 0
	s_lshr_b64 s[30:31], s[30:31], 8
	s_cmp_lt_u32 s15, s10
	s_cselect_b32 s9, s9, s30
	s_cmp_eq_u32 s9, 0
	s_barrier
	s_cbranch_scc1 .LBB113_40
; %bb.18:
	s_mul_i32 s10, s33, s37
	s_mul_i32 s15, s54, s36
	s_sub_i32 s10, s38, s10
	s_sub_i32 s15, s33, s15
	s_mul_i32 s10, s10, s26
	s_add_i32 s26, s54, 1
	s_sub_i32 s29, s15, s36
	s_cmp_ge_u32 s15, s36
	s_cselect_b32 s26, s26, s54
	s_cselect_b32 s15, s29, s15
	s_add_i32 s29, s26, 1
	s_cmp_ge_u32 s15, s36
	s_cselect_b32 s15, s29, s26
	s_mul_i32 s26, s15, s36
	s_sub_i32 s26, s33, s26
	s_mul_i32 s25, s26, s25
	s_add_i32 s10, s25, s10
	s_mul_i32 s15, s15, s24
	s_add_i32 s10, s10, s15
	s_mul_i32 s15, s52, s41
	s_sub_i32 s15, s38, s15
	s_mul_i32 s15, s15, s22
	s_mul_i32 s22, s27, s40
	s_sub_i32 s22, s52, s22
	s_add_i32 s24, s27, 1
	s_sub_i32 s25, s22, s40
	s_cmp_ge_u32 s22, s40
	s_cselect_b32 s24, s24, s27
	s_cselect_b32 s22, s25, s22
	s_add_i32 s25, s24, 1
	s_cmp_ge_u32 s22, s40
	s_cselect_b32 s22, s25, s24
	s_mul_i32 s24, s22, s40
	s_sub_i32 s24, s52, s24
	s_mul_i32 s21, s24, s21
	s_add_i32 s15, s21, s15
	s_mul_i32 s22, s22, s20
	s_add_i32 s20, s15, s22
	s_mul_i32 s15, s53, s35
	s_sub_i32 s15, s38, s15
	s_mul_i32 s15, s15, s18
	s_mul_i32 s18, s19, s34
	s_sub_i32 s18, s53, s18
	s_add_i32 s21, s19, 1
	s_sub_i32 s22, s18, s34
	s_cmp_ge_u32 s18, s34
	s_cselect_b32 s19, s21, s19
	s_cselect_b32 s18, s22, s18
	s_add_i32 s21, s19, 1
	s_cmp_ge_u32 s18, s34
	s_cselect_b32 s18, s21, s19
	s_mul_i32 s19, s18, s34
	s_sub_i32 s19, s53, s19
	s_mul_i32 s17, s19, s17
	s_add_i32 s15, s17, s15
	s_mul_i32 s18, s18, s16
	s_add_i32 s24, s15, s18
	s_lshl_b64 s[16:17], s[10:11], 1
	s_add_u32 s15, s44, s16
	s_mov_b32 s21, s11
	s_addc_u32 s16, s45, s17
	s_lshl_b64 s[18:19], s[20:21], 1
	s_add_u32 s17, s42, s18
	s_mov_b32 s25, s11
	v_mov_b32_e32 v5, 0
	s_addc_u32 s18, s43, s19
	s_lshl_b64 s[10:11], s[24:25], 3
	ds_read_b96 v[1:3], v5 offset:1056
	s_add_u32 s19, s6, s10
	s_addc_u32 s20, s7, s11
	s_and_b32 s10, 0xffff, s23
	s_sext_i32_i16 s6, s23
	s_cmp_gt_i32 s6, -1
	s_mov_b32 s6, 0x8000
	s_cselect_b32 s11, s6, 0xffff
	s_lshl_b32 s6, s23, 16
	v_cmp_o_f32_e64 s[6:7], s6, s6
	s_xor_b32 s10, s11, s10
	s_waitcnt lgkmcnt(0)
	v_add_u32_e32 v2, v1, v2
	v_lshrrev_b32_e32 v1, 3, v0
	s_and_b64 s[6:7], s[6:7], exec
	v_and_b32_e32 v1, 28, v1
	s_cselect_b32 s21, s10, 0xffff
	s_bitcmp1_b32 s14, 0
	s_load_dword s10, s[4:5], 0xe8
	s_load_dword s14, s[4:5], 0x1c8
	v_lshl_add_u32 v6, v0, 2, v1
	v_lshrrev_b32_e32 v1, 1, v0
	v_and_b32_e32 v7, 0x7c, v1
	v_add_u32_e32 v1, -1, v0
	v_lshrrev_b32_e32 v4, 3, v1
	v_cmp_gt_u32_e64 s[4:5], 64, v0
	v_lshlrev_b32_e32 v8, 4, v0
	v_and_b32_e32 v4, 0x1ffffffc, v4
	v_add_u32_e32 v0, s28, v0
	v_lshl_add_u32 v9, v1, 2, v4
	s_waitcnt lgkmcnt(0)
	v_mul_lo_u32 v4, s10, v0
	v_mbcnt_lo_u32_b32 v1, -1, 0
	s_cselect_b64 s[6:7], -1, 0
	s_lshl_b32 s22, s10, 8
	v_mov_b32_e32 v10, 0xffff
	v_mov_b32_e32 v11, 0x8000
	v_mbcnt_hi_u32_b32 v12, -1, v1
                                        ; implicit-def: $vgpr13
	s_branch .LBB113_21
.LBB113_19:                             ;   in Loop: Header=BB113_21 Depth=1
	s_or_b64 exec, exec, s[10:11]
	v_add_u32_e32 v2, v16, v2
.LBB113_20:                             ;   in Loop: Header=BB113_21 Depth=1
	s_add_i32 s9, s9, -1
	v_add_u32_e32 v3, v15, v3
	v_add_u32_e32 v4, s22, v4
	s_cmp_lg_u32 s9, 0
	v_add_u32_e32 v0, 0x100, v0
	s_cbranch_scc0 .LBB113_40
.LBB113_21:                             ; =>This Inner Loop Header: Depth=1
	v_cmp_gt_u32_e32 vcc, s12, v0
	v_mov_b32_e32 v1, 0
	v_mov_b32_e32 v14, 0
	s_and_saveexec_b64 s[10:11], vcc
	s_cbranch_execz .LBB113_23
; %bb.22:                               ;   in Loop: Header=BB113_21 Depth=1
	v_lshlrev_b64 v[13:14], 1, v[4:5]
	v_mov_b32_e32 v1, s16
	v_add_co_u32_e32 v13, vcc, s15, v13
	v_addc_co_u32_e32 v14, vcc, v1, v14, vcc
	global_load_ushort v13, v[13:14], off
	s_waitcnt vmcnt(0)
	v_cmp_lt_i16_e32 vcc, -1, v13
	v_cndmask_b32_e32 v1, v10, v11, vcc
	v_lshlrev_b32_e32 v14, 16, v13
	v_xor_b32_sdwa v1, v1, v13 dst_sel:DWORD dst_unused:UNUSED_PAD src0_sel:DWORD src1_sel:WORD_0
	v_cmp_o_f32_e32 vcc, v14, v14
	v_cndmask_b32_e32 v14, v10, v1, vcc
	v_cmp_lt_u32_e32 vcc, s21, v14
	v_cndmask_b32_e64 v1, 0, 1, vcc
	v_cmp_gt_u32_e32 vcc, s21, v14
	v_cndmask_b32_e64 v15, 0, 1, vcc
	v_cndmask_b32_e64 v1, v15, v1, s[6:7]
	v_cmp_eq_u32_e32 vcc, s21, v14
	v_and_b32_e32 v1, 1, v1
	v_cndmask_b32_e64 v14, 0, 1, vcc
.LBB113_23:                             ;   in Loop: Header=BB113_21 Depth=1
	s_or_b64 exec, exec, s[10:11]
	ds_write_b32 v6, v1
	s_waitcnt vmcnt(0) lgkmcnt(0)
	s_barrier
	s_and_saveexec_b64 s[10:11], s[4:5]
	s_cbranch_execz .LBB113_25
; %bb.24:                               ;   in Loop: Header=BB113_21 Depth=1
	v_add_u32_e32 v19, v7, v8
	ds_read2_b32 v[15:16], v19 offset1:1
	ds_read2_b32 v[17:18], v19 offset0:2 offset1:3
	v_and_b32_e32 v20, 15, v12
	v_cmp_ne_u32_e32 vcc, 0, v20
	s_waitcnt lgkmcnt(1)
	v_add_u32_e32 v16, v16, v15
	s_waitcnt lgkmcnt(0)
	v_add3_u32 v16, v16, v17, v18
	v_bfe_i32 v18, v12, 4, 1
	; wave barrier
	s_nop 0
	v_mov_b32_dpp v17, v16 row_shr:1 row_mask:0xf bank_mask:0xf
	v_cndmask_b32_e32 v17, 0, v17, vcc
	v_add_u32_e32 v16, v17, v16
	v_cmp_lt_u32_e32 vcc, 1, v20
	s_nop 0
	v_mov_b32_dpp v17, v16 row_shr:2 row_mask:0xf bank_mask:0xf
	v_cndmask_b32_e32 v17, 0, v17, vcc
	v_add_u32_e32 v16, v16, v17
	v_cmp_lt_u32_e32 vcc, 3, v20
	;; [unrolled: 5-line block ×4, first 2 shown]
	s_nop 0
	v_mov_b32_dpp v17, v16 row_bcast:15 row_mask:0xf bank_mask:0xf
	v_and_b32_e32 v17, v18, v17
	v_add_u32_e32 v16, v16, v17
	v_and_b32_e32 v18, 64, v12
	s_nop 0
	v_mov_b32_dpp v17, v16 row_bcast:31 row_mask:0xf bank_mask:0xf
	v_cndmask_b32_e32 v17, 0, v17, vcc
	v_add_u32_e32 v16, v16, v17
	v_add_u32_e32 v17, -1, v12
	v_cmp_lt_i32_e32 vcc, v17, v18
	v_cndmask_b32_e32 v17, v17, v12, vcc
	v_lshlrev_b32_e32 v17, 2, v17
	ds_bpermute_b32 v16, v17, v16
	s_waitcnt lgkmcnt(0)
	v_add_u32_e32 v15, v16, v15
	v_cndmask_b32_e64 v17, v15, v1, s[2:3]
	ds_write_b32 v19, v17
	; wave barrier
	ds_read2_b32 v[15:16], v19 offset0:1 offset1:2
	ds_read_b32 v18, v19 offset:12
	s_waitcnt lgkmcnt(1)
	v_add_u32_e32 v15, v15, v17
	v_add_u32_e32 v16, v16, v15
	ds_write2_b32 v19, v15, v16 offset0:1 offset1:2
	s_waitcnt lgkmcnt(1)
	v_add_u32_e32 v15, v18, v16
	ds_write_b32 v19, v15 offset:12
.LBB113_25:                             ;   in Loop: Header=BB113_21 Depth=1
	s_or_b64 exec, exec, s[10:11]
	v_mov_b32_e32 v16, 0
	s_waitcnt lgkmcnt(0)
	s_barrier
	s_and_saveexec_b64 s[10:11], s[0:1]
; %bb.26:                               ;   in Loop: Header=BB113_21 Depth=1
	ds_read_b32 v16, v9
; %bb.27:                               ;   in Loop: Header=BB113_21 Depth=1
	s_or_b64 exec, exec, s[10:11]
	ds_read_b32 v15, v5 offset:1048
	v_cmp_ne_u32_e32 vcc, 0, v1
	s_waitcnt lgkmcnt(0)
	s_barrier
	s_and_saveexec_b64 s[10:11], vcc
	s_cbranch_execz .LBB113_29
; %bb.28:                               ;   in Loop: Header=BB113_21 Depth=1
	v_add_u32_e32 v1, v16, v3
	v_mul_lo_u32 v16, v1, s14
	v_mov_b32_e32 v17, v5
	v_mov_b32_e32 v18, s18
	;; [unrolled: 1-line block ×3, first 2 shown]
	v_lshlrev_b64 v[16:17], 1, v[16:17]
	v_add_co_u32_e32 v16, vcc, s17, v16
	v_addc_co_u32_e32 v17, vcc, v18, v17, vcc
	v_mul_lo_u32 v18, v1, s8
	global_store_short v[16:17], v13, off
	v_mov_b32_e32 v1, v5
	v_lshlrev_b64 v[16:17], 3, v[18:19]
	v_mov_b32_e32 v18, s20
	v_add_co_u32_e32 v16, vcc, s19, v16
	v_addc_co_u32_e32 v17, vcc, v18, v17, vcc
	global_store_dwordx2 v[16:17], v[0:1], off
.LBB113_29:                             ;   in Loop: Header=BB113_21 Depth=1
	s_or_b64 exec, exec, s[10:11]
	v_cmp_le_u32_e32 vcc, s13, v2
	s_cbranch_vccnz .LBB113_20
; %bb.30:                               ;   in Loop: Header=BB113_21 Depth=1
	ds_write_b32 v6, v14
	s_waitcnt vmcnt(0) lgkmcnt(0)
	s_barrier
	s_and_saveexec_b64 s[10:11], s[4:5]
	s_cbranch_execz .LBB113_32
; %bb.31:                               ;   in Loop: Header=BB113_21 Depth=1
	v_add_u32_e32 v1, v7, v8
	ds_read2_b32 v[16:17], v1 offset1:1
	ds_read2_b32 v[18:19], v1 offset0:2 offset1:3
	v_and_b32_e32 v20, 15, v12
	v_cmp_ne_u32_e32 vcc, 0, v20
	s_waitcnt lgkmcnt(1)
	v_add_u32_e32 v17, v17, v16
	s_waitcnt lgkmcnt(0)
	v_add3_u32 v17, v17, v18, v19
	v_bfe_i32 v19, v12, 4, 1
	; wave barrier
	s_nop 0
	v_mov_b32_dpp v18, v17 row_shr:1 row_mask:0xf bank_mask:0xf
	v_cndmask_b32_e32 v18, 0, v18, vcc
	v_add_u32_e32 v17, v18, v17
	v_cmp_lt_u32_e32 vcc, 1, v20
	s_nop 0
	v_mov_b32_dpp v18, v17 row_shr:2 row_mask:0xf bank_mask:0xf
	v_cndmask_b32_e32 v18, 0, v18, vcc
	v_add_u32_e32 v17, v17, v18
	v_cmp_lt_u32_e32 vcc, 3, v20
	;; [unrolled: 5-line block ×4, first 2 shown]
	s_nop 0
	v_mov_b32_dpp v18, v17 row_bcast:15 row_mask:0xf bank_mask:0xf
	v_and_b32_e32 v18, v19, v18
	v_add_u32_e32 v17, v17, v18
	v_and_b32_e32 v19, 64, v12
	s_nop 0
	v_mov_b32_dpp v18, v17 row_bcast:31 row_mask:0xf bank_mask:0xf
	v_cndmask_b32_e32 v18, 0, v18, vcc
	v_add_u32_e32 v17, v17, v18
	v_add_u32_e32 v18, -1, v12
	v_cmp_lt_i32_e32 vcc, v18, v19
	v_cndmask_b32_e32 v18, v18, v12, vcc
	v_lshlrev_b32_e32 v18, 2, v18
	ds_bpermute_b32 v17, v18, v17
	s_waitcnt lgkmcnt(0)
	v_add_u32_e32 v16, v17, v16
	v_cndmask_b32_e64 v18, v16, v14, s[2:3]
	ds_write_b32 v1, v18
	; wave barrier
	ds_read2_b32 v[16:17], v1 offset0:1 offset1:2
	ds_read_b32 v19, v1 offset:12
	s_waitcnt lgkmcnt(1)
	v_add_u32_e32 v16, v16, v18
	v_add_u32_e32 v17, v17, v16
	ds_write2_b32 v1, v16, v17 offset0:1 offset1:2
	s_waitcnt lgkmcnt(1)
	v_add_u32_e32 v16, v19, v17
	ds_write_b32 v1, v16 offset:12
.LBB113_32:                             ;   in Loop: Header=BB113_21 Depth=1
	s_or_b64 exec, exec, s[10:11]
	v_mov_b32_e32 v1, 0
	s_waitcnt lgkmcnt(0)
	s_barrier
	s_and_saveexec_b64 s[10:11], s[0:1]
; %bb.33:                               ;   in Loop: Header=BB113_21 Depth=1
	ds_read_b32 v1, v9
; %bb.34:                               ;   in Loop: Header=BB113_21 Depth=1
	s_or_b64 exec, exec, s[10:11]
	ds_read_b32 v16, v5 offset:1048
	v_cmp_ne_u32_e32 vcc, 0, v14
	s_waitcnt lgkmcnt(0)
	s_barrier
	s_and_saveexec_b64 s[10:11], vcc
	s_cbranch_execz .LBB113_19
; %bb.35:                               ;   in Loop: Header=BB113_21 Depth=1
	v_add_u32_e32 v1, v1, v2
	v_cmp_gt_u32_e32 vcc, s13, v1
	s_and_b64 exec, exec, vcc
	s_cbranch_execz .LBB113_19
; %bb.36:                               ;   in Loop: Header=BB113_21 Depth=1
	v_mul_lo_u32 v17, v1, s14
	v_mov_b32_e32 v18, v5
	v_mul_lo_u32 v19, v1, s8
	v_mov_b32_e32 v14, s18
	v_lshlrev_b64 v[17:18], 1, v[17:18]
	v_mov_b32_e32 v20, v5
	v_add_co_u32_e32 v17, vcc, s17, v17
	v_addc_co_u32_e32 v18, vcc, v14, v18, vcc
	global_store_short v[17:18], v13, off
	v_lshlrev_b64 v[17:18], 3, v[19:20]
	v_mov_b32_e32 v14, s20
	v_add_co_u32_e32 v17, vcc, s19, v17
	v_mov_b32_e32 v1, v5
	v_addc_co_u32_e32 v18, vcc, v14, v18, vcc
	global_store_dwordx2 v[17:18], v[0:1], off
	s_branch .LBB113_19
.LBB113_37:                             ;   in Loop: Header=BB113_38 Depth=1
	s_add_u32 s28, s28, 4
	s_addc_u32 s29, s29, 0
	s_waitcnt lgkmcnt(0)
	s_add_i32 s56, s15, s56
	s_add_u32 s30, s30, 4
	s_addc_u32 s31, s31, 0
	s_add_i32 s14, s14, 1
	s_cmp_lt_u32 s14, s10
	s_cbranch_scc0 .LBB113_16
.LBB113_38:                             ; =>This Inner Loop Header: Depth=1
	s_load_dword s15, s[28:29], 0x0
	s_cmp_ge_u32 s14, s11
	s_cbranch_scc1 .LBB113_37
; %bb.39:                               ;   in Loop: Header=BB113_38 Depth=1
	s_load_dword s46, s[30:31], 0x0
	s_waitcnt lgkmcnt(0)
	s_add_i32 s39, s15, s39
	s_add_i32 s55, s46, s55
	s_branch .LBB113_37
.LBB113_40:
	s_endpgm
	.section	.rodata,"a",@progbits
	.p2align	6, 0x0
	.amdhsa_kernel _ZN2at6native6mbtopk10gatherTopKIN3c108BFloat16EjLi3EEEvNS_4cuda6detail10TensorInfoIKT_T0_EESA_SA_bjSA_NS7_IS8_SA_EESA_NS7_IlSA_EESA_jjPS8_PjSF_j
		.amdhsa_group_segment_fixed_size 1068
		.amdhsa_private_segment_fixed_size 0
		.amdhsa_kernarg_size 984
		.amdhsa_user_sgpr_count 6
		.amdhsa_user_sgpr_private_segment_buffer 1
		.amdhsa_user_sgpr_dispatch_ptr 0
		.amdhsa_user_sgpr_queue_ptr 0
		.amdhsa_user_sgpr_kernarg_segment_ptr 1
		.amdhsa_user_sgpr_dispatch_id 0
		.amdhsa_user_sgpr_flat_scratch_init 0
		.amdhsa_user_sgpr_private_segment_size 0
		.amdhsa_uses_dynamic_stack 0
		.amdhsa_system_sgpr_private_segment_wavefront_offset 0
		.amdhsa_system_sgpr_workgroup_id_x 1
		.amdhsa_system_sgpr_workgroup_id_y 1
		.amdhsa_system_sgpr_workgroup_id_z 1
		.amdhsa_system_sgpr_workgroup_info 0
		.amdhsa_system_vgpr_workitem_id 0
		.amdhsa_next_free_vgpr 21
		.amdhsa_next_free_sgpr 60
		.amdhsa_reserve_vcc 1
		.amdhsa_reserve_flat_scratch 0
		.amdhsa_float_round_mode_32 0
		.amdhsa_float_round_mode_16_64 0
		.amdhsa_float_denorm_mode_32 3
		.amdhsa_float_denorm_mode_16_64 3
		.amdhsa_dx10_clamp 1
		.amdhsa_ieee_mode 1
		.amdhsa_fp16_overflow 0
		.amdhsa_exception_fp_ieee_invalid_op 0
		.amdhsa_exception_fp_denorm_src 0
		.amdhsa_exception_fp_ieee_div_zero 0
		.amdhsa_exception_fp_ieee_overflow 0
		.amdhsa_exception_fp_ieee_underflow 0
		.amdhsa_exception_fp_ieee_inexact 0
		.amdhsa_exception_int_div_zero 0
	.end_amdhsa_kernel
	.section	.text._ZN2at6native6mbtopk10gatherTopKIN3c108BFloat16EjLi3EEEvNS_4cuda6detail10TensorInfoIKT_T0_EESA_SA_bjSA_NS7_IS8_SA_EESA_NS7_IlSA_EESA_jjPS8_PjSF_j,"axG",@progbits,_ZN2at6native6mbtopk10gatherTopKIN3c108BFloat16EjLi3EEEvNS_4cuda6detail10TensorInfoIKT_T0_EESA_SA_bjSA_NS7_IS8_SA_EESA_NS7_IlSA_EESA_jjPS8_PjSF_j,comdat
.Lfunc_end113:
	.size	_ZN2at6native6mbtopk10gatherTopKIN3c108BFloat16EjLi3EEEvNS_4cuda6detail10TensorInfoIKT_T0_EESA_SA_bjSA_NS7_IS8_SA_EESA_NS7_IlSA_EESA_jjPS8_PjSF_j, .Lfunc_end113-_ZN2at6native6mbtopk10gatherTopKIN3c108BFloat16EjLi3EEEvNS_4cuda6detail10TensorInfoIKT_T0_EESA_SA_bjSA_NS7_IS8_SA_EESA_NS7_IlSA_EESA_jjPS8_PjSF_j
                                        ; -- End function
	.set _ZN2at6native6mbtopk10gatherTopKIN3c108BFloat16EjLi3EEEvNS_4cuda6detail10TensorInfoIKT_T0_EESA_SA_bjSA_NS7_IS8_SA_EESA_NS7_IlSA_EESA_jjPS8_PjSF_j.num_vgpr, 21
	.set _ZN2at6native6mbtopk10gatherTopKIN3c108BFloat16EjLi3EEEvNS_4cuda6detail10TensorInfoIKT_T0_EESA_SA_bjSA_NS7_IS8_SA_EESA_NS7_IlSA_EESA_jjPS8_PjSF_j.num_agpr, 0
	.set _ZN2at6native6mbtopk10gatherTopKIN3c108BFloat16EjLi3EEEvNS_4cuda6detail10TensorInfoIKT_T0_EESA_SA_bjSA_NS7_IS8_SA_EESA_NS7_IlSA_EESA_jjPS8_PjSF_j.numbered_sgpr, 60
	.set _ZN2at6native6mbtopk10gatherTopKIN3c108BFloat16EjLi3EEEvNS_4cuda6detail10TensorInfoIKT_T0_EESA_SA_bjSA_NS7_IS8_SA_EESA_NS7_IlSA_EESA_jjPS8_PjSF_j.num_named_barrier, 0
	.set _ZN2at6native6mbtopk10gatherTopKIN3c108BFloat16EjLi3EEEvNS_4cuda6detail10TensorInfoIKT_T0_EESA_SA_bjSA_NS7_IS8_SA_EESA_NS7_IlSA_EESA_jjPS8_PjSF_j.private_seg_size, 0
	.set _ZN2at6native6mbtopk10gatherTopKIN3c108BFloat16EjLi3EEEvNS_4cuda6detail10TensorInfoIKT_T0_EESA_SA_bjSA_NS7_IS8_SA_EESA_NS7_IlSA_EESA_jjPS8_PjSF_j.uses_vcc, 1
	.set _ZN2at6native6mbtopk10gatherTopKIN3c108BFloat16EjLi3EEEvNS_4cuda6detail10TensorInfoIKT_T0_EESA_SA_bjSA_NS7_IS8_SA_EESA_NS7_IlSA_EESA_jjPS8_PjSF_j.uses_flat_scratch, 0
	.set _ZN2at6native6mbtopk10gatherTopKIN3c108BFloat16EjLi3EEEvNS_4cuda6detail10TensorInfoIKT_T0_EESA_SA_bjSA_NS7_IS8_SA_EESA_NS7_IlSA_EESA_jjPS8_PjSF_j.has_dyn_sized_stack, 0
	.set _ZN2at6native6mbtopk10gatherTopKIN3c108BFloat16EjLi3EEEvNS_4cuda6detail10TensorInfoIKT_T0_EESA_SA_bjSA_NS7_IS8_SA_EESA_NS7_IlSA_EESA_jjPS8_PjSF_j.has_recursion, 0
	.set _ZN2at6native6mbtopk10gatherTopKIN3c108BFloat16EjLi3EEEvNS_4cuda6detail10TensorInfoIKT_T0_EESA_SA_bjSA_NS7_IS8_SA_EESA_NS7_IlSA_EESA_jjPS8_PjSF_j.has_indirect_call, 0
	.section	.AMDGPU.csdata,"",@progbits
; Kernel info:
; codeLenInByte = 2828
; TotalNumSgprs: 64
; NumVgprs: 21
; ScratchSize: 0
; MemoryBound: 0
; FloatMode: 240
; IeeeMode: 1
; LDSByteSize: 1068 bytes/workgroup (compile time only)
; SGPRBlocks: 7
; VGPRBlocks: 5
; NumSGPRsForWavesPerEU: 64
; NumVGPRsForWavesPerEU: 21
; Occupancy: 10
; WaveLimiterHint : 1
; COMPUTE_PGM_RSRC2:SCRATCH_EN: 0
; COMPUTE_PGM_RSRC2:USER_SGPR: 6
; COMPUTE_PGM_RSRC2:TRAP_HANDLER: 0
; COMPUTE_PGM_RSRC2:TGID_X_EN: 1
; COMPUTE_PGM_RSRC2:TGID_Y_EN: 1
; COMPUTE_PGM_RSRC2:TGID_Z_EN: 1
; COMPUTE_PGM_RSRC2:TIDIG_COMP_CNT: 0
	.section	.text._ZN2at6native6sbtopk10gatherTopKIN3c108BFloat16EjLi3ELb0EEEvNS_4cuda6detail10TensorInfoIKT_T0_EESA_SA_bSA_SA_NS7_IS8_SA_EESA_NS7_IlSA_EESA_PS8_,"axG",@progbits,_ZN2at6native6sbtopk10gatherTopKIN3c108BFloat16EjLi3ELb0EEEvNS_4cuda6detail10TensorInfoIKT_T0_EESA_SA_bSA_SA_NS7_IS8_SA_EESA_NS7_IlSA_EESA_PS8_,comdat
	.protected	_ZN2at6native6sbtopk10gatherTopKIN3c108BFloat16EjLi3ELb0EEEvNS_4cuda6detail10TensorInfoIKT_T0_EESA_SA_bSA_SA_NS7_IS8_SA_EESA_NS7_IlSA_EESA_PS8_ ; -- Begin function _ZN2at6native6sbtopk10gatherTopKIN3c108BFloat16EjLi3ELb0EEEvNS_4cuda6detail10TensorInfoIKT_T0_EESA_SA_bSA_SA_NS7_IS8_SA_EESA_NS7_IlSA_EESA_PS8_
	.globl	_ZN2at6native6sbtopk10gatherTopKIN3c108BFloat16EjLi3ELb0EEEvNS_4cuda6detail10TensorInfoIKT_T0_EESA_SA_bSA_SA_NS7_IS8_SA_EESA_NS7_IlSA_EESA_PS8_
	.p2align	8
	.type	_ZN2at6native6sbtopk10gatherTopKIN3c108BFloat16EjLi3ELb0EEEvNS_4cuda6detail10TensorInfoIKT_T0_EESA_SA_bSA_SA_NS7_IS8_SA_EESA_NS7_IlSA_EESA_PS8_,@function
_ZN2at6native6sbtopk10gatherTopKIN3c108BFloat16EjLi3ELb0EEEvNS_4cuda6detail10TensorInfoIKT_T0_EESA_SA_bSA_SA_NS7_IS8_SA_EESA_NS7_IlSA_EESA_PS8_: ; @_ZN2at6native6sbtopk10gatherTopKIN3c108BFloat16EjLi3ELb0EEEvNS_4cuda6detail10TensorInfoIKT_T0_EESA_SA_bSA_SA_NS7_IS8_SA_EESA_NS7_IlSA_EESA_PS8_
; %bb.0:
	s_load_dwordx2 s[14:15], s[4:5], 0x2b8
	s_load_dwordx4 s[36:39], s[4:5], 0xd8
	s_add_u32 s12, s4, 0x2b8
	s_addc_u32 s13, s5, 0
	s_waitcnt lgkmcnt(0)
	s_mul_i32 s0, s15, s8
	s_add_i32 s0, s0, s7
	s_mul_i32 s0, s0, s14
	s_add_i32 s15, s0, s6
	s_cmp_ge_u32 s15, s39
	s_cbranch_scc1 .LBB114_411
; %bb.1:
	s_load_dwordx4 s[0:3], s[4:5], 0x23c
                                        ; implicit-def: $vgpr53 : SGPR spill to VGPR lane
	s_load_dwordx2 s[16:17], s[4:5], 0xc
	s_load_dwordx2 s[10:11], s[4:5], 0x0
	s_load_dword s61, s[4:5], 0xe8
	s_waitcnt lgkmcnt(0)
	v_writelane_b32 v53, s0, 0
	v_writelane_b32 v53, s1, 1
	;; [unrolled: 1-line block ×4, first 2 shown]
	s_load_dwordx2 s[18:19], s[4:5], 0x1dc
	s_load_dwordx2 s[0:1], s[4:5], 0x1d0
	v_cvt_f32_u32_e32 v1, s17
	v_cvt_f32_u32_e32 v2, s16
	s_waitcnt lgkmcnt(0)
	v_writelane_b32 v53, s0, 4
	v_writelane_b32 v53, s1, 5
	s_load_dwordx4 s[0:3], s[4:5], 0x15c
	v_rcp_iflag_f32_e32 v1, v1
	v_mul_f32_e32 v1, 0x4f7ffffe, v1
	s_waitcnt lgkmcnt(0)
	v_writelane_b32 v53, s0, 6
	v_writelane_b32 v53, s1, 7
	;; [unrolled: 1-line block ×4, first 2 shown]
	s_load_dwordx2 s[20:21], s[4:5], 0xfc
	s_load_dwordx2 s[0:1], s[4:5], 0xf0
	v_cvt_u32_f32_e32 v1, v1
	s_waitcnt lgkmcnt(0)
	v_writelane_b32 v53, s0, 10
	v_writelane_b32 v53, s1, 11
	;; [unrolled: 1-line block ×3, first 2 shown]
	s_load_dwordx4 s[0:3], s[4:5], 0x6c
	v_writelane_b32 v53, s5, 13
	s_waitcnt lgkmcnt(0)
	s_sub_i32 s3, 0, s17
	v_readfirstlane_b32 s4, v1
	s_mul_i32 s3, s3, s4
	s_mul_hi_u32 s3, s4, s3
	s_add_i32 s4, s4, s3
	v_rcp_iflag_f32_e32 v1, v2
	s_mul_hi_u32 s3, s15, s4
	v_cvt_f32_u32_e32 v2, s21
	s_mul_i32 s4, s3, s17
	s_sub_i32 s4, s15, s4
	s_add_i32 s5, s3, 1
	s_sub_i32 s7, s4, s17
	v_mul_f32_e32 v1, 0x4f7ffffe, v1
	s_cmp_ge_u32 s4, s17
	v_cvt_u32_f32_e32 v1, v1
	v_rcp_iflag_f32_e32 v2, v2
	s_cselect_b32 s3, s5, s3
	s_cselect_b32 s4, s7, s4
	s_add_i32 s5, s3, 1
	s_cmp_ge_u32 s4, s17
	s_cselect_b32 s3, s5, s3
	v_readfirstlane_b32 s5, v1
	v_mul_f32_e32 v1, 0x4f7ffffe, v2
	v_cvt_u32_f32_e32 v1, v1
	s_sub_i32 s4, 0, s16
	s_mul_i32 s4, s4, s5
	s_mul_hi_u32 s4, s5, s4
	v_readfirstlane_b32 s7, v1
	v_cvt_f32_u32_e32 v1, s20
	s_add_i32 s5, s5, s4
	s_mul_hi_u32 s4, s3, s5
	s_sub_i32 s5, 0, s21
	s_mul_i32 s5, s5, s7
	s_mul_hi_u32 s5, s7, s5
	v_rcp_iflag_f32_e32 v1, v1
	s_add_i32 s7, s7, s5
	v_cvt_f32_u32_e32 v2, s19
	s_mul_hi_u32 s5, s15, s7
	s_mul_i32 s7, s5, s21
	s_sub_i32 s7, s15, s7
	v_mul_f32_e32 v1, 0x4f7ffffe, v1
	s_add_i32 s8, s5, 1
	s_sub_i32 s9, s7, s21
	v_cvt_u32_f32_e32 v1, v1
	v_rcp_iflag_f32_e32 v2, v2
	s_cmp_ge_u32 s7, s21
	s_cselect_b32 s5, s8, s5
	s_cselect_b32 s7, s9, s7
	s_add_i32 s8, s5, 1
	s_cmp_ge_u32 s7, s21
	v_readfirstlane_b32 s7, v1
	v_mul_f32_e32 v1, 0x4f7ffffe, v2
	s_cselect_b32 s8, s8, s5
	v_writelane_b32 v53, s20, 14
	s_sub_i32 s5, 0, s20
	v_cvt_u32_f32_e32 v1, v1
	s_mul_i32 s5, s5, s7
	s_mul_hi_u32 s5, s7, s5
	v_writelane_b32 v53, s21, 15
	s_add_i32 s7, s7, s5
	v_writelane_b32 v53, s8, 16
	s_mul_hi_u32 s5, s8, s7
	v_readfirstlane_b32 s7, v1
	v_cvt_f32_u32_e32 v1, s18
	v_writelane_b32 v53, s5, 17
	s_sub_i32 s5, 0, s19
	s_mul_i32 s5, s5, s7
	s_mul_hi_u32 s5, s7, s5
	s_add_i32 s7, s7, s5
	v_rcp_iflag_f32_e32 v1, v1
	s_mul_hi_u32 s5, s15, s7
	s_mul_i32 s7, s5, s19
	s_sub_i32 s7, s15, s7
	s_add_i32 s8, s5, 1
	s_sub_i32 s9, s7, s19
	v_mul_f32_e32 v1, 0x4f7ffffe, v1
	s_cmp_ge_u32 s7, s19
	v_cvt_u32_f32_e32 v1, v1
	s_cselect_b32 s5, s8, s5
	s_cselect_b32 s7, s9, s7
	s_add_i32 s8, s5, 1
	s_cmp_ge_u32 s7, s19
	s_cselect_b32 s8, s8, s5
	v_writelane_b32 v53, s18, 18
	s_sub_i32 s5, 0, s18
	v_readfirstlane_b32 s7, v1
	s_mul_i32 s5, s5, s7
	s_mul_hi_u32 s5, s7, s5
	v_writelane_b32 v53, s19, 19
	s_add_i32 s7, s7, s5
	v_writelane_b32 v53, s8, 20
	s_mul_hi_u32 s5, s8, s7
	v_writelane_b32 v53, s5, 21
	v_cmp_eq_u32_e64 s[18:19], 0, v0
	s_mov_b64 s[8:9], exec
	v_writelane_b32 v53, s18, 22
	v_writelane_b32 v53, s19, 23
	s_and_b64 s[18:19], s[8:9], s[18:19]
	s_mov_b64 exec, s[18:19]
; %bb.2:
	v_mov_b32_e32 v1, 0
	v_mov_b32_e32 v2, s36
	v_mov_b32_e32 v3, v1
	ds_write_b96 v1, v[1:3] offset:4096
; %bb.3:
	s_or_b64 exec, exec, s[8:9]
	s_mul_i32 s5, s3, s17
	s_sub_i32 s5, s15, s5
	s_mul_i32 s5, s5, s2
	s_mul_i32 s2, s4, s16
	s_sub_i32 s2, s3, s2
	s_add_i32 s7, s4, 1
	s_sub_i32 s8, s2, s16
	s_cmp_ge_u32 s2, s16
	s_cselect_b32 s4, s7, s4
	s_cselect_b32 s2, s8, s2
	s_add_i32 s7, s4, 1
	s_cmp_ge_u32 s2, s16
	s_cselect_b32 s2, s7, s4
	s_mul_i32 s4, s2, s16
	s_sub_i32 s3, s3, s4
	s_mul_i32 s1, s3, s1
	s_add_i32 s1, s1, s5
	s_mul_i32 s2, s2, s0
	s_mov_b32 s3, 0
	v_writelane_b32 v53, s15, 24
	s_add_i32 s2, s1, s2
	s_mov_b32 s1, s3
	v_writelane_b32 v53, s0, 25
	v_writelane_b32 v53, s1, 26
	s_lshl_b64 s[0:1], s[2:3], 1
	s_add_u32 s33, s10, s0
	s_addc_u32 s56, s11, s1
	s_waitcnt lgkmcnt(0)
	s_barrier
	s_load_dword s0, s[12:13], 0xc
	s_bitcmp1_b32 s38, 0
	s_cselect_b64 s[2:3], -1, 0
	v_writelane_b32 v53, s2, 27
	v_writelane_b32 v53, s3, 28
	s_xor_b64 s[2:3], s[2:3], -1
	v_mbcnt_lo_u32_b32 v1, -1, 0
	v_writelane_b32 v53, s2, 29
	v_mbcnt_hi_u32_b32 v24, -1, v1
	v_writelane_b32 v53, s3, 30
	s_waitcnt lgkmcnt(0)
	s_and_b32 s60, s0, 0xffff
	v_cmp_gt_u32_e32 vcc, 64, v0
	v_cmp_gt_i32_e64 s[2:3], 4, v24
	s_lshl_b32 s63, s60, 2
	s_bfe_u32 s4, s0, 0xa0006
	s_and_b64 s[2:3], vcc, s[2:3]
	v_writelane_b32 v53, s2, 31
	s_cmpk_gt_u32 s36, 0x600
	v_writelane_b32 v53, s3, 32
	s_cselect_b64 s[2:3], -1, 0
	v_mul_lo_u32 v7, s61, v0
	v_writelane_b32 v53, s2, 33
	v_writelane_b32 v53, s3, 34
	v_cmp_gt_u32_e64 s[2:3], s36, v0
	v_mov_b32_e32 v9, 0
	v_writelane_b32 v53, s2, 35
	s_cmp_gt_u32 s60, 63
	v_mov_b32_e32 v8, v9
	v_writelane_b32 v53, s3, 36
	s_cselect_b64 s[2:3], -1, 0
	v_lshlrev_b64 v[1:2], 1, v[7:8]
	v_writelane_b32 v53, s2, 37
	v_writelane_b32 v53, s3, 38
	v_cmp_gt_u32_e64 s[2:3], 2, v0
	v_mov_b32_e32 v3, s56
	v_add_co_u32_e32 v5, vcc, s33, v1
	v_writelane_b32 v53, s2, 39
	v_addc_co_u32_e32 v6, vcc, v3, v2, vcc
	v_writelane_b32 v53, s3, 40
	s_add_i32 s2, s60, -1
	v_lshlrev_b64 v[2:3], v24, -1
	v_writelane_b32 v53, s2, 41
	s_add_i32 s2, s2, s36
	v_not_b32_e32 v22, v2
	v_lshrrev_b32_e32 v2, 2, v0
	s_cmp_lt_u32 s6, s14
	v_and_b32_e32 v2, 0xf0, v2
	s_cselect_b32 s3, 12, 18
	v_or_b32_e32 v27, 0xc00, v2
	s_add_u32 s6, s12, s3
	v_add_u32_e32 v2, 2, v0
	s_addc_u32 s7, s13, 0
	v_max_u32_e32 v2, s36, v2
	v_writelane_b32 v53, s6, 42
	v_xad_u32 v2, v0, -1, v2
	v_writelane_b32 v53, s7, 43
	v_cmp_lt_u32_e64 s[6:7], 31, v2
	v_not_b32_e32 v21, v3
	v_add_u32_e32 v3, -2, v2
	v_writelane_b32 v53, s6, 44
	v_lshrrev_b32_e32 v4, 1, v3
	v_writelane_b32 v53, s7, 45
	v_add_u32_e32 v4, 1, v4
	v_writelane_b32 v53, s61, 46
	v_cmp_lt_u32_e64 s[6:7], 13, v3
	v_and_b32_e32 v12, 7, v4
	v_writelane_b32 v53, s6, 47
	v_writelane_b32 v53, s7, 48
	v_cmp_ne_u32_e64 s[6:7], 0, v12
	v_and_b32_e32 v28, -2, v2
	v_writelane_b32 v53, s6, 49
	v_writelane_b32 v53, s7, 50
	v_cmp_ne_u32_e64 s[6:7], v2, v28
	v_cvt_f32_u32_e32 v2, s63
	s_add_i32 s3, s4, -1
	s_bfe_u32 s5, s60, 0x30006
	s_and_b32 s3, s3, 0xffff
	v_rcp_iflag_f32_e32 v2, v2
	v_writelane_b32 v53, s6, 51
	s_cmp_gt_u32 s3, 6
	v_writelane_b32 v53, s7, 52
	s_cselect_b64 s[6:7], -1, 0
	v_mul_f32_e32 v2, 0x4f7ffffe, v2
	v_writelane_b32 v53, s6, 53
	s_and_b32 s21, s4, 0x3f8
	v_cvt_u32_f32_e32 v2, v2
	v_writelane_b32 v53, s7, 54
	s_cmp_lg_u32 s5, 0
	v_writelane_b32 v53, s5, 55
	s_cselect_b64 s[4:5], -1, 0
	v_writelane_b32 v53, s4, 56
	v_writelane_b32 v53, s5, 57
	s_sub_i32 s3, 0, s63
	v_readfirstlane_b32 s4, v2
	s_mul_i32 s3, s3, s4
	s_mul_hi_u32 s3, s4, s3
	s_add_i32 s3, s4, s3
	v_writelane_b32 v53, s3, 58
	s_mul_hi_u32 s3, s36, s3
	s_mul_i32 s3, s3, s63
	v_cvt_f32_u32_e32 v2, s60
	s_sub_i32 s3, s36, s3
	s_sub_i32 s4, s3, s63
	s_cmp_ge_u32 s3, s63
	v_and_b32_e32 v30, -8, v4
	s_cselect_b32 s3, s4, s3
	v_rcp_iflag_f32_e32 v4, v2
	s_sub_i32 s4, s3, s63
	s_cmp_ge_u32 s3, s63
	s_cselect_b32 s3, s4, s3
	v_lshlrev_b32_e32 v23, 2, v0
	s_sub_i32 s23, s36, s3
	v_mul_f32_e32 v4, 0x4f7ffffe, v4
	v_cmp_gt_u32_e64 s[4:5], s23, v23
	v_cvt_u32_f32_e32 v4, v4
	v_add_u32_e32 v31, s23, v0
	v_writelane_b32 v53, s4, 59
	v_writelane_b32 v53, s5, 60
	v_cmp_gt_u32_e64 s[4:5], s36, v31
	v_writelane_b32 v53, s4, 61
	v_writelane_b32 v53, s5, 62
	s_sub_i32 s4, 0, s60
	v_readfirstlane_b32 s5, v4
	s_mul_i32 s4, s4, s5
	v_mul_lo_u32 v8, v31, s61
	s_mul_hi_u32 s4, s5, s4
	s_add_i32 s4, s5, s4
	v_writelane_b32 v53, s4, 63
	s_mul_hi_u32 s4, s2, s4
	s_mul_i32 s4, s4, s60
	v_lshlrev_b64 v[2:3], 1, v[8:9]
	s_sub_i32 s4, s2, s4
	s_sub_i32 s5, s4, s60
	v_add_co_u32_e32 v10, vcc, s33, v2
	s_cmp_ge_u32 s4, s60
	v_mul_lo_u32 v2, s61, v23
	s_cselect_b32 s4, s5, s4
	s_sub_i32 s5, s4, s60
	s_cmp_ge_u32 s4, s60
	s_cselect_b32 s4, s5, s4
	v_add_u32_e32 v33, s61, v2
	v_or_b32_e32 v2, 2, v23
	s_sub_i32 s22, s2, s4
	v_mul_lo_u32 v34, s61, v2
	v_or_b32_e32 v2, 3, v23
	s_add_i32 s2, s60, s36
	v_mul_lo_u32 v35, s61, v2
	v_add_u32_e32 v2, s2, v0
	v_subrev_u32_e32 v2, s3, v2
	v_mul_lo_u32 v36, s61, v2
	v_cmp_gt_u32_e64 s[4:5], s22, v0
                                        ; implicit-def: $vgpr52 : SGPR spill to VGPR lane
	v_lshlrev_b32_e32 v25, 1, v0
	v_lshlrev_b32_e32 v1, 2, v24
	v_mov_b32_e32 v8, s56
	v_writelane_b32 v52, s4, 0
	s_mul_i32 s62, s61, s60
	v_cmp_eq_u32_e64 s[0:1], 0, v24
	v_add_u32_e32 v26, 0xc00, v25
	v_and_b32_e32 v20, 0x100, v1
	v_add_u32_e32 v29, v0, v28
	v_addc_co_u32_e32 v11, vcc, v8, v3, vcc
	v_writelane_b32 v52, s5, 1
	v_lshlrev_b32_e32 v32, 2, v12
	s_lshl_b32 s10, s62, 2
	s_lshl_b32 s11, s60, 3
	;; [unrolled: 1-line block ×3, first 2 shown]
	v_or_b32_e32 v38, 0xc00, v1
	s_mov_b32 s38, 14
	s_mov_b64 s[70:71], 0
	s_mov_b32 s18, 0x5040100
	v_lshlrev_b32_e32 v39, 2, v7
	v_lshlrev_b32_e32 v40, 3, v0
	v_mov_b32_e32 v47, s37
	v_mov_b32_e32 v41, 0xffff
	;; [unrolled: 1-line block ×3, first 2 shown]
	v_mov_b32_e32 v43, -1
	v_mov_b32_e32 v44, 0x5040100
	v_mov_b32_e32 v46, 0
	;; [unrolled: 1-line block ×4, first 2 shown]
                                        ; implicit-def: $sgpr72_sgpr73
                                        ; implicit-def: $sgpr74_sgpr75
                                        ; implicit-def: $sgpr78_sgpr79
                                        ; implicit-def: $sgpr80_sgpr81
                                        ; implicit-def: $sgpr76_sgpr77
                                        ; implicit-def: $sgpr82_sgpr83
                                        ; implicit-def: $sgpr84_sgpr85
                                        ; implicit-def: $sgpr86_sgpr87
                                        ; implicit-def: $sgpr88_sgpr89
                                        ; implicit-def: $sgpr90_sgpr91
	s_branch .LBB114_6
.LBB114_4:                              ;   in Loop: Header=BB114_6 Depth=1
	s_or_b64 exec, exec, s[14:15]
	s_andn2_b64 s[8:9], s[90:91], exec
	s_and_b64 s[12:13], s[12:13], exec
	s_or_b64 s[90:91], s[8:9], s[12:13]
	s_andn2_b64 s[88:89], s[88:89], exec
	s_andn2_b64 s[86:87], s[86:87], exec
	;; [unrolled: 1-line block ×4, first 2 shown]
	s_orn2_b64 s[6:7], s[6:7], exec
	v_mov_b32_e32 v47, v4
.LBB114_5:                              ;   in Loop: Header=BB114_6 Depth=1
	s_or_b64 exec, exec, s[2:3]
	s_and_b64 s[2:3], exec, s[6:7]
	s_or_b64 s[70:71], s[2:3], s[70:71]
	s_andn2_b64 s[2:3], s[76:77], exec
	s_and_b64 s[6:7], s[90:91], exec
	s_or_b64 s[76:77], s[2:3], s[6:7]
	s_andn2_b64 s[2:3], s[80:81], exec
	s_and_b64 s[6:7], s[88:89], exec
	;; [unrolled: 3-line block ×5, first 2 shown]
	s_or_b64 s[72:73], s[2:3], s[6:7]
	s_andn2_b64 exec, exec, s[70:71]
	s_cbranch_execz .LBB114_407
.LBB114_6:                              ; =>This Loop Header: Depth=1
                                        ;     Child Loop BB114_11 Depth 2
                                        ;     Child Loop BB114_32 Depth 2
	;; [unrolled: 1-line block ×26, first 2 shown]
	ds_read_b64 v[1:2], v9 offset:4096
	s_waitcnt lgkmcnt(0)
	v_readfirstlane_b32 s5, v1
	s_cmp_lg_u32 s5, 0
	s_cbranch_scc1 .LBB114_51
; %bb.7:                                ;   in Loop: Header=BB114_6 Depth=1
	v_readlane_b32 s2, v53, 33
	v_readlane_b32 s3, v53, 34
	s_and_b64 vcc, exec, s[2:3]
	s_cbranch_vccz .LBB114_19
; %bb.8:                                ;   in Loop: Header=BB114_6 Depth=1
	s_movk_i32 s2, 0x601
	v_cmp_gt_u32_e32 vcc, s2, v2
	s_mov_b64 s[12:13], 0
	s_mov_b64 s[2:3], 0
	s_cbranch_vccz .LBB114_20
; %bb.9:                                ;   in Loop: Header=BB114_6 Depth=1
	v_readlane_b32 s2, v53, 42
	v_readlane_b32 s3, v53, 43
	s_nop 4
	global_load_ushort v1, v9, s[2:3]
	global_load_ushort v4, v[5:6], off
	s_mov_b64 s[2:3], 0
	v_mov_b32_e32 v3, v0
	s_waitcnt vmcnt(1)
	v_add_u32_e32 v2, v0, v1
	v_mul_lo_u32 v8, s61, v2
	v_mul_lo_u32 v2, s61, v1
	s_branch .LBB114_11
.LBB114_10:                             ;   in Loop: Header=BB114_11 Depth=2
	s_or_b64 exec, exec, s[6:7]
	v_add_u32_e32 v8, v8, v2
	v_mov_b32_e32 v4, v12
	s_andn2_b64 exec, exec, s[2:3]
	s_cbranch_execz .LBB114_26
.LBB114_11:                             ;   Parent Loop BB114_6 Depth=1
                                        ; =>  This Inner Loop Header: Depth=2
	v_add_u32_e32 v3, v3, v1
	v_cmp_gt_u32_e64 s[6:7], s36, v3
	v_cmp_le_u32_e32 vcc, s36, v3
	s_waitcnt lgkmcnt(0)
	v_mov_b32_e32 v13, 0
	v_mov_b32_e32 v12, 0
	s_and_saveexec_b64 s[14:15], s[6:7]
	s_cbranch_execz .LBB114_13
; %bb.12:                               ;   in Loop: Header=BB114_11 Depth=2
	v_lshlrev_b64 v[14:15], 1, v[8:9]
	v_mov_b32_e32 v12, s56
	v_add_co_u32_e64 v14, s[6:7], s33, v14
	v_addc_co_u32_e64 v15, s[6:7], v12, v15, s[6:7]
	global_load_ushort v12, v[14:15], off
.LBB114_13:                             ;   in Loop: Header=BB114_11 Depth=2
	s_or_b64 exec, exec, s[14:15]
	s_waitcnt vmcnt(0)
	v_cmp_lt_i16_e64 s[6:7], -1, v4
	v_cndmask_b32_e64 v14, v41, v42, s[6:7]
	v_lshlrev_b32_e32 v15, 16, v4
	v_cmp_o_f32_e64 s[6:7], v15, v15
	v_xor_b32_sdwa v14, v14, v4 dst_sel:DWORD dst_unused:UNUSED_PAD src0_sel:DWORD src1_sel:WORD_0
	v_cndmask_b32_e64 v14, v41, v14, s[6:7]
	v_and_b32_e32 v14, v14, v45
	v_cmp_eq_u32_e64 s[26:27], v14, v37
	s_cmp_lg_u64 s[26:27], 0
	s_cselect_b64 s[6:7], -1, 0
	s_and_b64 s[6:7], s[0:1], s[6:7]
	s_and_saveexec_b64 s[14:15], s[6:7]
	s_cbranch_execz .LBB114_17
; %bb.14:                               ;   in Loop: Header=BB114_11 Depth=2
	s_mov_b64 s[16:17], exec
	v_mbcnt_lo_u32_b32 v13, s16, 0
	v_mbcnt_hi_u32_b32 v13, s17, v13
	s_bcnt1_i32_b64 s5, s[26:27]
	v_cmp_eq_u32_e64 s[6:7], 0, v13
                                        ; implicit-def: $vgpr14
	s_and_saveexec_b64 s[8:9], s[6:7]
; %bb.15:                               ;   in Loop: Header=BB114_11 Depth=2
	s_bcnt1_i32_b64 s6, s[16:17]
	s_mul_i32 s6, s5, s6
	v_mov_b32_e32 v14, s6
	ds_add_rtn_u32 v14, v9, v14 offset:4104
; %bb.16:                               ;   in Loop: Header=BB114_11 Depth=2
	s_or_b64 exec, exec, s[8:9]
	s_waitcnt lgkmcnt(0)
	v_readfirstlane_b32 s6, v14
	v_mov_b32_e32 v14, s6
	v_mad_u32_u24 v13, s5, v13, v14
.LBB114_17:                             ;   in Loop: Header=BB114_11 Depth=2
	s_or_b64 exec, exec, s[14:15]
	ds_bpermute_b32 v13, v20, v13
	s_and_b64 s[6:7], exec, vcc
	s_or_b64 s[2:3], s[6:7], s[2:3]
	s_and_saveexec_b64 s[6:7], s[26:27]
	s_cbranch_execz .LBB114_10
; %bb.18:                               ;   in Loop: Header=BB114_11 Depth=2
	v_and_b32_e32 v15, s26, v22
	v_and_b32_e32 v14, s27, v21
	v_bcnt_u32_b32 v15, v15, 0
	v_bcnt_u32_b32 v14, v14, v15
	v_lshlrev_b32_e32 v14, 1, v14
	s_waitcnt lgkmcnt(0)
	v_lshl_add_u32 v13, v13, 1, v14
	ds_write_b16 v13, v4
	s_branch .LBB114_10
.LBB114_19:                             ;   in Loop: Header=BB114_6 Depth=1
	s_mov_b64 s[12:13], -1
	s_mov_b64 s[2:3], 0
.LBB114_20:                             ;   in Loop: Header=BB114_6 Depth=1
	s_and_b64 vcc, exec, s[12:13]
	s_cbranch_vccz .LBB114_49
.LBB114_21:                             ;   in Loop: Header=BB114_6 Depth=1
	s_mov_b64 s[26:27], exec
	v_readlane_b32 s2, v53, 35
	v_readlane_b32 s3, v53, 36
	s_and_b64 s[2:3], s[26:27], s[2:3]
	s_mov_b64 exec, s[2:3]
	s_cbranch_execz .LBB114_46
; %bb.22:                               ;   in Loop: Header=BB114_6 Depth=1
	v_readlane_b32 s2, v53, 42
	v_readlane_b32 s3, v53, 43
	s_nop 4
	global_load_ushort v1, v9, s[2:3]
	global_load_ushort v16, v[5:6], off
	s_waitcnt vmcnt(1)
	v_add_u32_e32 v12, v0, v1
	v_readfirstlane_b32 s5, v1
	v_cmp_gt_u32_e32 vcc, s36, v12
	v_mov_b32_e32 v1, v0
	s_and_saveexec_b64 s[30:31], vcc
	s_cbranch_execz .LBB114_45
; %bb.23:                               ;   in Loop: Header=BB114_6 Depth=1
	s_mov_b64 s[6:7], 0
	s_mul_i32 s8, s61, s5
                                        ; implicit-def: $vgpr1
                                        ; implicit-def: $vgpr3
                                        ; implicit-def: $vgpr2
	s_mov_b64 s[2:3], exec
	v_readlane_b32 s12, v53, 44
	v_readlane_b32 s13, v53, 45
	s_and_b64 s[12:13], s[2:3], s[12:13]
	s_xor_b64 s[34:35], s[12:13], s[2:3]
	s_mov_b64 exec, s[12:13]
	s_cbranch_execnz .LBB114_29
; %bb.24:                               ;   in Loop: Header=BB114_6 Depth=1
	s_andn2_saveexec_b64 s[2:3], s[34:35]
	s_cbranch_execnz .LBB114_40
.LBB114_25:                             ;   in Loop: Header=BB114_6 Depth=1
	s_or_b64 exec, exec, s[2:3]
	s_and_saveexec_b64 s[2:3], s[6:7]
	s_cbranch_execnz .LBB114_41
	s_branch .LBB114_44
.LBB114_26:                             ;   in Loop: Header=BB114_6 Depth=1
	s_or_b64 exec, exec, s[2:3]
	s_waitcnt lgkmcnt(0)
	s_barrier
	s_mov_b64 s[2:3], exec
	v_readlane_b32 s6, v53, 22
	v_readlane_b32 s7, v53, 23
	s_and_b64 s[6:7], s[2:3], s[6:7]
	s_mov_b64 exec, s[6:7]
	s_cbranch_execz .LBB114_28
; %bb.27:                               ;   in Loop: Header=BB114_6 Depth=1
	ds_read_b32 v1, v9 offset:4104
	s_waitcnt lgkmcnt(0)
	ds_write_b32 v9, v1 offset:4096
.LBB114_28:                             ;   in Loop: Header=BB114_6 Depth=1
	s_or_b64 exec, exec, s[2:3]
	s_waitcnt lgkmcnt(0)
	s_barrier
	s_mov_b64 s[2:3], -1
	s_and_b64 vcc, exec, s[12:13]
	s_cbranch_vccnz .LBB114_21
	s_branch .LBB114_49
.LBB114_29:                             ;   in Loop: Header=BB114_6 Depth=1
	v_cvt_f32_u32_e32 v1, s5
	s_sub_i32 s3, 0, s5
	v_add_u32_e32 v2, s5, v12
	v_max_u32_e32 v2, s36, v2
	v_rcp_iflag_f32_e32 v1, v1
	s_lshl_b32 s2, s5, 1
	v_sub_u32_e32 v2, v2, v0
	v_cmp_ne_u32_e32 vcc, s2, v2
	v_mul_f32_e32 v1, 0x4f7ffffe, v1
	v_cvt_u32_f32_e32 v1, v1
	v_cndmask_b32_e64 v8, 0, 1, vcc
	v_or_b32_e32 v8, s2, v8
	v_sub_u32_e32 v2, v2, v8
	v_mul_lo_u32 v3, s3, v1
	s_not_b32 s6, s8
	s_ashr_i32 s14, s6, 31
	s_abs_i32 s9, s8
	v_mul_hi_u32 v3, v1, v3
	v_mul_lo_u32 v4, s61, v12
	s_cmp_eq_u32 s5, 1
	s_cselect_b64 s[12:13], -1, 0
	v_add_u32_e32 v1, v1, v3
	v_mul_hi_u32 v3, v2, v1
	v_xor_b32_e32 v4, s14, v4
	s_mov_b64 s[2:3], -1
                                        ; implicit-def: $vgpr1
	v_mul_lo_u32 v8, v3, s5
	v_add_u32_e32 v13, 1, v3
	v_sub_u32_e32 v2, v2, v8
	v_subrev_u32_e32 v8, s5, v2
	v_cmp_le_u32_e64 s[6:7], s5, v2
	v_cndmask_b32_e64 v3, v3, v13, s[6:7]
	v_cndmask_b32_e64 v2, v2, v8, s[6:7]
	v_add_u32_e32 v8, 1, v3
	v_cmp_le_u32_e64 s[6:7], s5, v2
	v_cndmask_b32_e64 v2, v3, v8, s[6:7]
	v_addc_co_u32_e32 v2, vcc, 0, v2, vcc
	v_mul_hi_u32 v3, s9, v2
	v_mul_lo_u32 v2, s9, v2
	v_cmp_eq_u32_e32 vcc, 0, v3
	v_cmp_le_u32_e64 s[6:7], v2, v4
	s_and_b64 s[12:13], vcc, s[12:13]
	s_and_b64 s[12:13], s[12:13], s[6:7]
	v_mov_b32_e32 v3, v0
	s_and_saveexec_b64 s[6:7], s[12:13]
	s_cbranch_execz .LBB114_39
; %bb.30:                               ;   in Loop: Header=BB114_6 Depth=1
	v_add_u32_e32 v13, 1, v12
	v_mov_b32_e32 v15, v13
	s_waitcnt vmcnt(0)
	v_lshlrev_b32_e32 v17, 16, v16
	v_mov_b32_e32 v1, 0
	v_mov_b32_e32 v14, v12
                                        ; implicit-def: $vgpr16
	s_mov_b64 s[40:41], exec
	v_readlane_b32 s2, v53, 47
	v_readlane_b32 s3, v53, 48
	s_and_b64 s[2:3], s[40:41], s[2:3]
	s_mov_b64 exec, s[2:3]
	s_cbranch_execz .LBB114_34
; %bb.31:                               ;   in Loop: Header=BB114_6 Depth=1
	v_mov_b32_e32 v15, v13
	s_mov_b32 s2, 0
	s_mov_b64 s[42:43], 0
	v_mov_b32_e32 v48, v30
	v_mov_b32_e32 v49, v25
	;; [unrolled: 1-line block ×3, first 2 shown]
	v_readlane_b32 s3, v53, 46
.LBB114_32:                             ;   Parent Loop BB114_6 Depth=1
                                        ; =>  This Inner Loop Header: Depth=2
	v_mul_lo_u32 v8, v14, s61
	v_mul_lo_u32 v1, v15, s3
	v_mov_b32_e32 v13, s56
	v_add_u32_e32 v48, -8, v48
	v_lshlrev_b64 v[2:3], 1, v[8:9]
	s_add_i32 s2, s2, 16
	v_add_co_u32_e32 v18, vcc, s33, v2
	v_mov_b32_e32 v2, v9
	v_lshlrev_b64 v[1:2], 1, v[1:2]
	v_addc_co_u32_e32 v19, vcc, v13, v3, vcc
	v_add_co_u32_e32 v1, vcc, s33, v1
	v_addc_co_u32_e32 v2, vcc, v13, v2, vcc
	global_load_ushort v3, v[18:19], off
	s_nop 0
	global_load_ushort v18, v[1:2], off
	v_add_u32_e32 v2, 2, v15
	v_mul_lo_u32 v2, v2, s3
	s_waitcnt vmcnt(1)
	v_alignbit_b32 v1, v3, v17, 16
	v_add_u32_e32 v3, 2, v14
	v_mul_lo_u32 v8, v3, s61
	v_lshlrev_b64 v[3:4], 1, v[8:9]
	v_add_co_u32_e32 v16, vcc, s33, v3
	v_mov_b32_e32 v3, v9
	v_lshlrev_b64 v[2:3], 1, v[2:3]
	v_addc_co_u32_e32 v17, vcc, v13, v4, vcc
	v_add_co_u32_e32 v2, vcc, s33, v2
	v_addc_co_u32_e32 v3, vcc, v13, v3, vcc
	global_load_ushort v4, v[16:17], off
	global_load_ushort v19, v[2:3], off
	v_add_u32_e32 v3, 4, v15
	v_mul_lo_u32 v3, v3, s3
	s_waitcnt vmcnt(1)
	v_perm_b32 v2, v4, v18, s18
	v_add_u32_e32 v4, 4, v14
	v_mul_lo_u32 v8, v4, s61
	v_mov_b32_e32 v4, v9
	v_lshlrev_b64 v[3:4], 1, v[3:4]
	v_lshlrev_b64 v[16:17], 1, v[8:9]
	v_add_co_u32_e32 v16, vcc, s33, v16
	v_addc_co_u32_e32 v17, vcc, v13, v17, vcc
	v_add_co_u32_e32 v3, vcc, s33, v3
	v_addc_co_u32_e32 v4, vcc, v13, v4, vcc
	global_load_ushort v8, v[16:17], off
	s_nop 0
	global_load_ushort v4, v[3:4], off
	v_add_u32_e32 v16, 6, v15
	v_mul_lo_u32 v16, v16, s3
	s_waitcnt vmcnt(1)
	v_perm_b32 v3, v8, v19, s18
	v_add_u32_e32 v8, 6, v14
	v_mul_lo_u32 v8, v8, s61
	v_lshlrev_b64 v[17:18], 1, v[8:9]
	v_add_co_u32_e32 v50, vcc, s33, v17
	v_mov_b32_e32 v17, v9
	v_lshlrev_b64 v[16:17], 1, v[16:17]
	v_addc_co_u32_e32 v51, vcc, v13, v18, vcc
	v_add_co_u32_e32 v16, vcc, s33, v16
	v_addc_co_u32_e32 v17, vcc, v13, v17, vcc
	global_load_ushort v8, v[50:51], off
	global_load_ushort v18, v[16:17], off
	s_waitcnt vmcnt(1)
	v_perm_b32 v4, v8, v4, s18
	ds_write_b128 v49, v[1:4]
	v_add_u32_e32 v2, 8, v14
	v_mul_lo_u32 v8, v2, s61
	v_add_u32_e32 v1, 8, v15
	v_mul_lo_u32 v1, v1, s3
	v_lshlrev_b64 v[2:3], 1, v[8:9]
	v_add_co_u32_e32 v16, vcc, s33, v2
	v_mov_b32_e32 v2, v9
	v_lshlrev_b64 v[1:2], 1, v[1:2]
	v_addc_co_u32_e32 v17, vcc, v13, v3, vcc
	v_add_co_u32_e32 v1, vcc, s33, v1
	v_addc_co_u32_e32 v2, vcc, v13, v2, vcc
	global_load_ushort v3, v[16:17], off
	global_load_ushort v19, v[1:2], off
	v_add_u32_e32 v2, 10, v15
	v_mul_lo_u32 v2, v2, s3
	s_waitcnt vmcnt(1)
	v_perm_b32 v1, v3, v18, s18
	v_add_u32_e32 v3, 10, v14
	v_mul_lo_u32 v8, v3, s61
	v_lshlrev_b64 v[3:4], 1, v[8:9]
	v_add_co_u32_e32 v16, vcc, s33, v3
	v_mov_b32_e32 v3, v9
	v_lshlrev_b64 v[2:3], 1, v[2:3]
	v_addc_co_u32_e32 v17, vcc, v13, v4, vcc
	v_add_co_u32_e32 v2, vcc, s33, v2
	v_addc_co_u32_e32 v3, vcc, v13, v3, vcc
	global_load_ushort v4, v[16:17], off
	global_load_ushort v18, v[2:3], off
	v_add_u32_e32 v3, 12, v15
	v_mul_lo_u32 v3, v3, s3
	s_waitcnt vmcnt(1)
	v_perm_b32 v2, v4, v19, s18
	v_add_u32_e32 v4, 12, v14
	v_mul_lo_u32 v8, v4, s61
	v_mov_b32_e32 v4, v9
	v_lshlrev_b64 v[3:4], 1, v[3:4]
	v_mov_b32_e32 v19, v9
	v_lshlrev_b64 v[16:17], 1, v[8:9]
	v_add_co_u32_e32 v16, vcc, s33, v16
	v_addc_co_u32_e32 v17, vcc, v13, v17, vcc
	v_add_co_u32_e32 v3, vcc, s33, v3
	v_addc_co_u32_e32 v4, vcc, v13, v4, vcc
	global_load_ushort v8, v[16:17], off
	s_nop 0
	global_load_ushort v4, v[3:4], off
	v_add_u32_e32 v16, 14, v15
	v_add_u32_e32 v15, 16, v15
	s_waitcnt vmcnt(1)
	v_perm_b32 v3, v8, v18, s18
	v_add_u32_e32 v8, 14, v14
	v_mul_lo_u32 v8, v8, s61
	v_mul_lo_u32 v18, v16, s3
	v_add_u32_e32 v14, 16, v14
	v_lshlrev_b64 v[16:17], 1, v[8:9]
	v_lshlrev_b64 v[18:19], 1, v[18:19]
	v_add_co_u32_e32 v16, vcc, s33, v16
	v_addc_co_u32_e32 v17, vcc, v13, v17, vcc
	v_add_co_u32_e32 v18, vcc, s33, v18
	v_addc_co_u32_e32 v19, vcc, v13, v19, vcc
	global_load_ushort v8, v[16:17], off
	s_nop 0
	global_load_ushort v16, v[18:19], off
	v_cmp_eq_u32_e32 vcc, 0, v48
	s_or_b64 s[42:43], vcc, s[42:43]
	s_waitcnt vmcnt(1)
	v_perm_b32 v4, v8, v4, s18
	s_waitcnt vmcnt(0)
	v_perm_b32 v17, v16, v8, s18
	ds_write_b128 v49, v[1:4] offset:16
	v_add_u32_e32 v49, 32, v49
	v_mov_b32_e32 v1, s2
	s_andn2_b64 exec, exec, s[42:43]
	s_cbranch_execnz .LBB114_32
; %bb.33:                               ;   in Loop: Header=BB114_6 Depth=1
	s_or_b64 exec, exec, s[42:43]
.LBB114_34:                             ;   in Loop: Header=BB114_6 Depth=1
	s_or_b64 exec, exec, s[40:41]
	s_mov_b64 s[2:3], exec
	v_readlane_b32 s12, v53, 49
	v_readlane_b32 s13, v53, 50
	s_and_b64 s[12:13], s[2:3], s[12:13]
	s_mov_b64 exec, s[12:13]
	s_cbranch_execz .LBB114_38
; %bb.35:                               ;   in Loop: Header=BB114_6 Depth=1
	v_lshl_add_u32 v1, v1, 1, v25
	s_mov_b64 s[12:13], 0
	v_mov_b32_e32 v2, v32
	v_readlane_b32 s9, v53, 46
.LBB114_36:                             ;   Parent Loop BB114_6 Depth=1
                                        ; =>  This Inner Loop Header: Depth=2
	v_mul_lo_u32 v8, v14, s61
	v_mul_lo_u32 v3, v15, s9
	v_mov_b32_e32 v4, v9
	v_mov_b32_e32 v13, s56
	v_lshlrev_b64 v[18:19], 1, v[8:9]
	v_lshlrev_b64 v[3:4], 1, v[3:4]
	v_add_co_u32_e32 v18, vcc, s33, v18
	v_addc_co_u32_e32 v19, vcc, v13, v19, vcc
	v_add_co_u32_e32 v3, vcc, s33, v3
	v_addc_co_u32_e32 v4, vcc, v13, v4, vcc
	global_load_ushort v8, v[18:19], off
	global_load_ushort v16, v[3:4], off
	v_add_u32_e32 v2, -4, v2
	v_cmp_eq_u32_e32 vcc, 0, v2
	v_add_u32_e32 v15, 2, v15
	v_add_u32_e32 v14, 2, v14
	s_or_b64 s[12:13], vcc, s[12:13]
	s_waitcnt vmcnt(1)
	v_alignbit_b32 v4, v8, v17, 16
	s_waitcnt vmcnt(0)
	v_perm_b32 v3, v16, v8, s18
	ds_write_b32 v1, v4
	v_add_u32_e32 v1, 4, v1
	v_mov_b32_e32 v17, v3
	s_andn2_b64 exec, exec, s[12:13]
	s_cbranch_execnz .LBB114_36
; %bb.37:                               ;   in Loop: Header=BB114_6 Depth=1
	s_or_b64 exec, exec, s[12:13]
.LBB114_38:                             ;   in Loop: Header=BB114_6 Depth=1
	s_or_b64 exec, exec, s[2:3]
	v_readlane_b32 s2, v53, 51
	v_add_u32_e32 v12, v12, v28
	v_readlane_b32 s3, v53, 52
	v_add_u32_e32 v1, -1, v12
	s_orn2_b64 s[2:3], s[2:3], exec
	v_mov_b32_e32 v3, v29
.LBB114_39:                             ;   in Loop: Header=BB114_6 Depth=1
	s_or_b64 exec, exec, s[6:7]
	v_mov_b32_e32 v2, s8
	s_and_b64 s[6:7], s[2:3], exec
	s_andn2_saveexec_b64 s[2:3], s[34:35]
	s_cbranch_execz .LBB114_25
.LBB114_40:                             ;   in Loop: Header=BB114_6 Depth=1
	v_mov_b32_e32 v2, s8
	s_or_b64 s[6:7], s[6:7], exec
	v_mov_b32_e32 v3, v0
	s_or_b64 exec, exec, s[2:3]
	s_and_saveexec_b64 s[2:3], s[6:7]
	s_cbranch_execz .LBB114_44
.LBB114_41:                             ;   in Loop: Header=BB114_6 Depth=1
	v_mul_lo_u32 v8, s61, v12
	s_sub_i32 s8, 0, s5
	s_mov_b64 s[6:7], 0
.LBB114_42:                             ;   Parent Loop BB114_6 Depth=1
                                        ; =>  This Inner Loop Header: Depth=2
	v_mov_b32_e32 v4, v12
	v_lshlrev_b64 v[12:13], 1, v[8:9]
	v_mov_b32_e32 v14, s56
	v_add_co_u32_e32 v12, vcc, s33, v12
	v_addc_co_u32_e32 v13, vcc, v14, v13, vcc
	s_waitcnt vmcnt(0)
	v_mov_b32_e32 v1, v16
	global_load_ushort v16, v[12:13], off
	v_add_u32_e32 v12, s5, v4
	v_lshlrev_b32_e32 v3, 1, v3
	v_cmp_le_u32_e32 vcc, s36, v12
	ds_write_b16 v3, v1
	v_add_u32_e32 v8, v8, v2
	s_or_b64 s[6:7], vcc, s[6:7]
	v_mov_b32_e32 v3, v4
	s_andn2_b64 exec, exec, s[6:7]
	s_cbranch_execnz .LBB114_42
; %bb.43:                               ;   in Loop: Header=BB114_6 Depth=1
	s_or_b64 exec, exec, s[6:7]
	v_add_u32_e32 v1, s8, v12
.LBB114_44:                             ;   in Loop: Header=BB114_6 Depth=1
	s_or_b64 exec, exec, s[2:3]
.LBB114_45:                             ;   in Loop: Header=BB114_6 Depth=1
	s_or_b64 exec, exec, s[30:31]
	v_lshlrev_b32_e32 v1, 1, v1
	s_waitcnt vmcnt(0)
	ds_write_b16 v1, v16
.LBB114_46:                             ;   in Loop: Header=BB114_6 Depth=1
	s_or_b64 exec, exec, s[26:27]
	s_waitcnt lgkmcnt(0)
	s_barrier
	s_mov_b64 s[2:3], exec
	v_readlane_b32 s6, v53, 22
	v_readlane_b32 s7, v53, 23
	s_and_b64 s[6:7], s[2:3], s[6:7]
	s_mov_b64 exec, s[6:7]
; %bb.47:                               ;   in Loop: Header=BB114_6 Depth=1
	v_mov_b32_e32 v1, s36
	ds_write_b32 v9, v1 offset:4096
; %bb.48:                               ;   in Loop: Header=BB114_6 Depth=1
	s_or_b64 exec, exec, s[2:3]
	s_mov_b64 s[2:3], -1
	s_waitcnt lgkmcnt(0)
	s_barrier
.LBB114_49:                             ;   in Loop: Header=BB114_6 Depth=1
	s_mov_b32 s5, 0
	s_and_b64 vcc, exec, s[2:3]
	s_cbranch_vccz .LBB114_51
; %bb.50:                               ;   in Loop: Header=BB114_6 Depth=1
	ds_read_b32 v1, v9 offset:4096
	s_waitcnt lgkmcnt(0)
	v_readfirstlane_b32 s5, v1
.LBB114_51:                             ;   in Loop: Header=BB114_6 Depth=1
	s_cmp_lt_i32 s5, 1
	s_mov_b64 s[2:3], -1
                                        ; implicit-def: $vgpr1
	s_cbranch_scc0 .LBB114_63
; %bb.52:                               ;   in Loop: Header=BB114_6 Depth=1
	v_mov_b32_e32 v1, 0
	v_mov_b32_e32 v2, 0
	;; [unrolled: 1-line block ×4, first 2 shown]
	s_mov_b64 s[40:41], exec
	v_readlane_b32 s2, v53, 59
	v_readlane_b32 s3, v53, 60
	s_and_b64 s[2:3], s[40:41], s[2:3]
	s_mov_b64 exec, s[2:3]
	s_cbranch_execz .LBB114_56
; %bb.53:                               ;   in Loop: Header=BB114_6 Depth=1
	s_mov_b32 s2, 0
	s_mov_b64 s[42:43], 0
	s_mov_b32 s3, 0
	s_mov_b32 s8, 0
	;; [unrolled: 1-line block ×4, first 2 shown]
	v_mov_b32_e32 v12, v23
.LBB114_54:                             ;   Parent Loop BB114_6 Depth=1
                                        ; =>  This Inner Loop Header: Depth=2
	v_add_u32_e32 v8, s2, v39
	v_lshlrev_b64 v[1:2], 1, v[8:9]
	v_mov_b32_e32 v3, s56
	v_add_co_u32_e32 v1, vcc, s33, v1
	v_addc_co_u32_e32 v2, vcc, v3, v2, vcc
	v_add_u32_e32 v8, s2, v33
	global_load_ushort v4, v[1:2], off
	v_lshlrev_b64 v[1:2], 1, v[8:9]
	v_add_u32_e32 v8, s2, v34
	v_add_co_u32_e32 v1, vcc, s33, v1
	v_addc_co_u32_e32 v2, vcc, v3, v2, vcc
	global_load_ushort v13, v[1:2], off
	v_lshlrev_b64 v[1:2], 1, v[8:9]
	v_add_u32_e32 v8, s2, v35
	v_add_co_u32_e32 v1, vcc, s33, v1
	v_addc_co_u32_e32 v2, vcc, v3, v2, vcc
	;; [unrolled: 5-line block ×3, first 2 shown]
	global_load_ushort v1, v[1:2], off
	s_add_i32 s2, s2, s10
	s_waitcnt vmcnt(3)
	v_cmp_lt_i16_e32 vcc, -1, v4
	v_cndmask_b32_e32 v2, v41, v42, vcc
	v_lshlrev_b32_e32 v3, 16, v4
	v_cmp_o_f32_e32 vcc, v3, v3
	v_xor_b32_sdwa v2, v2, v4 dst_sel:DWORD dst_unused:UNUSED_PAD src0_sel:DWORD src1_sel:WORD_0
	v_cndmask_b32_e32 v2, v41, v2, vcc
	s_waitcnt vmcnt(2)
	v_cmp_lt_i16_e32 vcc, -1, v13
	v_cndmask_b32_e32 v3, v41, v42, vcc
	v_lshlrev_b32_e32 v4, 16, v13
	v_cmp_o_f32_e32 vcc, v4, v4
	v_xor_b32_sdwa v3, v3, v13 dst_sel:DWORD dst_unused:UNUSED_PAD src0_sel:DWORD src1_sel:WORD_0
	v_cndmask_b32_e32 v3, v41, v3, vcc
	;; [unrolled: 7-line block ×3, first 2 shown]
	s_waitcnt vmcnt(0)
	v_cmp_lt_i16_e32 vcc, -1, v1
	v_cndmask_b32_e32 v8, v41, v42, vcc
	v_lshlrev_b32_e32 v13, 16, v1
	v_cmp_o_f32_e32 vcc, v13, v13
	v_xor_b32_sdwa v1, v8, v1 dst_sel:DWORD dst_unused:UNUSED_PAD src0_sel:DWORD src1_sel:WORD_0
	v_and_b32_e32 v8, v2, v45
	v_bfe_u32 v2, v2, s38, 2
	v_cndmask_b32_e32 v1, v41, v1, vcc
	v_cmp_eq_u32_e32 vcc, v8, v37
	v_and_b32_e32 v8, v3, v45
	v_bfe_u32 v3, v3, s38, 2
	v_cmp_eq_u32_e64 s[34:35], 0, v2
	v_cmp_eq_u32_e64 s[6:7], v8, v37
	v_and_b32_e32 v8, v4, v45
	v_bfe_u32 v4, v4, s38, 2
	s_and_b64 s[14:15], vcc, s[34:35]
	v_cmp_eq_u32_e64 s[34:35], 0, v3
	v_cmp_eq_u32_e64 s[26:27], v8, v37
	v_and_b32_e32 v8, v1, v45
	v_bfe_u32 v1, v1, s38, 2
	s_and_b64 s[16:17], s[6:7], s[34:35]
	v_cmp_eq_u32_e64 s[34:35], 0, v4
	v_cmp_eq_u32_e64 s[30:31], v8, v37
	s_and_b64 s[18:19], s[26:27], s[34:35]
	v_cmp_eq_u32_e64 s[34:35], 0, v1
	v_cndmask_b32_e64 v8, 0, 1, s[14:15]
	s_and_b64 s[24:25], s[30:31], s[34:35]
	v_cmp_ne_u32_e64 s[34:35], 0, v8
	v_cndmask_b32_e64 v8, 0, 1, s[16:17]
	s_bcnt1_i32_b64 s13, s[34:35]
	v_cmp_ne_u32_e64 s[34:35], 0, v8
	v_cndmask_b32_e64 v8, 0, 1, s[18:19]
	s_bcnt1_i32_b64 s14, s[34:35]
	;; [unrolled: 3-line block ×3, first 2 shown]
	v_cmp_ne_u32_e64 s[34:35], 0, v8
	s_add_i32 s12, s12, s13
	s_bcnt1_i32_b64 s16, s[34:35]
	s_add_i32 s12, s12, s14
	v_cmp_eq_u32_e64 s[34:35], 1, v2
	s_add_i32 s12, s12, s15
	s_and_b64 s[14:15], vcc, s[34:35]
	v_cmp_eq_u32_e64 s[34:35], 1, v3
	s_add_i32 s12, s12, s16
	s_and_b64 s[16:17], s[6:7], s[34:35]
	v_cmp_eq_u32_e64 s[34:35], 1, v4
	s_and_b64 s[18:19], s[26:27], s[34:35]
	v_cmp_eq_u32_e64 s[34:35], 1, v1
	v_cndmask_b32_e64 v8, 0, 1, s[14:15]
	s_and_b64 s[24:25], s[30:31], s[34:35]
	v_cmp_ne_u32_e64 s[34:35], 0, v8
	v_cndmask_b32_e64 v8, 0, 1, s[16:17]
	s_bcnt1_i32_b64 s13, s[34:35]
	v_cmp_ne_u32_e64 s[34:35], 0, v8
	v_cndmask_b32_e64 v8, 0, 1, s[18:19]
	s_bcnt1_i32_b64 s14, s[34:35]
	v_cmp_ne_u32_e64 s[34:35], 0, v8
	v_cndmask_b32_e64 v8, 0, 1, s[24:25]
	s_bcnt1_i32_b64 s15, s[34:35]
	v_cmp_ne_u32_e64 s[34:35], 0, v8
	s_add_i32 s9, s9, s13
	s_bcnt1_i32_b64 s16, s[34:35]
	s_add_i32 s9, s9, s14
	v_cmp_eq_u32_e64 s[34:35], 2, v2
	s_add_i32 s9, s9, s15
	s_and_b64 s[14:15], vcc, s[34:35]
	v_cmp_eq_u32_e64 s[34:35], 2, v3
	s_add_i32 s9, s9, s16
	s_and_b64 s[16:17], s[6:7], s[34:35]
	v_cmp_eq_u32_e64 s[34:35], 2, v4
	s_and_b64 s[18:19], s[26:27], s[34:35]
	v_cmp_eq_u32_e64 s[34:35], 2, v1
	v_cndmask_b32_e64 v8, 0, 1, s[14:15]
	s_and_b64 s[24:25], s[30:31], s[34:35]
	v_cmp_ne_u32_e64 s[34:35], 0, v8
	v_cndmask_b32_e64 v8, 0, 1, s[16:17]
	s_bcnt1_i32_b64 s13, s[34:35]
	v_cmp_ne_u32_e64 s[34:35], 0, v8
	v_cndmask_b32_e64 v8, 0, 1, s[18:19]
	s_bcnt1_i32_b64 s14, s[34:35]
	;; [unrolled: 3-line block ×3, first 2 shown]
	v_cmp_ne_u32_e64 s[34:35], 0, v8
	s_add_i32 s8, s8, s13
	s_bcnt1_i32_b64 s16, s[34:35]
	s_add_i32 s8, s8, s14
	v_cmp_eq_u32_e64 s[34:35], 3, v2
	s_add_i32 s8, s8, s15
	s_and_b64 s[14:15], vcc, s[34:35]
	v_cmp_eq_u32_e32 vcc, 3, v3
	s_and_b64 s[6:7], s[6:7], vcc
	v_cmp_eq_u32_e32 vcc, 3, v4
	s_add_i32 s8, s8, s16
	s_and_b64 s[16:17], s[26:27], vcc
	v_cmp_eq_u32_e32 vcc, 3, v1
	v_cndmask_b32_e64 v1, 0, 1, s[14:15]
	s_and_b64 s[18:19], s[30:31], vcc
	v_cmp_ne_u32_e32 vcc, 0, v1
	v_cndmask_b32_e64 v1, 0, 1, s[6:7]
	s_bcnt1_i32_b64 s13, vcc
	v_cmp_ne_u32_e32 vcc, 0, v1
	v_cndmask_b32_e64 v1, 0, 1, s[16:17]
	s_bcnt1_i32_b64 s6, vcc
	v_cmp_ne_u32_e32 vcc, 0, v1
	v_cndmask_b32_e64 v1, 0, 1, s[18:19]
	s_add_i32 s3, s3, s13
	s_bcnt1_i32_b64 s7, vcc
	v_cmp_ne_u32_e32 vcc, 0, v1
	s_add_i32 s3, s3, s6
	s_bcnt1_i32_b64 s14, vcc
	s_add_i32 s3, s3, s7
	s_add_i32 s3, s3, s14
	v_cmp_le_u32_e32 vcc, s23, v12
	s_or_b64 s[42:43], vcc, s[42:43]
	v_mov_b32_e32 v1, s12
	v_mov_b32_e32 v2, s9
	;; [unrolled: 1-line block ×4, first 2 shown]
	s_andn2_b64 exec, exec, s[42:43]
	s_cbranch_execnz .LBB114_54
; %bb.55:                               ;   in Loop: Header=BB114_6 Depth=1
	s_or_b64 exec, exec, s[42:43]
.LBB114_56:                             ;   in Loop: Header=BB114_6 Depth=1
	s_or_b64 exec, exec, s[40:41]
	s_mov_b64 s[2:3], exec
	v_readlane_b32 s6, v53, 61
	v_readlane_b32 s7, v53, 62
	s_and_b64 s[6:7], s[2:3], s[6:7]
	s_mov_b64 exec, s[6:7]
	s_cbranch_execz .LBB114_62
; %bb.57:                               ;   in Loop: Header=BB114_6 Depth=1
	global_load_ushort v14, v[10:11], off
	s_mov_b64 s[12:13], 0
	v_mov_b32_e32 v8, v36
	v_mov_b32_e32 v12, v31
	s_branch .LBB114_59
.LBB114_58:                             ;   in Loop: Header=BB114_59 Depth=2
	s_or_b64 exec, exec, s[14:15]
	s_and_b64 s[6:7], exec, vcc
	s_waitcnt vmcnt(0)
	v_cmp_lt_i16_e32 vcc, -1, v14
	v_cndmask_b32_e32 v15, v41, v42, vcc
	v_lshlrev_b32_e32 v16, 16, v14
	v_cmp_o_f32_e32 vcc, v16, v16
	v_xor_b32_sdwa v14, v15, v14 dst_sel:DWORD dst_unused:UNUSED_PAD src0_sel:DWORD src1_sel:WORD_0
	v_cndmask_b32_e32 v14, v41, v14, vcc
	v_and_b32_e32 v15, v14, v45
	v_bfe_u32 v14, v14, s38, 2
	s_or_b64 s[12:13], s[6:7], s[12:13]
	v_cmp_eq_u32_e32 vcc, v15, v37
	v_cmp_eq_u32_e64 s[6:7], 0, v14
	s_and_b64 s[6:7], vcc, s[6:7]
	v_cndmask_b32_e64 v15, 0, 1, s[6:7]
	v_cmp_ne_u32_e64 s[6:7], 0, v15
	s_bcnt1_i32_b64 s6, s[6:7]
	v_add_u32_e32 v1, s6, v1
	v_cmp_eq_u32_e64 s[6:7], 1, v14
	s_and_b64 s[6:7], vcc, s[6:7]
	v_cndmask_b32_e64 v15, 0, 1, s[6:7]
	v_cmp_ne_u32_e64 s[6:7], 0, v15
	s_bcnt1_i32_b64 s6, s[6:7]
	v_add_u32_e32 v2, s6, v2
	v_cmp_eq_u32_e64 s[6:7], 2, v14
	s_and_b64 s[6:7], vcc, s[6:7]
	v_cndmask_b32_e64 v15, 0, 1, s[6:7]
	v_cmp_ne_u32_e64 s[6:7], 0, v15
	s_bcnt1_i32_b64 s6, s[6:7]
	v_add_u32_e32 v3, s6, v3
	v_cmp_eq_u32_e64 s[6:7], 3, v14
	s_and_b64 s[6:7], vcc, s[6:7]
	v_cndmask_b32_e64 v14, 0, 1, s[6:7]
	v_cmp_ne_u32_e32 vcc, 0, v14
	s_bcnt1_i32_b64 s6, vcc
	v_add_u32_e32 v4, s6, v4
	v_add_u32_e32 v8, s62, v8
	v_mov_b32_e32 v14, v13
	s_andn2_b64 exec, exec, s[12:13]
	s_cbranch_execz .LBB114_61
.LBB114_59:                             ;   Parent Loop BB114_6 Depth=1
                                        ; =>  This Inner Loop Header: Depth=2
	v_add_u32_e32 v12, s60, v12
	v_cmp_gt_u32_e64 s[6:7], s36, v12
	v_cmp_le_u32_e32 vcc, s36, v12
	v_mov_b32_e32 v13, 0
	s_and_saveexec_b64 s[14:15], s[6:7]
	s_cbranch_execz .LBB114_58
; %bb.60:                               ;   in Loop: Header=BB114_59 Depth=2
	v_lshlrev_b64 v[15:16], 1, v[8:9]
	v_mov_b32_e32 v13, s56
	v_add_co_u32_e64 v15, s[6:7], s33, v15
	v_addc_co_u32_e64 v16, s[6:7], v13, v16, s[6:7]
	global_load_ushort v13, v[15:16], off
	s_branch .LBB114_58
.LBB114_61:                             ;   in Loop: Header=BB114_6 Depth=1
	s_or_b64 exec, exec, s[12:13]
.LBB114_62:                             ;   in Loop: Header=BB114_6 Depth=1
	s_or_b64 exec, exec, s[2:3]
	s_mov_b64 s[2:3], 0
.LBB114_63:                             ;   in Loop: Header=BB114_6 Depth=1
	s_and_b64 vcc, exec, s[2:3]
	s_cbranch_vccz .LBB114_73
; %bb.64:                               ;   in Loop: Header=BB114_6 Depth=1
	v_readlane_b32 s2, v53, 58
	s_mul_hi_u32 s2, s5, s2
	s_mul_i32 s2, s2, s63
	s_sub_i32 s2, s5, s2
	s_sub_i32 s3, s2, s63
	s_cmp_ge_u32 s2, s63
	s_cselect_b32 s2, s3, s2
	s_sub_i32 s3, s2, s63
	s_cmp_ge_u32 s2, s63
	s_cselect_b32 s2, s3, s2
	s_sub_i32 s2, s5, s2
	v_cmp_gt_u32_e32 vcc, s2, v23
	v_mov_b32_e32 v1, 0
	v_mov_b32_e32 v2, 0
	;; [unrolled: 1-line block ×4, first 2 shown]
	s_and_saveexec_b64 s[40:41], vcc
	s_cbranch_execz .LBB114_68
; %bb.65:                               ;   in Loop: Header=BB114_6 Depth=1
	s_mov_b32 s3, 0
	s_mov_b64 s[42:43], 0
	v_mov_b32_e32 v8, v40
	s_mov_b32 s8, 0
	s_mov_b32 s9, 0
	;; [unrolled: 1-line block ×3, first 2 shown]
	v_mov_b32_e32 v12, v23
.LBB114_66:                             ;   Parent Loop BB114_6 Depth=1
                                        ; =>  This Inner Loop Header: Depth=2
	ds_read_b64 v[1:2], v8
	v_add_u32_e32 v12, s63, v12
	v_add_u32_e32 v8, s11, v8
	s_waitcnt lgkmcnt(0)
	v_cmp_lt_i16_e32 vcc, -1, v1
	v_cndmask_b32_e32 v3, v41, v42, vcc
	v_lshlrev_b32_e32 v4, 16, v1
	v_cmp_o_f32_e32 vcc, v4, v4
	v_xor_b32_sdwa v3, v3, v1 dst_sel:DWORD dst_unused:UNUSED_PAD src0_sel:DWORD src1_sel:WORD_0
	v_cndmask_b32_e32 v3, v41, v3, vcc
	v_cmp_gt_i16_sdwa vcc, v1, v43 src0_sel:WORD_1 src1_sel:DWORD
	v_cndmask_b32_e32 v4, v41, v42, vcc
	v_and_b32_e32 v13, 0xffff0000, v1
	v_cmp_o_f32_e32 vcc, v13, v13
	v_xor_b32_sdwa v1, v4, v1 dst_sel:DWORD dst_unused:UNUSED_PAD src0_sel:DWORD src1_sel:WORD_1
	v_cndmask_b32_e32 v1, v41, v1, vcc
	v_cmp_lt_i16_e32 vcc, -1, v2
	v_cndmask_b32_e32 v4, v41, v42, vcc
	v_lshlrev_b32_e32 v13, 16, v2
	v_cmp_o_f32_e32 vcc, v13, v13
	v_xor_b32_sdwa v4, v4, v2 dst_sel:DWORD dst_unused:UNUSED_PAD src0_sel:DWORD src1_sel:WORD_0
	v_cndmask_b32_e32 v4, v41, v4, vcc
	v_cmp_gt_i16_sdwa vcc, v2, v43 src0_sel:WORD_1 src1_sel:DWORD
	v_cndmask_b32_e32 v13, v41, v42, vcc
	v_and_b32_e32 v14, 0xffff0000, v2
	v_cmp_o_f32_e32 vcc, v14, v14
	v_xor_b32_sdwa v2, v13, v2 dst_sel:DWORD dst_unused:UNUSED_PAD src0_sel:DWORD src1_sel:WORD_1
	v_and_b32_e32 v13, v3, v45
	v_bfe_u32 v3, v3, s38, 2
	v_cndmask_b32_e32 v2, v41, v2, vcc
	v_cmp_eq_u32_e32 vcc, v13, v37
	v_and_b32_e32 v13, v1, v45
	v_bfe_u32 v1, v1, s38, 2
	v_cmp_eq_u32_e64 s[34:35], 0, v3
	v_cmp_eq_u32_e64 s[6:7], v13, v37
	v_and_b32_e32 v13, v4, v45
	v_bfe_u32 v4, v4, s38, 2
	s_and_b64 s[14:15], vcc, s[34:35]
	v_cmp_eq_u32_e64 s[34:35], 0, v1
	v_cmp_eq_u32_e64 s[26:27], v13, v37
	v_and_b32_e32 v13, v2, v45
	v_bfe_u32 v2, v2, s38, 2
	s_and_b64 s[16:17], s[6:7], s[34:35]
	v_cmp_eq_u32_e64 s[34:35], 0, v4
	v_cmp_eq_u32_e64 s[30:31], v13, v37
	s_and_b64 s[18:19], s[26:27], s[34:35]
	v_cmp_eq_u32_e64 s[34:35], 0, v2
	v_cndmask_b32_e64 v13, 0, 1, s[14:15]
	s_and_b64 s[24:25], s[30:31], s[34:35]
	v_cmp_ne_u32_e64 s[34:35], 0, v13
	v_cndmask_b32_e64 v13, 0, 1, s[16:17]
	s_bcnt1_i32_b64 s13, s[34:35]
	v_cmp_ne_u32_e64 s[34:35], 0, v13
	v_cndmask_b32_e64 v13, 0, 1, s[18:19]
	s_bcnt1_i32_b64 s14, s[34:35]
	;; [unrolled: 3-line block ×3, first 2 shown]
	v_cmp_ne_u32_e64 s[34:35], 0, v13
	s_add_i32 s12, s12, s13
	s_bcnt1_i32_b64 s16, s[34:35]
	s_add_i32 s12, s12, s14
	v_cmp_eq_u32_e64 s[34:35], 1, v3
	s_add_i32 s12, s12, s15
	s_and_b64 s[14:15], vcc, s[34:35]
	v_cmp_eq_u32_e64 s[34:35], 1, v1
	s_add_i32 s12, s12, s16
	s_and_b64 s[16:17], s[6:7], s[34:35]
	v_cmp_eq_u32_e64 s[34:35], 1, v4
	s_and_b64 s[18:19], s[26:27], s[34:35]
	v_cmp_eq_u32_e64 s[34:35], 1, v2
	v_cndmask_b32_e64 v13, 0, 1, s[14:15]
	s_and_b64 s[24:25], s[30:31], s[34:35]
	v_cmp_ne_u32_e64 s[34:35], 0, v13
	v_cndmask_b32_e64 v13, 0, 1, s[16:17]
	s_bcnt1_i32_b64 s13, s[34:35]
	v_cmp_ne_u32_e64 s[34:35], 0, v13
	v_cndmask_b32_e64 v13, 0, 1, s[18:19]
	s_bcnt1_i32_b64 s14, s[34:35]
	;; [unrolled: 3-line block ×3, first 2 shown]
	v_cmp_ne_u32_e64 s[34:35], 0, v13
	s_add_i32 s9, s9, s13
	s_bcnt1_i32_b64 s16, s[34:35]
	s_add_i32 s9, s9, s14
	v_cmp_eq_u32_e64 s[34:35], 2, v3
	s_add_i32 s9, s9, s15
	s_and_b64 s[14:15], vcc, s[34:35]
	v_cmp_eq_u32_e64 s[34:35], 2, v1
	s_add_i32 s9, s9, s16
	s_and_b64 s[16:17], s[6:7], s[34:35]
	v_cmp_eq_u32_e64 s[34:35], 2, v4
	s_and_b64 s[18:19], s[26:27], s[34:35]
	v_cmp_eq_u32_e64 s[34:35], 2, v2
	v_cndmask_b32_e64 v13, 0, 1, s[14:15]
	s_and_b64 s[24:25], s[30:31], s[34:35]
	v_cmp_ne_u32_e64 s[34:35], 0, v13
	v_cndmask_b32_e64 v13, 0, 1, s[16:17]
	s_bcnt1_i32_b64 s13, s[34:35]
	v_cmp_ne_u32_e64 s[34:35], 0, v13
	v_cndmask_b32_e64 v13, 0, 1, s[18:19]
	s_bcnt1_i32_b64 s14, s[34:35]
	;; [unrolled: 3-line block ×3, first 2 shown]
	v_cmp_ne_u32_e64 s[34:35], 0, v13
	s_add_i32 s8, s8, s13
	s_bcnt1_i32_b64 s16, s[34:35]
	s_add_i32 s8, s8, s14
	v_cmp_eq_u32_e64 s[34:35], 3, v3
	s_add_i32 s8, s8, s15
	s_and_b64 s[14:15], vcc, s[34:35]
	v_cmp_eq_u32_e32 vcc, 3, v1
	s_and_b64 s[6:7], s[6:7], vcc
	v_cmp_eq_u32_e32 vcc, 3, v4
	s_add_i32 s8, s8, s16
	s_and_b64 s[16:17], s[26:27], vcc
	v_cmp_eq_u32_e32 vcc, 3, v2
	v_cndmask_b32_e64 v1, 0, 1, s[14:15]
	s_and_b64 s[18:19], s[30:31], vcc
	v_cmp_ne_u32_e32 vcc, 0, v1
	v_cndmask_b32_e64 v1, 0, 1, s[6:7]
	s_bcnt1_i32_b64 s13, vcc
	v_cmp_ne_u32_e32 vcc, 0, v1
	v_cndmask_b32_e64 v1, 0, 1, s[16:17]
	s_bcnt1_i32_b64 s6, vcc
	v_cmp_ne_u32_e32 vcc, 0, v1
	v_cndmask_b32_e64 v1, 0, 1, s[18:19]
	s_add_i32 s3, s3, s13
	s_bcnt1_i32_b64 s7, vcc
	v_cmp_ne_u32_e32 vcc, 0, v1
	s_add_i32 s3, s3, s6
	s_bcnt1_i32_b64 s14, vcc
	s_add_i32 s3, s3, s7
	s_add_i32 s3, s3, s14
	v_cmp_le_u32_e32 vcc, s2, v12
	s_or_b64 s[42:43], vcc, s[42:43]
	v_mov_b32_e32 v1, s12
	v_mov_b32_e32 v2, s9
	;; [unrolled: 1-line block ×4, first 2 shown]
	s_andn2_b64 exec, exec, s[42:43]
	s_cbranch_execnz .LBB114_66
; %bb.67:                               ;   in Loop: Header=BB114_6 Depth=1
	s_or_b64 exec, exec, s[42:43]
.LBB114_68:                             ;   in Loop: Header=BB114_6 Depth=1
	s_or_b64 exec, exec, s[40:41]
	v_add_u32_e32 v8, s2, v0
	v_cmp_gt_u32_e32 vcc, s5, v8
	s_and_saveexec_b64 s[14:15], vcc
	s_cbranch_execz .LBB114_72
; %bb.69:                               ;   in Loop: Header=BB114_6 Depth=1
	v_lshlrev_b32_e32 v12, 1, v8
	s_mov_b64 s[12:13], 0
.LBB114_70:                             ;   Parent Loop BB114_6 Depth=1
                                        ; =>  This Inner Loop Header: Depth=2
	ds_read_u16 v13, v12
	v_add_u32_e32 v8, s60, v8
	v_add_u32_e32 v12, s4, v12
	s_waitcnt lgkmcnt(0)
	v_cmp_lt_i16_e32 vcc, -1, v13
	v_cndmask_b32_e32 v14, v41, v42, vcc
	v_lshlrev_b32_e32 v15, 16, v13
	v_cmp_o_f32_e32 vcc, v15, v15
	v_xor_b32_sdwa v13, v14, v13 dst_sel:DWORD dst_unused:UNUSED_PAD src0_sel:DWORD src1_sel:WORD_0
	v_cndmask_b32_e32 v13, v41, v13, vcc
	v_and_b32_e32 v14, v13, v45
	v_bfe_u32 v13, v13, s38, 2
	v_cmp_eq_u32_e32 vcc, v14, v37
	v_cmp_eq_u32_e64 s[6:7], 0, v13
	s_and_b64 s[2:3], vcc, s[6:7]
	v_cndmask_b32_e64 v14, 0, 1, s[2:3]
	v_cmp_ne_u32_e64 s[6:7], 0, v14
	s_bcnt1_i32_b64 s2, s[6:7]
	v_cmp_eq_u32_e64 s[6:7], 1, v13
	v_add_u32_e32 v1, s2, v1
	s_and_b64 s[2:3], vcc, s[6:7]
	v_cndmask_b32_e64 v14, 0, 1, s[2:3]
	v_cmp_ne_u32_e64 s[6:7], 0, v14
	s_bcnt1_i32_b64 s2, s[6:7]
	v_cmp_eq_u32_e64 s[6:7], 2, v13
	v_add_u32_e32 v2, s2, v2
	;; [unrolled: 6-line block ×3, first 2 shown]
	s_and_b64 s[2:3], vcc, s[6:7]
	v_cndmask_b32_e64 v13, 0, 1, s[2:3]
	v_cmp_ne_u32_e32 vcc, 0, v13
	s_bcnt1_i32_b64 s2, vcc
	v_cmp_le_u32_e32 vcc, s5, v8
	v_add_u32_e32 v4, s2, v4
	s_or_b64 s[12:13], vcc, s[12:13]
	s_andn2_b64 exec, exec, s[12:13]
	s_cbranch_execnz .LBB114_70
; %bb.71:                               ;   in Loop: Header=BB114_6 Depth=1
	s_or_b64 exec, exec, s[12:13]
.LBB114_72:                             ;   in Loop: Header=BB114_6 Depth=1
	s_or_b64 exec, exec, s[14:15]
.LBB114_73:                             ;   in Loop: Header=BB114_6 Depth=1
	v_readlane_b32 s2, v53, 25
	v_readlane_b32 s3, v53, 26
	s_lshl_b32 s5, s3, 6
	s_and_saveexec_b64 s[2:3], s[0:1]
; %bb.74:                               ;   in Loop: Header=BB114_6 Depth=1
	v_lshl_add_u32 v8, s5, 2, v27
	ds_write_b128 v8, v[1:4]
; %bb.75:                               ;   in Loop: Header=BB114_6 Depth=1
	s_or_b64 exec, exec, s[2:3]
	s_waitcnt lgkmcnt(0)
	s_barrier
	s_mov_b64 s[2:3], exec
	v_readlane_b32 s6, v53, 31
	v_readlane_b32 s7, v53, 32
	s_and_b64 s[6:7], s[2:3], s[6:7]
	s_mov_b64 exec, s[6:7]
	s_cbranch_execz .LBB114_86
; %bb.76:                               ;   in Loop: Header=BB114_6 Depth=1
	v_readlane_b32 s6, v53, 37
	v_readlane_b32 s7, v53, 38
	s_andn2_b64 vcc, exec, s[6:7]
	v_mov_b32_e32 v1, 0
	s_cbranch_vccnz .LBB114_85
; %bb.77:                               ;   in Loop: Header=BB114_6 Depth=1
	v_readlane_b32 s6, v53, 53
	v_readlane_b32 s7, v53, 54
	s_andn2_b64 vcc, exec, s[6:7]
	s_cbranch_vccnz .LBB114_81
; %bb.78:                               ;   in Loop: Header=BB114_6 Depth=1
	v_readlane_b32 s6, v53, 25
	v_readlane_b32 s7, v53, 26
	v_lshl_add_u32 v2, s7, 8, v38
	s_mov_b32 s6, 0
	v_mov_b32_e32 v1, 0
.LBB114_79:                             ;   Parent Loop BB114_6 Depth=1
                                        ; =>  This Inner Loop Header: Depth=2
	ds_read2_b32 v[3:4], v2 offset1:4
	ds_read2_b32 v[12:13], v2 offset0:8 offset1:12
	s_add_i32 s6, s6, 8
	s_cmp_eq_u32 s21, s6
	s_waitcnt lgkmcnt(1)
	v_add3_u32 v1, v3, v1, v4
	ds_read2_b32 v[3:4], v2 offset0:16 offset1:20
	s_waitcnt lgkmcnt(1)
	v_add3_u32 v1, v12, v1, v13
	s_waitcnt lgkmcnt(0)
	v_add3_u32 v1, v3, v1, v4
	ds_read2_b32 v[3:4], v2 offset0:24 offset1:28
	v_add_u32_e32 v2, 0x80, v2
	s_waitcnt lgkmcnt(0)
	v_add3_u32 v1, v3, v1, v4
	s_cbranch_scc0 .LBB114_79
; %bb.80:                               ;   in Loop: Header=BB114_6 Depth=1
	s_mov_b32 s6, s21
	s_branch .LBB114_82
.LBB114_81:                             ;   in Loop: Header=BB114_6 Depth=1
	v_mov_b32_e32 v1, 0
	s_mov_b32 s6, 0
.LBB114_82:                             ;   in Loop: Header=BB114_6 Depth=1
	v_readlane_b32 s8, v53, 56
	v_readlane_b32 s9, v53, 57
	s_andn2_b64 vcc, exec, s[8:9]
	s_cbranch_vccnz .LBB114_85
; %bb.83:                               ;   in Loop: Header=BB114_6 Depth=1
	v_readlane_b32 s8, v53, 25
	v_readlane_b32 s9, v53, 26
	s_lshl_b32 s7, s9, 8
	s_lshl_b32 s6, s6, 4
	s_add_i32 s7, s7, s6
	v_add_u32_e32 v2, s7, v38
	v_readlane_b32 s6, v53, 55
.LBB114_84:                             ;   Parent Loop BB114_6 Depth=1
                                        ; =>  This Inner Loop Header: Depth=2
	ds_read_b32 v3, v2
	s_add_i32 s6, s6, -1
	v_add_u32_e32 v2, 16, v2
	s_cmp_lg_u32 s6, 0
	s_waitcnt lgkmcnt(0)
	v_add_u32_e32 v1, v3, v1
	s_cbranch_scc1 .LBB114_84
.LBB114_85:                             ;   in Loop: Header=BB114_6 Depth=1
	v_add_lshl_u32 v2, s5, v24, 2
	ds_write_b32 v2, v1 offset:3072
.LBB114_86:                             ;   in Loop: Header=BB114_6 Depth=1
	s_or_b64 exec, exec, s[2:3]
	s_lshl_b32 s2, s5, 2
	v_mov_b32_e32 v1, s2
	s_waitcnt lgkmcnt(0)
	s_barrier
	ds_read_b128 v[1:4], v1 offset:3072
	v_readlane_b32 s2, v53, 29
	s_lshl_b32 s58, 3, s38
	v_readlane_b32 s3, v53, 30
	s_not_b32 s59, s58
	s_waitcnt lgkmcnt(0)
	v_readfirstlane_b32 s39, v1
	v_readfirstlane_b32 s5, v2
	v_readfirstlane_b32 s20, v3
	v_readfirstlane_b32 s57, v4
	v_cmp_eq_u32_e64 s[26:27], 1, v47
	s_mov_b64 s[50:51], -1
	s_mov_b64 s[30:31], 0
	s_andn2_b64 vcc, exec, s[2:3]
	s_mov_b64 s[92:93], 0
	s_mov_b64 s[34:35], 0
                                        ; implicit-def: $sgpr94_sgpr95
                                        ; implicit-def: $sgpr48_sgpr49
                                        ; implicit-def: $vgpr4
                                        ; implicit-def: $vgpr1
                                        ; implicit-def: $vgpr3
                                        ; implicit-def: $vgpr2
                                        ; implicit-def: $vgpr8
	s_cbranch_vccnz .LBB114_244
; %bb.87:                               ;   in Loop: Header=BB114_6 Depth=1
	s_cmp_eq_u32 s39, 1
	s_cselect_b64 s[2:3], -1, 0
	s_and_b64 s[6:7], s[2:3], s[26:27]
	s_mov_b64 s[2:3], -1
	v_mov_b32_e32 v3, v37
	v_mov_b32_e32 v2, v45
	;; [unrolled: 1-line block ×3, first 2 shown]
                                        ; implicit-def: $sgpr48_sgpr49
                                        ; implicit-def: $sgpr94_sgpr95
	s_and_saveexec_b64 s[12:13], s[6:7]
	s_cbranch_execz .LBB114_113
; %bb.88:                               ;   in Loop: Header=BB114_6 Depth=1
	ds_read_b32 v1, v9 offset:4096
	s_waitcnt lgkmcnt(0)
	s_barrier
	v_readfirstlane_b32 s8, v1
	s_mov_b64 s[2:3], exec
	v_readlane_b32 s14, v53, 39
	v_readlane_b32 s15, v53, 40
	s_and_b64 s[14:15], s[2:3], s[14:15]
	s_mov_b64 exec, s[14:15]
; %bb.89:                               ;   in Loop: Header=BB114_6 Depth=1
	ds_write_b16 v26, v9
; %bb.90:                               ;   in Loop: Header=BB114_6 Depth=1
	s_or_b64 exec, exec, s[2:3]
	v_and_b32_e32 v3, s59, v37
	v_or_b32_e32 v2, s58, v45
	s_mov_b64 s[94:95], -1
	s_mov_b64 s[48:49], 0
	s_cmp_eq_u32 s8, 0
	s_mov_b64 s[2:3], 0
	s_mov_b64 s[14:15], -1
	s_waitcnt lgkmcnt(0)
	s_barrier
                                        ; implicit-def: $vgpr8
	s_cbranch_scc1 .LBB114_101
; %bb.91:                               ;   in Loop: Header=BB114_6 Depth=1
	v_readlane_b32 s2, v53, 41
	s_add_i32 s2, s8, s2
	v_readlane_b32 s3, v53, 63
	s_mul_hi_u32 s3, s2, s3
	s_mul_i32 s3, s3, s60
	s_sub_i32 s3, s2, s3
	s_sub_i32 s9, s3, s60
	s_cmp_ge_u32 s3, s60
	s_cselect_b32 s3, s9, s3
	s_sub_i32 s9, s3, s60
	s_cmp_ge_u32 s3, s60
	s_cselect_b32 s3, s9, s3
	s_sub_i32 s9, s2, s3
	v_cmp_gt_u32_e32 vcc, s9, v0
	s_mov_b64 s[14:15], 0
	s_mov_b64 s[2:3], 0
                                        ; implicit-def: $vgpr8
	s_and_saveexec_b64 s[16:17], vcc
	s_cbranch_execz .LBB114_100
; %bb.92:                               ;   in Loop: Header=BB114_6 Depth=1
	v_mov_b32_e32 v1, v25
	v_mov_b32_e32 v4, v0
                                        ; implicit-def: $sgpr18_sgpr19
	s_branch .LBB114_95
.LBB114_93:                             ;   in Loop: Header=BB114_95 Depth=2
	s_or_b64 exec, exec, s[24:25]
	s_waitcnt lgkmcnt(0)
	s_barrier
	ds_read_b32 v8, v9 offset:3072
	s_mov_b64 s[24:25], -1
	s_mov_b64 s[28:29], -1
	s_waitcnt lgkmcnt(0)
	s_barrier
	v_and_b32_e32 v12, 0x7fff, v8
	v_cmp_ne_u32_e32 vcc, 0, v12
	s_cbranch_vccz .LBB114_98
.LBB114_94:                             ;   in Loop: Header=BB114_95 Depth=2
	s_and_b64 s[24:25], exec, s[24:25]
	s_or_b64 s[2:3], s[24:25], s[2:3]
	s_andn2_b64 s[18:19], s[18:19], exec
	s_and_b64 s[24:25], s[28:29], exec
	s_or_b64 s[18:19], s[18:19], s[24:25]
	s_andn2_b64 exec, exec, s[2:3]
	s_cbranch_execz .LBB114_99
.LBB114_95:                             ;   Parent Loop BB114_6 Depth=1
                                        ; =>  This Inner Loop Header: Depth=2
	v_cmp_gt_u32_e32 vcc, s8, v4
	s_and_saveexec_b64 s[24:25], vcc
	s_cbranch_execz .LBB114_93
; %bb.96:                               ;   in Loop: Header=BB114_95 Depth=2
	ds_read_u16 v8, v1
	s_waitcnt lgkmcnt(0)
	v_cmp_lt_i16_e32 vcc, -1, v8
	v_cndmask_b32_e32 v12, v41, v42, vcc
	v_lshlrev_b32_e32 v13, 16, v8
	v_cmp_o_f32_e32 vcc, v13, v13
	v_xor_b32_sdwa v12, v12, v8 dst_sel:DWORD dst_unused:UNUSED_PAD src0_sel:DWORD src1_sel:WORD_0
	v_cndmask_b32_e32 v12, v41, v12, vcc
	v_and_b32_e32 v12, v12, v2
	v_cmp_eq_u32_e32 vcc, v12, v3
	s_and_b64 exec, exec, vcc
	s_cbranch_execz .LBB114_93
; %bb.97:                               ;   in Loop: Header=BB114_95 Depth=2
	s_movk_i32 s28, 0x3f80
	v_perm_b32 v8, v8, s28, v44
	ds_write_b32 v9, v8 offset:3072
	s_branch .LBB114_93
.LBB114_98:                             ;   in Loop: Header=BB114_95 Depth=2
	v_add_u32_e32 v4, s60, v4
	v_cmp_le_u32_e32 vcc, s9, v4
	v_add_u32_e32 v1, s4, v1
	s_mov_b64 s[28:29], 0
	s_orn2_b64 s[24:25], vcc, exec
	s_branch .LBB114_94
.LBB114_99:                             ;   in Loop: Header=BB114_6 Depth=1
	s_or_b64 exec, exec, s[2:3]
	v_lshrrev_b32_e32 v8, 16, v8
	s_and_b64 s[2:3], s[18:19], exec
.LBB114_100:                            ;   in Loop: Header=BB114_6 Depth=1
	s_or_b64 exec, exec, s[16:17]
.LBB114_101:                            ;   in Loop: Header=BB114_6 Depth=1
	s_and_b64 vcc, exec, s[14:15]
	s_cbranch_vccz .LBB114_112
; %bb.102:                              ;   in Loop: Header=BB114_6 Depth=1
                                        ; implicit-def: $vgpr8
	s_mov_b64 s[14:15], exec
	v_readlane_b32 s8, v52, 0
	v_readlane_b32 s9, v52, 1
	s_and_b64 s[8:9], s[14:15], s[8:9]
	s_mov_b64 exec, s[8:9]
	s_cbranch_execz .LBB114_111
; %bb.103:                              ;   in Loop: Header=BB114_6 Depth=1
	s_mov_b64 s[16:17], 0
	v_mov_b32_e32 v8, v7
	v_mov_b32_e32 v1, v0
                                        ; implicit-def: $sgpr18_sgpr19
	s_branch .LBB114_106
.LBB114_104:                            ;   in Loop: Header=BB114_106 Depth=2
	s_or_b64 exec, exec, s[28:29]
	s_waitcnt lgkmcnt(0)
	s_barrier
	ds_read_b32 v4, v9 offset:3072
	s_mov_b64 s[24:25], -1
	s_mov_b64 s[28:29], -1
	s_waitcnt lgkmcnt(0)
	s_barrier
	v_and_b32_e32 v12, 0x7fff, v4
	v_cmp_ne_u32_e32 vcc, 0, v12
	s_cbranch_vccz .LBB114_109
.LBB114_105:                            ;   in Loop: Header=BB114_106 Depth=2
	s_and_b64 s[8:9], exec, s[24:25]
	s_or_b64 s[16:17], s[8:9], s[16:17]
	s_andn2_b64 s[8:9], s[18:19], exec
	s_and_b64 s[18:19], s[28:29], exec
	s_or_b64 s[18:19], s[8:9], s[18:19]
	s_andn2_b64 exec, exec, s[16:17]
	s_cbranch_execz .LBB114_110
.LBB114_106:                            ;   Parent Loop BB114_6 Depth=1
                                        ; =>  This Inner Loop Header: Depth=2
	v_cmp_gt_u32_e32 vcc, s36, v1
	s_and_saveexec_b64 s[28:29], vcc
	s_cbranch_execz .LBB114_104
; %bb.107:                              ;   in Loop: Header=BB114_106 Depth=2
	v_lshlrev_b64 v[12:13], 1, v[8:9]
	v_mov_b32_e32 v4, s56
	v_add_co_u32_e32 v12, vcc, s33, v12
	v_addc_co_u32_e32 v13, vcc, v4, v13, vcc
	global_load_ushort v4, v[12:13], off
	s_waitcnt vmcnt(0)
	v_cmp_lt_i16_e32 vcc, -1, v4
	v_cndmask_b32_e32 v12, v41, v42, vcc
	v_lshlrev_b32_e32 v13, 16, v4
	v_xor_b32_sdwa v12, v12, v4 dst_sel:DWORD dst_unused:UNUSED_PAD src0_sel:DWORD src1_sel:WORD_0
	v_cmp_o_f32_e32 vcc, v13, v13
	v_cndmask_b32_e32 v12, v41, v12, vcc
	v_and_b32_e32 v12, v12, v2
	v_cmp_eq_u32_e32 vcc, v12, v3
	s_and_b64 exec, exec, vcc
	s_cbranch_execz .LBB114_104
; %bb.108:                              ;   in Loop: Header=BB114_106 Depth=2
	s_movk_i32 s8, 0x3f80
	v_perm_b32 v4, v4, s8, v44
	ds_write_b32 v9, v4 offset:3072
	s_branch .LBB114_104
.LBB114_109:                            ;   in Loop: Header=BB114_106 Depth=2
	v_add_u32_e32 v1, s60, v1
	v_cmp_le_u32_e32 vcc, s22, v1
	v_add_u32_e32 v8, s62, v8
	s_mov_b64 s[28:29], 0
	s_orn2_b64 s[24:25], vcc, exec
	s_branch .LBB114_105
.LBB114_110:                            ;   in Loop: Header=BB114_6 Depth=1
	s_or_b64 exec, exec, s[16:17]
	s_andn2_b64 s[2:3], s[2:3], exec
	s_and_b64 s[8:9], s[18:19], exec
	v_lshrrev_b32_e32 v8, 16, v4
	s_or_b64 s[2:3], s[2:3], s[8:9]
.LBB114_111:                            ;   in Loop: Header=BB114_6 Depth=1
	s_or_b64 exec, exec, s[14:15]
	s_mov_b64 s[94:95], 0
	s_mov_b64 s[48:49], -1
.LBB114_112:                            ;   in Loop: Header=BB114_6 Depth=1
	s_orn2_b64 s[2:3], s[2:3], exec
.LBB114_113:                            ;   in Loop: Header=BB114_6 Depth=1
	s_or_b64 exec, exec, s[12:13]
	s_mov_b64 s[50:51], 0
	s_mov_b64 s[92:93], 0
	;; [unrolled: 1-line block ×3, first 2 shown]
                                        ; implicit-def: $vgpr4
                                        ; implicit-def: $vgpr1
	s_and_saveexec_b64 s[40:41], s[2:3]
	s_cbranch_execz .LBB114_243
; %bb.114:                              ;   in Loop: Header=BB114_6 Depth=1
	s_xor_b64 s[8:9], s[6:7], -1
	s_mov_b64 s[6:7], 0
	v_mov_b32_e32 v4, 1
	v_mov_b32_e32 v1, 1
	s_and_saveexec_b64 s[2:3], s[8:9]
	s_cbranch_execz .LBB114_123
; %bb.115:                              ;   in Loop: Header=BB114_6 Depth=1
	v_cmp_ge_u32_e32 vcc, s39, v47
	s_and_saveexec_b64 s[6:7], vcc
	s_xor_b64 s[6:7], exec, s[6:7]
	s_cbranch_execz .LBB114_120
; %bb.116:                              ;   in Loop: Header=BB114_6 Depth=1
	ds_read_b32 v1, v9 offset:4096
	v_and_b32_e32 v3, s59, v3
	v_or_b32_e32 v2, s58, v2
	s_waitcnt lgkmcnt(0)
	v_cmp_ne_u32_e32 vcc, 0, v1
	s_cbranch_vccnz .LBB114_120
; %bb.117:                              ;   in Loop: Header=BB114_6 Depth=1
	s_mov_b64 s[8:9], exec
	v_readlane_b32 s12, v53, 22
	v_readlane_b32 s13, v53, 23
	s_and_b64 s[12:13], s[8:9], s[12:13]
	s_mov_b64 exec, s[12:13]
; %bb.118:                              ;   in Loop: Header=BB114_6 Depth=1
	v_mov_b32_e32 v1, s39
	ds_write_b32 v9, v1 offset:4100
; %bb.119:                              ;   in Loop: Header=BB114_6 Depth=1
	s_or_b64 exec, exec, s[8:9]
	s_waitcnt lgkmcnt(0)
	s_barrier
.LBB114_120:                            ;   in Loop: Header=BB114_6 Depth=1
	s_or_saveexec_b64 s[6:7], s[6:7]
	s_mov_b64 s[12:13], 0
	v_mov_b32_e32 v1, 8
	v_mov_b32_e32 v4, v47
	s_xor_b64 exec, exec, s[6:7]
; %bb.121:                              ;   in Loop: Header=BB114_6 Depth=1
	s_mov_b64 s[12:13], exec
	v_subrev_u32_e32 v4, s39, v47
	v_mov_b32_e32 v1, 0
; %bb.122:                              ;   in Loop: Header=BB114_6 Depth=1
	s_or_b64 exec, exec, s[6:7]
	s_and_b64 s[6:7], s[12:13], exec
.LBB114_123:                            ;   in Loop: Header=BB114_6 Depth=1
	s_or_b64 exec, exec, s[2:3]
	s_mov_b64 s[2:3], -1
                                        ; implicit-def: $sgpr34_sgpr35
                                        ; implicit-def: $sgpr42_sgpr43
	s_and_saveexec_b64 s[8:9], s[6:7]
	s_xor_b64 s[6:7], exec, s[8:9]
	s_cbranch_execz .LBB114_240
; %bb.124:                              ;   in Loop: Header=BB114_6 Depth=1
	s_cmp_eq_u32 s5, 1
	s_cselect_b64 s[2:3], -1, 0
	v_cmp_eq_u32_e32 vcc, 1, v4
	s_and_b64 s[14:15], s[2:3], vcc
	s_mov_b64 s[2:3], -1
                                        ; implicit-def: $sgpr42_sgpr43
                                        ; implicit-def: $sgpr34_sgpr35
	s_and_saveexec_b64 s[12:13], s[14:15]
	s_cbranch_execz .LBB114_150
; %bb.125:                              ;   in Loop: Header=BB114_6 Depth=1
	ds_read_b32 v8, v9 offset:4096
	s_waitcnt lgkmcnt(0)
	s_barrier
	v_readfirstlane_b32 s8, v8
	s_mov_b64 s[2:3], exec
	v_readlane_b32 s16, v53, 39
	v_readlane_b32 s17, v53, 40
	s_and_b64 s[16:17], s[2:3], s[16:17]
	s_mov_b64 exec, s[16:17]
; %bb.126:                              ;   in Loop: Header=BB114_6 Depth=1
	ds_write_b16 v26, v9
; %bb.127:                              ;   in Loop: Header=BB114_6 Depth=1
	s_or_b64 exec, exec, s[2:3]
	v_and_b32_e32 v3, s59, v3
	v_lshl_or_b32 v3, 1, s38, v3
	v_or_b32_e32 v2, s58, v2
	s_mov_b64 s[34:35], -1
	s_mov_b64 s[42:43], 0
	s_cmp_eq_u32 s8, 0
	s_mov_b64 s[16:17], 0
	s_mov_b64 s[2:3], -1
	s_waitcnt lgkmcnt(0)
	s_barrier
                                        ; implicit-def: $vgpr8
	s_cbranch_scc1 .LBB114_138
; %bb.128:                              ;   in Loop: Header=BB114_6 Depth=1
	v_readlane_b32 s2, v53, 41
	s_add_i32 s2, s8, s2
	v_readlane_b32 s3, v53, 63
	s_mul_hi_u32 s3, s2, s3
	s_mul_i32 s3, s3, s60
	s_sub_i32 s3, s2, s3
	s_sub_i32 s9, s3, s60
	s_cmp_ge_u32 s3, s60
	s_cselect_b32 s3, s9, s3
	s_sub_i32 s9, s3, s60
	s_cmp_ge_u32 s3, s60
	s_cselect_b32 s3, s9, s3
	s_sub_i32 s9, s2, s3
	v_cmp_gt_u32_e32 vcc, s9, v0
	s_mov_b64 s[2:3], 0
                                        ; implicit-def: $vgpr8
	s_and_saveexec_b64 s[18:19], vcc
	s_cbranch_execz .LBB114_137
; %bb.129:                              ;   in Loop: Header=BB114_6 Depth=1
	v_mov_b32_e32 v8, v25
	v_mov_b32_e32 v12, v0
                                        ; implicit-def: $sgpr28_sgpr29
	s_branch .LBB114_132
.LBB114_130:                            ;   in Loop: Header=BB114_132 Depth=2
	s_or_b64 exec, exec, s[44:45]
	s_waitcnt lgkmcnt(0)
	s_barrier
	ds_read_b32 v13, v9 offset:3072
	s_mov_b64 s[24:25], -1
	s_mov_b64 s[44:45], -1
	s_waitcnt lgkmcnt(0)
	s_barrier
	v_and_b32_e32 v14, 0x7fff, v13
	v_cmp_ne_u32_e32 vcc, 0, v14
	s_cbranch_vccz .LBB114_135
.LBB114_131:                            ;   in Loop: Header=BB114_132 Depth=2
	s_and_b64 s[24:25], exec, s[24:25]
	s_or_b64 s[16:17], s[24:25], s[16:17]
	s_andn2_b64 s[24:25], s[28:29], exec
	s_and_b64 s[28:29], s[44:45], exec
	s_or_b64 s[28:29], s[24:25], s[28:29]
	s_andn2_b64 exec, exec, s[16:17]
	s_cbranch_execz .LBB114_136
.LBB114_132:                            ;   Parent Loop BB114_6 Depth=1
                                        ; =>  This Inner Loop Header: Depth=2
	v_cmp_gt_u32_e32 vcc, s8, v12
	s_and_saveexec_b64 s[44:45], vcc
	s_cbranch_execz .LBB114_130
; %bb.133:                              ;   in Loop: Header=BB114_132 Depth=2
	ds_read_u16 v13, v8
	s_waitcnt lgkmcnt(0)
	v_cmp_lt_i16_e32 vcc, -1, v13
	v_cndmask_b32_e32 v14, v41, v42, vcc
	v_lshlrev_b32_e32 v15, 16, v13
	v_cmp_o_f32_e32 vcc, v15, v15
	v_xor_b32_sdwa v14, v14, v13 dst_sel:DWORD dst_unused:UNUSED_PAD src0_sel:DWORD src1_sel:WORD_0
	v_cndmask_b32_e32 v14, v41, v14, vcc
	v_and_b32_e32 v14, v14, v2
	v_cmp_eq_u32_e32 vcc, v14, v3
	s_and_b64 exec, exec, vcc
	s_cbranch_execz .LBB114_130
; %bb.134:                              ;   in Loop: Header=BB114_132 Depth=2
	s_movk_i32 s24, 0x3f80
	v_perm_b32 v13, v13, s24, v44
	ds_write_b32 v9, v13 offset:3072
	s_branch .LBB114_130
.LBB114_135:                            ;   in Loop: Header=BB114_132 Depth=2
	v_add_u32_e32 v12, s60, v12
	v_cmp_le_u32_e32 vcc, s9, v12
	v_add_u32_e32 v8, s4, v8
	s_mov_b64 s[44:45], 0
	s_orn2_b64 s[24:25], vcc, exec
	s_branch .LBB114_131
.LBB114_136:                            ;   in Loop: Header=BB114_6 Depth=1
	s_or_b64 exec, exec, s[16:17]
	v_lshrrev_b32_e32 v8, 16, v13
	s_and_b64 s[16:17], s[28:29], exec
.LBB114_137:                            ;   in Loop: Header=BB114_6 Depth=1
	s_or_b64 exec, exec, s[18:19]
.LBB114_138:                            ;   in Loop: Header=BB114_6 Depth=1
	s_and_b64 vcc, exec, s[2:3]
	s_cbranch_vccz .LBB114_149
; %bb.139:                              ;   in Loop: Header=BB114_6 Depth=1
                                        ; implicit-def: $vgpr8
	s_mov_b64 s[2:3], exec
	v_readlane_b32 s8, v52, 0
	v_readlane_b32 s9, v52, 1
	s_and_b64 s[8:9], s[2:3], s[8:9]
	s_mov_b64 exec, s[8:9]
	s_cbranch_execz .LBB114_148
; %bb.140:                              ;   in Loop: Header=BB114_6 Depth=1
	s_mov_b64 s[18:19], 0
	v_mov_b32_e32 v8, v7
	v_mov_b32_e32 v12, v0
                                        ; implicit-def: $sgpr28_sgpr29
	s_branch .LBB114_143
.LBB114_141:                            ;   in Loop: Header=BB114_143 Depth=2
	s_or_b64 exec, exec, s[34:35]
	s_waitcnt lgkmcnt(0)
	s_barrier
	ds_read_b32 v13, v9 offset:3072
	s_mov_b64 s[24:25], -1
	s_mov_b64 s[34:35], -1
	s_waitcnt lgkmcnt(0)
	s_barrier
	v_and_b32_e32 v14, 0x7fff, v13
	v_cmp_eq_u32_e32 vcc, 0, v14
	s_cbranch_vccnz .LBB114_146
.LBB114_142:                            ;   in Loop: Header=BB114_143 Depth=2
	s_and_b64 s[8:9], exec, s[24:25]
	s_or_b64 s[18:19], s[8:9], s[18:19]
	s_andn2_b64 s[8:9], s[28:29], exec
	s_and_b64 s[24:25], s[34:35], exec
	s_or_b64 s[28:29], s[8:9], s[24:25]
	s_andn2_b64 exec, exec, s[18:19]
	s_cbranch_execz .LBB114_147
.LBB114_143:                            ;   Parent Loop BB114_6 Depth=1
                                        ; =>  This Inner Loop Header: Depth=2
	v_cmp_gt_u32_e32 vcc, s36, v12
	s_and_saveexec_b64 s[34:35], vcc
	s_cbranch_execz .LBB114_141
; %bb.144:                              ;   in Loop: Header=BB114_143 Depth=2
	v_lshlrev_b64 v[13:14], 1, v[8:9]
	v_mov_b32_e32 v15, s56
	v_add_co_u32_e32 v13, vcc, s33, v13
	v_addc_co_u32_e32 v14, vcc, v15, v14, vcc
	global_load_ushort v13, v[13:14], off
	s_waitcnt vmcnt(0)
	v_cmp_lt_i16_e32 vcc, -1, v13
	v_cndmask_b32_e32 v14, v41, v42, vcc
	v_lshlrev_b32_e32 v15, 16, v13
	v_xor_b32_sdwa v14, v14, v13 dst_sel:DWORD dst_unused:UNUSED_PAD src0_sel:DWORD src1_sel:WORD_0
	v_cmp_o_f32_e32 vcc, v15, v15
	v_cndmask_b32_e32 v14, v41, v14, vcc
	v_and_b32_e32 v14, v14, v2
	v_cmp_eq_u32_e32 vcc, v14, v3
	s_and_b64 exec, exec, vcc
	s_cbranch_execz .LBB114_141
; %bb.145:                              ;   in Loop: Header=BB114_143 Depth=2
	s_movk_i32 s8, 0x3f80
	v_perm_b32 v13, v13, s8, v44
	ds_write_b32 v9, v13 offset:3072
	s_branch .LBB114_141
.LBB114_146:                            ;   in Loop: Header=BB114_143 Depth=2
	v_add_u32_e32 v12, s60, v12
	v_cmp_le_u32_e32 vcc, s22, v12
	v_add_u32_e32 v8, s62, v8
	s_mov_b64 s[34:35], 0
	s_orn2_b64 s[24:25], vcc, exec
	s_branch .LBB114_142
.LBB114_147:                            ;   in Loop: Header=BB114_6 Depth=1
	s_or_b64 exec, exec, s[18:19]
	s_andn2_b64 s[8:9], s[16:17], exec
	s_and_b64 s[16:17], s[28:29], exec
	v_lshrrev_b32_e32 v8, 16, v13
	s_or_b64 s[16:17], s[8:9], s[16:17]
.LBB114_148:                            ;   in Loop: Header=BB114_6 Depth=1
	s_or_b64 exec, exec, s[2:3]
	s_mov_b64 s[34:35], 0
	s_mov_b64 s[42:43], -1
.LBB114_149:                            ;   in Loop: Header=BB114_6 Depth=1
	s_orn2_b64 s[2:3], s[16:17], exec
.LBB114_150:                            ;   in Loop: Header=BB114_6 Depth=1
	s_or_b64 exec, exec, s[12:13]
	s_mov_b64 s[12:13], 0
	s_and_saveexec_b64 s[92:93], s[2:3]
	s_cbranch_execz .LBB114_239
; %bb.151:                              ;   in Loop: Header=BB114_6 Depth=1
	s_xor_b64 s[8:9], s[14:15], -1
	v_mov_b32_e32 v12, 1
	v_mov_b32_e32 v1, 1
	s_and_saveexec_b64 s[2:3], s[8:9]
	s_cbranch_execz .LBB114_160
; %bb.152:                              ;   in Loop: Header=BB114_6 Depth=1
	v_cmp_ge_u32_e32 vcc, s5, v4
	s_and_saveexec_b64 s[8:9], vcc
	s_xor_b64 s[12:13], exec, s[8:9]
	s_cbranch_execz .LBB114_157
; %bb.153:                              ;   in Loop: Header=BB114_6 Depth=1
	v_and_b32_e32 v1, s59, v3
	v_lshl_or_b32 v3, 1, s38, v1
	ds_read_b32 v1, v9 offset:4096
	v_or_b32_e32 v2, s58, v2
	s_waitcnt lgkmcnt(0)
	v_cmp_ne_u32_e32 vcc, 0, v1
	s_cbranch_vccnz .LBB114_157
; %bb.154:                              ;   in Loop: Header=BB114_6 Depth=1
	s_mov_b64 s[8:9], exec
	v_readlane_b32 s14, v53, 22
	v_readlane_b32 s15, v53, 23
	s_and_b64 s[14:15], s[8:9], s[14:15]
	s_mov_b64 exec, s[14:15]
; %bb.155:                              ;   in Loop: Header=BB114_6 Depth=1
	v_mov_b32_e32 v1, s5
	ds_write_b32 v9, v1 offset:4100
; %bb.156:                              ;   in Loop: Header=BB114_6 Depth=1
	s_or_b64 exec, exec, s[8:9]
	s_waitcnt lgkmcnt(0)
	s_barrier
.LBB114_157:                            ;   in Loop: Header=BB114_6 Depth=1
	s_or_saveexec_b64 s[12:13], s[12:13]
	s_mov_b64 s[14:15], 0
	v_mov_b32_e32 v1, 8
	s_xor_b64 exec, exec, s[12:13]
; %bb.158:                              ;   in Loop: Header=BB114_6 Depth=1
	s_mov_b64 s[14:15], exec
	v_subrev_u32_e32 v4, s5, v4
	v_mov_b32_e32 v1, 0
; %bb.159:                              ;   in Loop: Header=BB114_6 Depth=1
	s_or_b64 exec, exec, s[12:13]
	s_and_b64 s[12:13], s[14:15], exec
	v_mov_b32_e32 v12, v4
.LBB114_160:                            ;   in Loop: Header=BB114_6 Depth=1
	s_or_b64 exec, exec, s[2:3]
	s_mov_b64 s[2:3], -1
                                        ; implicit-def: $sgpr46_sgpr47
                                        ; implicit-def: $sgpr14_sgpr15
	s_and_saveexec_b64 s[44:45], s[12:13]
	s_cbranch_execz .LBB114_238
; %bb.161:                              ;   in Loop: Header=BB114_6 Depth=1
	s_cmp_eq_u32 s20, 1
	s_cselect_b64 s[2:3], -1, 0
	v_cmp_eq_u32_e32 vcc, 1, v12
	s_and_b64 s[18:19], s[2:3], vcc
	s_mov_b64 s[2:3], -1
                                        ; implicit-def: $sgpr14_sgpr15
                                        ; implicit-def: $sgpr46_sgpr47
	s_and_saveexec_b64 s[12:13], s[18:19]
	s_cbranch_execz .LBB114_187
; %bb.162:                              ;   in Loop: Header=BB114_6 Depth=1
	ds_read_b32 v4, v9 offset:4096
	s_waitcnt lgkmcnt(0)
	s_barrier
	v_readfirstlane_b32 s8, v4
	s_mov_b64 s[2:3], exec
	v_readlane_b32 s14, v53, 39
	v_readlane_b32 s15, v53, 40
	s_and_b64 s[14:15], s[2:3], s[14:15]
	s_mov_b64 exec, s[14:15]
; %bb.163:                              ;   in Loop: Header=BB114_6 Depth=1
	ds_write_b16 v26, v9
; %bb.164:                              ;   in Loop: Header=BB114_6 Depth=1
	s_or_b64 exec, exec, s[2:3]
	v_and_b32_e32 v3, s59, v3
	v_lshl_or_b32 v3, 2, s38, v3
	v_or_b32_e32 v2, s58, v2
	s_mov_b64 s[46:47], -1
	s_mov_b64 s[14:15], 0
	s_cmp_eq_u32 s8, 0
	s_mov_b64 s[16:17], 0
	s_mov_b64 s[2:3], -1
	s_waitcnt lgkmcnt(0)
	s_barrier
                                        ; implicit-def: $vgpr8
	s_cbranch_scc1 .LBB114_175
; %bb.165:                              ;   in Loop: Header=BB114_6 Depth=1
	v_readlane_b32 s2, v53, 41
	s_add_i32 s2, s8, s2
	v_readlane_b32 s3, v53, 63
	s_mul_hi_u32 s3, s2, s3
	s_mul_i32 s3, s3, s60
	s_sub_i32 s3, s2, s3
	s_sub_i32 s9, s3, s60
	s_cmp_ge_u32 s3, s60
	s_cselect_b32 s3, s9, s3
	s_sub_i32 s9, s3, s60
	s_cmp_ge_u32 s3, s60
	s_cselect_b32 s3, s9, s3
	s_sub_i32 s9, s2, s3
	v_cmp_gt_u32_e32 vcc, s9, v0
	s_mov_b64 s[2:3], 0
                                        ; implicit-def: $vgpr8
	s_and_saveexec_b64 s[28:29], vcc
	s_cbranch_execz .LBB114_174
; %bb.166:                              ;   in Loop: Header=BB114_6 Depth=1
	v_mov_b32_e32 v4, v25
	v_mov_b32_e32 v8, v0
                                        ; implicit-def: $sgpr52_sgpr53
	s_branch .LBB114_169
.LBB114_167:                            ;   in Loop: Header=BB114_169 Depth=2
	s_or_b64 exec, exec, s[54:55]
	s_waitcnt lgkmcnt(0)
	s_barrier
	ds_read_b32 v13, v9 offset:3072
	s_mov_b64 s[24:25], -1
	s_mov_b64 s[54:55], -1
	s_waitcnt lgkmcnt(0)
	s_barrier
	v_and_b32_e32 v14, 0x7fff, v13
	v_cmp_ne_u32_e32 vcc, 0, v14
	s_cbranch_vccz .LBB114_172
.LBB114_168:                            ;   in Loop: Header=BB114_169 Depth=2
	s_and_b64 s[24:25], exec, s[24:25]
	s_or_b64 s[16:17], s[24:25], s[16:17]
	s_andn2_b64 s[24:25], s[52:53], exec
	s_and_b64 s[52:53], s[54:55], exec
	s_or_b64 s[52:53], s[24:25], s[52:53]
	s_andn2_b64 exec, exec, s[16:17]
	s_cbranch_execz .LBB114_173
.LBB114_169:                            ;   Parent Loop BB114_6 Depth=1
                                        ; =>  This Inner Loop Header: Depth=2
	v_cmp_gt_u32_e32 vcc, s8, v8
	s_and_saveexec_b64 s[54:55], vcc
	s_cbranch_execz .LBB114_167
; %bb.170:                              ;   in Loop: Header=BB114_169 Depth=2
	ds_read_u16 v13, v4
	s_waitcnt lgkmcnt(0)
	v_cmp_lt_i16_e32 vcc, -1, v13
	v_cndmask_b32_e32 v14, v41, v42, vcc
	v_lshlrev_b32_e32 v15, 16, v13
	v_cmp_o_f32_e32 vcc, v15, v15
	v_xor_b32_sdwa v14, v14, v13 dst_sel:DWORD dst_unused:UNUSED_PAD src0_sel:DWORD src1_sel:WORD_0
	v_cndmask_b32_e32 v14, v41, v14, vcc
	v_and_b32_e32 v14, v14, v2
	v_cmp_eq_u32_e32 vcc, v14, v3
	s_and_b64 exec, exec, vcc
	s_cbranch_execz .LBB114_167
; %bb.171:                              ;   in Loop: Header=BB114_169 Depth=2
	s_movk_i32 s24, 0x3f80
	v_perm_b32 v13, v13, s24, v44
	ds_write_b32 v9, v13 offset:3072
	s_branch .LBB114_167
.LBB114_172:                            ;   in Loop: Header=BB114_169 Depth=2
	v_add_u32_e32 v8, s60, v8
	v_cmp_le_u32_e32 vcc, s9, v8
	v_add_u32_e32 v4, s4, v4
	s_mov_b64 s[54:55], 0
	s_orn2_b64 s[24:25], vcc, exec
	s_branch .LBB114_168
.LBB114_173:                            ;   in Loop: Header=BB114_6 Depth=1
	s_or_b64 exec, exec, s[16:17]
	v_lshrrev_b32_e32 v8, 16, v13
	s_and_b64 s[16:17], s[52:53], exec
.LBB114_174:                            ;   in Loop: Header=BB114_6 Depth=1
	s_or_b64 exec, exec, s[28:29]
.LBB114_175:                            ;   in Loop: Header=BB114_6 Depth=1
	s_and_b64 vcc, exec, s[2:3]
	s_cbranch_vccz .LBB114_186
; %bb.176:                              ;   in Loop: Header=BB114_6 Depth=1
                                        ; implicit-def: $vgpr8
	s_mov_b64 s[2:3], exec
	v_readlane_b32 s8, v52, 0
	v_readlane_b32 s9, v52, 1
	s_and_b64 s[8:9], s[2:3], s[8:9]
	s_mov_b64 exec, s[8:9]
	s_cbranch_execz .LBB114_185
; %bb.177:                              ;   in Loop: Header=BB114_6 Depth=1
	s_mov_b64 s[14:15], 0
	v_mov_b32_e32 v8, v7
	v_mov_b32_e32 v4, v0
                                        ; implicit-def: $sgpr28_sgpr29
	s_branch .LBB114_180
.LBB114_178:                            ;   in Loop: Header=BB114_180 Depth=2
	s_or_b64 exec, exec, s[46:47]
	s_waitcnt lgkmcnt(0)
	s_barrier
	ds_read_b32 v13, v9 offset:3072
	s_mov_b64 s[24:25], -1
	s_mov_b64 s[46:47], -1
	s_waitcnt lgkmcnt(0)
	s_barrier
	v_and_b32_e32 v14, 0x7fff, v13
	v_cmp_eq_u32_e32 vcc, 0, v14
	s_cbranch_vccnz .LBB114_183
.LBB114_179:                            ;   in Loop: Header=BB114_180 Depth=2
	s_and_b64 s[8:9], exec, s[24:25]
	s_or_b64 s[14:15], s[8:9], s[14:15]
	s_andn2_b64 s[8:9], s[28:29], exec
	s_and_b64 s[24:25], s[46:47], exec
	s_or_b64 s[28:29], s[8:9], s[24:25]
	s_andn2_b64 exec, exec, s[14:15]
	s_cbranch_execz .LBB114_184
.LBB114_180:                            ;   Parent Loop BB114_6 Depth=1
                                        ; =>  This Inner Loop Header: Depth=2
	v_cmp_gt_u32_e32 vcc, s36, v4
	s_and_saveexec_b64 s[46:47], vcc
	s_cbranch_execz .LBB114_178
; %bb.181:                              ;   in Loop: Header=BB114_180 Depth=2
	v_lshlrev_b64 v[13:14], 1, v[8:9]
	v_mov_b32_e32 v15, s56
	v_add_co_u32_e32 v13, vcc, s33, v13
	v_addc_co_u32_e32 v14, vcc, v15, v14, vcc
	global_load_ushort v13, v[13:14], off
	s_waitcnt vmcnt(0)
	v_cmp_lt_i16_e32 vcc, -1, v13
	v_cndmask_b32_e32 v14, v41, v42, vcc
	v_lshlrev_b32_e32 v15, 16, v13
	v_xor_b32_sdwa v14, v14, v13 dst_sel:DWORD dst_unused:UNUSED_PAD src0_sel:DWORD src1_sel:WORD_0
	v_cmp_o_f32_e32 vcc, v15, v15
	v_cndmask_b32_e32 v14, v41, v14, vcc
	v_and_b32_e32 v14, v14, v2
	v_cmp_eq_u32_e32 vcc, v14, v3
	s_and_b64 exec, exec, vcc
	s_cbranch_execz .LBB114_178
; %bb.182:                              ;   in Loop: Header=BB114_180 Depth=2
	s_movk_i32 s8, 0x3f80
	v_perm_b32 v13, v13, s8, v44
	ds_write_b32 v9, v13 offset:3072
	s_branch .LBB114_178
.LBB114_183:                            ;   in Loop: Header=BB114_180 Depth=2
	v_add_u32_e32 v4, s60, v4
	v_cmp_le_u32_e32 vcc, s22, v4
	v_add_u32_e32 v8, s62, v8
	s_mov_b64 s[46:47], 0
	s_orn2_b64 s[24:25], vcc, exec
	s_branch .LBB114_179
.LBB114_184:                            ;   in Loop: Header=BB114_6 Depth=1
	s_or_b64 exec, exec, s[14:15]
	s_andn2_b64 s[8:9], s[16:17], exec
	s_and_b64 s[14:15], s[28:29], exec
	v_lshrrev_b32_e32 v8, 16, v13
	s_or_b64 s[16:17], s[8:9], s[14:15]
.LBB114_185:                            ;   in Loop: Header=BB114_6 Depth=1
	s_or_b64 exec, exec, s[2:3]
	s_mov_b64 s[46:47], 0
	s_mov_b64 s[14:15], -1
.LBB114_186:                            ;   in Loop: Header=BB114_6 Depth=1
	s_orn2_b64 s[2:3], s[16:17], exec
.LBB114_187:                            ;   in Loop: Header=BB114_6 Depth=1
	s_or_b64 exec, exec, s[12:13]
	s_mov_b64 s[12:13], 0
	s_and_saveexec_b64 s[16:17], s[2:3]
	s_cbranch_execz .LBB114_237
; %bb.188:                              ;   in Loop: Header=BB114_6 Depth=1
	s_xor_b64 s[8:9], s[18:19], -1
	s_mov_b64 s[28:29], 0
	v_mov_b32_e32 v4, 1
	v_mov_b32_e32 v1, 1
	s_and_saveexec_b64 s[2:3], s[8:9]
	s_cbranch_execz .LBB114_197
; %bb.189:                              ;   in Loop: Header=BB114_6 Depth=1
	v_cmp_ge_u32_e32 vcc, s20, v12
	s_and_saveexec_b64 s[8:9], vcc
	s_xor_b64 s[12:13], exec, s[8:9]
	s_cbranch_execz .LBB114_194
; %bb.190:                              ;   in Loop: Header=BB114_6 Depth=1
	v_and_b32_e32 v1, s59, v3
	v_lshl_or_b32 v3, 2, s38, v1
	ds_read_b32 v1, v9 offset:4096
	v_or_b32_e32 v2, s58, v2
	s_waitcnt lgkmcnt(0)
	v_cmp_ne_u32_e32 vcc, 0, v1
	s_cbranch_vccnz .LBB114_194
; %bb.191:                              ;   in Loop: Header=BB114_6 Depth=1
	s_mov_b64 s[8:9], exec
	v_readlane_b32 s18, v53, 22
	v_readlane_b32 s19, v53, 23
	s_and_b64 s[18:19], s[8:9], s[18:19]
	s_mov_b64 exec, s[18:19]
; %bb.192:                              ;   in Loop: Header=BB114_6 Depth=1
	v_mov_b32_e32 v1, s20
	ds_write_b32 v9, v1 offset:4100
; %bb.193:                              ;   in Loop: Header=BB114_6 Depth=1
	s_or_b64 exec, exec, s[8:9]
	s_waitcnt lgkmcnt(0)
	s_barrier
.LBB114_194:                            ;   in Loop: Header=BB114_6 Depth=1
	s_or_saveexec_b64 s[12:13], s[12:13]
	s_mov_b64 s[18:19], 0
	v_mov_b32_e32 v1, 8
	s_xor_b64 exec, exec, s[12:13]
; %bb.195:                              ;   in Loop: Header=BB114_6 Depth=1
	s_mov_b64 s[18:19], exec
	v_subrev_u32_e32 v12, s20, v12
	v_mov_b32_e32 v1, 0
; %bb.196:                              ;   in Loop: Header=BB114_6 Depth=1
	s_or_b64 exec, exec, s[12:13]
	s_and_b64 s[28:29], s[18:19], exec
	v_mov_b32_e32 v4, v12
.LBB114_197:                            ;   in Loop: Header=BB114_6 Depth=1
	s_or_b64 exec, exec, s[2:3]
	s_mov_b64 s[2:3], -1
                                        ; implicit-def: $sgpr52_sgpr53
                                        ; implicit-def: $sgpr12_sgpr13
	s_and_saveexec_b64 s[18:19], s[28:29]
	s_cbranch_execz .LBB114_236
; %bb.198:                              ;   in Loop: Header=BB114_6 Depth=1
	s_cmp_eq_u32 s57, 1
	s_cselect_b64 s[2:3], -1, 0
	v_cmp_eq_u32_e32 vcc, 1, v4
	s_mov_b64 s[64:65], -1
	s_and_b64 s[2:3], s[2:3], vcc
                                        ; implicit-def: $sgpr52_sgpr53
                                        ; implicit-def: $sgpr12_sgpr13
	s_mov_b64 s[54:55], exec
	v_writelane_b32 v52, s2, 2
	v_writelane_b32 v52, s3, 3
	s_and_b64 s[2:3], s[54:55], s[2:3]
	s_mov_b64 exec, s[2:3]
	s_cbranch_execz .LBB114_224
; %bb.199:                              ;   in Loop: Header=BB114_6 Depth=1
	ds_read_b32 v8, v9 offset:4096
	s_waitcnt lgkmcnt(0)
	s_barrier
	v_readfirstlane_b32 s28, v8
	s_mov_b64 s[2:3], exec
	v_readlane_b32 s8, v53, 39
	v_readlane_b32 s9, v53, 40
	s_and_b64 s[8:9], s[2:3], s[8:9]
	s_mov_b64 exec, s[8:9]
; %bb.200:                              ;   in Loop: Header=BB114_6 Depth=1
	ds_write_b16 v26, v9
; %bb.201:                              ;   in Loop: Header=BB114_6 Depth=1
	s_or_b64 exec, exec, s[2:3]
	v_or_b32_e32 v3, s58, v3
	v_or_b32_e32 v2, s58, v2
	s_mov_b64 s[12:13], -1
	s_mov_b64 s[52:53], 0
	s_cmp_eq_u32 s28, 0
	s_mov_b64 s[2:3], 0
	s_waitcnt lgkmcnt(0)
	s_barrier
                                        ; implicit-def: $vgpr8
	s_cbranch_scc1 .LBB114_212
; %bb.202:                              ;   in Loop: Header=BB114_6 Depth=1
	v_readlane_b32 s2, v53, 41
	s_add_i32 s2, s28, s2
	v_readlane_b32 s3, v53, 63
	s_mul_hi_u32 s3, s2, s3
	s_mul_i32 s3, s3, s60
	s_sub_i32 s3, s2, s3
	s_sub_i32 s8, s3, s60
	s_cmp_ge_u32 s3, s60
	s_cselect_b32 s3, s8, s3
	s_sub_i32 s8, s3, s60
	s_cmp_ge_u32 s3, s60
	s_cselect_b32 s3, s8, s3
	s_sub_i32 s29, s2, s3
	v_cmp_gt_u32_e32 vcc, s29, v0
	s_mov_b64 s[64:65], 0
	s_mov_b64 s[2:3], 0
                                        ; implicit-def: $vgpr8
	s_and_saveexec_b64 s[66:67], vcc
	s_cbranch_execz .LBB114_211
; %bb.203:                              ;   in Loop: Header=BB114_6 Depth=1
	v_mov_b32_e32 v8, v25
	v_mov_b32_e32 v12, v0
                                        ; implicit-def: $sgpr68_sgpr69
	s_branch .LBB114_206
.LBB114_204:                            ;   in Loop: Header=BB114_206 Depth=2
	s_or_b64 exec, exec, s[24:25]
	s_waitcnt lgkmcnt(0)
	s_barrier
	ds_read_b32 v13, v9 offset:3072
	s_mov_b64 s[24:25], -1
	s_mov_b64 s[8:9], -1
	s_waitcnt lgkmcnt(0)
	s_barrier
	v_and_b32_e32 v14, 0x7fff, v13
	v_cmp_ne_u32_e32 vcc, 0, v14
	s_cbranch_vccz .LBB114_209
.LBB114_205:                            ;   in Loop: Header=BB114_206 Depth=2
	s_and_b64 s[24:25], exec, s[24:25]
	s_or_b64 s[2:3], s[24:25], s[2:3]
	s_andn2_b64 s[24:25], s[68:69], exec
	s_and_b64 s[8:9], s[8:9], exec
	s_or_b64 s[68:69], s[24:25], s[8:9]
	s_andn2_b64 exec, exec, s[2:3]
	s_cbranch_execz .LBB114_210
.LBB114_206:                            ;   Parent Loop BB114_6 Depth=1
                                        ; =>  This Inner Loop Header: Depth=2
	v_cmp_gt_u32_e32 vcc, s28, v12
	s_and_saveexec_b64 s[24:25], vcc
	s_cbranch_execz .LBB114_204
; %bb.207:                              ;   in Loop: Header=BB114_206 Depth=2
	ds_read_u16 v13, v8
	s_waitcnt lgkmcnt(0)
	v_cmp_lt_i16_e32 vcc, -1, v13
	v_cndmask_b32_e32 v14, v41, v42, vcc
	v_lshlrev_b32_e32 v15, 16, v13
	v_cmp_o_f32_e32 vcc, v15, v15
	v_xor_b32_sdwa v14, v14, v13 dst_sel:DWORD dst_unused:UNUSED_PAD src0_sel:DWORD src1_sel:WORD_0
	v_cndmask_b32_e32 v14, v41, v14, vcc
	v_and_b32_e32 v14, v14, v2
	v_cmp_eq_u32_e32 vcc, v14, v3
	s_and_b64 exec, exec, vcc
	s_cbranch_execz .LBB114_204
; %bb.208:                              ;   in Loop: Header=BB114_206 Depth=2
	s_movk_i32 s8, 0x3f80
	v_perm_b32 v13, v13, s8, v44
	ds_write_b32 v9, v13 offset:3072
	s_branch .LBB114_204
.LBB114_209:                            ;   in Loop: Header=BB114_206 Depth=2
	v_add_u32_e32 v12, s60, v12
	v_cmp_le_u32_e32 vcc, s29, v12
	v_add_u32_e32 v8, s4, v8
	s_mov_b64 s[8:9], 0
	s_orn2_b64 s[24:25], vcc, exec
	s_branch .LBB114_205
.LBB114_210:                            ;   in Loop: Header=BB114_6 Depth=1
	s_or_b64 exec, exec, s[2:3]
	v_lshrrev_b32_e32 v8, 16, v13
	s_and_b64 s[2:3], s[68:69], exec
.LBB114_211:                            ;   in Loop: Header=BB114_6 Depth=1
	s_or_b64 exec, exec, s[66:67]
.LBB114_212:                            ;   in Loop: Header=BB114_6 Depth=1
	s_and_b64 vcc, exec, s[64:65]
	s_cbranch_vccz .LBB114_223
; %bb.213:                              ;   in Loop: Header=BB114_6 Depth=1
                                        ; implicit-def: $vgpr8
	s_mov_b64 s[12:13], exec
	v_readlane_b32 s8, v52, 0
	v_readlane_b32 s9, v52, 1
	s_and_b64 s[8:9], s[12:13], s[8:9]
	s_mov_b64 exec, s[8:9]
	s_cbranch_execz .LBB114_222
; %bb.214:                              ;   in Loop: Header=BB114_6 Depth=1
	s_mov_b64 s[52:53], 0
	v_mov_b32_e32 v8, v7
	v_mov_b32_e32 v12, v0
                                        ; implicit-def: $sgpr64_sgpr65
	s_branch .LBB114_217
.LBB114_215:                            ;   in Loop: Header=BB114_217 Depth=2
	s_or_b64 exec, exec, s[66:67]
	s_waitcnt lgkmcnt(0)
	s_barrier
	ds_read_b32 v13, v9 offset:3072
	s_mov_b64 s[24:25], -1
	s_mov_b64 s[8:9], -1
	s_waitcnt lgkmcnt(0)
	s_barrier
	v_and_b32_e32 v14, 0x7fff, v13
	v_cmp_eq_u32_e32 vcc, 0, v14
	s_cbranch_vccnz .LBB114_220
.LBB114_216:                            ;   in Loop: Header=BB114_217 Depth=2
	s_and_b64 s[24:25], exec, s[24:25]
	s_or_b64 s[52:53], s[24:25], s[52:53]
	s_andn2_b64 s[24:25], s[64:65], exec
	s_and_b64 s[8:9], s[8:9], exec
	s_or_b64 s[64:65], s[24:25], s[8:9]
	s_andn2_b64 exec, exec, s[52:53]
	s_cbranch_execz .LBB114_221
.LBB114_217:                            ;   Parent Loop BB114_6 Depth=1
                                        ; =>  This Inner Loop Header: Depth=2
	v_cmp_gt_u32_e32 vcc, s36, v12
	s_and_saveexec_b64 s[66:67], vcc
	s_cbranch_execz .LBB114_215
; %bb.218:                              ;   in Loop: Header=BB114_217 Depth=2
	v_lshlrev_b64 v[13:14], 1, v[8:9]
	v_mov_b32_e32 v15, s56
	v_add_co_u32_e32 v13, vcc, s33, v13
	v_addc_co_u32_e32 v14, vcc, v15, v14, vcc
	global_load_ushort v13, v[13:14], off
	s_waitcnt vmcnt(0)
	v_cmp_lt_i16_e32 vcc, -1, v13
	v_cndmask_b32_e32 v14, v41, v42, vcc
	v_lshlrev_b32_e32 v15, 16, v13
	v_xor_b32_sdwa v14, v14, v13 dst_sel:DWORD dst_unused:UNUSED_PAD src0_sel:DWORD src1_sel:WORD_0
	v_cmp_o_f32_e32 vcc, v15, v15
	v_cndmask_b32_e32 v14, v41, v14, vcc
	v_and_b32_e32 v14, v14, v2
	v_cmp_eq_u32_e32 vcc, v14, v3
	s_and_b64 exec, exec, vcc
	s_cbranch_execz .LBB114_215
; %bb.219:                              ;   in Loop: Header=BB114_217 Depth=2
	s_movk_i32 s8, 0x3f80
	v_perm_b32 v13, v13, s8, v44
	ds_write_b32 v9, v13 offset:3072
	s_branch .LBB114_215
.LBB114_220:                            ;   in Loop: Header=BB114_217 Depth=2
	v_add_u32_e32 v12, s60, v12
	v_cmp_le_u32_e32 vcc, s22, v12
	v_add_u32_e32 v8, s62, v8
	s_mov_b64 s[8:9], 0
	s_orn2_b64 s[24:25], vcc, exec
	s_branch .LBB114_216
.LBB114_221:                            ;   in Loop: Header=BB114_6 Depth=1
	s_or_b64 exec, exec, s[52:53]
	s_andn2_b64 s[2:3], s[2:3], exec
	s_and_b64 s[8:9], s[64:65], exec
	v_lshrrev_b32_e32 v8, 16, v13
	s_or_b64 s[2:3], s[2:3], s[8:9]
.LBB114_222:                            ;   in Loop: Header=BB114_6 Depth=1
	s_or_b64 exec, exec, s[12:13]
	s_mov_b64 s[12:13], 0
	s_mov_b64 s[52:53], -1
.LBB114_223:                            ;   in Loop: Header=BB114_6 Depth=1
	s_orn2_b64 s[64:65], s[2:3], exec
.LBB114_224:                            ;   in Loop: Header=BB114_6 Depth=1
	s_or_b64 exec, exec, s[54:55]
	s_mov_b64 s[24:25], 0
	s_and_saveexec_b64 s[2:3], s[64:65]
	s_cbranch_execz .LBB114_235
; %bb.225:                              ;   in Loop: Header=BB114_6 Depth=1
	v_readlane_b32 s8, v52, 2
	v_readlane_b32 s9, v52, 3
	s_xor_b64 s[8:9], s[8:9], -1
	v_mov_b32_e32 v1, 1
	v_mov_b32_e32 v12, 1
	s_and_saveexec_b64 s[28:29], s[8:9]
	s_cbranch_execz .LBB114_234
; %bb.226:                              ;   in Loop: Header=BB114_6 Depth=1
	v_cmp_ge_u32_e32 vcc, s57, v4
	s_and_saveexec_b64 s[8:9], vcc
	s_xor_b64 s[54:55], exec, s[8:9]
	s_cbranch_execz .LBB114_231
; %bb.227:                              ;   in Loop: Header=BB114_6 Depth=1
	ds_read_b32 v1, v9 offset:4096
	v_or_b32_e32 v3, s58, v3
	v_or_b32_e32 v2, s58, v2
	s_waitcnt lgkmcnt(0)
	v_cmp_ne_u32_e32 vcc, 0, v1
	s_cbranch_vccnz .LBB114_231
; %bb.228:                              ;   in Loop: Header=BB114_6 Depth=1
	s_mov_b64 s[8:9], exec
	v_readlane_b32 s24, v53, 22
	v_readlane_b32 s25, v53, 23
	s_and_b64 s[24:25], s[8:9], s[24:25]
	s_mov_b64 exec, s[24:25]
; %bb.229:                              ;   in Loop: Header=BB114_6 Depth=1
	v_mov_b32_e32 v1, s57
	ds_write_b32 v9, v1 offset:4100
; %bb.230:                              ;   in Loop: Header=BB114_6 Depth=1
	s_or_b64 exec, exec, s[8:9]
	s_waitcnt lgkmcnt(0)
	s_barrier
.LBB114_231:                            ;   in Loop: Header=BB114_6 Depth=1
	s_andn2_saveexec_b64 s[24:25], s[54:55]
; %bb.232:                              ;   in Loop: Header=BB114_6 Depth=1
	v_subrev_u32_e32 v4, s57, v4
; %bb.233:                              ;   in Loop: Header=BB114_6 Depth=1
	s_or_b64 exec, exec, s[24:25]
	v_mov_b32_e32 v1, 8
	v_mov_b32_e32 v12, v4
.LBB114_234:                            ;   in Loop: Header=BB114_6 Depth=1
	s_or_b64 exec, exec, s[28:29]
	s_mov_b64 s[24:25], exec
	v_mov_b32_e32 v4, v12
.LBB114_235:                            ;   in Loop: Header=BB114_6 Depth=1
	s_or_b64 exec, exec, s[2:3]
	s_orn2_b64 s[2:3], s[24:25], exec
.LBB114_236:                            ;   in Loop: Header=BB114_6 Depth=1
	s_or_b64 exec, exec, s[18:19]
	s_andn2_b64 s[8:9], s[14:15], exec
	s_and_b64 s[14:15], s[52:53], exec
	s_or_b64 s[14:15], s[8:9], s[14:15]
	s_andn2_b64 s[8:9], s[46:47], exec
	s_and_b64 s[12:13], s[12:13], exec
	s_or_b64 s[46:47], s[8:9], s[12:13]
	s_and_b64 s[12:13], s[2:3], exec
	v_mov_b32_e32 v12, v4
.LBB114_237:                            ;   in Loop: Header=BB114_6 Depth=1
	s_or_b64 exec, exec, s[16:17]
	s_orn2_b64 s[2:3], s[12:13], exec
.LBB114_238:                            ;   in Loop: Header=BB114_6 Depth=1
	s_or_b64 exec, exec, s[44:45]
	s_andn2_b64 s[8:9], s[42:43], exec
	s_and_b64 s[12:13], s[14:15], exec
	s_or_b64 s[42:43], s[8:9], s[12:13]
	s_andn2_b64 s[8:9], s[34:35], exec
	s_and_b64 s[12:13], s[46:47], exec
	s_or_b64 s[34:35], s[8:9], s[12:13]
	s_and_b64 s[12:13], s[2:3], exec
	v_mov_b32_e32 v4, v12
.LBB114_239:                            ;   in Loop: Header=BB114_6 Depth=1
	s_or_b64 exec, exec, s[92:93]
	s_orn2_b64 s[2:3], s[12:13], exec
.LBB114_240:                            ;   in Loop: Header=BB114_6 Depth=1
	s_or_b64 exec, exec, s[6:7]
	s_mov_b64 s[6:7], 0
	s_mov_b64 s[12:13], 0
	s_and_saveexec_b64 s[8:9], s[2:3]
	s_xor_b64 s[2:3], exec, s[8:9]
; %bb.241:                              ;   in Loop: Header=BB114_6 Depth=1
	v_cmp_eq_u32_e32 vcc, 8, v1
	v_cmp_ne_u32_e64 s[6:7], 8, v1
	s_and_b64 s[12:13], s[6:7], exec
	s_and_b64 s[6:7], vcc, exec
; %bb.242:                              ;   in Loop: Header=BB114_6 Depth=1
	s_or_b64 exec, exec, s[2:3]
	s_andn2_b64 s[2:3], s[48:49], exec
	s_and_b64 s[8:9], s[42:43], exec
	s_or_b64 s[48:49], s[2:3], s[8:9]
	s_andn2_b64 s[2:3], s[94:95], exec
	s_and_b64 s[8:9], s[34:35], exec
	s_or_b64 s[94:95], s[2:3], s[8:9]
	s_and_b64 s[34:35], s[12:13], exec
	s_and_b64 s[92:93], s[6:7], exec
.LBB114_243:                            ;   in Loop: Header=BB114_6 Depth=1
	s_or_b64 exec, exec, s[40:41]
.LBB114_244:                            ;   in Loop: Header=BB114_6 Depth=1
	s_and_b64 vcc, exec, s[50:51]
	s_cbranch_vccz .LBB114_257
; %bb.245:                              ;   in Loop: Header=BB114_6 Depth=1
	s_cmp_eq_u32 s57, 1
	s_cselect_b64 s[2:3], -1, 0
	s_and_b64 s[6:7], s[2:3], s[26:27]
	s_mov_b64 s[2:3], -1
                                        ; implicit-def: $sgpr26_sgpr27
                                        ; implicit-def: $sgpr30_sgpr31
	s_and_saveexec_b64 s[12:13], s[6:7]
	s_cbranch_execz .LBB114_272
; %bb.246:                              ;   in Loop: Header=BB114_6 Depth=1
	ds_read_b32 v1, v9 offset:4096
	s_waitcnt lgkmcnt(0)
	s_barrier
	v_readfirstlane_b32 s40, v1
	s_mov_b64 s[2:3], exec
	v_readlane_b32 s8, v53, 39
	v_readlane_b32 s9, v53, 40
	s_and_b64 s[8:9], s[2:3], s[8:9]
	s_mov_b64 exec, s[8:9]
; %bb.247:                              ;   in Loop: Header=BB114_6 Depth=1
	ds_write_b16 v26, v9
; %bb.248:                              ;   in Loop: Header=BB114_6 Depth=1
	s_or_b64 exec, exec, s[2:3]
	v_or_b32_e32 v37, s58, v37
	v_or_b32_e32 v45, s58, v45
	s_mov_b64 s[30:31], -1
	s_mov_b64 s[26:27], 0
	s_cmp_eq_u32 s40, 0
	s_mov_b64 s[14:15], 0
	s_mov_b64 s[2:3], -1
	s_waitcnt lgkmcnt(0)
	s_barrier
                                        ; implicit-def: $vgpr46
	s_cbranch_scc1 .LBB114_260
; %bb.249:                              ;   in Loop: Header=BB114_6 Depth=1
	v_readlane_b32 s2, v53, 41
	s_add_i32 s2, s40, s2
	v_readlane_b32 s3, v53, 63
	s_mul_hi_u32 s3, s2, s3
	s_mul_i32 s3, s3, s60
	s_sub_i32 s3, s2, s3
	s_sub_i32 s8, s3, s60
	s_cmp_ge_u32 s3, s60
	s_cselect_b32 s3, s8, s3
	s_sub_i32 s8, s3, s60
	s_cmp_ge_u32 s3, s60
	s_cselect_b32 s3, s8, s3
	s_sub_i32 s41, s2, s3
	v_cmp_gt_u32_e32 vcc, s41, v0
	s_mov_b64 s[2:3], 0
                                        ; implicit-def: $vgpr46
	s_and_saveexec_b64 s[16:17], vcc
	s_cbranch_execz .LBB114_259
; %bb.250:                              ;   in Loop: Header=BB114_6 Depth=1
	v_mov_b32_e32 v1, v25
	v_mov_b32_e32 v2, v0
                                        ; implicit-def: $sgpr18_sgpr19
	s_branch .LBB114_253
.LBB114_251:                            ;   in Loop: Header=BB114_253 Depth=2
	s_or_b64 exec, exec, s[28:29]
	s_waitcnt lgkmcnt(0)
	s_barrier
	ds_read_b32 v3, v9 offset:3072
	s_mov_b64 s[24:25], -1
	s_mov_b64 s[8:9], -1
	s_waitcnt lgkmcnt(0)
	s_barrier
	v_and_b32_e32 v4, 0x7fff, v3
	v_cmp_ne_u32_e32 vcc, 0, v4
	s_cbranch_vccz .LBB114_256
.LBB114_252:                            ;   in Loop: Header=BB114_253 Depth=2
	s_and_b64 s[24:25], exec, s[24:25]
	s_or_b64 s[14:15], s[24:25], s[14:15]
	s_andn2_b64 s[18:19], s[18:19], exec
	s_and_b64 s[8:9], s[8:9], exec
	s_or_b64 s[18:19], s[18:19], s[8:9]
	s_andn2_b64 exec, exec, s[14:15]
	s_cbranch_execz .LBB114_258
.LBB114_253:                            ;   Parent Loop BB114_6 Depth=1
                                        ; =>  This Inner Loop Header: Depth=2
	v_cmp_gt_u32_e32 vcc, s40, v2
	s_and_saveexec_b64 s[28:29], vcc
	s_cbranch_execz .LBB114_251
; %bb.254:                              ;   in Loop: Header=BB114_253 Depth=2
	ds_read_u16 v3, v1
	s_waitcnt lgkmcnt(0)
	v_cmp_lt_i16_e32 vcc, -1, v3
	v_cndmask_b32_e32 v4, v41, v42, vcc
	v_lshlrev_b32_e32 v8, 16, v3
	v_cmp_o_f32_e32 vcc, v8, v8
	v_xor_b32_sdwa v4, v4, v3 dst_sel:DWORD dst_unused:UNUSED_PAD src0_sel:DWORD src1_sel:WORD_0
	v_cndmask_b32_e32 v4, v41, v4, vcc
	v_and_b32_e32 v4, v4, v45
	v_cmp_eq_u32_e32 vcc, v4, v37
	s_and_b64 exec, exec, vcc
	s_cbranch_execz .LBB114_251
; %bb.255:                              ;   in Loop: Header=BB114_253 Depth=2
	s_movk_i32 s8, 0x3f80
	v_perm_b32 v3, v3, s8, v44
	ds_write_b32 v9, v3 offset:3072
	s_branch .LBB114_251
.LBB114_256:                            ;   in Loop: Header=BB114_253 Depth=2
	v_add_u32_e32 v2, s60, v2
	v_cmp_le_u32_e32 vcc, s41, v2
	v_add_u32_e32 v1, s4, v1
	s_mov_b64 s[8:9], 0
	s_orn2_b64 s[24:25], vcc, exec
	s_branch .LBB114_252
.LBB114_257:                            ;   in Loop: Header=BB114_6 Depth=1
	s_mov_b64 s[26:27], 0
	v_mov_b32_e32 v37, v3
	v_mov_b32_e32 v45, v2
	;; [unrolled: 1-line block ×3, first 2 shown]
	s_and_saveexec_b64 s[2:3], s[92:93]
	s_cbranch_execnz .LBB114_403
	s_branch .LBB114_404
.LBB114_258:                            ;   in Loop: Header=BB114_6 Depth=1
	s_or_b64 exec, exec, s[14:15]
	v_lshrrev_b32_e32 v46, 16, v3
	s_and_b64 s[14:15], s[18:19], exec
.LBB114_259:                            ;   in Loop: Header=BB114_6 Depth=1
	s_or_b64 exec, exec, s[16:17]
.LBB114_260:                            ;   in Loop: Header=BB114_6 Depth=1
	s_and_b64 vcc, exec, s[2:3]
	s_cbranch_vccz .LBB114_271
; %bb.261:                              ;   in Loop: Header=BB114_6 Depth=1
                                        ; implicit-def: $vgpr46
	s_mov_b64 s[2:3], exec
	v_readlane_b32 s8, v52, 0
	v_readlane_b32 s9, v52, 1
	s_and_b64 s[8:9], s[2:3], s[8:9]
	s_mov_b64 exec, s[8:9]
	s_cbranch_execz .LBB114_270
; %bb.262:                              ;   in Loop: Header=BB114_6 Depth=1
	s_mov_b64 s[16:17], 0
	v_mov_b32_e32 v8, v7
	v_mov_b32_e32 v1, v0
                                        ; implicit-def: $sgpr18_sgpr19
	s_branch .LBB114_265
.LBB114_263:                            ;   in Loop: Header=BB114_265 Depth=2
	s_or_b64 exec, exec, s[26:27]
	s_waitcnt lgkmcnt(0)
	s_barrier
	ds_read_b32 v2, v9 offset:3072
	s_mov_b64 s[24:25], -1
	s_mov_b64 s[8:9], -1
	s_waitcnt lgkmcnt(0)
	s_barrier
	v_and_b32_e32 v3, 0x7fff, v2
	v_cmp_ne_u32_e32 vcc, 0, v3
	s_cbranch_vccz .LBB114_268
.LBB114_264:                            ;   in Loop: Header=BB114_265 Depth=2
	s_and_b64 s[24:25], exec, s[24:25]
	s_or_b64 s[16:17], s[24:25], s[16:17]
	s_andn2_b64 s[18:19], s[18:19], exec
	s_and_b64 s[8:9], s[8:9], exec
	s_or_b64 s[18:19], s[18:19], s[8:9]
	s_andn2_b64 exec, exec, s[16:17]
	s_cbranch_execz .LBB114_269
.LBB114_265:                            ;   Parent Loop BB114_6 Depth=1
                                        ; =>  This Inner Loop Header: Depth=2
	v_cmp_gt_u32_e32 vcc, s36, v1
	s_and_saveexec_b64 s[26:27], vcc
	s_cbranch_execz .LBB114_263
; %bb.266:                              ;   in Loop: Header=BB114_265 Depth=2
	v_lshlrev_b64 v[2:3], 1, v[8:9]
	v_mov_b32_e32 v4, s56
	v_add_co_u32_e32 v2, vcc, s33, v2
	v_addc_co_u32_e32 v3, vcc, v4, v3, vcc
	global_load_ushort v2, v[2:3], off
	s_waitcnt vmcnt(0)
	v_cmp_lt_i16_e32 vcc, -1, v2
	v_cndmask_b32_e32 v3, v41, v42, vcc
	v_lshlrev_b32_e32 v4, 16, v2
	v_xor_b32_sdwa v3, v3, v2 dst_sel:DWORD dst_unused:UNUSED_PAD src0_sel:DWORD src1_sel:WORD_0
	v_cmp_o_f32_e32 vcc, v4, v4
	v_cndmask_b32_e32 v3, v41, v3, vcc
	v_and_b32_e32 v3, v3, v45
	v_cmp_eq_u32_e32 vcc, v3, v37
	s_and_b64 exec, exec, vcc
	s_cbranch_execz .LBB114_263
; %bb.267:                              ;   in Loop: Header=BB114_265 Depth=2
	s_movk_i32 s8, 0x3f80
	v_perm_b32 v2, v2, s8, v44
	ds_write_b32 v9, v2 offset:3072
	s_branch .LBB114_263
.LBB114_268:                            ;   in Loop: Header=BB114_265 Depth=2
	v_add_u32_e32 v1, s60, v1
	v_cmp_le_u32_e32 vcc, s22, v1
	v_add_u32_e32 v8, s62, v8
	s_mov_b64 s[8:9], 0
	s_orn2_b64 s[24:25], vcc, exec
	s_branch .LBB114_264
.LBB114_269:                            ;   in Loop: Header=BB114_6 Depth=1
	s_or_b64 exec, exec, s[16:17]
	s_andn2_b64 s[8:9], s[14:15], exec
	s_and_b64 s[14:15], s[18:19], exec
	v_lshrrev_b32_e32 v46, 16, v2
	s_or_b64 s[14:15], s[8:9], s[14:15]
.LBB114_270:                            ;   in Loop: Header=BB114_6 Depth=1
	s_or_b64 exec, exec, s[2:3]
	s_mov_b64 s[30:31], 0
	s_mov_b64 s[26:27], -1
.LBB114_271:                            ;   in Loop: Header=BB114_6 Depth=1
	s_orn2_b64 s[2:3], s[14:15], exec
.LBB114_272:                            ;   in Loop: Header=BB114_6 Depth=1
	s_or_b64 exec, exec, s[12:13]
                                        ; implicit-def: $vgpr4
                                        ; implicit-def: $vgpr1
	s_and_saveexec_b64 s[48:49], s[2:3]
	s_cbranch_execz .LBB114_402
; %bb.273:                              ;   in Loop: Header=BB114_6 Depth=1
	s_xor_b64 s[8:9], s[6:7], -1
	s_mov_b64 s[6:7], 0
	v_mov_b32_e32 v4, 1
	v_mov_b32_e32 v1, 1
	s_and_saveexec_b64 s[2:3], s[8:9]
	s_cbranch_execz .LBB114_282
; %bb.274:                              ;   in Loop: Header=BB114_6 Depth=1
	v_cmp_ge_u32_e32 vcc, s57, v47
	s_and_saveexec_b64 s[6:7], vcc
	s_xor_b64 s[6:7], exec, s[6:7]
	s_cbranch_execz .LBB114_279
; %bb.275:                              ;   in Loop: Header=BB114_6 Depth=1
	ds_read_b32 v1, v9 offset:4096
	v_or_b32_e32 v37, s58, v37
	v_or_b32_e32 v45, s58, v45
	s_waitcnt lgkmcnt(0)
	v_cmp_ne_u32_e32 vcc, 0, v1
	s_cbranch_vccnz .LBB114_279
; %bb.276:                              ;   in Loop: Header=BB114_6 Depth=1
	s_mov_b64 s[8:9], exec
	v_readlane_b32 s12, v53, 22
	v_readlane_b32 s13, v53, 23
	s_and_b64 s[12:13], s[8:9], s[12:13]
	s_mov_b64 exec, s[12:13]
; %bb.277:                              ;   in Loop: Header=BB114_6 Depth=1
	v_mov_b32_e32 v1, s57
	ds_write_b32 v9, v1 offset:4100
; %bb.278:                              ;   in Loop: Header=BB114_6 Depth=1
	s_or_b64 exec, exec, s[8:9]
	s_waitcnt lgkmcnt(0)
	s_barrier
.LBB114_279:                            ;   in Loop: Header=BB114_6 Depth=1
	s_or_saveexec_b64 s[6:7], s[6:7]
	s_mov_b64 s[12:13], 0
	v_mov_b32_e32 v1, 5
	s_xor_b64 exec, exec, s[6:7]
; %bb.280:                              ;   in Loop: Header=BB114_6 Depth=1
	v_subrev_u32_e32 v47, s57, v47
	v_mov_b32_e32 v1, 0
	s_mov_b64 s[12:13], exec
; %bb.281:                              ;   in Loop: Header=BB114_6 Depth=1
	s_or_b64 exec, exec, s[6:7]
	s_and_b64 s[6:7], s[12:13], exec
	v_mov_b32_e32 v4, v47
.LBB114_282:                            ;   in Loop: Header=BB114_6 Depth=1
	s_or_b64 exec, exec, s[2:3]
	s_mov_b64 s[2:3], -1
                                        ; implicit-def: $sgpr40_sgpr41
                                        ; implicit-def: $sgpr42_sgpr43
	s_and_saveexec_b64 s[8:9], s[6:7]
	s_xor_b64 s[6:7], exec, s[8:9]
	s_cbranch_execz .LBB114_399
; %bb.283:                              ;   in Loop: Header=BB114_6 Depth=1
	s_cmp_eq_u32 s20, 1
	s_cselect_b64 s[2:3], -1, 0
	v_cmp_eq_u32_e32 vcc, 1, v4
	s_and_b64 s[14:15], s[2:3], vcc
	s_mov_b64 s[2:3], -1
                                        ; implicit-def: $sgpr42_sgpr43
                                        ; implicit-def: $sgpr40_sgpr41
	s_and_saveexec_b64 s[12:13], s[14:15]
	s_cbranch_execz .LBB114_309
; %bb.284:                              ;   in Loop: Header=BB114_6 Depth=1
	ds_read_b32 v2, v9 offset:4096
	s_waitcnt lgkmcnt(0)
	s_barrier
	v_readfirstlane_b32 s46, v2
	s_mov_b64 s[2:3], exec
	v_readlane_b32 s8, v53, 39
	v_readlane_b32 s9, v53, 40
	s_and_b64 s[8:9], s[2:3], s[8:9]
	s_mov_b64 exec, s[8:9]
; %bb.285:                              ;   in Loop: Header=BB114_6 Depth=1
	ds_write_b16 v26, v9
; %bb.286:                              ;   in Loop: Header=BB114_6 Depth=1
	s_or_b64 exec, exec, s[2:3]
	v_and_b32_e32 v2, s59, v37
	v_lshl_or_b32 v37, 2, s38, v2
	v_or_b32_e32 v45, s58, v45
	s_mov_b64 s[40:41], -1
	s_mov_b64 s[42:43], 0
	s_cmp_eq_u32 s46, 0
	s_mov_b64 s[16:17], 0
	s_mov_b64 s[2:3], -1
	s_waitcnt lgkmcnt(0)
	s_barrier
                                        ; implicit-def: $vgpr46
	s_cbranch_scc1 .LBB114_297
; %bb.287:                              ;   in Loop: Header=BB114_6 Depth=1
	v_readlane_b32 s2, v53, 41
	s_add_i32 s2, s46, s2
	v_readlane_b32 s3, v53, 63
	s_mul_hi_u32 s3, s2, s3
	s_mul_i32 s3, s3, s60
	s_sub_i32 s3, s2, s3
	s_sub_i32 s8, s3, s60
	s_cmp_ge_u32 s3, s60
	s_cselect_b32 s3, s8, s3
	s_sub_i32 s8, s3, s60
	s_cmp_ge_u32 s3, s60
	s_cselect_b32 s3, s8, s3
	s_sub_i32 s47, s2, s3
	v_cmp_gt_u32_e32 vcc, s47, v0
	s_mov_b64 s[2:3], 0
                                        ; implicit-def: $vgpr46
	s_and_saveexec_b64 s[18:19], vcc
	s_cbranch_execz .LBB114_296
; %bb.288:                              ;   in Loop: Header=BB114_6 Depth=1
	v_mov_b32_e32 v2, v25
	v_mov_b32_e32 v3, v0
                                        ; implicit-def: $sgpr28_sgpr29
	s_branch .LBB114_291
.LBB114_289:                            ;   in Loop: Header=BB114_291 Depth=2
	s_or_b64 exec, exec, s[44:45]
	s_waitcnt lgkmcnt(0)
	s_barrier
	ds_read_b32 v8, v9 offset:3072
	s_mov_b64 s[24:25], -1
	s_mov_b64 s[8:9], -1
	s_waitcnt lgkmcnt(0)
	s_barrier
	v_and_b32_e32 v12, 0x7fff, v8
	v_cmp_ne_u32_e32 vcc, 0, v12
	s_cbranch_vccz .LBB114_294
.LBB114_290:                            ;   in Loop: Header=BB114_291 Depth=2
	s_and_b64 s[24:25], exec, s[24:25]
	s_or_b64 s[16:17], s[24:25], s[16:17]
	s_andn2_b64 s[24:25], s[28:29], exec
	s_and_b64 s[8:9], s[8:9], exec
	s_or_b64 s[28:29], s[24:25], s[8:9]
	s_andn2_b64 exec, exec, s[16:17]
	s_cbranch_execz .LBB114_295
.LBB114_291:                            ;   Parent Loop BB114_6 Depth=1
                                        ; =>  This Inner Loop Header: Depth=2
	v_cmp_gt_u32_e32 vcc, s46, v3
	s_and_saveexec_b64 s[44:45], vcc
	s_cbranch_execz .LBB114_289
; %bb.292:                              ;   in Loop: Header=BB114_291 Depth=2
	ds_read_u16 v8, v2
	s_waitcnt lgkmcnt(0)
	v_cmp_lt_i16_e32 vcc, -1, v8
	v_cndmask_b32_e32 v12, v41, v42, vcc
	v_lshlrev_b32_e32 v13, 16, v8
	v_cmp_o_f32_e32 vcc, v13, v13
	v_xor_b32_sdwa v12, v12, v8 dst_sel:DWORD dst_unused:UNUSED_PAD src0_sel:DWORD src1_sel:WORD_0
	v_cndmask_b32_e32 v12, v41, v12, vcc
	v_and_b32_e32 v12, v12, v45
	v_cmp_eq_u32_e32 vcc, v12, v37
	s_and_b64 exec, exec, vcc
	s_cbranch_execz .LBB114_289
; %bb.293:                              ;   in Loop: Header=BB114_291 Depth=2
	s_movk_i32 s8, 0x3f80
	v_perm_b32 v8, v8, s8, v44
	ds_write_b32 v9, v8 offset:3072
	s_branch .LBB114_289
.LBB114_294:                            ;   in Loop: Header=BB114_291 Depth=2
	v_add_u32_e32 v3, s60, v3
	v_cmp_le_u32_e32 vcc, s47, v3
	v_add_u32_e32 v2, s4, v2
	s_mov_b64 s[8:9], 0
	s_orn2_b64 s[24:25], vcc, exec
	s_branch .LBB114_290
.LBB114_295:                            ;   in Loop: Header=BB114_6 Depth=1
	s_or_b64 exec, exec, s[16:17]
	v_lshrrev_b32_e32 v46, 16, v8
	s_and_b64 s[16:17], s[28:29], exec
.LBB114_296:                            ;   in Loop: Header=BB114_6 Depth=1
	s_or_b64 exec, exec, s[18:19]
.LBB114_297:                            ;   in Loop: Header=BB114_6 Depth=1
	s_and_b64 vcc, exec, s[2:3]
	s_cbranch_vccz .LBB114_308
; %bb.298:                              ;   in Loop: Header=BB114_6 Depth=1
                                        ; implicit-def: $vgpr46
	s_mov_b64 s[2:3], exec
	v_readlane_b32 s8, v52, 0
	v_readlane_b32 s9, v52, 1
	s_and_b64 s[8:9], s[2:3], s[8:9]
	s_mov_b64 exec, s[8:9]
	s_cbranch_execz .LBB114_307
; %bb.299:                              ;   in Loop: Header=BB114_6 Depth=1
	s_mov_b64 s[18:19], 0
	v_mov_b32_e32 v8, v7
	v_mov_b32_e32 v2, v0
                                        ; implicit-def: $sgpr28_sgpr29
	s_branch .LBB114_302
.LBB114_300:                            ;   in Loop: Header=BB114_302 Depth=2
	s_or_b64 exec, exec, s[40:41]
	s_waitcnt lgkmcnt(0)
	s_barrier
	ds_read_b32 v3, v9 offset:3072
	s_mov_b64 s[24:25], -1
	s_mov_b64 s[8:9], -1
	s_waitcnt lgkmcnt(0)
	s_barrier
	v_and_b32_e32 v12, 0x7fff, v3
	v_cmp_eq_u32_e32 vcc, 0, v12
	s_cbranch_vccnz .LBB114_305
.LBB114_301:                            ;   in Loop: Header=BB114_302 Depth=2
	s_and_b64 s[24:25], exec, s[24:25]
	s_or_b64 s[18:19], s[24:25], s[18:19]
	s_andn2_b64 s[24:25], s[28:29], exec
	s_and_b64 s[8:9], s[8:9], exec
	s_or_b64 s[28:29], s[24:25], s[8:9]
	s_andn2_b64 exec, exec, s[18:19]
	s_cbranch_execz .LBB114_306
.LBB114_302:                            ;   Parent Loop BB114_6 Depth=1
                                        ; =>  This Inner Loop Header: Depth=2
	v_cmp_gt_u32_e32 vcc, s36, v2
	s_and_saveexec_b64 s[40:41], vcc
	s_cbranch_execz .LBB114_300
; %bb.303:                              ;   in Loop: Header=BB114_302 Depth=2
	v_lshlrev_b64 v[12:13], 1, v[8:9]
	v_mov_b32_e32 v3, s56
	v_add_co_u32_e32 v12, vcc, s33, v12
	v_addc_co_u32_e32 v13, vcc, v3, v13, vcc
	global_load_ushort v3, v[12:13], off
	s_waitcnt vmcnt(0)
	v_cmp_lt_i16_e32 vcc, -1, v3
	v_cndmask_b32_e32 v12, v41, v42, vcc
	v_lshlrev_b32_e32 v13, 16, v3
	v_xor_b32_sdwa v12, v12, v3 dst_sel:DWORD dst_unused:UNUSED_PAD src0_sel:DWORD src1_sel:WORD_0
	v_cmp_o_f32_e32 vcc, v13, v13
	v_cndmask_b32_e32 v12, v41, v12, vcc
	v_and_b32_e32 v12, v12, v45
	v_cmp_eq_u32_e32 vcc, v12, v37
	s_and_b64 exec, exec, vcc
	s_cbranch_execz .LBB114_300
; %bb.304:                              ;   in Loop: Header=BB114_302 Depth=2
	s_movk_i32 s8, 0x3f80
	v_perm_b32 v3, v3, s8, v44
	ds_write_b32 v9, v3 offset:3072
	s_branch .LBB114_300
.LBB114_305:                            ;   in Loop: Header=BB114_302 Depth=2
	v_add_u32_e32 v2, s60, v2
	v_cmp_le_u32_e32 vcc, s22, v2
	v_add_u32_e32 v8, s62, v8
	s_mov_b64 s[8:9], 0
	s_orn2_b64 s[24:25], vcc, exec
	s_branch .LBB114_301
.LBB114_306:                            ;   in Loop: Header=BB114_6 Depth=1
	s_or_b64 exec, exec, s[18:19]
	s_andn2_b64 s[8:9], s[16:17], exec
	s_and_b64 s[16:17], s[28:29], exec
	v_lshrrev_b32_e32 v46, 16, v3
	s_or_b64 s[16:17], s[8:9], s[16:17]
.LBB114_307:                            ;   in Loop: Header=BB114_6 Depth=1
	s_or_b64 exec, exec, s[2:3]
	s_mov_b64 s[40:41], 0
	s_mov_b64 s[42:43], -1
.LBB114_308:                            ;   in Loop: Header=BB114_6 Depth=1
	s_orn2_b64 s[2:3], s[16:17], exec
.LBB114_309:                            ;   in Loop: Header=BB114_6 Depth=1
	s_or_b64 exec, exec, s[12:13]
	s_mov_b64 s[12:13], 0
	s_and_saveexec_b64 s[50:51], s[2:3]
	s_cbranch_execz .LBB114_398
; %bb.310:                              ;   in Loop: Header=BB114_6 Depth=1
	s_xor_b64 s[8:9], s[14:15], -1
	v_mov_b32_e32 v2, 1
	v_mov_b32_e32 v1, 1
	s_and_saveexec_b64 s[2:3], s[8:9]
	s_cbranch_execz .LBB114_319
; %bb.311:                              ;   in Loop: Header=BB114_6 Depth=1
	v_cmp_ge_u32_e32 vcc, s20, v4
	s_and_saveexec_b64 s[8:9], vcc
	s_xor_b64 s[12:13], exec, s[8:9]
	s_cbranch_execz .LBB114_316
; %bb.312:                              ;   in Loop: Header=BB114_6 Depth=1
	v_and_b32_e32 v1, s59, v37
	v_lshl_or_b32 v37, 2, s38, v1
	ds_read_b32 v1, v9 offset:4096
	v_or_b32_e32 v45, s58, v45
	s_waitcnt lgkmcnt(0)
	v_cmp_ne_u32_e32 vcc, 0, v1
	s_cbranch_vccnz .LBB114_316
; %bb.313:                              ;   in Loop: Header=BB114_6 Depth=1
	s_mov_b64 s[8:9], exec
	v_readlane_b32 s14, v53, 22
	v_readlane_b32 s15, v53, 23
	s_and_b64 s[14:15], s[8:9], s[14:15]
	s_mov_b64 exec, s[14:15]
; %bb.314:                              ;   in Loop: Header=BB114_6 Depth=1
	v_mov_b32_e32 v1, s20
	ds_write_b32 v9, v1 offset:4100
; %bb.315:                              ;   in Loop: Header=BB114_6 Depth=1
	s_or_b64 exec, exec, s[8:9]
	s_waitcnt lgkmcnt(0)
	s_barrier
.LBB114_316:                            ;   in Loop: Header=BB114_6 Depth=1
	s_or_saveexec_b64 s[12:13], s[12:13]
	s_mov_b64 s[14:15], 0
	v_mov_b32_e32 v1, 5
	s_xor_b64 exec, exec, s[12:13]
; %bb.317:                              ;   in Loop: Header=BB114_6 Depth=1
	v_subrev_u32_e32 v4, s20, v4
	v_mov_b32_e32 v1, 0
	s_mov_b64 s[14:15], exec
; %bb.318:                              ;   in Loop: Header=BB114_6 Depth=1
	s_or_b64 exec, exec, s[12:13]
	s_and_b64 s[12:13], s[14:15], exec
	v_mov_b32_e32 v2, v4
.LBB114_319:                            ;   in Loop: Header=BB114_6 Depth=1
	s_or_b64 exec, exec, s[2:3]
	s_mov_b64 s[2:3], -1
                                        ; implicit-def: $sgpr44_sgpr45
                                        ; implicit-def: $sgpr46_sgpr47
	s_and_saveexec_b64 s[94:95], s[12:13]
	s_cbranch_execz .LBB114_397
; %bb.320:                              ;   in Loop: Header=BB114_6 Depth=1
	s_cmp_eq_u32 s5, 1
	s_cselect_b64 s[2:3], -1, 0
	v_cmp_eq_u32_e32 vcc, 1, v2
	s_and_b64 s[16:17], s[2:3], vcc
	s_mov_b64 s[2:3], -1
                                        ; implicit-def: $sgpr46_sgpr47
                                        ; implicit-def: $sgpr44_sgpr45
	s_and_saveexec_b64 s[12:13], s[16:17]
	s_cbranch_execz .LBB114_346
; %bb.321:                              ;   in Loop: Header=BB114_6 Depth=1
	ds_read_b32 v3, v9 offset:4096
	s_waitcnt lgkmcnt(0)
	s_barrier
	v_readfirstlane_b32 s20, v3
	s_mov_b64 s[2:3], exec
	v_readlane_b32 s8, v53, 39
	v_readlane_b32 s9, v53, 40
	s_and_b64 s[8:9], s[2:3], s[8:9]
	s_mov_b64 exec, s[8:9]
; %bb.322:                              ;   in Loop: Header=BB114_6 Depth=1
	ds_write_b16 v26, v9
; %bb.323:                              ;   in Loop: Header=BB114_6 Depth=1
	s_or_b64 exec, exec, s[2:3]
	v_and_b32_e32 v3, s59, v37
	v_lshl_or_b32 v37, 1, s38, v3
	v_or_b32_e32 v45, s58, v45
	s_mov_b64 s[44:45], -1
	s_mov_b64 s[46:47], 0
	s_cmp_eq_u32 s20, 0
	s_mov_b64 s[14:15], 0
	s_mov_b64 s[2:3], -1
	s_waitcnt lgkmcnt(0)
	s_barrier
                                        ; implicit-def: $vgpr46
	s_cbranch_scc1 .LBB114_334
; %bb.324:                              ;   in Loop: Header=BB114_6 Depth=1
	v_readlane_b32 s2, v53, 41
	s_add_i32 s2, s20, s2
	v_readlane_b32 s3, v53, 63
	s_mul_hi_u32 s3, s2, s3
	s_mul_i32 s3, s3, s60
	s_sub_i32 s3, s2, s3
	s_sub_i32 s8, s3, s60
	s_cmp_ge_u32 s3, s60
	s_cselect_b32 s3, s8, s3
	s_sub_i32 s8, s3, s60
	s_cmp_ge_u32 s3, s60
	s_cselect_b32 s3, s8, s3
	s_sub_i32 s54, s2, s3
	v_cmp_gt_u32_e32 vcc, s54, v0
	s_mov_b64 s[2:3], 0
                                        ; implicit-def: $vgpr46
	s_and_saveexec_b64 s[18:19], vcc
	s_cbranch_execz .LBB114_333
; %bb.325:                              ;   in Loop: Header=BB114_6 Depth=1
	v_mov_b32_e32 v3, v25
	v_mov_b32_e32 v4, v0
                                        ; implicit-def: $sgpr28_sgpr29
	s_branch .LBB114_328
.LBB114_326:                            ;   in Loop: Header=BB114_328 Depth=2
	s_or_b64 exec, exec, s[52:53]
	s_waitcnt lgkmcnt(0)
	s_barrier
	ds_read_b32 v8, v9 offset:3072
	s_mov_b64 s[24:25], -1
	s_mov_b64 s[8:9], -1
	s_waitcnt lgkmcnt(0)
	s_barrier
	v_and_b32_e32 v12, 0x7fff, v8
	v_cmp_ne_u32_e32 vcc, 0, v12
	s_cbranch_vccz .LBB114_331
.LBB114_327:                            ;   in Loop: Header=BB114_328 Depth=2
	s_and_b64 s[24:25], exec, s[24:25]
	s_or_b64 s[14:15], s[24:25], s[14:15]
	s_andn2_b64 s[24:25], s[28:29], exec
	s_and_b64 s[8:9], s[8:9], exec
	s_or_b64 s[28:29], s[24:25], s[8:9]
	s_andn2_b64 exec, exec, s[14:15]
	s_cbranch_execz .LBB114_332
.LBB114_328:                            ;   Parent Loop BB114_6 Depth=1
                                        ; =>  This Inner Loop Header: Depth=2
	v_cmp_gt_u32_e32 vcc, s20, v4
	s_and_saveexec_b64 s[52:53], vcc
	s_cbranch_execz .LBB114_326
; %bb.329:                              ;   in Loop: Header=BB114_328 Depth=2
	ds_read_u16 v8, v3
	s_waitcnt lgkmcnt(0)
	v_cmp_lt_i16_e32 vcc, -1, v8
	v_cndmask_b32_e32 v12, v41, v42, vcc
	v_lshlrev_b32_e32 v13, 16, v8
	v_cmp_o_f32_e32 vcc, v13, v13
	v_xor_b32_sdwa v12, v12, v8 dst_sel:DWORD dst_unused:UNUSED_PAD src0_sel:DWORD src1_sel:WORD_0
	v_cndmask_b32_e32 v12, v41, v12, vcc
	v_and_b32_e32 v12, v12, v45
	v_cmp_eq_u32_e32 vcc, v12, v37
	s_and_b64 exec, exec, vcc
	s_cbranch_execz .LBB114_326
; %bb.330:                              ;   in Loop: Header=BB114_328 Depth=2
	s_movk_i32 s8, 0x3f80
	v_perm_b32 v8, v8, s8, v44
	ds_write_b32 v9, v8 offset:3072
	s_branch .LBB114_326
.LBB114_331:                            ;   in Loop: Header=BB114_328 Depth=2
	v_add_u32_e32 v4, s60, v4
	v_cmp_le_u32_e32 vcc, s54, v4
	v_add_u32_e32 v3, s4, v3
	s_mov_b64 s[8:9], 0
	s_orn2_b64 s[24:25], vcc, exec
	s_branch .LBB114_327
.LBB114_332:                            ;   in Loop: Header=BB114_6 Depth=1
	s_or_b64 exec, exec, s[14:15]
	v_lshrrev_b32_e32 v46, 16, v8
	s_and_b64 s[14:15], s[28:29], exec
.LBB114_333:                            ;   in Loop: Header=BB114_6 Depth=1
	s_or_b64 exec, exec, s[18:19]
.LBB114_334:                            ;   in Loop: Header=BB114_6 Depth=1
	s_and_b64 vcc, exec, s[2:3]
	s_cbranch_vccz .LBB114_345
; %bb.335:                              ;   in Loop: Header=BB114_6 Depth=1
                                        ; implicit-def: $vgpr46
	s_mov_b64 s[2:3], exec
	v_readlane_b32 s8, v52, 0
	v_readlane_b32 s9, v52, 1
	s_and_b64 s[8:9], s[2:3], s[8:9]
	s_mov_b64 exec, s[8:9]
	s_cbranch_execz .LBB114_344
; %bb.336:                              ;   in Loop: Header=BB114_6 Depth=1
	s_mov_b64 s[18:19], 0
	v_mov_b32_e32 v8, v7
	v_mov_b32_e32 v3, v0
                                        ; implicit-def: $sgpr28_sgpr29
	s_branch .LBB114_339
.LBB114_337:                            ;   in Loop: Header=BB114_339 Depth=2
	s_or_b64 exec, exec, s[44:45]
	s_waitcnt lgkmcnt(0)
	s_barrier
	ds_read_b32 v4, v9 offset:3072
	s_mov_b64 s[24:25], -1
	s_mov_b64 s[8:9], -1
	s_waitcnt lgkmcnt(0)
	s_barrier
	v_and_b32_e32 v12, 0x7fff, v4
	v_cmp_eq_u32_e32 vcc, 0, v12
	s_cbranch_vccnz .LBB114_342
.LBB114_338:                            ;   in Loop: Header=BB114_339 Depth=2
	s_and_b64 s[24:25], exec, s[24:25]
	s_or_b64 s[18:19], s[24:25], s[18:19]
	s_andn2_b64 s[24:25], s[28:29], exec
	s_and_b64 s[8:9], s[8:9], exec
	s_or_b64 s[28:29], s[24:25], s[8:9]
	s_andn2_b64 exec, exec, s[18:19]
	s_cbranch_execz .LBB114_343
.LBB114_339:                            ;   Parent Loop BB114_6 Depth=1
                                        ; =>  This Inner Loop Header: Depth=2
	v_cmp_gt_u32_e32 vcc, s36, v3
	s_and_saveexec_b64 s[44:45], vcc
	s_cbranch_execz .LBB114_337
; %bb.340:                              ;   in Loop: Header=BB114_339 Depth=2
	v_lshlrev_b64 v[12:13], 1, v[8:9]
	v_mov_b32_e32 v4, s56
	v_add_co_u32_e32 v12, vcc, s33, v12
	v_addc_co_u32_e32 v13, vcc, v4, v13, vcc
	global_load_ushort v4, v[12:13], off
	s_waitcnt vmcnt(0)
	v_cmp_lt_i16_e32 vcc, -1, v4
	v_cndmask_b32_e32 v12, v41, v42, vcc
	v_lshlrev_b32_e32 v13, 16, v4
	v_xor_b32_sdwa v12, v12, v4 dst_sel:DWORD dst_unused:UNUSED_PAD src0_sel:DWORD src1_sel:WORD_0
	v_cmp_o_f32_e32 vcc, v13, v13
	v_cndmask_b32_e32 v12, v41, v12, vcc
	v_and_b32_e32 v12, v12, v45
	v_cmp_eq_u32_e32 vcc, v12, v37
	s_and_b64 exec, exec, vcc
	s_cbranch_execz .LBB114_337
; %bb.341:                              ;   in Loop: Header=BB114_339 Depth=2
	s_movk_i32 s8, 0x3f80
	v_perm_b32 v4, v4, s8, v44
	ds_write_b32 v9, v4 offset:3072
	s_branch .LBB114_337
.LBB114_342:                            ;   in Loop: Header=BB114_339 Depth=2
	v_add_u32_e32 v3, s60, v3
	v_cmp_le_u32_e32 vcc, s22, v3
	v_add_u32_e32 v8, s62, v8
	s_mov_b64 s[8:9], 0
	s_orn2_b64 s[24:25], vcc, exec
	s_branch .LBB114_338
.LBB114_343:                            ;   in Loop: Header=BB114_6 Depth=1
	s_or_b64 exec, exec, s[18:19]
	s_andn2_b64 s[8:9], s[14:15], exec
	s_and_b64 s[14:15], s[28:29], exec
	v_lshrrev_b32_e32 v46, 16, v4
	s_or_b64 s[14:15], s[8:9], s[14:15]
.LBB114_344:                            ;   in Loop: Header=BB114_6 Depth=1
	s_or_b64 exec, exec, s[2:3]
	s_mov_b64 s[44:45], 0
	s_mov_b64 s[46:47], -1
.LBB114_345:                            ;   in Loop: Header=BB114_6 Depth=1
	s_orn2_b64 s[2:3], s[14:15], exec
.LBB114_346:                            ;   in Loop: Header=BB114_6 Depth=1
	s_or_b64 exec, exec, s[12:13]
	s_mov_b64 s[12:13], 0
	s_and_saveexec_b64 s[14:15], s[2:3]
	s_cbranch_execz .LBB114_396
; %bb.347:                              ;   in Loop: Header=BB114_6 Depth=1
	s_xor_b64 s[8:9], s[16:17], -1
	v_mov_b32_e32 v3, 1
	v_mov_b32_e32 v1, 1
	s_and_saveexec_b64 s[2:3], s[8:9]
	s_cbranch_execz .LBB114_356
; %bb.348:                              ;   in Loop: Header=BB114_6 Depth=1
	v_cmp_ge_u32_e32 vcc, s5, v2
	s_and_saveexec_b64 s[8:9], vcc
	s_xor_b64 s[12:13], exec, s[8:9]
	s_cbranch_execz .LBB114_353
; %bb.349:                              ;   in Loop: Header=BB114_6 Depth=1
	v_and_b32_e32 v1, s59, v37
	v_lshl_or_b32 v37, 1, s38, v1
	ds_read_b32 v1, v9 offset:4096
	v_or_b32_e32 v45, s58, v45
	s_waitcnt lgkmcnt(0)
	v_cmp_ne_u32_e32 vcc, 0, v1
	s_cbranch_vccnz .LBB114_353
; %bb.350:                              ;   in Loop: Header=BB114_6 Depth=1
	s_mov_b64 s[8:9], exec
	v_readlane_b32 s16, v53, 22
	v_readlane_b32 s17, v53, 23
	s_and_b64 s[16:17], s[8:9], s[16:17]
	s_mov_b64 exec, s[16:17]
; %bb.351:                              ;   in Loop: Header=BB114_6 Depth=1
	v_mov_b32_e32 v1, s5
	ds_write_b32 v9, v1 offset:4100
; %bb.352:                              ;   in Loop: Header=BB114_6 Depth=1
	s_or_b64 exec, exec, s[8:9]
	s_waitcnt lgkmcnt(0)
	s_barrier
.LBB114_353:                            ;   in Loop: Header=BB114_6 Depth=1
	s_or_saveexec_b64 s[12:13], s[12:13]
	s_mov_b64 s[16:17], 0
	v_mov_b32_e32 v1, 5
	s_xor_b64 exec, exec, s[12:13]
; %bb.354:                              ;   in Loop: Header=BB114_6 Depth=1
	v_subrev_u32_e32 v2, s5, v2
	v_mov_b32_e32 v1, 0
	s_mov_b64 s[16:17], exec
; %bb.355:                              ;   in Loop: Header=BB114_6 Depth=1
	s_or_b64 exec, exec, s[12:13]
	s_and_b64 s[12:13], s[16:17], exec
	v_mov_b32_e32 v3, v2
.LBB114_356:                            ;   in Loop: Header=BB114_6 Depth=1
	s_or_b64 exec, exec, s[2:3]
	s_mov_b64 s[2:3], -1
                                        ; implicit-def: $sgpr28_sgpr29
                                        ; implicit-def: $sgpr18_sgpr19
	s_and_saveexec_b64 s[16:17], s[12:13]
	s_cbranch_execz .LBB114_395
; %bb.357:                              ;   in Loop: Header=BB114_6 Depth=1
	s_cmp_eq_u32 s39, 1
	s_cselect_b64 s[2:3], -1, 0
	v_cmp_eq_u32_e32 vcc, 1, v3
	s_and_b64 s[12:13], s[2:3], vcc
	s_mov_b64 s[54:55], -1
                                        ; implicit-def: $sgpr28_sgpr29
                                        ; implicit-def: $sgpr18_sgpr19
	s_and_saveexec_b64 s[52:53], s[12:13]
	s_cbranch_execz .LBB114_383
; %bb.358:                              ;   in Loop: Header=BB114_6 Depth=1
	ds_read_b32 v2, v9 offset:4096
	s_waitcnt lgkmcnt(0)
	s_barrier
	v_readfirstlane_b32 s5, v2
	s_mov_b64 s[2:3], exec
	v_readlane_b32 s8, v53, 39
	v_readlane_b32 s9, v53, 40
	s_and_b64 s[8:9], s[2:3], s[8:9]
	s_mov_b64 exec, s[8:9]
; %bb.359:                              ;   in Loop: Header=BB114_6 Depth=1
	ds_write_b16 v26, v9
; %bb.360:                              ;   in Loop: Header=BB114_6 Depth=1
	s_or_b64 exec, exec, s[2:3]
	v_and_b32_e32 v37, s59, v37
	v_or_b32_e32 v45, s58, v45
	s_mov_b64 s[18:19], -1
	s_mov_b64 s[28:29], 0
	s_cmp_eq_u32 s5, 0
	s_mov_b64 s[54:55], 0
	s_mov_b64 s[2:3], -1
	s_waitcnt lgkmcnt(0)
	s_barrier
                                        ; implicit-def: $vgpr46
	s_cbranch_scc1 .LBB114_371
; %bb.361:                              ;   in Loop: Header=BB114_6 Depth=1
	v_readlane_b32 s2, v53, 41
	s_add_i32 s2, s5, s2
	v_readlane_b32 s3, v53, 63
	s_mul_hi_u32 s3, s2, s3
	s_mul_i32 s3, s3, s60
	s_sub_i32 s3, s2, s3
	s_sub_i32 s8, s3, s60
	s_cmp_ge_u32 s3, s60
	s_cselect_b32 s3, s8, s3
	s_sub_i32 s8, s3, s60
	s_cmp_ge_u32 s3, s60
	s_cselect_b32 s3, s8, s3
	s_sub_i32 s20, s2, s3
	v_cmp_gt_u32_e32 vcc, s20, v0
	s_mov_b64 s[2:3], 0
                                        ; implicit-def: $vgpr46
	s_and_saveexec_b64 s[64:65], vcc
	s_cbranch_execz .LBB114_370
; %bb.362:                              ;   in Loop: Header=BB114_6 Depth=1
	v_mov_b32_e32 v2, v25
	v_mov_b32_e32 v4, v0
                                        ; implicit-def: $sgpr66_sgpr67
	s_branch .LBB114_365
.LBB114_363:                            ;   in Loop: Header=BB114_365 Depth=2
	s_or_b64 exec, exec, s[68:69]
	s_waitcnt lgkmcnt(0)
	s_barrier
	ds_read_b32 v8, v9 offset:3072
	s_mov_b64 s[24:25], -1
	s_mov_b64 s[8:9], -1
	s_waitcnt lgkmcnt(0)
	s_barrier
	v_and_b32_e32 v12, 0x7fff, v8
	v_cmp_ne_u32_e32 vcc, 0, v12
	s_cbranch_vccz .LBB114_368
.LBB114_364:                            ;   in Loop: Header=BB114_365 Depth=2
	s_and_b64 s[24:25], exec, s[24:25]
	s_or_b64 s[54:55], s[24:25], s[54:55]
	s_andn2_b64 s[24:25], s[66:67], exec
	s_and_b64 s[8:9], s[8:9], exec
	s_or_b64 s[66:67], s[24:25], s[8:9]
	s_andn2_b64 exec, exec, s[54:55]
	s_cbranch_execz .LBB114_369
.LBB114_365:                            ;   Parent Loop BB114_6 Depth=1
                                        ; =>  This Inner Loop Header: Depth=2
	v_cmp_gt_u32_e32 vcc, s5, v4
	s_and_saveexec_b64 s[68:69], vcc
	s_cbranch_execz .LBB114_363
; %bb.366:                              ;   in Loop: Header=BB114_365 Depth=2
	ds_read_u16 v8, v2
	s_waitcnt lgkmcnt(0)
	v_cmp_lt_i16_e32 vcc, -1, v8
	v_cndmask_b32_e32 v12, v41, v42, vcc
	v_lshlrev_b32_e32 v13, 16, v8
	v_cmp_o_f32_e32 vcc, v13, v13
	v_xor_b32_sdwa v12, v12, v8 dst_sel:DWORD dst_unused:UNUSED_PAD src0_sel:DWORD src1_sel:WORD_0
	v_cndmask_b32_e32 v12, v41, v12, vcc
	v_and_b32_e32 v12, v12, v45
	v_cmp_eq_u32_e32 vcc, v12, v37
	s_and_b64 exec, exec, vcc
	s_cbranch_execz .LBB114_363
; %bb.367:                              ;   in Loop: Header=BB114_365 Depth=2
	s_movk_i32 s8, 0x3f80
	v_perm_b32 v8, v8, s8, v44
	ds_write_b32 v9, v8 offset:3072
	s_branch .LBB114_363
.LBB114_368:                            ;   in Loop: Header=BB114_365 Depth=2
	v_add_u32_e32 v4, s60, v4
	v_cmp_le_u32_e32 vcc, s20, v4
	v_add_u32_e32 v2, s4, v2
	s_mov_b64 s[8:9], 0
	s_orn2_b64 s[24:25], vcc, exec
	s_branch .LBB114_364
.LBB114_369:                            ;   in Loop: Header=BB114_6 Depth=1
	s_or_b64 exec, exec, s[54:55]
	v_lshrrev_b32_e32 v46, 16, v8
	s_and_b64 s[54:55], s[66:67], exec
.LBB114_370:                            ;   in Loop: Header=BB114_6 Depth=1
	s_or_b64 exec, exec, s[64:65]
.LBB114_371:                            ;   in Loop: Header=BB114_6 Depth=1
	s_and_b64 vcc, exec, s[2:3]
	s_cbranch_vccz .LBB114_382
; %bb.372:                              ;   in Loop: Header=BB114_6 Depth=1
                                        ; implicit-def: $vgpr46
	s_mov_b64 s[2:3], exec
	v_readlane_b32 s8, v52, 0
	v_readlane_b32 s9, v52, 1
	s_and_b64 s[8:9], s[2:3], s[8:9]
	s_mov_b64 exec, s[8:9]
	s_cbranch_execz .LBB114_381
; %bb.373:                              ;   in Loop: Header=BB114_6 Depth=1
	s_mov_b64 s[18:19], 0
	v_mov_b32_e32 v8, v7
	v_mov_b32_e32 v2, v0
                                        ; implicit-def: $sgpr28_sgpr29
	s_branch .LBB114_376
.LBB114_374:                            ;   in Loop: Header=BB114_376 Depth=2
	s_or_b64 exec, exec, s[64:65]
	s_waitcnt lgkmcnt(0)
	s_barrier
	ds_read_b32 v4, v9 offset:3072
	s_mov_b64 s[24:25], -1
	s_mov_b64 s[8:9], -1
	s_waitcnt lgkmcnt(0)
	s_barrier
	v_and_b32_e32 v12, 0x7fff, v4
	v_cmp_eq_u32_e32 vcc, 0, v12
	s_cbranch_vccnz .LBB114_379
.LBB114_375:                            ;   in Loop: Header=BB114_376 Depth=2
	s_and_b64 s[24:25], exec, s[24:25]
	s_or_b64 s[18:19], s[24:25], s[18:19]
	s_andn2_b64 s[24:25], s[28:29], exec
	s_and_b64 s[8:9], s[8:9], exec
	s_or_b64 s[28:29], s[24:25], s[8:9]
	s_andn2_b64 exec, exec, s[18:19]
	s_cbranch_execz .LBB114_380
.LBB114_376:                            ;   Parent Loop BB114_6 Depth=1
                                        ; =>  This Inner Loop Header: Depth=2
	v_cmp_gt_u32_e32 vcc, s36, v2
	s_and_saveexec_b64 s[64:65], vcc
	s_cbranch_execz .LBB114_374
; %bb.377:                              ;   in Loop: Header=BB114_376 Depth=2
	v_lshlrev_b64 v[12:13], 1, v[8:9]
	v_mov_b32_e32 v4, s56
	v_add_co_u32_e32 v12, vcc, s33, v12
	v_addc_co_u32_e32 v13, vcc, v4, v13, vcc
	global_load_ushort v4, v[12:13], off
	s_waitcnt vmcnt(0)
	v_cmp_lt_i16_e32 vcc, -1, v4
	v_cndmask_b32_e32 v12, v41, v42, vcc
	v_lshlrev_b32_e32 v13, 16, v4
	v_xor_b32_sdwa v12, v12, v4 dst_sel:DWORD dst_unused:UNUSED_PAD src0_sel:DWORD src1_sel:WORD_0
	v_cmp_o_f32_e32 vcc, v13, v13
	v_cndmask_b32_e32 v12, v41, v12, vcc
	v_and_b32_e32 v12, v12, v45
	v_cmp_eq_u32_e32 vcc, v12, v37
	s_and_b64 exec, exec, vcc
	s_cbranch_execz .LBB114_374
; %bb.378:                              ;   in Loop: Header=BB114_376 Depth=2
	s_movk_i32 s5, 0x3f80
	v_perm_b32 v4, v4, s5, v44
	ds_write_b32 v9, v4 offset:3072
	s_branch .LBB114_374
.LBB114_379:                            ;   in Loop: Header=BB114_376 Depth=2
	v_add_u32_e32 v2, s60, v2
	v_cmp_le_u32_e32 vcc, s22, v2
	v_add_u32_e32 v8, s62, v8
	s_mov_b64 s[8:9], 0
	s_orn2_b64 s[24:25], vcc, exec
	s_branch .LBB114_375
.LBB114_380:                            ;   in Loop: Header=BB114_6 Depth=1
	s_or_b64 exec, exec, s[18:19]
	s_andn2_b64 s[8:9], s[54:55], exec
	s_and_b64 s[18:19], s[28:29], exec
	v_lshrrev_b32_e32 v46, 16, v4
	s_or_b64 s[54:55], s[8:9], s[18:19]
.LBB114_381:                            ;   in Loop: Header=BB114_6 Depth=1
	s_or_b64 exec, exec, s[2:3]
	s_mov_b64 s[18:19], 0
	s_mov_b64 s[28:29], -1
.LBB114_382:                            ;   in Loop: Header=BB114_6 Depth=1
	s_orn2_b64 s[54:55], s[54:55], exec
.LBB114_383:                            ;   in Loop: Header=BB114_6 Depth=1
	s_or_b64 exec, exec, s[52:53]
	s_mov_b64 s[24:25], 0
	s_and_saveexec_b64 s[2:3], s[54:55]
	s_cbranch_execz .LBB114_394
; %bb.384:                              ;   in Loop: Header=BB114_6 Depth=1
	s_xor_b64 s[8:9], s[12:13], -1
	v_mov_b32_e32 v1, 1
	v_mov_b32_e32 v2, 1
	s_and_saveexec_b64 s[12:13], s[8:9]
	s_cbranch_execz .LBB114_393
; %bb.385:                              ;   in Loop: Header=BB114_6 Depth=1
	v_cmp_ge_u32_e32 vcc, s39, v3
	s_and_saveexec_b64 s[8:9], vcc
	s_xor_b64 s[52:53], exec, s[8:9]
	s_cbranch_execz .LBB114_390
; %bb.386:                              ;   in Loop: Header=BB114_6 Depth=1
	ds_read_b32 v1, v9 offset:4096
	v_and_b32_e32 v37, s59, v37
	v_or_b32_e32 v45, s58, v45
	s_waitcnt lgkmcnt(0)
	v_cmp_ne_u32_e32 vcc, 0, v1
	s_cbranch_vccnz .LBB114_390
; %bb.387:                              ;   in Loop: Header=BB114_6 Depth=1
	s_mov_b64 s[8:9], exec
	v_readlane_b32 s24, v53, 22
	v_readlane_b32 s25, v53, 23
	s_and_b64 s[24:25], s[8:9], s[24:25]
	s_mov_b64 exec, s[24:25]
; %bb.388:                              ;   in Loop: Header=BB114_6 Depth=1
	v_mov_b32_e32 v1, s39
	ds_write_b32 v9, v1 offset:4100
; %bb.389:                              ;   in Loop: Header=BB114_6 Depth=1
	s_or_b64 exec, exec, s[8:9]
	s_waitcnt lgkmcnt(0)
	s_barrier
.LBB114_390:                            ;   in Loop: Header=BB114_6 Depth=1
	s_andn2_saveexec_b64 s[24:25], s[52:53]
; %bb.391:                              ;   in Loop: Header=BB114_6 Depth=1
	v_subrev_u32_e32 v3, s39, v3
; %bb.392:                              ;   in Loop: Header=BB114_6 Depth=1
	s_or_b64 exec, exec, s[24:25]
	v_mov_b32_e32 v1, 5
	v_mov_b32_e32 v2, v3
.LBB114_393:                            ;   in Loop: Header=BB114_6 Depth=1
	s_or_b64 exec, exec, s[12:13]
	s_mov_b64 s[24:25], exec
	v_mov_b32_e32 v3, v2
.LBB114_394:                            ;   in Loop: Header=BB114_6 Depth=1
	s_or_b64 exec, exec, s[2:3]
	s_orn2_b64 s[2:3], s[24:25], exec
.LBB114_395:                            ;   in Loop: Header=BB114_6 Depth=1
	s_or_b64 exec, exec, s[16:17]
	s_andn2_b64 s[8:9], s[46:47], exec
	s_and_b64 s[12:13], s[28:29], exec
	s_or_b64 s[46:47], s[8:9], s[12:13]
	s_andn2_b64 s[8:9], s[44:45], exec
	s_and_b64 s[12:13], s[18:19], exec
	s_or_b64 s[44:45], s[8:9], s[12:13]
	s_and_b64 s[12:13], s[2:3], exec
	v_mov_b32_e32 v2, v3
.LBB114_396:                            ;   in Loop: Header=BB114_6 Depth=1
	s_or_b64 exec, exec, s[14:15]
	s_orn2_b64 s[2:3], s[12:13], exec
.LBB114_397:                            ;   in Loop: Header=BB114_6 Depth=1
	s_or_b64 exec, exec, s[94:95]
	s_andn2_b64 s[8:9], s[42:43], exec
	s_and_b64 s[12:13], s[46:47], exec
	s_or_b64 s[42:43], s[8:9], s[12:13]
	s_andn2_b64 s[8:9], s[40:41], exec
	s_and_b64 s[12:13], s[44:45], exec
	s_or_b64 s[40:41], s[8:9], s[12:13]
	s_and_b64 s[12:13], s[2:3], exec
	v_mov_b32_e32 v4, v2
.LBB114_398:                            ;   in Loop: Header=BB114_6 Depth=1
	s_or_b64 exec, exec, s[50:51]
	s_orn2_b64 s[2:3], s[12:13], exec
.LBB114_399:                            ;   in Loop: Header=BB114_6 Depth=1
	s_or_b64 exec, exec, s[6:7]
	s_mov_b64 s[6:7], s[92:93]
	s_mov_b64 s[12:13], s[34:35]
	s_and_saveexec_b64 s[14:15], s[2:3]
; %bb.400:                              ;   in Loop: Header=BB114_6 Depth=1
	v_cmp_ne_u32_e64 s[6:7], 5, v1
	v_cmp_eq_u32_e32 vcc, 5, v1
	s_andn2_b64 s[2:3], s[34:35], exec
	s_and_b64 s[6:7], s[6:7], exec
	s_or_b64 s[12:13], s[2:3], s[6:7]
	s_andn2_b64 s[2:3], s[92:93], exec
	s_and_b64 s[6:7], vcc, exec
	s_or_b64 s[6:7], s[2:3], s[6:7]
; %bb.401:                              ;   in Loop: Header=BB114_6 Depth=1
	s_or_b64 exec, exec, s[14:15]
	s_andn2_b64 s[2:3], s[26:27], exec
	s_and_b64 s[8:9], s[42:43], exec
	s_or_b64 s[26:27], s[2:3], s[8:9]
	s_andn2_b64 s[2:3], s[30:31], exec
	s_and_b64 s[8:9], s[40:41], exec
	s_or_b64 s[30:31], s[2:3], s[8:9]
	;; [unrolled: 3-line block ×4, first 2 shown]
.LBB114_402:                            ;   in Loop: Header=BB114_6 Depth=1
	s_or_b64 exec, exec, s[48:49]
	s_mov_b64 s[94:95], 0
	s_mov_b64 s[48:49], 0
	s_and_saveexec_b64 s[2:3], s[92:93]
.LBB114_403:                            ;   in Loop: Header=BB114_6 Depth=1
	v_mov_b32_e32 v1, 0
	s_or_b64 s[34:35], s[34:35], exec
.LBB114_404:                            ;   in Loop: Header=BB114_6 Depth=1
	s_or_b64 exec, exec, s[2:3]
	s_andn2_b64 s[2:3], s[88:89], exec
	s_and_b64 s[8:9], s[26:27], exec
	s_or_b64 s[88:89], s[2:3], s[8:9]
	s_andn2_b64 s[2:3], s[86:87], exec
	s_and_b64 s[8:9], s[30:31], exec
	s_or_b64 s[86:87], s[2:3], s[8:9]
	;; [unrolled: 3-line block ×3, first 2 shown]
	s_andn2_b64 s[2:3], s[82:83], exec
	s_and_b64 s[8:9], s[94:95], exec
	s_mov_b64 s[6:7], -1
	s_andn2_b64 s[90:91], s[90:91], exec
	s_or_b64 s[82:83], s[2:3], s[8:9]
	v_mov_b32_e32 v47, v4
	s_and_saveexec_b64 s[2:3], s[34:35]
	s_xor_b64 s[2:3], exec, s[2:3]
	s_mov_b32 s18, 0x5040100
	s_cbranch_execz .LBB114_5
; %bb.405:                              ;   in Loop: Header=BB114_6 Depth=1
	v_cmp_eq_u32_e32 vcc, 0, v1
	s_mov_b64 s[12:13], -1
	s_and_saveexec_b64 s[14:15], vcc
	s_cbranch_execz .LBB114_4
; %bb.406:                              ;   in Loop: Header=BB114_6 Depth=1
	v_readlane_b32 s6, v53, 25
	v_readlane_b32 s7, v53, 26
	s_xor_b32 s7, s7, 1
	s_add_i32 s5, s38, -2
	v_writelane_b32 v53, s6, 25
	s_cmp_eq_u32 s38, 0
	v_writelane_b32 v53, s7, 26
	s_cselect_b64 s[6:7], -1, 0
	s_xor_b64 s[12:13], exec, -1
	s_orn2_b64 s[6:7], s[6:7], exec
	s_mov_b32 s38, s5
	s_branch .LBB114_4
.LBB114_407:
	s_or_b64 exec, exec, s[70:71]
	s_xor_b64 s[6:7], s[80:81], -1
	s_xor_b64 s[18:19], s[78:79], -1
	;; [unrolled: 1-line block ×5, first 2 shown]
	s_mov_b64 s[12:13], 0
	s_and_saveexec_b64 s[10:11], s[4:5]
	s_xor_b64 s[10:11], exec, s[10:11]
	s_cbranch_execnz .LBB114_412
; %bb.408:
	s_andn2_saveexec_b64 s[0:1], s[10:11]
	s_cbranch_execnz .LBB114_431
.LBB114_409:
	s_or_b64 exec, exec, s[0:1]
	s_and_saveexec_b64 s[0:1], s[12:13]
.LBB114_410:
	; divergent unreachable
.LBB114_411:
	s_endpgm
.LBB114_412:
	s_mov_b64 s[14:15], 0
	s_and_saveexec_b64 s[4:5], s[8:9]
	s_xor_b64 s[12:13], exec, s[4:5]
	s_cbranch_execz .LBB114_429
; %bb.413:
	s_mov_b64 s[16:17], 0
	s_and_saveexec_b64 s[4:5], s[18:19]
	s_xor_b64 s[14:15], exec, s[4:5]
	s_cbranch_execz .LBB114_427
; %bb.414:
	;; [unrolled: 5-line block ×3, first 2 shown]
	s_and_saveexec_b64 s[4:5], s[2:3]
	s_xor_b64 s[2:3], exec, s[4:5]
; %bb.416:
	v_and_b32_e32 v1, 0x8000, v37
	v_mov_b32_e32 v2, 0x8000
	v_mov_b32_e32 v3, 0xffff
	v_cmp_eq_u32_e32 vcc, 0, v1
	v_cndmask_b32_e32 v1, v2, v3, vcc
	v_xor_b32_e32 v46, v1, v37
; %bb.417:
	s_or_b64 exec, exec, s[2:3]
	s_mov_b64 s[2:3], exec
	v_readlane_b32 s4, v53, 22
	v_readlane_b32 s5, v53, 23
	;; [unrolled: 1-line block ×3, first 2 shown]
	s_and_b64 s[4:5], s[2:3], s[4:5]
	v_readlane_b32 s43, v53, 28
	v_readlane_b32 s6, v53, 24
	s_mov_b64 exec, s[4:5]
; %bb.418:
	v_mov_b32_e32 v1, 0
	ds_write_b32 v1, v1 offset:4108
; %bb.419:
	s_or_b64 exec, exec, s[2:3]
	v_mov_b32_e32 v4, 0
	s_waitcnt lgkmcnt(0)
	s_barrier
	s_mov_b64 s[2:3], exec
	v_readlane_b32 s4, v53, 35
	v_readlane_b32 s5, v53, 36
	s_and_b64 s[4:5], s[2:3], s[4:5]
	s_mov_b64 exec, s[4:5]
	s_cbranch_execz .LBB114_421
; %bb.420:
	global_load_ushort v4, v[5:6], off
.LBB114_421:
	s_or_b64 exec, exec, s[2:3]
	v_readlane_b32 s8, v53, 14
	v_readlane_b32 s9, v53, 15
	;; [unrolled: 1-line block ×3, first 2 shown]
	s_mul_i32 s2, s7, s9
	v_readlane_b32 s9, v53, 17
	s_mul_i32 s3, s9, s8
	s_add_i32 s30, s36, 63
	s_sub_i32 s3, s7, s3
	s_andn2_b32 s30, s30, 63
	s_sub_i32 s2, s6, s2
	s_add_i32 s4, s9, 1
	s_sub_i32 s5, s3, s8
	s_cmp_ge_u32 s3, s8
	s_cselect_b32 s4, s4, s9
	s_cselect_b32 s3, s5, s3
	s_add_i32 s5, s4, 1
	s_cmp_ge_u32 s3, s8
	s_cselect_b32 s3, s5, s4
	v_readlane_b32 s20, v53, 6
	s_mul_i32 s4, s3, s8
	v_readlane_b32 s21, v53, 7
	v_readlane_b32 s22, v53, 8
	s_sub_i32 s4, s7, s4
	s_mul_i32 s2, s2, s22
	s_mul_i32 s4, s4, s21
	v_readlane_b32 s8, v53, 18
	s_add_i32 s2, s4, s2
	s_mul_i32 s3, s3, s20
	v_readlane_b32 s9, v53, 19
	v_readlane_b32 s18, v53, 20
	s_add_i32 s2, s2, s3
	s_mul_i32 s3, s18, s9
	s_sub_i32 s3, s6, s3
	v_readlane_b32 s4, v53, 0
	v_readlane_b32 s6, v53, 2
	;; [unrolled: 1-line block ×4, first 2 shown]
	s_mov_b32 s22, s6
	v_readlane_b32 s7, v53, 21
	s_mov_b64 s[20:21], s[4:5]
	s_mul_i32 s4, s7, s8
	s_sub_i32 s4, s18, s4
	s_add_i32 s5, s7, 1
	s_sub_i32 s6, s4, s8
	s_cmp_ge_u32 s4, s8
	s_cselect_b32 s5, s5, s7
	s_cselect_b32 s4, s6, s4
	s_add_i32 s6, s5, 1
	s_cmp_ge_u32 s4, s8
	s_cselect_b32 s4, s6, s5
	s_mul_i32 s5, s4, s8
	s_sub_i32 s5, s18, s5
	s_mul_i32 s3, s3, s22
	s_mul_i32 s5, s5, s21
	s_add_i32 s3, s5, s3
	s_mul_i32 s4, s4, s20
	s_add_i32 s4, s3, s4
	s_mov_b32 s3, 0
	s_lshl_b64 s[6:7], s[2:3], 1
	v_readlane_b32 s8, v53, 10
	v_readlane_b32 s9, v53, 11
	s_add_u32 s31, s8, s6
	s_mov_b32 s5, s3
	s_addc_u32 s34, s9, s7
	s_lshl_b64 s[2:3], s[4:5], 3
	v_readlane_b32 s4, v53, 4
	v_readlane_b32 s5, v53, 5
	s_add_u32 s35, s4, s2
	s_addc_u32 s38, s5, s3
	v_readlane_b32 s2, v53, 12
	v_readlane_b32 s3, v53, 13
	s_load_dword s39, s[2:3], 0x1c8
	s_load_dword s40, s[2:3], 0x2a8
	v_mov_b32_e32 v8, 0xffff
	v_mov_b32_e32 v9, 0x8000
	v_cmp_lt_i16_e32 vcc, -1, v46
	v_cndmask_b32_e32 v1, v8, v9, vcc
	v_lshlrev_b32_e32 v2, 16, v46
	v_xor_b32_sdwa v1, v1, v46 dst_sel:DWORD dst_unused:UNUSED_PAD src0_sel:DWORD src1_sel:WORD_0
	v_cmp_o_f32_e32 vcc, v2, v2
	v_cndmask_b32_e32 v7, v8, v1, vcc
	v_cmp_gt_u32_e32 vcc, s30, v0
	s_mov_b64 s[2:3], -1
	s_mov_b64 s[8:9], 0
	s_mov_b64 s[4:5], 0
	v_readlane_b32 s23, v53, 9
	s_and_saveexec_b64 s[18:19], vcc
	s_cbranch_execnz .LBB114_432
; %bb.422:
	s_or_b64 exec, exec, s[18:19]
	s_and_saveexec_b64 s[6:7], s[2:3]
	s_cbranch_execnz .LBB114_449
.LBB114_423:
	s_or_b64 exec, exec, s[6:7]
	s_and_saveexec_b64 s[0:1], s[4:5]
	s_xor_b64 s[0:1], exec, s[0:1]
	s_cbranch_execnz .LBB114_474
.LBB114_424:
	s_or_b64 exec, exec, s[0:1]
	s_and_b64 s[18:19], s[8:9], exec
.LBB114_425:
	s_andn2_saveexec_b64 s[0:1], s[16:17]
	s_cbranch_execnz .LBB114_476
.LBB114_426:
	s_or_b64 exec, exec, s[0:1]
	s_and_b64 s[16:17], s[18:19], exec
.LBB114_427:
	s_andn2_saveexec_b64 s[0:1], s[14:15]
	s_cbranch_execnz .LBB114_475
.LBB114_428:
	s_or_b64 exec, exec, s[0:1]
	s_and_b64 s[14:15], s[16:17], exec
.LBB114_429:
	s_andn2_saveexec_b64 s[0:1], s[12:13]
	s_cbranch_execnz .LBB114_470
.LBB114_430:
	s_or_b64 exec, exec, s[0:1]
	s_and_b64 s[12:13], s[14:15], exec
	s_andn2_saveexec_b64 s[0:1], s[10:11]
	s_cbranch_execz .LBB114_409
.LBB114_431:
	s_or_b64 s[12:13], s[12:13], exec
	s_trap 2
	s_or_b64 exec, exec, s[0:1]
	s_and_saveexec_b64 s[0:1], s[12:13]
	s_cbranch_execnz .LBB114_410
	s_branch .LBB114_411
.LBB114_432:
	v_add_u32_e32 v1, s60, v0
	v_mul_lo_u32 v1, s61, v1
	s_mov_b64 s[20:21], 0
	v_mov_b32_e32 v2, 0
	v_mov_b32_e32 v3, v0
                                        ; implicit-def: $sgpr22_sgpr23
                                        ; implicit-def: $vgpr11
	s_branch .LBB114_434
.LBB114_433:                            ;   in Loop: Header=BB114_434 Depth=1
	s_or_b64 exec, exec, s[24:25]
	s_xor_b64 s[4:5], s[6:7], -1
	s_and_b64 s[2:3], exec, s[2:3]
	s_or_b64 s[20:21], s[2:3], s[20:21]
	s_andn2_b64 s[2:3], s[22:23], exec
	s_and_b64 s[4:5], s[4:5], exec
	s_or_b64 s[22:23], s[2:3], s[4:5]
	v_mov_b32_e32 v3, v10
	s_waitcnt vmcnt(0)
	v_mov_b32_e32 v4, v12
	s_andn2_b64 exec, exec, s[20:21]
	s_cbranch_execz .LBB114_448
.LBB114_434:                            ; =>This Inner Loop Header: Depth=1
	v_add_u32_e32 v10, s60, v3
	v_cmp_gt_u32_e64 s[4:5], s36, v10
	v_mov_b32_e32 v12, 0
	s_and_saveexec_b64 s[2:3], s[4:5]
	s_cbranch_execz .LBB114_436
; %bb.435:                              ;   in Loop: Header=BB114_434 Depth=1
	v_lshlrev_b64 v[12:13], 1, v[1:2]
	v_mov_b32_e32 v14, s56
	v_add_co_u32_e64 v12, s[4:5], s33, v12
	v_addc_co_u32_e64 v13, s[4:5], v14, v13, s[4:5]
	global_load_ushort v12, v[12:13], off
.LBB114_436:                            ;   in Loop: Header=BB114_434 Depth=1
	s_or_b64 exec, exec, s[2:3]
	v_cmp_gt_u32_e64 s[4:5], s36, v3
	s_mov_b64 s[24:25], 0
	s_and_saveexec_b64 s[2:3], s[4:5]
	s_cbranch_execz .LBB114_438
; %bb.437:                              ;   in Loop: Header=BB114_434 Depth=1
	s_waitcnt vmcnt(0)
	v_cmp_lt_i16_e64 s[4:5], -1, v4
	v_cndmask_b32_e64 v13, v8, v9, s[4:5]
	v_lshlrev_b32_e32 v14, 16, v4
	v_xor_b32_sdwa v13, v13, v4 dst_sel:DWORD dst_unused:UNUSED_PAD src0_sel:DWORD src1_sel:WORD_0
	v_cmp_o_f32_e64 s[4:5], v14, v14
	v_cndmask_b32_e64 v13, v8, v13, s[4:5]
	v_cmp_gt_u32_e64 s[4:5], v13, v7
	v_cndmask_b32_e64 v14, 0, 1, s[4:5]
	v_cmp_lt_u32_e64 s[4:5], v13, v7
	v_cndmask_b32_e64 v13, 0, 1, s[4:5]
	v_cndmask_b32_e64 v13, v13, v14, s[42:43]
	v_and_b32_e32 v13, 1, v13
	v_cmp_eq_u32_e64 s[4:5], 1, v13
	s_and_b64 s[24:25], s[4:5], exec
.LBB114_438:                            ;   in Loop: Header=BB114_434 Depth=1
	s_or_b64 exec, exec, s[2:3]
	v_cndmask_b32_e64 v13, 0, 1, s[24:25]
	v_cmp_ne_u32_e64 s[4:5], 0, v13
	s_cmp_lg_u64 s[4:5], 0
	s_cselect_b64 s[2:3], -1, 0
	s_and_b64 s[6:7], s[0:1], s[2:3]
	s_and_saveexec_b64 s[2:3], s[6:7]
	s_cbranch_execz .LBB114_442
; %bb.439:                              ;   in Loop: Header=BB114_434 Depth=1
	s_mov_b64 s[28:29], exec
	s_waitcnt lgkmcnt(0)
	v_mbcnt_lo_u32_b32 v11, s28, 0
	v_mbcnt_hi_u32_b32 v11, s29, v11
	s_bcnt1_i32_b64 s41, s[4:5]
	v_cmp_eq_u32_e64 s[6:7], 0, v11
                                        ; implicit-def: $vgpr13
	s_and_saveexec_b64 s[26:27], s[6:7]
; %bb.440:                              ;   in Loop: Header=BB114_434 Depth=1
	s_bcnt1_i32_b64 s6, s[28:29]
	s_mul_i32 s6, s41, s6
	v_mov_b32_e32 v13, s6
	ds_add_rtn_u32 v13, v2, v13 offset:4108
; %bb.441:                              ;   in Loop: Header=BB114_434 Depth=1
	s_or_b64 exec, exec, s[26:27]
	s_waitcnt lgkmcnt(0)
	v_readfirstlane_b32 s6, v13
	v_mov_b32_e32 v13, s6
	v_mad_u32_u24 v11, s41, v11, v13
.LBB114_442:                            ;   in Loop: Header=BB114_434 Depth=1
	s_or_b64 exec, exec, s[2:3]
	s_waitcnt lgkmcnt(0)
	ds_bpermute_b32 v11, v20, v11
	s_mov_b64 s[2:3], -1
	s_mov_b64 s[26:27], -1
	s_and_saveexec_b64 s[6:7], s[24:25]
	s_cbranch_execz .LBB114_446
; %bb.443:                              ;   in Loop: Header=BB114_434 Depth=1
	v_and_b32_e32 v14, s4, v22
	v_and_b32_e32 v13, s5, v21
	v_bcnt_u32_b32 v14, v14, 0
	v_bcnt_u32_b32 v13, v13, v14
	s_waitcnt lgkmcnt(0)
	v_add_u32_e32 v13, v11, v13
	v_cmp_gt_u32_e64 s[4:5], s37, v13
	s_mov_b64 s[24:25], 0
	s_and_saveexec_b64 s[26:27], s[4:5]
	s_cbranch_execz .LBB114_445
; %bb.444:                              ;   in Loop: Header=BB114_434 Depth=1
	v_mul_lo_u32 v14, v13, s39
	v_mov_b32_e32 v15, v2
	v_mul_lo_u32 v13, v13, s40
	v_mov_b32_e32 v16, s34
	v_lshlrev_b64 v[14:15], 1, v[14:15]
	s_mov_b64 s[24:25], exec
	v_add_co_u32_e64 v14, s[4:5], s31, v14
	v_addc_co_u32_e64 v15, s[4:5], v16, v15, s[4:5]
	s_waitcnt vmcnt(0)
	global_store_short v[14:15], v4, off
	v_mov_b32_e32 v14, v2
	v_lshlrev_b64 v[13:14], 3, v[13:14]
	v_mov_b32_e32 v15, s38
	v_add_co_u32_e64 v13, s[4:5], s35, v13
	v_mov_b32_e32 v4, v2
	v_addc_co_u32_e64 v14, s[4:5], v15, v14, s[4:5]
	global_store_dwordx2 v[13:14], v[3:4], off
.LBB114_445:                            ;   in Loop: Header=BB114_434 Depth=1
	s_or_b64 exec, exec, s[26:27]
	s_orn2_b64 s[26:27], s[24:25], exec
.LBB114_446:                            ;   in Loop: Header=BB114_434 Depth=1
	s_or_b64 exec, exec, s[6:7]
	s_mov_b64 s[6:7], -1
	s_and_saveexec_b64 s[24:25], s[26:27]
	s_cbranch_execz .LBB114_433
; %bb.447:                              ;   in Loop: Header=BB114_434 Depth=1
	v_cmp_le_u32_e64 s[4:5], s30, v10
	v_add_u32_e32 v1, s62, v1
	s_xor_b64 s[6:7], exec, -1
	s_orn2_b64 s[2:3], s[4:5], exec
	s_branch .LBB114_433
.LBB114_448:
	s_or_b64 exec, exec, s[20:21]
	s_mov_b64 s[4:5], exec
	s_orn2_b64 s[2:3], s[22:23], exec
	s_or_b64 exec, exec, s[18:19]
	s_and_saveexec_b64 s[6:7], s[2:3]
	s_cbranch_execz .LBB114_423
.LBB114_449:
	v_mov_b32_e32 v1, 0
	s_waitcnt vmcnt(0) lgkmcnt(0)
	s_barrier
	s_mov_b64 s[2:3], exec
	v_readlane_b32 s8, v53, 35
	v_readlane_b32 s9, v53, 36
	s_and_b64 s[8:9], s[2:3], s[8:9]
	s_mov_b64 exec, s[8:9]
	s_cbranch_execz .LBB114_451
; %bb.450:
	global_load_ushort v1, v[5:6], off
.LBB114_451:
	s_or_b64 exec, exec, s[2:3]
	s_mov_b64 s[2:3], 0
	s_and_saveexec_b64 s[8:9], vcc
	s_cbranch_execz .LBB114_473
; %bb.452:
	v_add_u32_e32 v2, s60, v0
	v_mul_lo_u32 v2, s61, v2
	s_mov_b64 s[18:19], 0
	v_mov_b32_e32 v3, 0
	v_mov_b32_e32 v4, 0xffff
	;; [unrolled: 1-line block ×3, first 2 shown]
                                        ; implicit-def: $sgpr20_sgpr21
                                        ; implicit-def: $vgpr8
	s_branch .LBB114_455
.LBB114_453:                            ;   in Loop: Header=BB114_455 Depth=1
	s_or_b64 exec, exec, s[24:25]
	s_orn2_b64 s[26:27], s[28:29], exec
	s_orn2_b64 s[24:25], s[22:23], exec
.LBB114_454:                            ;   in Loop: Header=BB114_455 Depth=1
	s_or_b64 exec, exec, s[2:3]
	s_xor_b64 s[2:3], s[26:27], -1
	s_and_b64 s[22:23], exec, s[24:25]
	s_or_b64 s[18:19], s[22:23], s[18:19]
	s_andn2_b64 s[20:21], s[20:21], exec
	s_and_b64 s[2:3], s[2:3], exec
	s_or_b64 s[20:21], s[20:21], s[2:3]
	v_mov_b32_e32 v0, v6
	s_waitcnt vmcnt(0)
	v_mov_b32_e32 v1, v9
	s_andn2_b64 exec, exec, s[18:19]
	s_cbranch_execz .LBB114_471
.LBB114_455:                            ; =>This Inner Loop Header: Depth=1
	v_add_u32_e32 v6, s60, v0
	v_cmp_gt_u32_e32 vcc, s36, v6
	v_mov_b32_e32 v9, 0
	s_and_saveexec_b64 s[2:3], vcc
	s_cbranch_execz .LBB114_457
; %bb.456:                              ;   in Loop: Header=BB114_455 Depth=1
	v_lshlrev_b64 v[9:10], 1, v[2:3]
	v_mov_b32_e32 v11, s56
	v_add_co_u32_e32 v9, vcc, s33, v9
	v_addc_co_u32_e32 v10, vcc, v11, v10, vcc
	global_load_ushort v9, v[9:10], off
.LBB114_457:                            ;   in Loop: Header=BB114_455 Depth=1
	s_or_b64 exec, exec, s[2:3]
	v_cmp_gt_u32_e32 vcc, s36, v0
	s_mov_b64 s[22:23], 0
	s_and_saveexec_b64 s[2:3], vcc
	s_cbranch_execz .LBB114_459
; %bb.458:                              ;   in Loop: Header=BB114_455 Depth=1
	s_waitcnt vmcnt(0)
	v_cmp_lt_i16_e32 vcc, -1, v1
	v_cndmask_b32_e32 v10, v4, v5, vcc
	v_lshlrev_b32_e32 v11, 16, v1
	v_xor_b32_sdwa v10, v10, v1 dst_sel:DWORD dst_unused:UNUSED_PAD src0_sel:DWORD src1_sel:WORD_0
	v_cmp_o_f32_e32 vcc, v11, v11
	v_cndmask_b32_e32 v10, v4, v10, vcc
	v_cmp_eq_u32_e32 vcc, v10, v7
	s_and_b64 s[22:23], vcc, exec
.LBB114_459:                            ;   in Loop: Header=BB114_455 Depth=1
	s_or_b64 exec, exec, s[2:3]
	v_cndmask_b32_e64 v10, 0, 1, s[22:23]
	v_cmp_ne_u32_e32 vcc, 0, v10
	s_cmp_lg_u64 vcc, 0
	s_cselect_b64 s[2:3], -1, 0
	s_and_b64 s[2:3], s[0:1], s[2:3]
	s_and_saveexec_b64 s[24:25], s[2:3]
	s_cbranch_execz .LBB114_463
; %bb.460:                              ;   in Loop: Header=BB114_455 Depth=1
	s_mov_b64 s[28:29], exec
	v_mbcnt_lo_u32_b32 v8, s28, 0
	v_mbcnt_hi_u32_b32 v8, s29, v8
	s_bcnt1_i32_b64 s41, vcc
	v_cmp_eq_u32_e64 s[2:3], 0, v8
                                        ; implicit-def: $vgpr10
	s_and_saveexec_b64 s[26:27], s[2:3]
; %bb.461:                              ;   in Loop: Header=BB114_455 Depth=1
	s_bcnt1_i32_b64 s2, s[28:29]
	s_mul_i32 s2, s41, s2
	v_mov_b32_e32 v10, s2
	ds_add_rtn_u32 v10, v3, v10 offset:4108
; %bb.462:                              ;   in Loop: Header=BB114_455 Depth=1
	s_or_b64 exec, exec, s[26:27]
	s_waitcnt lgkmcnt(0)
	v_readfirstlane_b32 s2, v10
	v_mov_b32_e32 v10, s2
	v_mad_u32_u24 v8, s41, v8, v10
.LBB114_463:                            ;   in Loop: Header=BB114_455 Depth=1
	s_or_b64 exec, exec, s[24:25]
	ds_bpermute_b32 v8, v20, v8
	s_cmp_eq_u64 vcc, 0
	s_cselect_b64 s[26:27], -1, 0
	s_mov_b64 s[24:25], -1
	s_waitcnt lgkmcnt(0)
	v_cmp_gt_u32_e64 s[2:3], s37, v8
	s_or_b64 s[28:29], s[26:27], s[2:3]
	s_mov_b64 s[26:27], -1
	s_and_saveexec_b64 s[2:3], s[28:29]
	s_cbranch_execz .LBB114_454
; %bb.464:                              ;   in Loop: Header=BB114_455 Depth=1
	v_and_b32_e32 v11, vcc_lo, v22
	v_and_b32_e32 v10, vcc_hi, v21
	v_bcnt_u32_b32 v11, v11, 0
	v_bcnt_u32_b32 v10, v10, v11
	v_sub_u32_e32 v11, s37, v8
	v_cmp_gt_u32_e32 vcc, v11, v10
	s_and_b64 s[42:43], s[22:23], vcc
	s_mov_b64 s[22:23], -1
	s_mov_b64 s[28:29], -1
	s_and_saveexec_b64 s[24:25], s[42:43]
	s_cbranch_execz .LBB114_468
; %bb.465:                              ;   in Loop: Header=BB114_455 Depth=1
	v_add_u32_e32 v10, v8, v10
	v_cmp_gt_u32_e32 vcc, s37, v10
	s_mov_b64 s[26:27], 0
	s_and_saveexec_b64 s[28:29], vcc
	s_cbranch_execz .LBB114_467
; %bb.466:                              ;   in Loop: Header=BB114_455 Depth=1
	v_mul_lo_u32 v11, v10, s39
	v_mov_b32_e32 v12, v3
	v_mul_lo_u32 v10, v10, s40
	v_mov_b32_e32 v13, s34
	v_lshlrev_b64 v[11:12], 1, v[11:12]
	s_mov_b64 s[26:27], exec
	v_add_co_u32_e32 v11, vcc, s31, v11
	v_addc_co_u32_e32 v12, vcc, v13, v12, vcc
	s_waitcnt vmcnt(0)
	global_store_short v[11:12], v1, off
	v_mov_b32_e32 v11, v3
	v_lshlrev_b64 v[10:11], 3, v[10:11]
	v_mov_b32_e32 v12, s38
	v_add_co_u32_e32 v10, vcc, s35, v10
	v_mov_b32_e32 v1, v3
	v_addc_co_u32_e32 v11, vcc, v12, v11, vcc
	global_store_dwordx2 v[10:11], v[0:1], off
.LBB114_467:                            ;   in Loop: Header=BB114_455 Depth=1
	s_or_b64 exec, exec, s[28:29]
	s_xor_b64 s[28:29], exec, -1
	s_orn2_b64 s[26:27], s[26:27], exec
.LBB114_468:                            ;   in Loop: Header=BB114_455 Depth=1
	s_or_b64 exec, exec, s[24:25]
	s_and_saveexec_b64 s[24:25], s[26:27]
	s_cbranch_execz .LBB114_453
; %bb.469:                              ;   in Loop: Header=BB114_455 Depth=1
	v_cmp_le_u32_e32 vcc, s30, v6
	v_add_u32_e32 v2, s62, v2
	s_or_b64 s[28:29], s[28:29], exec
	s_orn2_b64 s[22:23], vcc, exec
	s_branch .LBB114_453
.LBB114_470:
	s_or_b64 s[14:15], s[14:15], exec
	s_trap 2
	s_branch .LBB114_430
.LBB114_471:
	s_or_b64 exec, exec, s[18:19]
	s_mov_b64 s[0:1], 0
	s_and_saveexec_b64 s[2:3], s[20:21]
	s_xor_b64 s[2:3], exec, s[2:3]
	s_cbranch_execnz .LBB114_477
.LBB114_472:
	s_or_b64 exec, exec, s[2:3]
	s_and_b64 s[2:3], s[0:1], exec
.LBB114_473:
	s_or_b64 exec, exec, s[8:9]
	s_and_b64 s[8:9], s[2:3], exec
	s_andn2_b64 s[4:5], s[4:5], exec
	s_or_b64 exec, exec, s[6:7]
	s_and_saveexec_b64 s[0:1], s[4:5]
	s_xor_b64 s[0:1], exec, s[0:1]
	s_cbranch_execz .LBB114_424
.LBB114_474:
	s_trap 2
	s_or_b64 s[8:9], s[8:9], exec
	s_branch .LBB114_424
.LBB114_475:
	s_or_b64 s[16:17], s[16:17], exec
	s_trap 2
	s_branch .LBB114_428
.LBB114_476:
	s_trap 2
	s_or_b64 s[18:19], s[18:19], exec
	s_branch .LBB114_426
.LBB114_477:
	s_mov_b64 s[0:1], exec
	s_trap 2
	s_branch .LBB114_472
	.section	.rodata,"a",@progbits
	.p2align	6, 0x0
	.amdhsa_kernel _ZN2at6native6sbtopk10gatherTopKIN3c108BFloat16EjLi3ELb0EEEvNS_4cuda6detail10TensorInfoIKT_T0_EESA_SA_bSA_SA_NS7_IS8_SA_EESA_NS7_IlSA_EESA_PS8_
		.amdhsa_group_segment_fixed_size 4112
		.amdhsa_private_segment_fixed_size 0
		.amdhsa_kernarg_size 952
		.amdhsa_user_sgpr_count 6
		.amdhsa_user_sgpr_private_segment_buffer 1
		.amdhsa_user_sgpr_dispatch_ptr 0
		.amdhsa_user_sgpr_queue_ptr 0
		.amdhsa_user_sgpr_kernarg_segment_ptr 1
		.amdhsa_user_sgpr_dispatch_id 0
		.amdhsa_user_sgpr_flat_scratch_init 0
		.amdhsa_user_sgpr_private_segment_size 0
		.amdhsa_uses_dynamic_stack 0
		.amdhsa_system_sgpr_private_segment_wavefront_offset 0
		.amdhsa_system_sgpr_workgroup_id_x 1
		.amdhsa_system_sgpr_workgroup_id_y 1
		.amdhsa_system_sgpr_workgroup_id_z 1
		.amdhsa_system_sgpr_workgroup_info 0
		.amdhsa_system_vgpr_workitem_id 0
		.amdhsa_next_free_vgpr 54
		.amdhsa_next_free_sgpr 96
		.amdhsa_reserve_vcc 1
		.amdhsa_reserve_flat_scratch 0
		.amdhsa_float_round_mode_32 0
		.amdhsa_float_round_mode_16_64 0
		.amdhsa_float_denorm_mode_32 3
		.amdhsa_float_denorm_mode_16_64 3
		.amdhsa_dx10_clamp 1
		.amdhsa_ieee_mode 1
		.amdhsa_fp16_overflow 0
		.amdhsa_exception_fp_ieee_invalid_op 0
		.amdhsa_exception_fp_denorm_src 0
		.amdhsa_exception_fp_ieee_div_zero 0
		.amdhsa_exception_fp_ieee_overflow 0
		.amdhsa_exception_fp_ieee_underflow 0
		.amdhsa_exception_fp_ieee_inexact 0
		.amdhsa_exception_int_div_zero 0
	.end_amdhsa_kernel
	.section	.text._ZN2at6native6sbtopk10gatherTopKIN3c108BFloat16EjLi3ELb0EEEvNS_4cuda6detail10TensorInfoIKT_T0_EESA_SA_bSA_SA_NS7_IS8_SA_EESA_NS7_IlSA_EESA_PS8_,"axG",@progbits,_ZN2at6native6sbtopk10gatherTopKIN3c108BFloat16EjLi3ELb0EEEvNS_4cuda6detail10TensorInfoIKT_T0_EESA_SA_bSA_SA_NS7_IS8_SA_EESA_NS7_IlSA_EESA_PS8_,comdat
.Lfunc_end114:
	.size	_ZN2at6native6sbtopk10gatherTopKIN3c108BFloat16EjLi3ELb0EEEvNS_4cuda6detail10TensorInfoIKT_T0_EESA_SA_bSA_SA_NS7_IS8_SA_EESA_NS7_IlSA_EESA_PS8_, .Lfunc_end114-_ZN2at6native6sbtopk10gatherTopKIN3c108BFloat16EjLi3ELb0EEEvNS_4cuda6detail10TensorInfoIKT_T0_EESA_SA_bSA_SA_NS7_IS8_SA_EESA_NS7_IlSA_EESA_PS8_
                                        ; -- End function
	.set _ZN2at6native6sbtopk10gatherTopKIN3c108BFloat16EjLi3ELb0EEEvNS_4cuda6detail10TensorInfoIKT_T0_EESA_SA_bSA_SA_NS7_IS8_SA_EESA_NS7_IlSA_EESA_PS8_.num_vgpr, 54
	.set _ZN2at6native6sbtopk10gatherTopKIN3c108BFloat16EjLi3ELb0EEEvNS_4cuda6detail10TensorInfoIKT_T0_EESA_SA_bSA_SA_NS7_IS8_SA_EESA_NS7_IlSA_EESA_PS8_.num_agpr, 0
	.set _ZN2at6native6sbtopk10gatherTopKIN3c108BFloat16EjLi3ELb0EEEvNS_4cuda6detail10TensorInfoIKT_T0_EESA_SA_bSA_SA_NS7_IS8_SA_EESA_NS7_IlSA_EESA_PS8_.numbered_sgpr, 96
	.set _ZN2at6native6sbtopk10gatherTopKIN3c108BFloat16EjLi3ELb0EEEvNS_4cuda6detail10TensorInfoIKT_T0_EESA_SA_bSA_SA_NS7_IS8_SA_EESA_NS7_IlSA_EESA_PS8_.num_named_barrier, 0
	.set _ZN2at6native6sbtopk10gatherTopKIN3c108BFloat16EjLi3ELb0EEEvNS_4cuda6detail10TensorInfoIKT_T0_EESA_SA_bSA_SA_NS7_IS8_SA_EESA_NS7_IlSA_EESA_PS8_.private_seg_size, 0
	.set _ZN2at6native6sbtopk10gatherTopKIN3c108BFloat16EjLi3ELb0EEEvNS_4cuda6detail10TensorInfoIKT_T0_EESA_SA_bSA_SA_NS7_IS8_SA_EESA_NS7_IlSA_EESA_PS8_.uses_vcc, 1
	.set _ZN2at6native6sbtopk10gatherTopKIN3c108BFloat16EjLi3ELb0EEEvNS_4cuda6detail10TensorInfoIKT_T0_EESA_SA_bSA_SA_NS7_IS8_SA_EESA_NS7_IlSA_EESA_PS8_.uses_flat_scratch, 0
	.set _ZN2at6native6sbtopk10gatherTopKIN3c108BFloat16EjLi3ELb0EEEvNS_4cuda6detail10TensorInfoIKT_T0_EESA_SA_bSA_SA_NS7_IS8_SA_EESA_NS7_IlSA_EESA_PS8_.has_dyn_sized_stack, 0
	.set _ZN2at6native6sbtopk10gatherTopKIN3c108BFloat16EjLi3ELb0EEEvNS_4cuda6detail10TensorInfoIKT_T0_EESA_SA_bSA_SA_NS7_IS8_SA_EESA_NS7_IlSA_EESA_PS8_.has_recursion, 0
	.set _ZN2at6native6sbtopk10gatherTopKIN3c108BFloat16EjLi3ELb0EEEvNS_4cuda6detail10TensorInfoIKT_T0_EESA_SA_bSA_SA_NS7_IS8_SA_EESA_NS7_IlSA_EESA_PS8_.has_indirect_call, 0
	.section	.AMDGPU.csdata,"",@progbits
; Kernel info:
; codeLenInByte = 17828
; TotalNumSgprs: 100
; NumVgprs: 54
; ScratchSize: 0
; MemoryBound: 0
; FloatMode: 240
; IeeeMode: 1
; LDSByteSize: 4112 bytes/workgroup (compile time only)
; SGPRBlocks: 12
; VGPRBlocks: 13
; NumSGPRsForWavesPerEU: 100
; NumVGPRsForWavesPerEU: 54
; Occupancy: 4
; WaveLimiterHint : 1
; COMPUTE_PGM_RSRC2:SCRATCH_EN: 0
; COMPUTE_PGM_RSRC2:USER_SGPR: 6
; COMPUTE_PGM_RSRC2:TRAP_HANDLER: 0
; COMPUTE_PGM_RSRC2:TGID_X_EN: 1
; COMPUTE_PGM_RSRC2:TGID_Y_EN: 1
; COMPUTE_PGM_RSRC2:TGID_Z_EN: 1
; COMPUTE_PGM_RSRC2:TIDIG_COMP_CNT: 0
	.section	.text._ZN2at6native6mbtopk23computeBlockDigitCountsIN3c108BFloat16EjjLin1EEEvNS_4cuda6detail10TensorInfoIKT_T0_EEjPjjSA_iijT1_PSD_Ps,"axG",@progbits,_ZN2at6native6mbtopk23computeBlockDigitCountsIN3c108BFloat16EjjLin1EEEvNS_4cuda6detail10TensorInfoIKT_T0_EEjPjjSA_iijT1_PSD_Ps,comdat
	.protected	_ZN2at6native6mbtopk23computeBlockDigitCountsIN3c108BFloat16EjjLin1EEEvNS_4cuda6detail10TensorInfoIKT_T0_EEjPjjSA_iijT1_PSD_Ps ; -- Begin function _ZN2at6native6mbtopk23computeBlockDigitCountsIN3c108BFloat16EjjLin1EEEvNS_4cuda6detail10TensorInfoIKT_T0_EEjPjjSA_iijT1_PSD_Ps
	.globl	_ZN2at6native6mbtopk23computeBlockDigitCountsIN3c108BFloat16EjjLin1EEEvNS_4cuda6detail10TensorInfoIKT_T0_EEjPjjSA_iijT1_PSD_Ps
	.p2align	8
	.type	_ZN2at6native6mbtopk23computeBlockDigitCountsIN3c108BFloat16EjjLin1EEEvNS_4cuda6detail10TensorInfoIKT_T0_EEjPjjSA_iijT1_PSD_Ps,@function
_ZN2at6native6mbtopk23computeBlockDigitCountsIN3c108BFloat16EjjLin1EEEvNS_4cuda6detail10TensorInfoIKT_T0_EEjPjjSA_iijT1_PSD_Ps: ; @_ZN2at6native6mbtopk23computeBlockDigitCountsIN3c108BFloat16EjjLin1EEEvNS_4cuda6detail10TensorInfoIKT_T0_EEjPjjSA_iijT1_PSD_Ps
; %bb.0:
	s_load_dwordx2 s[10:11], s[4:5], 0xf8
	s_load_dwordx4 s[12:15], s[4:5], 0xe8
	s_load_dwordx2 s[0:1], s[4:5], 0x110
	s_mov_b32 s9, 0
	s_waitcnt lgkmcnt(0)
	v_cvt_f32_u32_e32 v1, s10
	s_sub_i32 s2, 0, s10
	s_mul_i32 s1, s1, s8
	s_add_i32 s1, s1, s7
	v_rcp_iflag_f32_e32 v1, v1
	s_mul_i32 s16, s1, s0
	s_add_i32 s16, s16, s6
	v_mul_f32_e32 v1, 0x4f7ffffe, v1
	v_cvt_u32_f32_e32 v1, v1
	v_readfirstlane_b32 s0, v1
	s_mul_i32 s2, s2, s0
	s_mul_hi_u32 s1, s0, s2
	s_add_i32 s0, s0, s1
	s_mul_hi_u32 s0, s16, s0
	s_mul_i32 s1, s0, s10
	s_sub_i32 s1, s16, s1
	s_add_i32 s2, s0, 1
	s_sub_i32 s3, s1, s10
	s_cmp_ge_u32 s1, s10
	s_cselect_b32 s0, s2, s0
	s_cselect_b32 s1, s3, s1
	s_add_i32 s2, s0, 1
	s_cmp_ge_u32 s1, s10
	s_cselect_b32 s8, s2, s0
	s_cmp_ge_u32 s8, s12
	s_cbranch_scc1 .LBB115_30
; %bb.1:
	s_load_dwordx4 s[0:3], s[4:5], 0x100
	s_load_dword s6, s[4:5], 0xd0
	s_lshl_b64 s[18:19], s[8:9], 2
	s_waitcnt lgkmcnt(0)
	s_add_u32 s0, s0, s18
	s_addc_u32 s1, s1, s19
	s_cmp_lt_i32 s6, 2
	s_mov_b32 s19, s8
	s_cbranch_scc1 .LBB115_4
; %bb.2:
	s_add_i32 s20, s6, -1
	s_mov_b32 s21, 0
	s_add_i32 s12, s6, 1
	s_lshl_b64 s[6:7], s[20:21], 2
	s_add_u32 s6, s4, s6
	s_addc_u32 s7, s5, s7
	s_add_u32 s6, s6, 8
	s_addc_u32 s7, s7, 0
	s_mov_b32 s19, s8
	s_mov_b32 s9, s21
.LBB115_3:                              ; =>This Inner Loop Header: Depth=1
	s_load_dword s17, s[6:7], 0x0
	s_load_dword s20, s[6:7], 0x64
	s_mov_b32 s18, s19
	s_waitcnt lgkmcnt(0)
	v_cvt_f32_u32_e32 v1, s17
	s_sub_i32 s19, 0, s17
	v_rcp_iflag_f32_e32 v1, v1
	v_mul_f32_e32 v1, 0x4f7ffffe, v1
	v_cvt_u32_f32_e32 v1, v1
	v_readfirstlane_b32 s21, v1
	s_mul_i32 s19, s19, s21
	s_mul_hi_u32 s19, s21, s19
	s_add_i32 s21, s21, s19
	s_mul_hi_u32 s19, s18, s21
	s_mul_i32 s21, s19, s17
	s_sub_i32 s21, s18, s21
	s_add_i32 s22, s19, 1
	s_sub_i32 s23, s21, s17
	s_cmp_ge_u32 s21, s17
	s_cselect_b32 s19, s22, s19
	s_cselect_b32 s21, s23, s21
	s_add_i32 s22, s19, 1
	s_cmp_ge_u32 s21, s17
	s_cselect_b32 s19, s22, s19
	s_mul_i32 s17, s19, s17
	s_sub_i32 s17, s18, s17
	s_mul_i32 s17, s20, s17
	s_add_i32 s12, s12, -1
	s_add_i32 s9, s17, s9
	s_add_u32 s6, s6, -4
	s_addc_u32 s7, s7, -1
	s_cmp_gt_u32 s12, 2
	s_cbranch_scc1 .LBB115_3
.LBB115_4:
	s_load_dword s12, s[0:1], 0x0
	s_movk_i32 s0, 0x100
	v_cmp_gt_u32_e32 vcc, s0, v0
	v_lshlrev_b32_e32 v3, 2, v0
	s_and_saveexec_b64 s[0:1], vcc
; %bb.5:
	v_mov_b32_e32 v1, 0
	ds_write_b32 v3, v1
; %bb.6:
	s_or_b64 exec, exec, s[0:1]
	s_load_dword s17, s[4:5], 0xd8
	s_mul_i32 s0, s8, s10
	s_sub_i32 s0, s16, s0
	s_add_i32 s6, s0, 1
	s_mul_i32 s0, s15, s0
	s_lshl_b32 s18, s0, 8
	s_waitcnt lgkmcnt(0)
	s_sub_i32 s0, s17, s18
	s_add_u32 s0, s0, 0xff
	s_addc_u32 s1, 0, 0
	s_lshr_b64 s[0:1], s[0:1], 8
	s_cmp_lt_u32 s6, s10
	s_cselect_b32 s10, s15, s0
	s_cmp_lt_i32 s10, 1
	s_mov_b32 s7, 0
	s_barrier
	s_cbranch_scc1 .LBB115_28
; %bb.7:
	s_load_dword s6, s[4:5], 0x6c
	s_load_dwordx2 s[0:1], s[4:5], 0x0
	s_waitcnt lgkmcnt(0)
	s_mul_i32 s4, s6, s19
	s_add_i32 s6, s4, s9
	s_lshl_b64 s[4:5], s[6:7], 1
	s_add_u32 s6, s0, s4
	s_addc_u32 s8, s1, s5
	s_and_b32 s9, s14, 0xff
	s_cmp_lt_u32 s10, 4
	s_cbranch_scc1 .LBB115_22
; %bb.8:
	v_add_u32_e32 v1, s18, v0
	v_add_u32_e32 v2, 0x200, v1
	;; [unrolled: 1-line block ×3, first 2 shown]
	v_mul_lo_u32 v6, s13, v2
	v_add_u32_e32 v2, 0x100, v1
	v_mul_lo_u32 v5, s13, v4
	v_mul_lo_u32 v7, s13, v2
	v_mul_lo_u32 v8, s13, v1
	s_and_b32 s7, s10, 0x7ffffffc
	s_lshl_b32 s14, s13, 10
	s_mov_b32 s15, 0
	v_mov_b32_e32 v2, 0
	v_mov_b32_e32 v9, 1
	v_mov_b32_e32 v10, 0xffff
	v_mov_b32_e32 v11, 0x8000
	s_mov_b32 s19, 0
	s_branch .LBB115_10
.LBB115_9:                              ;   in Loop: Header=BB115_10 Depth=1
	s_or_b64 exec, exec, s[4:5]
	s_add_i32 s19, s19, 4
	s_add_i32 s15, s15, s14
	s_cmp_eq_u32 s7, s19
	v_add_u32_e32 v4, 0x400, v4
	s_cbranch_scc1 .LBB115_22
.LBB115_10:                             ; =>This Inner Loop Header: Depth=1
	v_add_u32_e32 v1, 0xfffffd00, v4
	v_cmp_gt_u32_e64 s[0:1], s17, v1
	s_and_saveexec_b64 s[4:5], s[0:1]
	s_cbranch_execz .LBB115_13
; %bb.11:                               ;   in Loop: Header=BB115_10 Depth=1
	v_add_u32_e32 v1, s15, v8
	v_lshlrev_b64 v[12:13], 1, v[1:2]
	v_mov_b32_e32 v1, s8
	v_add_co_u32_e64 v12, s[0:1], s6, v12
	v_addc_co_u32_e64 v13, s[0:1], v1, v13, s[0:1]
	global_load_ushort v1, v[12:13], off
	s_waitcnt vmcnt(0)
	v_cmp_lt_i16_e64 s[0:1], -1, v1
	v_cndmask_b32_e64 v12, v10, v11, s[0:1]
	v_lshlrev_b32_e32 v13, 16, v1
	v_xor_b32_sdwa v1, v12, v1 dst_sel:DWORD dst_unused:UNUSED_PAD src0_sel:DWORD src1_sel:WORD_0
	v_cmp_o_f32_e64 s[0:1], v13, v13
	v_cndmask_b32_e64 v1, v10, v1, s[0:1]
	v_xor_b32_e32 v12, s12, v1
	v_and_b32_e32 v12, s11, v12
	v_cmp_eq_u32_e64 s[0:1], 0, v12
	s_and_b64 exec, exec, s[0:1]
; %bb.12:                               ;   in Loop: Header=BB115_10 Depth=1
	v_bfe_u32 v1, v1, s9, 8
	v_lshlrev_b32_e32 v1, 2, v1
	ds_add_u32 v1, v9
.LBB115_13:                             ;   in Loop: Header=BB115_10 Depth=1
	s_or_b64 exec, exec, s[4:5]
	v_add_u32_e32 v1, 0xfffffe00, v4
	v_cmp_gt_u32_e64 s[0:1], s17, v1
	s_and_saveexec_b64 s[4:5], s[0:1]
	s_cbranch_execz .LBB115_16
; %bb.14:                               ;   in Loop: Header=BB115_10 Depth=1
	v_add_u32_e32 v1, s15, v7
	v_lshlrev_b64 v[12:13], 1, v[1:2]
	v_mov_b32_e32 v1, s8
	v_add_co_u32_e64 v12, s[0:1], s6, v12
	v_addc_co_u32_e64 v13, s[0:1], v1, v13, s[0:1]
	global_load_ushort v1, v[12:13], off
	s_waitcnt vmcnt(0)
	v_cmp_lt_i16_e64 s[0:1], -1, v1
	v_cndmask_b32_e64 v12, v10, v11, s[0:1]
	v_lshlrev_b32_e32 v13, 16, v1
	v_xor_b32_sdwa v1, v12, v1 dst_sel:DWORD dst_unused:UNUSED_PAD src0_sel:DWORD src1_sel:WORD_0
	v_cmp_o_f32_e64 s[0:1], v13, v13
	v_cndmask_b32_e64 v1, v10, v1, s[0:1]
	v_xor_b32_e32 v12, s12, v1
	v_and_b32_e32 v12, s11, v12
	v_cmp_eq_u32_e64 s[0:1], 0, v12
	s_and_b64 exec, exec, s[0:1]
; %bb.15:                               ;   in Loop: Header=BB115_10 Depth=1
	v_bfe_u32 v1, v1, s9, 8
	v_lshlrev_b32_e32 v1, 2, v1
	ds_add_u32 v1, v9
.LBB115_16:                             ;   in Loop: Header=BB115_10 Depth=1
	s_or_b64 exec, exec, s[4:5]
	v_add_u32_e32 v1, 0xffffff00, v4
	v_cmp_gt_u32_e64 s[0:1], s17, v1
	s_and_saveexec_b64 s[4:5], s[0:1]
	s_cbranch_execz .LBB115_19
; %bb.17:                               ;   in Loop: Header=BB115_10 Depth=1
	v_add_u32_e32 v1, s15, v6
	v_lshlrev_b64 v[12:13], 1, v[1:2]
	v_mov_b32_e32 v1, s8
	v_add_co_u32_e64 v12, s[0:1], s6, v12
	v_addc_co_u32_e64 v13, s[0:1], v1, v13, s[0:1]
	global_load_ushort v1, v[12:13], off
	s_waitcnt vmcnt(0)
	v_cmp_lt_i16_e64 s[0:1], -1, v1
	v_cndmask_b32_e64 v12, v10, v11, s[0:1]
	v_lshlrev_b32_e32 v13, 16, v1
	v_xor_b32_sdwa v1, v12, v1 dst_sel:DWORD dst_unused:UNUSED_PAD src0_sel:DWORD src1_sel:WORD_0
	v_cmp_o_f32_e64 s[0:1], v13, v13
	v_cndmask_b32_e64 v1, v10, v1, s[0:1]
	v_xor_b32_e32 v12, s12, v1
	v_and_b32_e32 v12, s11, v12
	v_cmp_eq_u32_e64 s[0:1], 0, v12
	s_and_b64 exec, exec, s[0:1]
; %bb.18:                               ;   in Loop: Header=BB115_10 Depth=1
	v_bfe_u32 v1, v1, s9, 8
	v_lshlrev_b32_e32 v1, 2, v1
	ds_add_u32 v1, v9
.LBB115_19:                             ;   in Loop: Header=BB115_10 Depth=1
	s_or_b64 exec, exec, s[4:5]
	v_cmp_gt_u32_e64 s[0:1], s17, v4
	s_and_saveexec_b64 s[4:5], s[0:1]
	s_cbranch_execz .LBB115_9
; %bb.20:                               ;   in Loop: Header=BB115_10 Depth=1
	v_add_u32_e32 v1, s15, v5
	v_lshlrev_b64 v[12:13], 1, v[1:2]
	v_mov_b32_e32 v1, s8
	v_add_co_u32_e64 v12, s[0:1], s6, v12
	v_addc_co_u32_e64 v13, s[0:1], v1, v13, s[0:1]
	global_load_ushort v1, v[12:13], off
	s_waitcnt vmcnt(0)
	v_cmp_lt_i16_e64 s[0:1], -1, v1
	v_cndmask_b32_e64 v12, v10, v11, s[0:1]
	v_lshlrev_b32_e32 v13, 16, v1
	v_xor_b32_sdwa v1, v12, v1 dst_sel:DWORD dst_unused:UNUSED_PAD src0_sel:DWORD src1_sel:WORD_0
	v_cmp_o_f32_e64 s[0:1], v13, v13
	v_cndmask_b32_e64 v1, v10, v1, s[0:1]
	v_xor_b32_e32 v12, s12, v1
	v_and_b32_e32 v12, s11, v12
	v_cmp_eq_u32_e64 s[0:1], 0, v12
	s_and_b64 exec, exec, s[0:1]
	s_cbranch_execz .LBB115_9
; %bb.21:                               ;   in Loop: Header=BB115_10 Depth=1
	v_bfe_u32 v1, v1, s9, 8
	v_lshlrev_b32_e32 v1, 2, v1
	ds_add_u32 v1, v9
	s_branch .LBB115_9
.LBB115_22:
	s_and_b32 s10, s10, 3
	s_cmp_eq_u32 s10, 0
	s_cbranch_scc1 .LBB115_28
; %bb.23:
	s_lshl_b32 s0, s7, 8
	s_add_i32 s0, s0, s18
	v_add_u32_e32 v4, s0, v0
	v_mul_lo_u32 v1, s13, v4
	s_lshl_b32 s7, s13, 8
	v_mov_b32_e32 v2, 0
	v_mov_b32_e32 v5, 1
	;; [unrolled: 1-line block ×4, first 2 shown]
	s_branch .LBB115_25
.LBB115_24:                             ;   in Loop: Header=BB115_25 Depth=1
	s_or_b64 exec, exec, s[4:5]
	s_add_i32 s10, s10, -1
	v_add_u32_e32 v1, s7, v1
	s_cmp_lg_u32 s10, 0
	v_add_u32_e32 v4, 0x100, v4
	s_cbranch_scc0 .LBB115_28
.LBB115_25:                             ; =>This Inner Loop Header: Depth=1
	v_cmp_gt_u32_e64 s[0:1], s17, v4
	s_and_saveexec_b64 s[4:5], s[0:1]
	s_cbranch_execz .LBB115_24
; %bb.26:                               ;   in Loop: Header=BB115_25 Depth=1
	v_lshlrev_b64 v[8:9], 1, v[1:2]
	v_mov_b32_e32 v10, s8
	v_add_co_u32_e64 v8, s[0:1], s6, v8
	v_addc_co_u32_e64 v9, s[0:1], v10, v9, s[0:1]
	global_load_ushort v8, v[8:9], off
	s_waitcnt vmcnt(0)
	v_cmp_lt_i16_e64 s[0:1], -1, v8
	v_cndmask_b32_e64 v9, v6, v7, s[0:1]
	v_lshlrev_b32_e32 v10, 16, v8
	v_xor_b32_sdwa v8, v9, v8 dst_sel:DWORD dst_unused:UNUSED_PAD src0_sel:DWORD src1_sel:WORD_0
	v_cmp_o_f32_e64 s[0:1], v10, v10
	v_cndmask_b32_e64 v8, v6, v8, s[0:1]
	v_xor_b32_e32 v9, s12, v8
	v_and_b32_e32 v9, s11, v9
	v_cmp_eq_u32_e64 s[0:1], 0, v9
	s_and_b64 exec, exec, s[0:1]
	s_cbranch_execz .LBB115_24
; %bb.27:                               ;   in Loop: Header=BB115_25 Depth=1
	v_bfe_u32 v8, v8, s9, 8
	v_lshlrev_b32_e32 v8, 2, v8
	ds_add_u32 v8, v5
	s_branch .LBB115_24
.LBB115_28:
	s_waitcnt lgkmcnt(0)
	s_barrier
	s_and_saveexec_b64 s[0:1], vcc
	s_cbranch_execz .LBB115_30
; %bb.29:
	v_lshl_or_b32 v0, s16, 8, v0
	v_mov_b32_e32 v1, 0
	ds_read_b32 v3, v3
	v_lshlrev_b64 v[0:1], 1, v[0:1]
	v_mov_b32_e32 v2, s3
	v_add_co_u32_e32 v0, vcc, s2, v0
	v_addc_co_u32_e32 v1, vcc, v2, v1, vcc
	s_waitcnt lgkmcnt(0)
	global_store_short v[0:1], v3, off
.LBB115_30:
	s_endpgm
	.section	.rodata,"a",@progbits
	.p2align	6, 0x0
	.amdhsa_kernel _ZN2at6native6mbtopk23computeBlockDigitCountsIN3c108BFloat16EjjLin1EEEvNS_4cuda6detail10TensorInfoIKT_T0_EEjPjjSA_iijT1_PSD_Ps
		.amdhsa_group_segment_fixed_size 1024
		.amdhsa_private_segment_fixed_size 0
		.amdhsa_kernarg_size 528
		.amdhsa_user_sgpr_count 6
		.amdhsa_user_sgpr_private_segment_buffer 1
		.amdhsa_user_sgpr_dispatch_ptr 0
		.amdhsa_user_sgpr_queue_ptr 0
		.amdhsa_user_sgpr_kernarg_segment_ptr 1
		.amdhsa_user_sgpr_dispatch_id 0
		.amdhsa_user_sgpr_flat_scratch_init 0
		.amdhsa_user_sgpr_private_segment_size 0
		.amdhsa_uses_dynamic_stack 0
		.amdhsa_system_sgpr_private_segment_wavefront_offset 0
		.amdhsa_system_sgpr_workgroup_id_x 1
		.amdhsa_system_sgpr_workgroup_id_y 1
		.amdhsa_system_sgpr_workgroup_id_z 1
		.amdhsa_system_sgpr_workgroup_info 0
		.amdhsa_system_vgpr_workitem_id 0
		.amdhsa_next_free_vgpr 14
		.amdhsa_next_free_sgpr 24
		.amdhsa_reserve_vcc 1
		.amdhsa_reserve_flat_scratch 0
		.amdhsa_float_round_mode_32 0
		.amdhsa_float_round_mode_16_64 0
		.amdhsa_float_denorm_mode_32 3
		.amdhsa_float_denorm_mode_16_64 3
		.amdhsa_dx10_clamp 1
		.amdhsa_ieee_mode 1
		.amdhsa_fp16_overflow 0
		.amdhsa_exception_fp_ieee_invalid_op 0
		.amdhsa_exception_fp_denorm_src 0
		.amdhsa_exception_fp_ieee_div_zero 0
		.amdhsa_exception_fp_ieee_overflow 0
		.amdhsa_exception_fp_ieee_underflow 0
		.amdhsa_exception_fp_ieee_inexact 0
		.amdhsa_exception_int_div_zero 0
	.end_amdhsa_kernel
	.section	.text._ZN2at6native6mbtopk23computeBlockDigitCountsIN3c108BFloat16EjjLin1EEEvNS_4cuda6detail10TensorInfoIKT_T0_EEjPjjSA_iijT1_PSD_Ps,"axG",@progbits,_ZN2at6native6mbtopk23computeBlockDigitCountsIN3c108BFloat16EjjLin1EEEvNS_4cuda6detail10TensorInfoIKT_T0_EEjPjjSA_iijT1_PSD_Ps,comdat
.Lfunc_end115:
	.size	_ZN2at6native6mbtopk23computeBlockDigitCountsIN3c108BFloat16EjjLin1EEEvNS_4cuda6detail10TensorInfoIKT_T0_EEjPjjSA_iijT1_PSD_Ps, .Lfunc_end115-_ZN2at6native6mbtopk23computeBlockDigitCountsIN3c108BFloat16EjjLin1EEEvNS_4cuda6detail10TensorInfoIKT_T0_EEjPjjSA_iijT1_PSD_Ps
                                        ; -- End function
	.set _ZN2at6native6mbtopk23computeBlockDigitCountsIN3c108BFloat16EjjLin1EEEvNS_4cuda6detail10TensorInfoIKT_T0_EEjPjjSA_iijT1_PSD_Ps.num_vgpr, 14
	.set _ZN2at6native6mbtopk23computeBlockDigitCountsIN3c108BFloat16EjjLin1EEEvNS_4cuda6detail10TensorInfoIKT_T0_EEjPjjSA_iijT1_PSD_Ps.num_agpr, 0
	.set _ZN2at6native6mbtopk23computeBlockDigitCountsIN3c108BFloat16EjjLin1EEEvNS_4cuda6detail10TensorInfoIKT_T0_EEjPjjSA_iijT1_PSD_Ps.numbered_sgpr, 24
	.set _ZN2at6native6mbtopk23computeBlockDigitCountsIN3c108BFloat16EjjLin1EEEvNS_4cuda6detail10TensorInfoIKT_T0_EEjPjjSA_iijT1_PSD_Ps.num_named_barrier, 0
	.set _ZN2at6native6mbtopk23computeBlockDigitCountsIN3c108BFloat16EjjLin1EEEvNS_4cuda6detail10TensorInfoIKT_T0_EEjPjjSA_iijT1_PSD_Ps.private_seg_size, 0
	.set _ZN2at6native6mbtopk23computeBlockDigitCountsIN3c108BFloat16EjjLin1EEEvNS_4cuda6detail10TensorInfoIKT_T0_EEjPjjSA_iijT1_PSD_Ps.uses_vcc, 1
	.set _ZN2at6native6mbtopk23computeBlockDigitCountsIN3c108BFloat16EjjLin1EEEvNS_4cuda6detail10TensorInfoIKT_T0_EEjPjjSA_iijT1_PSD_Ps.uses_flat_scratch, 0
	.set _ZN2at6native6mbtopk23computeBlockDigitCountsIN3c108BFloat16EjjLin1EEEvNS_4cuda6detail10TensorInfoIKT_T0_EEjPjjSA_iijT1_PSD_Ps.has_dyn_sized_stack, 0
	.set _ZN2at6native6mbtopk23computeBlockDigitCountsIN3c108BFloat16EjjLin1EEEvNS_4cuda6detail10TensorInfoIKT_T0_EEjPjjSA_iijT1_PSD_Ps.has_recursion, 0
	.set _ZN2at6native6mbtopk23computeBlockDigitCountsIN3c108BFloat16EjjLin1EEEvNS_4cuda6detail10TensorInfoIKT_T0_EEjPjjSA_iijT1_PSD_Ps.has_indirect_call, 0
	.section	.AMDGPU.csdata,"",@progbits
; Kernel info:
; codeLenInByte = 1608
; TotalNumSgprs: 28
; NumVgprs: 14
; ScratchSize: 0
; MemoryBound: 0
; FloatMode: 240
; IeeeMode: 1
; LDSByteSize: 1024 bytes/workgroup (compile time only)
; SGPRBlocks: 3
; VGPRBlocks: 3
; NumSGPRsForWavesPerEU: 28
; NumVGPRsForWavesPerEU: 14
; Occupancy: 10
; WaveLimiterHint : 1
; COMPUTE_PGM_RSRC2:SCRATCH_EN: 0
; COMPUTE_PGM_RSRC2:USER_SGPR: 6
; COMPUTE_PGM_RSRC2:TRAP_HANDLER: 0
; COMPUTE_PGM_RSRC2:TGID_X_EN: 1
; COMPUTE_PGM_RSRC2:TGID_Y_EN: 1
; COMPUTE_PGM_RSRC2:TGID_Z_EN: 1
; COMPUTE_PGM_RSRC2:TIDIG_COMP_CNT: 0
	.section	.text._ZN2at6native6mbtopk10gatherTopKIN3c108BFloat16EjLin1EEEvNS_4cuda6detail10TensorInfoIKT_T0_EESA_SA_bjSA_NS7_IS8_SA_EESA_NS7_IlSA_EESA_jjPS8_PjSF_j,"axG",@progbits,_ZN2at6native6mbtopk10gatherTopKIN3c108BFloat16EjLin1EEEvNS_4cuda6detail10TensorInfoIKT_T0_EESA_SA_bjSA_NS7_IS8_SA_EESA_NS7_IlSA_EESA_jjPS8_PjSF_j,comdat
	.protected	_ZN2at6native6mbtopk10gatherTopKIN3c108BFloat16EjLin1EEEvNS_4cuda6detail10TensorInfoIKT_T0_EESA_SA_bjSA_NS7_IS8_SA_EESA_NS7_IlSA_EESA_jjPS8_PjSF_j ; -- Begin function _ZN2at6native6mbtopk10gatherTopKIN3c108BFloat16EjLin1EEEvNS_4cuda6detail10TensorInfoIKT_T0_EESA_SA_bjSA_NS7_IS8_SA_EESA_NS7_IlSA_EESA_jjPS8_PjSF_j
	.globl	_ZN2at6native6mbtopk10gatherTopKIN3c108BFloat16EjLin1EEEvNS_4cuda6detail10TensorInfoIKT_T0_EESA_SA_bjSA_NS7_IS8_SA_EESA_NS7_IlSA_EESA_jjPS8_PjSF_j
	.p2align	8
	.type	_ZN2at6native6mbtopk10gatherTopKIN3c108BFloat16EjLin1EEEvNS_4cuda6detail10TensorInfoIKT_T0_EESA_SA_bjSA_NS7_IS8_SA_EESA_NS7_IlSA_EESA_jjPS8_PjSF_j,@function
_ZN2at6native6mbtopk10gatherTopKIN3c108BFloat16EjLin1EEEvNS_4cuda6detail10TensorInfoIKT_T0_EESA_SA_bjSA_NS7_IS8_SA_EESA_NS7_IlSA_EESA_jjPS8_PjSF_j: ; @_ZN2at6native6mbtopk10gatherTopKIN3c108BFloat16EjLin1EEEvNS_4cuda6detail10TensorInfoIKT_T0_EESA_SA_bjSA_NS7_IS8_SA_EESA_NS7_IlSA_EESA_jjPS8_PjSF_j
; %bb.0:
	s_load_dwordx2 s[0:1], s[4:5], 0x2d8
	s_load_dword s2, s[4:5], 0x2d0
	s_waitcnt lgkmcnt(0)
	s_mul_i32 s1, s1, s8
	s_add_i32 s1, s1, s7
	s_mul_i32 s17, s1, s0
	s_add_i32 s17, s17, s6
	s_cmp_ge_u32 s17, s2
	s_cbranch_scc1 .LBB116_49
; %bb.1:
	s_load_dwordx4 s[8:11], s[4:5], 0x2a8
	s_load_dword s0, s[4:5], 0xd0
	s_mov_b32 s7, 0
	s_waitcnt lgkmcnt(0)
	v_cvt_f32_u32_e32 v1, s10
	s_sub_i32 s1, 0, s10
	v_rcp_iflag_f32_e32 v1, v1
	v_mul_f32_e32 v1, 0x4f7ffffe, v1
	v_cvt_u32_f32_e32 v1, v1
	v_readfirstlane_b32 s2, v1
	s_mul_i32 s1, s1, s2
	s_mul_hi_u32 s1, s2, s1
	s_add_i32 s2, s2, s1
	s_mul_hi_u32 s1, s17, s2
	s_mul_i32 s2, s1, s10
	s_sub_i32 s2, s17, s2
	s_add_i32 s3, s1, 1
	s_sub_i32 s6, s2, s10
	s_cmp_ge_u32 s2, s10
	s_cselect_b32 s1, s3, s1
	s_cselect_b32 s2, s6, s2
	s_add_i32 s3, s1, 1
	s_cmp_ge_u32 s2, s10
	s_cselect_b32 s20, s3, s1
	s_cmp_lt_i32 s0, 2
	s_mov_b32 s6, s20
	s_cbranch_scc1 .LBB116_4
; %bb.2:
	s_add_i32 s6, s0, -1
	s_add_i32 s2, s0, 1
	s_lshl_b64 s[0:1], s[6:7], 2
	s_add_u32 s0, s4, s0
	s_addc_u32 s1, s5, s1
	s_add_u32 s0, s0, 8
	s_addc_u32 s1, s1, 0
	s_mov_b32 s6, s20
.LBB116_3:                              ; =>This Inner Loop Header: Depth=1
	s_load_dword s3, s[0:1], 0x0
	s_load_dword s12, s[0:1], 0x64
	s_mov_b32 s11, s6
	s_waitcnt lgkmcnt(0)
	v_cvt_f32_u32_e32 v1, s3
	s_sub_i32 s6, 0, s3
	v_rcp_iflag_f32_e32 v1, v1
	v_mul_f32_e32 v1, 0x4f7ffffe, v1
	v_cvt_u32_f32_e32 v1, v1
	v_readfirstlane_b32 s13, v1
	s_mul_i32 s6, s6, s13
	s_mul_hi_u32 s6, s13, s6
	s_add_i32 s13, s13, s6
	s_mul_hi_u32 s6, s11, s13
	s_mul_i32 s13, s6, s3
	s_sub_i32 s13, s11, s13
	s_add_i32 s14, s6, 1
	s_sub_i32 s15, s13, s3
	s_cmp_ge_u32 s13, s3
	s_cselect_b32 s6, s14, s6
	s_cselect_b32 s13, s15, s13
	s_add_i32 s14, s6, 1
	s_cmp_ge_u32 s13, s3
	s_cselect_b32 s6, s14, s6
	s_mul_i32 s3, s6, s3
	s_sub_i32 s3, s11, s3
	s_mul_i32 s3, s12, s3
	s_add_i32 s2, s2, -1
	s_add_i32 s7, s3, s7
	s_add_u32 s0, s0, -4
	s_addc_u32 s1, s1, -1
	s_cmp_gt_u32 s2, 2
	s_cbranch_scc1 .LBB116_3
.LBB116_4:
	s_load_dword s2, s[4:5], 0x1c0
	s_add_u32 s0, s4, 0xf0
	s_addc_u32 s1, s5, 0
	s_mov_b32 s23, 0
	s_mov_b32 s22, s20
	s_waitcnt lgkmcnt(0)
	s_cmp_lt_i32 s2, 2
	s_cbranch_scc1 .LBB116_7
; %bb.5:
	s_add_i32 s22, s2, -1
	s_add_i32 s11, s2, 1
	s_lshl_b64 s[2:3], s[22:23], 2
	s_add_u32 s2, s0, s2
	s_addc_u32 s3, s1, s3
	s_add_u32 s2, s2, 8
	s_addc_u32 s3, s3, 0
	s_mov_b32 s22, s20
.LBB116_6:                              ; =>This Inner Loop Header: Depth=1
	s_load_dword s12, s[2:3], 0x0
	s_load_dword s14, s[2:3], 0x64
	s_mov_b32 s13, s22
	s_waitcnt lgkmcnt(0)
	v_cvt_f32_u32_e32 v1, s12
	s_sub_i32 s15, 0, s12
	v_rcp_iflag_f32_e32 v1, v1
	v_mul_f32_e32 v1, 0x4f7ffffe, v1
	v_cvt_u32_f32_e32 v1, v1
	v_readfirstlane_b32 s16, v1
	s_mul_i32 s15, s15, s16
	s_mul_hi_u32 s15, s16, s15
	s_add_i32 s16, s16, s15
	s_mul_hi_u32 s15, s22, s16
	s_mul_i32 s16, s15, s12
	s_sub_i32 s16, s22, s16
	s_add_i32 s18, s15, 1
	s_sub_i32 s19, s16, s12
	s_cmp_ge_u32 s16, s12
	s_cselect_b32 s15, s18, s15
	s_cselect_b32 s16, s19, s16
	s_add_i32 s18, s15, 1
	s_cmp_ge_u32 s16, s12
	s_cselect_b32 s22, s18, s15
	s_mul_i32 s12, s22, s12
	s_sub_i32 s12, s13, s12
	s_mul_i32 s12, s14, s12
	s_add_i32 s11, s11, -1
	s_add_i32 s23, s12, s23
	s_add_u32 s2, s2, -4
	s_addc_u32 s3, s3, -1
	s_cmp_gt_u32 s11, 2
	s_cbranch_scc1 .LBB116_6
.LBB116_7:
	s_load_dword s33, s[4:5], 0x6c
	s_load_dword s12, s[4:5], 0x2a0
	s_add_u32 s2, s4, 0x1d0
	s_addc_u32 s3, s5, 0
	s_mov_b32 s25, 0
	s_mov_b32 s24, s20
	s_waitcnt lgkmcnt(0)
	s_cmp_lt_i32 s12, 2
	s_cbranch_scc1 .LBB116_10
; %bb.8:
	s_add_i32 s24, s12, -1
	s_add_i32 s11, s12, 1
	s_lshl_b64 s[12:13], s[24:25], 2
	s_add_u32 s2, s2, s12
	s_addc_u32 s3, s3, s13
	s_add_u32 s2, s2, 8
	s_addc_u32 s3, s3, 0
	s_mov_b32 s24, s20
.LBB116_9:                              ; =>This Inner Loop Header: Depth=1
	s_load_dword s12, s[2:3], 0x0
	s_load_dword s14, s[2:3], 0x64
	s_mov_b32 s13, s24
	s_waitcnt lgkmcnt(0)
	v_cvt_f32_u32_e32 v1, s12
	s_sub_i32 s15, 0, s12
	v_rcp_iflag_f32_e32 v1, v1
	v_mul_f32_e32 v1, 0x4f7ffffe, v1
	v_cvt_u32_f32_e32 v1, v1
	v_readfirstlane_b32 s16, v1
	s_mul_i32 s15, s15, s16
	s_mul_hi_u32 s15, s16, s15
	s_add_i32 s16, s16, s15
	s_mul_hi_u32 s15, s24, s16
	s_mul_i32 s16, s15, s12
	s_sub_i32 s16, s24, s16
	s_add_i32 s18, s15, 1
	s_sub_i32 s19, s16, s12
	s_cmp_ge_u32 s16, s12
	s_cselect_b32 s15, s18, s15
	s_cselect_b32 s16, s19, s16
	s_add_i32 s18, s15, 1
	s_cmp_ge_u32 s16, s12
	s_cselect_b32 s24, s18, s15
	s_mul_i32 s12, s24, s12
	s_sub_i32 s12, s13, s12
	s_mul_i32 s12, s14, s12
	s_add_i32 s11, s11, -1
	s_add_i32 s25, s12, s25
	s_add_u32 s2, s2, -4
	s_addc_u32 s3, s3, -1
	s_cmp_gt_u32 s11, 2
	s_cbranch_scc1 .LBB116_9
.LBB116_10:
	s_load_dword s41, s[0:1], 0x6c
	s_load_dwordx4 s[12:15], s[4:5], 0x2b8
	s_mul_i32 s16, s20, s10
	s_mov_b32 s21, 0
	s_sub_i32 s11, s17, s16
	s_lshl_b64 s[0:1], s[20:21], 1
	s_waitcnt lgkmcnt(0)
	s_add_u32 s0, s12, s0
	s_addc_u32 s1, s13, s1
	v_mov_b32_e32 v1, 0
	global_load_ushort v1, v1, s[0:1]
	s_load_dwordx2 s[30:31], s[4:5], 0x0
	s_load_dwordx2 s[28:29], s[4:5], 0xf0
	;; [unrolled: 1-line block ×3, first 2 shown]
	v_cmp_ne_u32_e64 s[0:1], 0, v0
	v_cmp_eq_u32_e64 s[2:3], 0, v0
	s_waitcnt vmcnt(0)
	v_readfirstlane_b32 s40, v1
	s_and_saveexec_b64 s[12:13], s[2:3]
	s_cbranch_execz .LBB116_26
; %bb.11:
	s_load_dwordx2 s[34:35], s[4:5], 0x2c8
	s_mov_b32 s17, s21
	s_lshl_b64 s[36:37], s[16:17], 2
	s_add_u32 s16, s14, s36
	s_addc_u32 s17, s15, s37
	s_waitcnt lgkmcnt(0)
	s_add_u32 s18, s34, s36
	s_addc_u32 s19, s35, s37
	s_mov_b32 s20, 0
	s_mov_b32 s42, 0
	s_cmp_lt_u32 s10, 4
	s_cbranch_scc1 .LBB116_23
; %bb.12:
	s_mov_b32 s43, 0
.LBB116_13:                             ; =>This Inner Loop Header: Depth=1
	s_add_u32 s38, s14, s36
	s_addc_u32 s39, s15, s37
	s_load_dwordx4 s[16:19], s[38:39], 0x0
	s_add_u32 s38, s34, s36
	s_addc_u32 s39, s35, s37
	s_cmp_ge_u32 s43, s11
	s_cbranch_scc0 .LBB116_20
; %bb.14:                               ;   in Loop: Header=BB116_13 Depth=1
	s_add_i32 s44, s43, 1
	s_cmp_ge_u32 s44, s11
	s_cbranch_scc0 .LBB116_21
.LBB116_15:                             ;   in Loop: Header=BB116_13 Depth=1
	s_add_i32 s44, s44, 1
	s_cmp_ge_u32 s44, s11
	s_cbranch_scc0 .LBB116_22
.LBB116_16:                             ;   in Loop: Header=BB116_13 Depth=1
	s_add_i32 s44, s44, 1
	s_cmp_ge_u32 s44, s11
	s_cbranch_scc1 .LBB116_18
.LBB116_17:                             ;   in Loop: Header=BB116_13 Depth=1
	s_load_dword s38, s[38:39], 0xc
	s_waitcnt lgkmcnt(0)
	s_add_i32 s21, s21, s19
	s_add_i32 s20, s38, s20
.LBB116_18:                             ;   in Loop: Header=BB116_13 Depth=1
	s_waitcnt lgkmcnt(0)
	s_add_i32 s16, s16, s42
	s_add_i32 s16, s16, s17
	;; [unrolled: 1-line block ×4, first 2 shown]
	s_add_u32 s14, s14, 16
	s_addc_u32 s15, s15, 0
	s_add_u32 s34, s34, 16
	s_addc_u32 s35, s35, 0
	s_add_i32 s39, s44, 4
	s_add_u32 s18, s34, s36
	s_addc_u32 s19, s35, s37
	s_add_u32 s16, s14, s36
	s_addc_u32 s17, s15, s37
	s_add_i32 s38, s44, 1
	s_cmp_ge_u32 s39, s10
	s_cbranch_scc1 .LBB116_24
; %bb.19:                               ;   in Loop: Header=BB116_13 Depth=1
	s_mov_b32 s43, s38
	s_branch .LBB116_13
.LBB116_20:                             ;   in Loop: Header=BB116_13 Depth=1
	s_load_dword s44, s[38:39], 0x0
	s_waitcnt lgkmcnt(0)
	s_add_i32 s21, s16, s21
	s_add_i32 s20, s44, s20
	;; [unrolled: 1-line block ×3, first 2 shown]
	s_cmp_ge_u32 s44, s11
	s_cbranch_scc1 .LBB116_15
.LBB116_21:                             ;   in Loop: Header=BB116_13 Depth=1
	s_load_dword s45, s[38:39], 0x4
	s_waitcnt lgkmcnt(0)
	s_add_i32 s21, s21, s17
	s_add_i32 s20, s45, s20
	;; [unrolled: 1-line block ×3, first 2 shown]
	s_cmp_ge_u32 s44, s11
	s_cbranch_scc1 .LBB116_16
.LBB116_22:                             ;   in Loop: Header=BB116_13 Depth=1
	s_load_dword s45, s[38:39], 0x8
	s_waitcnt lgkmcnt(0)
	s_add_i32 s21, s21, s18
	s_add_i32 s20, s45, s20
	;; [unrolled: 1-line block ×3, first 2 shown]
	s_cmp_ge_u32 s44, s11
	s_cbranch_scc0 .LBB116_17
	s_branch .LBB116_18
.LBB116_23:
	s_mov_b32 s14, 0
	s_cmp_ge_u32 s14, s10
	s_cbranch_scc0 .LBB116_47
	s_branch .LBB116_25
.LBB116_24:
	s_add_i32 s14, s43, 4
	s_cmp_ge_u32 s14, s10
	s_cbranch_scc0 .LBB116_47
.LBB116_25:
	v_mov_b32_e32 v1, s20
	v_mov_b32_e32 v2, s42
	;; [unrolled: 1-line block ×4, first 2 shown]
	ds_write_b96 v4, v[1:3] offset:1056
.LBB116_26:
	s_or_b64 exec, exec, s[12:13]
	s_load_dword s16, s[4:5], 0x23c
	s_load_dwordx4 s[12:15], s[4:5], 0xd8
	s_mul_i32 s17, s9, s11
	s_lshl_b32 s34, s17, 8
	s_waitcnt lgkmcnt(0)
	s_add_i32 s15, s11, 1
	s_mov_b32 s11, 0
	s_sub_i32 s17, s12, s34
	s_add_u32 s18, s17, 0xff
	s_addc_u32 s19, 0, 0
	s_lshr_b64 s[18:19], s[18:19], 8
	s_cmp_lt_u32 s15, s10
	s_cselect_b32 s9, s9, s18
	s_cmp_eq_u32 s9, 0
	s_barrier
	s_cbranch_scc1 .LBB116_49
; %bb.27:
	s_mul_i32 s10, s41, s22
	s_mul_i32 s6, s33, s6
	s_add_i32 s18, s10, s23
	s_add_i32 s10, s6, s7
	s_mul_i32 s6, s16, s24
	s_add_i32 s6, s6, s25
	s_lshl_b64 s[16:17], s[10:11], 1
	s_add_u32 s15, s30, s16
	s_mov_b32 s19, s11
	s_addc_u32 s16, s31, s17
	s_lshl_b64 s[18:19], s[18:19], 1
	s_add_u32 s17, s28, s18
	s_mov_b32 s7, s11
	v_mov_b32_e32 v5, 0
	s_addc_u32 s18, s29, s19
	s_lshl_b64 s[6:7], s[6:7], 3
	ds_read_b96 v[1:3], v5 offset:1056
	s_add_u32 s19, s26, s6
	s_addc_u32 s20, s27, s7
	s_and_b32 s10, 0xffff, s40
	s_sext_i32_i16 s6, s40
	s_cmp_gt_i32 s6, -1
	s_mov_b32 s6, 0x8000
	s_cselect_b32 s11, s6, 0xffff
	s_lshl_b32 s6, s40, 16
	v_cmp_o_f32_e64 s[6:7], s6, s6
	s_xor_b32 s10, s11, s10
	s_waitcnt lgkmcnt(0)
	v_add_u32_e32 v2, v1, v2
	v_lshrrev_b32_e32 v1, 3, v0
	s_and_b64 s[6:7], s[6:7], exec
	v_and_b32_e32 v1, 28, v1
	s_cselect_b32 s21, s10, 0xffff
	s_bitcmp1_b32 s14, 0
	s_load_dword s10, s[4:5], 0xe8
	s_load_dword s14, s[4:5], 0x1c8
	v_lshl_add_u32 v6, v0, 2, v1
	v_lshrrev_b32_e32 v1, 1, v0
	v_and_b32_e32 v7, 0x7c, v1
	v_add_u32_e32 v1, -1, v0
	v_lshrrev_b32_e32 v4, 3, v1
	v_cmp_gt_u32_e64 s[4:5], 64, v0
	v_lshlrev_b32_e32 v8, 4, v0
	v_and_b32_e32 v4, 0x1ffffffc, v4
	v_add_u32_e32 v0, s34, v0
	v_lshl_add_u32 v9, v1, 2, v4
	s_waitcnt lgkmcnt(0)
	v_mul_lo_u32 v4, s10, v0
	v_mbcnt_lo_u32_b32 v1, -1, 0
	s_cselect_b64 s[6:7], -1, 0
	s_lshl_b32 s22, s10, 8
	v_mov_b32_e32 v10, 0xffff
	v_mov_b32_e32 v11, 0x8000
	v_mbcnt_hi_u32_b32 v12, -1, v1
                                        ; implicit-def: $vgpr13
	s_branch .LBB116_30
.LBB116_28:                             ;   in Loop: Header=BB116_30 Depth=1
	s_or_b64 exec, exec, s[10:11]
	v_add_u32_e32 v2, v16, v2
.LBB116_29:                             ;   in Loop: Header=BB116_30 Depth=1
	s_add_i32 s9, s9, -1
	v_add_u32_e32 v3, v15, v3
	v_add_u32_e32 v4, s22, v4
	s_cmp_lg_u32 s9, 0
	v_add_u32_e32 v0, 0x100, v0
	s_cbranch_scc0 .LBB116_49
.LBB116_30:                             ; =>This Inner Loop Header: Depth=1
	v_cmp_gt_u32_e32 vcc, s12, v0
	v_mov_b32_e32 v1, 0
	v_mov_b32_e32 v14, 0
	s_and_saveexec_b64 s[10:11], vcc
	s_cbranch_execz .LBB116_32
; %bb.31:                               ;   in Loop: Header=BB116_30 Depth=1
	v_lshlrev_b64 v[13:14], 1, v[4:5]
	v_mov_b32_e32 v1, s16
	v_add_co_u32_e32 v13, vcc, s15, v13
	v_addc_co_u32_e32 v14, vcc, v1, v14, vcc
	global_load_ushort v13, v[13:14], off
	s_waitcnt vmcnt(0)
	v_cmp_lt_i16_e32 vcc, -1, v13
	v_cndmask_b32_e32 v1, v10, v11, vcc
	v_lshlrev_b32_e32 v14, 16, v13
	v_xor_b32_sdwa v1, v1, v13 dst_sel:DWORD dst_unused:UNUSED_PAD src0_sel:DWORD src1_sel:WORD_0
	v_cmp_o_f32_e32 vcc, v14, v14
	v_cndmask_b32_e32 v14, v10, v1, vcc
	v_cmp_lt_u32_e32 vcc, s21, v14
	v_cndmask_b32_e64 v1, 0, 1, vcc
	v_cmp_gt_u32_e32 vcc, s21, v14
	v_cndmask_b32_e64 v15, 0, 1, vcc
	v_cndmask_b32_e64 v1, v15, v1, s[6:7]
	v_cmp_eq_u32_e32 vcc, s21, v14
	v_and_b32_e32 v1, 1, v1
	v_cndmask_b32_e64 v14, 0, 1, vcc
.LBB116_32:                             ;   in Loop: Header=BB116_30 Depth=1
	s_or_b64 exec, exec, s[10:11]
	ds_write_b32 v6, v1
	s_waitcnt vmcnt(0) lgkmcnt(0)
	s_barrier
	s_and_saveexec_b64 s[10:11], s[4:5]
	s_cbranch_execz .LBB116_34
; %bb.33:                               ;   in Loop: Header=BB116_30 Depth=1
	v_add_u32_e32 v19, v7, v8
	ds_read2_b32 v[15:16], v19 offset1:1
	ds_read2_b32 v[17:18], v19 offset0:2 offset1:3
	v_and_b32_e32 v20, 15, v12
	v_cmp_ne_u32_e32 vcc, 0, v20
	s_waitcnt lgkmcnt(1)
	v_add_u32_e32 v16, v16, v15
	s_waitcnt lgkmcnt(0)
	v_add3_u32 v16, v16, v17, v18
	v_bfe_i32 v18, v12, 4, 1
	; wave barrier
	s_nop 0
	v_mov_b32_dpp v17, v16 row_shr:1 row_mask:0xf bank_mask:0xf
	v_cndmask_b32_e32 v17, 0, v17, vcc
	v_add_u32_e32 v16, v17, v16
	v_cmp_lt_u32_e32 vcc, 1, v20
	s_nop 0
	v_mov_b32_dpp v17, v16 row_shr:2 row_mask:0xf bank_mask:0xf
	v_cndmask_b32_e32 v17, 0, v17, vcc
	v_add_u32_e32 v16, v16, v17
	v_cmp_lt_u32_e32 vcc, 3, v20
	;; [unrolled: 5-line block ×4, first 2 shown]
	s_nop 0
	v_mov_b32_dpp v17, v16 row_bcast:15 row_mask:0xf bank_mask:0xf
	v_and_b32_e32 v17, v18, v17
	v_add_u32_e32 v16, v16, v17
	v_and_b32_e32 v18, 64, v12
	s_nop 0
	v_mov_b32_dpp v17, v16 row_bcast:31 row_mask:0xf bank_mask:0xf
	v_cndmask_b32_e32 v17, 0, v17, vcc
	v_add_u32_e32 v16, v16, v17
	v_add_u32_e32 v17, -1, v12
	v_cmp_lt_i32_e32 vcc, v17, v18
	v_cndmask_b32_e32 v17, v17, v12, vcc
	v_lshlrev_b32_e32 v17, 2, v17
	ds_bpermute_b32 v16, v17, v16
	s_waitcnt lgkmcnt(0)
	v_add_u32_e32 v15, v16, v15
	v_cndmask_b32_e64 v17, v15, v1, s[2:3]
	ds_write_b32 v19, v17
	; wave barrier
	ds_read2_b32 v[15:16], v19 offset0:1 offset1:2
	ds_read_b32 v18, v19 offset:12
	s_waitcnt lgkmcnt(1)
	v_add_u32_e32 v15, v15, v17
	v_add_u32_e32 v16, v16, v15
	ds_write2_b32 v19, v15, v16 offset0:1 offset1:2
	s_waitcnt lgkmcnt(1)
	v_add_u32_e32 v15, v18, v16
	ds_write_b32 v19, v15 offset:12
.LBB116_34:                             ;   in Loop: Header=BB116_30 Depth=1
	s_or_b64 exec, exec, s[10:11]
	v_mov_b32_e32 v16, 0
	s_waitcnt lgkmcnt(0)
	s_barrier
	s_and_saveexec_b64 s[10:11], s[0:1]
; %bb.35:                               ;   in Loop: Header=BB116_30 Depth=1
	ds_read_b32 v16, v9
; %bb.36:                               ;   in Loop: Header=BB116_30 Depth=1
	s_or_b64 exec, exec, s[10:11]
	ds_read_b32 v15, v5 offset:1048
	v_cmp_ne_u32_e32 vcc, 0, v1
	s_waitcnt lgkmcnt(0)
	s_barrier
	s_and_saveexec_b64 s[10:11], vcc
	s_cbranch_execz .LBB116_38
; %bb.37:                               ;   in Loop: Header=BB116_30 Depth=1
	v_add_u32_e32 v1, v16, v3
	v_mul_lo_u32 v16, v1, s14
	v_mov_b32_e32 v17, v5
	v_mov_b32_e32 v18, s18
	;; [unrolled: 1-line block ×3, first 2 shown]
	v_lshlrev_b64 v[16:17], 1, v[16:17]
	v_add_co_u32_e32 v16, vcc, s17, v16
	v_addc_co_u32_e32 v17, vcc, v18, v17, vcc
	v_mul_lo_u32 v18, v1, s8
	global_store_short v[16:17], v13, off
	v_mov_b32_e32 v1, v5
	v_lshlrev_b64 v[16:17], 3, v[18:19]
	v_mov_b32_e32 v18, s20
	v_add_co_u32_e32 v16, vcc, s19, v16
	v_addc_co_u32_e32 v17, vcc, v18, v17, vcc
	global_store_dwordx2 v[16:17], v[0:1], off
.LBB116_38:                             ;   in Loop: Header=BB116_30 Depth=1
	s_or_b64 exec, exec, s[10:11]
	v_cmp_le_u32_e32 vcc, s13, v2
	s_cbranch_vccnz .LBB116_29
; %bb.39:                               ;   in Loop: Header=BB116_30 Depth=1
	ds_write_b32 v6, v14
	s_waitcnt vmcnt(0) lgkmcnt(0)
	s_barrier
	s_and_saveexec_b64 s[10:11], s[4:5]
	s_cbranch_execz .LBB116_41
; %bb.40:                               ;   in Loop: Header=BB116_30 Depth=1
	v_add_u32_e32 v1, v7, v8
	ds_read2_b32 v[16:17], v1 offset1:1
	ds_read2_b32 v[18:19], v1 offset0:2 offset1:3
	v_and_b32_e32 v20, 15, v12
	v_cmp_ne_u32_e32 vcc, 0, v20
	s_waitcnt lgkmcnt(1)
	v_add_u32_e32 v17, v17, v16
	s_waitcnt lgkmcnt(0)
	v_add3_u32 v17, v17, v18, v19
	v_bfe_i32 v19, v12, 4, 1
	; wave barrier
	s_nop 0
	v_mov_b32_dpp v18, v17 row_shr:1 row_mask:0xf bank_mask:0xf
	v_cndmask_b32_e32 v18, 0, v18, vcc
	v_add_u32_e32 v17, v18, v17
	v_cmp_lt_u32_e32 vcc, 1, v20
	s_nop 0
	v_mov_b32_dpp v18, v17 row_shr:2 row_mask:0xf bank_mask:0xf
	v_cndmask_b32_e32 v18, 0, v18, vcc
	v_add_u32_e32 v17, v17, v18
	v_cmp_lt_u32_e32 vcc, 3, v20
	;; [unrolled: 5-line block ×4, first 2 shown]
	s_nop 0
	v_mov_b32_dpp v18, v17 row_bcast:15 row_mask:0xf bank_mask:0xf
	v_and_b32_e32 v18, v19, v18
	v_add_u32_e32 v17, v17, v18
	v_and_b32_e32 v19, 64, v12
	s_nop 0
	v_mov_b32_dpp v18, v17 row_bcast:31 row_mask:0xf bank_mask:0xf
	v_cndmask_b32_e32 v18, 0, v18, vcc
	v_add_u32_e32 v17, v17, v18
	v_add_u32_e32 v18, -1, v12
	v_cmp_lt_i32_e32 vcc, v18, v19
	v_cndmask_b32_e32 v18, v18, v12, vcc
	v_lshlrev_b32_e32 v18, 2, v18
	ds_bpermute_b32 v17, v18, v17
	s_waitcnt lgkmcnt(0)
	v_add_u32_e32 v16, v17, v16
	v_cndmask_b32_e64 v18, v16, v14, s[2:3]
	ds_write_b32 v1, v18
	; wave barrier
	ds_read2_b32 v[16:17], v1 offset0:1 offset1:2
	ds_read_b32 v19, v1 offset:12
	s_waitcnt lgkmcnt(1)
	v_add_u32_e32 v16, v16, v18
	v_add_u32_e32 v17, v17, v16
	ds_write2_b32 v1, v16, v17 offset0:1 offset1:2
	s_waitcnt lgkmcnt(1)
	v_add_u32_e32 v16, v19, v17
	ds_write_b32 v1, v16 offset:12
.LBB116_41:                             ;   in Loop: Header=BB116_30 Depth=1
	s_or_b64 exec, exec, s[10:11]
	v_mov_b32_e32 v1, 0
	s_waitcnt lgkmcnt(0)
	s_barrier
	s_and_saveexec_b64 s[10:11], s[0:1]
; %bb.42:                               ;   in Loop: Header=BB116_30 Depth=1
	ds_read_b32 v1, v9
; %bb.43:                               ;   in Loop: Header=BB116_30 Depth=1
	s_or_b64 exec, exec, s[10:11]
	ds_read_b32 v16, v5 offset:1048
	v_cmp_ne_u32_e32 vcc, 0, v14
	s_waitcnt lgkmcnt(0)
	s_barrier
	s_and_saveexec_b64 s[10:11], vcc
	s_cbranch_execz .LBB116_28
; %bb.44:                               ;   in Loop: Header=BB116_30 Depth=1
	v_add_u32_e32 v1, v1, v2
	v_cmp_gt_u32_e32 vcc, s13, v1
	s_and_b64 exec, exec, vcc
	s_cbranch_execz .LBB116_28
; %bb.45:                               ;   in Loop: Header=BB116_30 Depth=1
	v_mul_lo_u32 v17, v1, s14
	v_mov_b32_e32 v18, v5
	v_mul_lo_u32 v19, v1, s8
	v_mov_b32_e32 v14, s18
	v_lshlrev_b64 v[17:18], 1, v[17:18]
	v_mov_b32_e32 v20, v5
	v_add_co_u32_e32 v17, vcc, s17, v17
	v_addc_co_u32_e32 v18, vcc, v14, v18, vcc
	global_store_short v[17:18], v13, off
	v_lshlrev_b64 v[17:18], 3, v[19:20]
	v_mov_b32_e32 v14, s20
	v_add_co_u32_e32 v17, vcc, s19, v17
	v_mov_b32_e32 v1, v5
	v_addc_co_u32_e32 v18, vcc, v14, v18, vcc
	global_store_dwordx2 v[17:18], v[0:1], off
	s_branch .LBB116_28
.LBB116_46:                             ;   in Loop: Header=BB116_47 Depth=1
	s_add_u32 s16, s16, 4
	s_addc_u32 s17, s17, 0
	s_waitcnt lgkmcnt(0)
	s_add_i32 s42, s15, s42
	s_add_u32 s18, s18, 4
	s_addc_u32 s19, s19, 0
	s_add_i32 s14, s14, 1
	s_cmp_lt_u32 s14, s10
	s_cbranch_scc0 .LBB116_25
.LBB116_47:                             ; =>This Inner Loop Header: Depth=1
	s_load_dword s15, s[16:17], 0x0
	s_cmp_ge_u32 s14, s11
	s_cbranch_scc1 .LBB116_46
; %bb.48:                               ;   in Loop: Header=BB116_47 Depth=1
	s_load_dword s34, s[18:19], 0x0
	s_waitcnt lgkmcnt(0)
	s_add_i32 s21, s15, s21
	s_add_i32 s20, s34, s20
	s_branch .LBB116_46
.LBB116_49:
	s_endpgm
	.section	.rodata,"a",@progbits
	.p2align	6, 0x0
	.amdhsa_kernel _ZN2at6native6mbtopk10gatherTopKIN3c108BFloat16EjLin1EEEvNS_4cuda6detail10TensorInfoIKT_T0_EESA_SA_bjSA_NS7_IS8_SA_EESA_NS7_IlSA_EESA_jjPS8_PjSF_j
		.amdhsa_group_segment_fixed_size 1068
		.amdhsa_private_segment_fixed_size 0
		.amdhsa_kernarg_size 984
		.amdhsa_user_sgpr_count 6
		.amdhsa_user_sgpr_private_segment_buffer 1
		.amdhsa_user_sgpr_dispatch_ptr 0
		.amdhsa_user_sgpr_queue_ptr 0
		.amdhsa_user_sgpr_kernarg_segment_ptr 1
		.amdhsa_user_sgpr_dispatch_id 0
		.amdhsa_user_sgpr_flat_scratch_init 0
		.amdhsa_user_sgpr_private_segment_size 0
		.amdhsa_uses_dynamic_stack 0
		.amdhsa_system_sgpr_private_segment_wavefront_offset 0
		.amdhsa_system_sgpr_workgroup_id_x 1
		.amdhsa_system_sgpr_workgroup_id_y 1
		.amdhsa_system_sgpr_workgroup_id_z 1
		.amdhsa_system_sgpr_workgroup_info 0
		.amdhsa_system_vgpr_workitem_id 0
		.amdhsa_next_free_vgpr 21
		.amdhsa_next_free_sgpr 46
		.amdhsa_reserve_vcc 1
		.amdhsa_reserve_flat_scratch 0
		.amdhsa_float_round_mode_32 0
		.amdhsa_float_round_mode_16_64 0
		.amdhsa_float_denorm_mode_32 3
		.amdhsa_float_denorm_mode_16_64 3
		.amdhsa_dx10_clamp 1
		.amdhsa_ieee_mode 1
		.amdhsa_fp16_overflow 0
		.amdhsa_exception_fp_ieee_invalid_op 0
		.amdhsa_exception_fp_denorm_src 0
		.amdhsa_exception_fp_ieee_div_zero 0
		.amdhsa_exception_fp_ieee_overflow 0
		.amdhsa_exception_fp_ieee_underflow 0
		.amdhsa_exception_fp_ieee_inexact 0
		.amdhsa_exception_int_div_zero 0
	.end_amdhsa_kernel
	.section	.text._ZN2at6native6mbtopk10gatherTopKIN3c108BFloat16EjLin1EEEvNS_4cuda6detail10TensorInfoIKT_T0_EESA_SA_bjSA_NS7_IS8_SA_EESA_NS7_IlSA_EESA_jjPS8_PjSF_j,"axG",@progbits,_ZN2at6native6mbtopk10gatherTopKIN3c108BFloat16EjLin1EEEvNS_4cuda6detail10TensorInfoIKT_T0_EESA_SA_bjSA_NS7_IS8_SA_EESA_NS7_IlSA_EESA_jjPS8_PjSF_j,comdat
.Lfunc_end116:
	.size	_ZN2at6native6mbtopk10gatherTopKIN3c108BFloat16EjLin1EEEvNS_4cuda6detail10TensorInfoIKT_T0_EESA_SA_bjSA_NS7_IS8_SA_EESA_NS7_IlSA_EESA_jjPS8_PjSF_j, .Lfunc_end116-_ZN2at6native6mbtopk10gatherTopKIN3c108BFloat16EjLin1EEEvNS_4cuda6detail10TensorInfoIKT_T0_EESA_SA_bjSA_NS7_IS8_SA_EESA_NS7_IlSA_EESA_jjPS8_PjSF_j
                                        ; -- End function
	.set _ZN2at6native6mbtopk10gatherTopKIN3c108BFloat16EjLin1EEEvNS_4cuda6detail10TensorInfoIKT_T0_EESA_SA_bjSA_NS7_IS8_SA_EESA_NS7_IlSA_EESA_jjPS8_PjSF_j.num_vgpr, 21
	.set _ZN2at6native6mbtopk10gatherTopKIN3c108BFloat16EjLin1EEEvNS_4cuda6detail10TensorInfoIKT_T0_EESA_SA_bjSA_NS7_IS8_SA_EESA_NS7_IlSA_EESA_jjPS8_PjSF_j.num_agpr, 0
	.set _ZN2at6native6mbtopk10gatherTopKIN3c108BFloat16EjLin1EEEvNS_4cuda6detail10TensorInfoIKT_T0_EESA_SA_bjSA_NS7_IS8_SA_EESA_NS7_IlSA_EESA_jjPS8_PjSF_j.numbered_sgpr, 46
	.set _ZN2at6native6mbtopk10gatherTopKIN3c108BFloat16EjLin1EEEvNS_4cuda6detail10TensorInfoIKT_T0_EESA_SA_bjSA_NS7_IS8_SA_EESA_NS7_IlSA_EESA_jjPS8_PjSF_j.num_named_barrier, 0
	.set _ZN2at6native6mbtopk10gatherTopKIN3c108BFloat16EjLin1EEEvNS_4cuda6detail10TensorInfoIKT_T0_EESA_SA_bjSA_NS7_IS8_SA_EESA_NS7_IlSA_EESA_jjPS8_PjSF_j.private_seg_size, 0
	.set _ZN2at6native6mbtopk10gatherTopKIN3c108BFloat16EjLin1EEEvNS_4cuda6detail10TensorInfoIKT_T0_EESA_SA_bjSA_NS7_IS8_SA_EESA_NS7_IlSA_EESA_jjPS8_PjSF_j.uses_vcc, 1
	.set _ZN2at6native6mbtopk10gatherTopKIN3c108BFloat16EjLin1EEEvNS_4cuda6detail10TensorInfoIKT_T0_EESA_SA_bjSA_NS7_IS8_SA_EESA_NS7_IlSA_EESA_jjPS8_PjSF_j.uses_flat_scratch, 0
	.set _ZN2at6native6mbtopk10gatherTopKIN3c108BFloat16EjLin1EEEvNS_4cuda6detail10TensorInfoIKT_T0_EESA_SA_bjSA_NS7_IS8_SA_EESA_NS7_IlSA_EESA_jjPS8_PjSF_j.has_dyn_sized_stack, 0
	.set _ZN2at6native6mbtopk10gatherTopKIN3c108BFloat16EjLin1EEEvNS_4cuda6detail10TensorInfoIKT_T0_EESA_SA_bjSA_NS7_IS8_SA_EESA_NS7_IlSA_EESA_jjPS8_PjSF_j.has_recursion, 0
	.set _ZN2at6native6mbtopk10gatherTopKIN3c108BFloat16EjLin1EEEvNS_4cuda6detail10TensorInfoIKT_T0_EESA_SA_bjSA_NS7_IS8_SA_EESA_NS7_IlSA_EESA_jjPS8_PjSF_j.has_indirect_call, 0
	.section	.AMDGPU.csdata,"",@progbits
; Kernel info:
; codeLenInByte = 2848
; TotalNumSgprs: 50
; NumVgprs: 21
; ScratchSize: 0
; MemoryBound: 0
; FloatMode: 240
; IeeeMode: 1
; LDSByteSize: 1068 bytes/workgroup (compile time only)
; SGPRBlocks: 6
; VGPRBlocks: 5
; NumSGPRsForWavesPerEU: 50
; NumVGPRsForWavesPerEU: 21
; Occupancy: 10
; WaveLimiterHint : 1
; COMPUTE_PGM_RSRC2:SCRATCH_EN: 0
; COMPUTE_PGM_RSRC2:USER_SGPR: 6
; COMPUTE_PGM_RSRC2:TRAP_HANDLER: 0
; COMPUTE_PGM_RSRC2:TGID_X_EN: 1
; COMPUTE_PGM_RSRC2:TGID_Y_EN: 1
; COMPUTE_PGM_RSRC2:TGID_Z_EN: 1
; COMPUTE_PGM_RSRC2:TIDIG_COMP_CNT: 0
	.section	.text._ZN2at6native6sbtopk10gatherTopKIN3c108BFloat16EjLin1ELb0EEEvNS_4cuda6detail10TensorInfoIKT_T0_EESA_SA_bSA_SA_NS7_IS8_SA_EESA_NS7_IlSA_EESA_PS8_,"axG",@progbits,_ZN2at6native6sbtopk10gatherTopKIN3c108BFloat16EjLin1ELb0EEEvNS_4cuda6detail10TensorInfoIKT_T0_EESA_SA_bSA_SA_NS7_IS8_SA_EESA_NS7_IlSA_EESA_PS8_,comdat
	.protected	_ZN2at6native6sbtopk10gatherTopKIN3c108BFloat16EjLin1ELb0EEEvNS_4cuda6detail10TensorInfoIKT_T0_EESA_SA_bSA_SA_NS7_IS8_SA_EESA_NS7_IlSA_EESA_PS8_ ; -- Begin function _ZN2at6native6sbtopk10gatherTopKIN3c108BFloat16EjLin1ELb0EEEvNS_4cuda6detail10TensorInfoIKT_T0_EESA_SA_bSA_SA_NS7_IS8_SA_EESA_NS7_IlSA_EESA_PS8_
	.globl	_ZN2at6native6sbtopk10gatherTopKIN3c108BFloat16EjLin1ELb0EEEvNS_4cuda6detail10TensorInfoIKT_T0_EESA_SA_bSA_SA_NS7_IS8_SA_EESA_NS7_IlSA_EESA_PS8_
	.p2align	8
	.type	_ZN2at6native6sbtopk10gatherTopKIN3c108BFloat16EjLin1ELb0EEEvNS_4cuda6detail10TensorInfoIKT_T0_EESA_SA_bSA_SA_NS7_IS8_SA_EESA_NS7_IlSA_EESA_PS8_,@function
_ZN2at6native6sbtopk10gatherTopKIN3c108BFloat16EjLin1ELb0EEEvNS_4cuda6detail10TensorInfoIKT_T0_EESA_SA_bSA_SA_NS7_IS8_SA_EESA_NS7_IlSA_EESA_PS8_: ; @_ZN2at6native6sbtopk10gatherTopKIN3c108BFloat16EjLin1ELb0EEEvNS_4cuda6detail10TensorInfoIKT_T0_EESA_SA_bSA_SA_NS7_IS8_SA_EESA_NS7_IlSA_EESA_PS8_
; %bb.0:
	s_load_dwordx2 s[14:15], s[4:5], 0x2b8
	s_load_dwordx4 s[36:39], s[4:5], 0xd8
	s_mov_b64 s[22:23], s[4:5]
	s_add_u32 s12, s22, 0x2b8
	s_addc_u32 s13, s23, 0
	s_waitcnt lgkmcnt(0)
	s_mul_i32 s0, s15, s8
	s_add_i32 s0, s0, s7
	s_mul_i32 s0, s0, s14
	s_add_i32 s55, s0, s6
	s_cmp_ge_u32 s55, s39
	s_cbranch_scc1 .LBB117_420
; %bb.1:
	s_load_dword s2, s[22:23], 0xd0
	s_load_dword s33, s[22:23], 0xe8
	s_mov_b32 s1, 0
	s_mov_b32 s0, s55
	s_waitcnt lgkmcnt(0)
	s_cmp_lt_i32 s2, 2
	s_cbranch_scc1 .LBB117_4
; %bb.2:
	s_add_i32 s0, s2, -1
	s_add_i32 s4, s2, 1
	s_lshl_b64 s[2:3], s[0:1], 2
	s_add_u32 s0, s22, s2
	s_addc_u32 s3, s23, s3
	s_add_u32 s2, s0, 8
	s_addc_u32 s3, s3, 0
	s_mov_b32 s0, s55
.LBB117_3:                              ; =>This Inner Loop Header: Depth=1
	s_load_dword s5, s[2:3], 0x0
	s_load_dword s8, s[2:3], 0x64
	s_mov_b32 s7, s0
	s_waitcnt lgkmcnt(0)
	v_cvt_f32_u32_e32 v1, s5
	s_sub_i32 s0, 0, s5
	v_rcp_iflag_f32_e32 v1, v1
	v_mul_f32_e32 v1, 0x4f7ffffe, v1
	v_cvt_u32_f32_e32 v1, v1
	v_readfirstlane_b32 s9, v1
	s_mul_i32 s0, s0, s9
	s_mul_hi_u32 s0, s9, s0
	s_add_i32 s9, s9, s0
	s_mul_hi_u32 s0, s7, s9
	s_mul_i32 s9, s0, s5
	s_sub_i32 s9, s7, s9
	s_add_i32 s10, s0, 1
	s_sub_i32 s11, s9, s5
	s_cmp_ge_u32 s9, s5
	s_cselect_b32 s0, s10, s0
	s_cselect_b32 s9, s11, s9
	s_add_i32 s10, s0, 1
	s_cmp_ge_u32 s9, s5
	s_cselect_b32 s0, s10, s0
	s_mul_i32 s5, s0, s5
	s_sub_i32 s5, s7, s5
	s_mul_i32 s5, s8, s5
	s_add_i32 s4, s4, -1
	s_add_i32 s1, s5, s1
	s_add_u32 s2, s2, -4
	s_addc_u32 s3, s3, -1
	s_cmp_gt_u32 s4, 2
	s_cbranch_scc1 .LBB117_3
.LBB117_4:
	s_load_dword s5, s[22:23], 0x1c0
	s_add_u32 s2, s22, 0xf0
	s_addc_u32 s3, s23, 0
	s_mov_b32 s41, 0
	s_mov_b32 s20, s55
	s_waitcnt lgkmcnt(0)
	s_cmp_lt_i32 s5, 2
	s_cbranch_scc1 .LBB117_7
; %bb.5:
	s_add_i32 s40, s5, -1
	s_add_i32 s4, s5, 1
	s_lshl_b64 s[8:9], s[40:41], 2
	s_add_u32 s5, s2, s8
	s_addc_u32 s7, s3, s9
	s_add_u32 s8, s5, 8
	s_addc_u32 s9, s7, 0
	s_mov_b32 s20, s55
.LBB117_6:                              ; =>This Inner Loop Header: Depth=1
	s_load_dword s5, s[8:9], 0x0
	s_load_dword s10, s[8:9], 0x64
	s_mov_b32 s7, s20
	s_waitcnt lgkmcnt(0)
	v_cvt_f32_u32_e32 v1, s5
	s_sub_i32 s11, 0, s5
	v_rcp_iflag_f32_e32 v1, v1
	v_mul_f32_e32 v1, 0x4f7ffffe, v1
	v_cvt_u32_f32_e32 v1, v1
	v_readfirstlane_b32 s15, v1
	s_mul_i32 s11, s11, s15
	s_mul_hi_u32 s11, s15, s11
	s_add_i32 s15, s15, s11
	s_mul_hi_u32 s11, s20, s15
	s_mul_i32 s15, s11, s5
	s_sub_i32 s15, s20, s15
	s_add_i32 s16, s11, 1
	s_sub_i32 s17, s15, s5
	s_cmp_ge_u32 s15, s5
	s_cselect_b32 s11, s16, s11
	s_cselect_b32 s15, s17, s15
	s_add_i32 s16, s11, 1
	s_cmp_ge_u32 s15, s5
	s_cselect_b32 s20, s16, s11
	s_mul_i32 s5, s20, s5
	s_sub_i32 s5, s7, s5
	s_mul_i32 s5, s10, s5
	s_add_i32 s4, s4, -1
	s_add_i32 s41, s5, s41
	s_add_u32 s8, s8, -4
	s_addc_u32 s9, s9, -1
	s_cmp_gt_u32 s4, 2
	s_cbranch_scc1 .LBB117_6
.LBB117_7:
	s_load_dword s4, s[22:23], 0x6c
	s_load_dword s9, s[22:23], 0x2a0
	s_add_u32 s7, s22, 0x1d0
	s_addc_u32 s8, s23, 0
	s_mov_b32 s43, 0
	s_waitcnt lgkmcnt(0)
	s_cmp_lt_i32 s9, 2
	s_cbranch_scc1 .LBB117_10
; %bb.8:
	s_add_i32 s42, s9, -1
	s_add_i32 s5, s9, 1
	s_lshl_b64 s[10:11], s[42:43], 2
	s_add_u32 s7, s7, s10
	s_addc_u32 s9, s8, s11
	s_add_u32 s8, s7, 8
	s_addc_u32 s9, s9, 0
.LBB117_9:                              ; =>This Inner Loop Header: Depth=1
	s_load_dword s7, s[8:9], 0x0
	s_load_dword s11, s[8:9], 0x64
	s_mov_b32 s10, s55
	s_waitcnt lgkmcnt(0)
	v_cvt_f32_u32_e32 v1, s7
	s_sub_i32 s15, 0, s7
	v_rcp_iflag_f32_e32 v1, v1
	v_mul_f32_e32 v1, 0x4f7ffffe, v1
	v_cvt_u32_f32_e32 v1, v1
	v_readfirstlane_b32 s16, v1
	s_mul_i32 s15, s15, s16
	s_mul_hi_u32 s15, s16, s15
	s_add_i32 s16, s16, s15
	s_mul_hi_u32 s15, s55, s16
	s_mul_i32 s16, s15, s7
	s_sub_i32 s16, s55, s16
	s_add_i32 s17, s15, 1
	s_sub_i32 s18, s16, s7
	s_cmp_ge_u32 s16, s7
	s_cselect_b32 s15, s17, s15
	s_cselect_b32 s16, s18, s16
	s_add_i32 s17, s15, 1
	s_cmp_ge_u32 s16, s7
	s_cselect_b32 s55, s17, s15
	s_mul_i32 s7, s55, s7
	s_sub_i32 s7, s10, s7
	s_mul_i32 s7, s11, s7
	s_add_i32 s5, s5, -1
	s_add_i32 s43, s7, s43
	s_add_u32 s8, s8, -4
	s_addc_u32 s9, s9, -1
	s_cmp_gt_u32 s5, 2
	s_cbranch_scc1 .LBB117_9
.LBB117_10:
	s_load_dword s2, s[2:3], 0x6c
                                        ; implicit-def: $vgpr52 : SGPR spill to VGPR lane
	s_mov_b32 s49, 0
	v_cmp_eq_u32_e64 s[10:11], 0, v0
	s_waitcnt lgkmcnt(0)
	v_writelane_b32 v52, s2, 0
	s_load_dwordx2 s[2:3], s[22:23], 0x0
	s_load_dwordx2 s[8:9], s[22:23], 0xf0
	s_waitcnt lgkmcnt(0)
	v_writelane_b32 v52, s8, 1
	v_writelane_b32 v52, s9, 2
	;; [unrolled: 1-line block ×3, first 2 shown]
	s_load_dwordx2 s[8:9], s[22:23], 0x1d0
	v_writelane_b32 v52, s23, 4
	s_waitcnt lgkmcnt(0)
	v_writelane_b32 v52, s8, 5
	v_writelane_b32 v52, s9, 6
	s_mov_b64 s[8:9], exec
	v_writelane_b32 v52, s10, 7
	v_writelane_b32 v52, s11, 8
	s_and_b64 s[10:11], s[8:9], s[10:11]
	s_mov_b64 exec, s[10:11]
; %bb.11:
	v_mov_b32_e32 v1, 0
	v_mov_b32_e32 v2, s36
	;; [unrolled: 1-line block ×3, first 2 shown]
	ds_write_b96 v1, v[1:3] offset:4096
; %bb.12:
	s_or_b64 exec, exec, s[8:9]
	s_mul_i32 s0, s4, s0
	s_add_i32 s48, s0, s1
	s_lshl_b64 s[0:1], s[48:49], 1
	s_add_u32 s40, s2, s0
	s_addc_u32 s42, s3, s1
	s_waitcnt lgkmcnt(0)
	s_barrier
	s_load_dword s0, s[12:13], 0xc
	s_bitcmp1_b32 s38, 0
	s_cselect_b64 s[2:3], -1, 0
	v_writelane_b32 v52, s2, 9
	v_writelane_b32 v52, s3, 10
	s_xor_b64 s[2:3], s[2:3], -1
	v_mbcnt_lo_u32_b32 v1, -1, 0
	v_writelane_b32 v52, s2, 11
	v_mbcnt_hi_u32_b32 v24, -1, v1
	v_writelane_b32 v52, s3, 12
	s_waitcnt lgkmcnt(0)
	s_and_b32 s48, s0, 0xffff
	v_cmp_gt_u32_e32 vcc, 64, v0
	v_cmp_gt_i32_e64 s[2:3], 4, v24
	s_lshl_b32 s21, s48, 2
	s_bfe_u32 s4, s0, 0xa0006
	s_and_b64 s[2:3], vcc, s[2:3]
	v_writelane_b32 v52, s2, 13
	s_cmpk_gt_u32 s36, 0x600
	v_writelane_b32 v52, s3, 14
	s_cselect_b64 s[2:3], -1, 0
	v_mul_lo_u32 v7, s33, v0
	v_writelane_b32 v52, s2, 15
	v_writelane_b32 v52, s3, 16
	v_cmp_gt_u32_e64 s[2:3], s36, v0
	v_mov_b32_e32 v9, 0
	v_writelane_b32 v52, s2, 17
	s_cmp_gt_u32 s48, 63
	v_mov_b32_e32 v8, v9
	v_writelane_b32 v52, s3, 18
	s_cselect_b64 s[2:3], -1, 0
	v_lshlrev_b64 v[1:2], 1, v[7:8]
	v_writelane_b32 v52, s2, 19
	v_writelane_b32 v52, s3, 20
	v_cmp_gt_u32_e64 s[2:3], 2, v0
	v_mov_b32_e32 v3, s42
	v_add_co_u32_e32 v5, vcc, s40, v1
	v_writelane_b32 v52, s2, 21
	v_addc_co_u32_e32 v6, vcc, v3, v2, vcc
	v_writelane_b32 v52, s3, 22
	s_add_i32 s2, s48, -1
	v_lshlrev_b64 v[2:3], v24, -1
	v_writelane_b32 v52, s2, 23
	s_add_i32 s2, s2, s36
	v_not_b32_e32 v22, v2
	v_lshrrev_b32_e32 v2, 2, v0
	s_cmp_lt_u32 s6, s14
	v_and_b32_e32 v2, 0xf0, v2
	s_cselect_b32 s3, 12, 18
	v_or_b32_e32 v27, 0xc00, v2
	s_add_u32 s6, s12, s3
	v_add_u32_e32 v2, 2, v0
	s_addc_u32 s7, s13, 0
	v_max_u32_e32 v2, s36, v2
	v_writelane_b32 v52, s6, 24
	v_xad_u32 v2, v0, -1, v2
	v_not_b32_e32 v21, v3
	v_writelane_b32 v52, s7, 25
	v_add_u32_e32 v3, -2, v2
	v_cmp_lt_u32_e64 s[6:7], 31, v2
	v_lshrrev_b32_e32 v4, 1, v3
	v_writelane_b32 v52, s6, 26
	v_add_u32_e32 v4, 1, v4
	v_writelane_b32 v52, s7, 27
	v_cmp_lt_u32_e64 s[6:7], 13, v3
	v_and_b32_e32 v12, 7, v4
	v_writelane_b32 v52, s6, 28
	v_writelane_b32 v52, s7, 29
	v_cmp_ne_u32_e64 s[6:7], 0, v12
	v_and_b32_e32 v28, -2, v2
	v_writelane_b32 v52, s6, 30
	v_writelane_b32 v52, s7, 31
	v_cmp_ne_u32_e64 s[6:7], v2, v28
	v_cvt_f32_u32_e32 v2, s21
	s_add_i32 s3, s4, -1
	s_bfe_u32 s5, s48, 0x30006
	s_and_b32 s3, s3, 0xffff
	v_rcp_iflag_f32_e32 v2, v2
	v_writelane_b32 v52, s6, 32
	s_cmp_gt_u32 s3, 6
	v_writelane_b32 v52, s7, 33
	s_cselect_b64 s[6:7], -1, 0
	v_mul_f32_e32 v2, 0x4f7ffffe, v2
	v_writelane_b32 v52, s6, 34
	s_and_b32 s23, s4, 0x3f8
	v_cvt_u32_f32_e32 v2, v2
	v_writelane_b32 v52, s7, 35
	s_cmp_lg_u32 s5, 0
	v_writelane_b32 v52, s5, 36
	s_cselect_b64 s[4:5], -1, 0
	v_writelane_b32 v52, s4, 37
	v_writelane_b32 v52, s5, 38
	s_sub_i32 s3, 0, s21
	v_readfirstlane_b32 s4, v2
	s_mul_i32 s3, s3, s4
	s_mul_hi_u32 s3, s4, s3
	s_add_i32 s3, s4, s3
	v_writelane_b32 v52, s3, 39
	s_mul_hi_u32 s3, s36, s3
	s_mul_i32 s3, s3, s21
	v_cvt_f32_u32_e32 v2, s48
	s_sub_i32 s3, s36, s3
	s_sub_i32 s4, s3, s21
	s_cmp_ge_u32 s3, s21
	v_and_b32_e32 v30, -8, v4
	s_cselect_b32 s3, s4, s3
	v_rcp_iflag_f32_e32 v4, v2
	s_sub_i32 s4, s3, s21
	s_cmp_ge_u32 s3, s21
	s_cselect_b32 s3, s4, s3
	v_lshlrev_b32_e32 v23, 2, v0
	s_sub_i32 s60, s36, s3
	v_mul_f32_e32 v4, 0x4f7ffffe, v4
	v_cmp_gt_u32_e64 s[4:5], s60, v23
	v_cvt_u32_f32_e32 v4, v4
	v_add_u32_e32 v31, s60, v0
	v_writelane_b32 v52, s4, 40
	v_writelane_b32 v52, s5, 41
	v_cmp_gt_u32_e64 s[4:5], s36, v31
	v_writelane_b32 v52, s4, 42
	v_writelane_b32 v52, s5, 43
	s_sub_i32 s4, 0, s48
	v_readfirstlane_b32 s5, v4
	s_mul_i32 s4, s4, s5
	v_mul_lo_u32 v8, v31, s33
	s_mul_hi_u32 s4, s5, s4
	s_add_i32 s4, s5, s4
	v_writelane_b32 v52, s4, 44
	s_mul_hi_u32 s4, s2, s4
	s_mul_i32 s4, s4, s48
	v_lshlrev_b64 v[2:3], 1, v[8:9]
	s_sub_i32 s4, s2, s4
	s_sub_i32 s5, s4, s48
	v_add_co_u32_e32 v10, vcc, s40, v2
	s_cmp_ge_u32 s4, s48
	v_mul_lo_u32 v2, s33, v23
	s_cselect_b32 s4, s5, s4
	s_sub_i32 s5, s4, s48
	s_cmp_ge_u32 s4, s48
	s_cselect_b32 s4, s5, s4
	v_add_u32_e32 v33, s33, v2
	v_or_b32_e32 v2, 2, v23
	s_sub_i32 s61, s2, s4
	v_mul_lo_u32 v34, s33, v2
	v_or_b32_e32 v2, 3, v23
	s_add_i32 s2, s48, s36
	v_mul_lo_u32 v35, s33, v2
	v_add_u32_e32 v2, s2, v0
	v_subrev_u32_e32 v2, s3, v2
	v_mul_lo_u32 v36, s33, v2
	v_cmp_gt_u32_e64 s[4:5], s61, v0
	v_lshlrev_b32_e32 v25, 1, v0
	v_lshlrev_b32_e32 v1, 2, v24
	v_mov_b32_e32 v8, s42
	v_writelane_b32 v52, s4, 45
	s_mul_i32 s54, s33, s48
	v_cmp_eq_u32_e64 s[0:1], 0, v24
	v_add_u32_e32 v26, 0xc00, v25
	v_and_b32_e32 v20, 0x100, v1
	v_add_u32_e32 v29, v0, v28
	s_mov_b32 s22, s33
	v_addc_co_u32_e32 v11, vcc, v8, v3, vcc
	v_writelane_b32 v52, s5, 46
	v_lshlrev_b32_e32 v32, 2, v12
	s_lshl_b32 s10, s54, 2
	s_lshl_b32 s11, s48, 3
	s_lshl_b32 s38, s48, 1
	v_or_b32_e32 v38, 0xc00, v1
	s_mov_b32 s4, 14
	s_mov_b64 s[62:63], 0
	v_lshlrev_b32_e32 v39, 2, v7
	v_lshlrev_b32_e32 v40, 3, v0
	v_mov_b32_e32 v47, s37
	v_mov_b32_e32 v41, 0xffff
	;; [unrolled: 1-line block ×3, first 2 shown]
	v_mov_b32_e32 v43, -1
	v_mov_b32_e32 v44, 0x5040100
	v_mov_b32_e32 v46, 0
	;; [unrolled: 1-line block ×4, first 2 shown]
                                        ; implicit-def: $sgpr64_sgpr65
                                        ; implicit-def: $sgpr66_sgpr67
                                        ; implicit-def: $sgpr68_sgpr69
                                        ; implicit-def: $sgpr72_sgpr73
                                        ; implicit-def: $sgpr70_sgpr71
                                        ; implicit-def: $sgpr74_sgpr75
                                        ; implicit-def: $sgpr76_sgpr77
                                        ; implicit-def: $sgpr78_sgpr79
                                        ; implicit-def: $sgpr80_sgpr81
                                        ; implicit-def: $sgpr82_sgpr83
	s_branch .LBB117_15
.LBB117_13:                             ;   in Loop: Header=BB117_15 Depth=1
	s_or_b64 exec, exec, s[12:13]
	s_andn2_b64 s[12:13], s[82:83], exec
	s_and_b64 s[8:9], s[8:9], exec
	s_or_b64 s[82:83], s[12:13], s[8:9]
	s_andn2_b64 s[80:81], s[80:81], exec
	s_andn2_b64 s[78:79], s[78:79], exec
	;; [unrolled: 1-line block ×4, first 2 shown]
	s_orn2_b64 s[6:7], s[6:7], exec
	v_mov_b32_e32 v47, v4
.LBB117_14:                             ;   in Loop: Header=BB117_15 Depth=1
	s_or_b64 exec, exec, s[2:3]
	s_and_b64 s[2:3], exec, s[6:7]
	s_or_b64 s[62:63], s[2:3], s[62:63]
	s_andn2_b64 s[2:3], s[70:71], exec
	s_and_b64 s[6:7], s[82:83], exec
	s_or_b64 s[70:71], s[2:3], s[6:7]
	s_andn2_b64 s[2:3], s[72:73], exec
	s_and_b64 s[6:7], s[80:81], exec
	;; [unrolled: 3-line block ×5, first 2 shown]
	s_or_b64 s[64:65], s[2:3], s[6:7]
	s_andn2_b64 exec, exec, s[62:63]
	s_cbranch_execz .LBB117_416
.LBB117_15:                             ; =>This Loop Header: Depth=1
                                        ;     Child Loop BB117_20 Depth 2
                                        ;     Child Loop BB117_41 Depth 2
	;; [unrolled: 1-line block ×26, first 2 shown]
	ds_read_b64 v[1:2], v9 offset:4096
	s_waitcnt lgkmcnt(0)
	v_readfirstlane_b32 s5, v1
	s_cmp_lg_u32 s5, 0
	s_cbranch_scc1 .LBB117_60
; %bb.16:                               ;   in Loop: Header=BB117_15 Depth=1
	v_readlane_b32 s2, v52, 15
	v_readlane_b32 s3, v52, 16
	s_and_b64 vcc, exec, s[2:3]
	s_cbranch_vccz .LBB117_28
; %bb.17:                               ;   in Loop: Header=BB117_15 Depth=1
	s_movk_i32 s5, 0x601
	v_cmp_gt_u32_e32 vcc, s5, v2
	s_mov_b64 s[2:3], 0
	s_mov_b64 s[6:7], 0
	s_cbranch_vccz .LBB117_29
; %bb.18:                               ;   in Loop: Header=BB117_15 Depth=1
	v_readlane_b32 s6, v52, 24
	v_readlane_b32 s7, v52, 25
	s_nop 4
	global_load_ushort v1, v9, s[6:7]
	global_load_ushort v4, v[5:6], off
	s_mov_b64 s[12:13], 0
	v_mov_b32_e32 v3, v0
	s_waitcnt vmcnt(1)
	v_add_u32_e32 v2, v0, v1
	v_mul_lo_u32 v8, s33, v2
	v_mul_lo_u32 v2, s33, v1
	s_branch .LBB117_20
.LBB117_19:                             ;   in Loop: Header=BB117_20 Depth=2
	s_or_b64 exec, exec, s[6:7]
	v_add_u32_e32 v8, v8, v2
	v_mov_b32_e32 v4, v12
	s_andn2_b64 exec, exec, s[12:13]
	s_cbranch_execz .LBB117_35
.LBB117_20:                             ;   Parent Loop BB117_15 Depth=1
                                        ; =>  This Inner Loop Header: Depth=2
	v_add_u32_e32 v3, v3, v1
	v_cmp_gt_u32_e64 s[6:7], s36, v3
	v_cmp_le_u32_e32 vcc, s36, v3
	s_waitcnt lgkmcnt(0)
	v_mov_b32_e32 v13, 0
	v_mov_b32_e32 v12, 0
	s_and_saveexec_b64 s[8:9], s[6:7]
	s_cbranch_execz .LBB117_22
; %bb.21:                               ;   in Loop: Header=BB117_20 Depth=2
	v_lshlrev_b64 v[14:15], 1, v[8:9]
	v_mov_b32_e32 v12, s42
	v_add_co_u32_e64 v14, s[6:7], s40, v14
	v_addc_co_u32_e64 v15, s[6:7], v12, v15, s[6:7]
	global_load_ushort v12, v[14:15], off
.LBB117_22:                             ;   in Loop: Header=BB117_20 Depth=2
	s_or_b64 exec, exec, s[8:9]
	s_waitcnt vmcnt(0)
	v_cmp_lt_i16_e64 s[6:7], -1, v4
	v_cndmask_b32_e64 v14, v41, v42, s[6:7]
	v_lshlrev_b32_e32 v15, 16, v4
	v_cmp_o_f32_e64 s[6:7], v15, v15
	v_xor_b32_sdwa v14, v14, v4 dst_sel:DWORD dst_unused:UNUSED_PAD src0_sel:DWORD src1_sel:WORD_0
	v_cndmask_b32_e64 v14, v41, v14, s[6:7]
	v_and_b32_e32 v14, v14, v45
	v_cmp_eq_u32_e64 s[26:27], v14, v37
	s_cmp_lg_u64 s[26:27], 0
	s_cselect_b64 s[6:7], -1, 0
	s_and_b64 s[6:7], s[0:1], s[6:7]
	s_and_saveexec_b64 s[8:9], s[6:7]
	s_cbranch_execz .LBB117_26
; %bb.23:                               ;   in Loop: Header=BB117_20 Depth=2
	s_mov_b64 s[16:17], exec
	v_mbcnt_lo_u32_b32 v13, s16, 0
	v_mbcnt_hi_u32_b32 v13, s17, v13
	s_bcnt1_i32_b64 s5, s[26:27]
	v_cmp_eq_u32_e64 s[6:7], 0, v13
                                        ; implicit-def: $vgpr14
	s_and_saveexec_b64 s[14:15], s[6:7]
; %bb.24:                               ;   in Loop: Header=BB117_20 Depth=2
	s_bcnt1_i32_b64 s6, s[16:17]
	s_mul_i32 s6, s5, s6
	v_mov_b32_e32 v14, s6
	ds_add_rtn_u32 v14, v9, v14 offset:4104
; %bb.25:                               ;   in Loop: Header=BB117_20 Depth=2
	s_or_b64 exec, exec, s[14:15]
	s_waitcnt lgkmcnt(0)
	v_readfirstlane_b32 s6, v14
	v_mov_b32_e32 v14, s6
	v_mad_u32_u24 v13, s5, v13, v14
.LBB117_26:                             ;   in Loop: Header=BB117_20 Depth=2
	s_or_b64 exec, exec, s[8:9]
	ds_bpermute_b32 v13, v20, v13
	s_and_b64 s[6:7], exec, vcc
	s_or_b64 s[12:13], s[6:7], s[12:13]
	s_and_saveexec_b64 s[6:7], s[26:27]
	s_cbranch_execz .LBB117_19
; %bb.27:                               ;   in Loop: Header=BB117_20 Depth=2
	v_and_b32_e32 v15, s26, v22
	v_and_b32_e32 v14, s27, v21
	v_bcnt_u32_b32 v15, v15, 0
	v_bcnt_u32_b32 v14, v14, v15
	v_lshlrev_b32_e32 v14, 1, v14
	s_waitcnt lgkmcnt(0)
	v_lshl_add_u32 v13, v13, 1, v14
	ds_write_b16 v13, v4
	s_branch .LBB117_19
.LBB117_28:                             ;   in Loop: Header=BB117_15 Depth=1
	s_mov_b64 s[2:3], -1
	s_mov_b64 s[6:7], 0
.LBB117_29:                             ;   in Loop: Header=BB117_15 Depth=1
	s_and_b64 vcc, exec, s[2:3]
	s_cbranch_vccz .LBB117_58
.LBB117_30:                             ;   in Loop: Header=BB117_15 Depth=1
	s_mov_b64 s[26:27], exec
	v_readlane_b32 s2, v52, 17
	v_readlane_b32 s3, v52, 18
	s_and_b64 s[2:3], s[26:27], s[2:3]
	s_mov_b64 exec, s[2:3]
	s_cbranch_execz .LBB117_55
; %bb.31:                               ;   in Loop: Header=BB117_15 Depth=1
	v_readlane_b32 s2, v52, 24
	v_readlane_b32 s3, v52, 25
	s_nop 4
	global_load_ushort v1, v9, s[2:3]
	global_load_ushort v16, v[5:6], off
	s_waitcnt vmcnt(1)
	v_add_u32_e32 v12, v0, v1
	v_readfirstlane_b32 s5, v1
	v_cmp_gt_u32_e32 vcc, s36, v12
	v_mov_b32_e32 v1, v0
	s_and_saveexec_b64 s[30:31], vcc
	s_cbranch_execz .LBB117_54
; %bb.32:                               ;   in Loop: Header=BB117_15 Depth=1
	s_mov_b64 s[6:7], 0
	s_mul_i32 s12, s33, s5
                                        ; implicit-def: $vgpr1
                                        ; implicit-def: $vgpr3
                                        ; implicit-def: $vgpr2
	s_mov_b64 s[2:3], exec
	v_readlane_b32 s8, v52, 26
	v_readlane_b32 s9, v52, 27
	s_and_b64 s[8:9], s[2:3], s[8:9]
	s_xor_b64 s[34:35], s[8:9], s[2:3]
	s_mov_b64 exec, s[8:9]
	s_cbranch_execnz .LBB117_38
; %bb.33:                               ;   in Loop: Header=BB117_15 Depth=1
	s_andn2_saveexec_b64 s[2:3], s[34:35]
	s_cbranch_execnz .LBB117_49
.LBB117_34:                             ;   in Loop: Header=BB117_15 Depth=1
	s_or_b64 exec, exec, s[2:3]
	s_and_saveexec_b64 s[2:3], s[6:7]
	s_cbranch_execnz .LBB117_50
	s_branch .LBB117_53
.LBB117_35:                             ;   in Loop: Header=BB117_15 Depth=1
	s_or_b64 exec, exec, s[12:13]
	s_waitcnt lgkmcnt(0)
	s_barrier
	s_mov_b64 s[6:7], exec
	v_readlane_b32 s8, v52, 7
	v_readlane_b32 s9, v52, 8
	s_and_b64 s[8:9], s[6:7], s[8:9]
	s_mov_b64 exec, s[8:9]
	s_cbranch_execz .LBB117_37
; %bb.36:                               ;   in Loop: Header=BB117_15 Depth=1
	ds_read_b32 v1, v9 offset:4104
	s_waitcnt lgkmcnt(0)
	ds_write_b32 v9, v1 offset:4096
.LBB117_37:                             ;   in Loop: Header=BB117_15 Depth=1
	s_or_b64 exec, exec, s[6:7]
	s_waitcnt lgkmcnt(0)
	s_barrier
	s_mov_b64 s[6:7], -1
	s_and_b64 vcc, exec, s[2:3]
	s_cbranch_vccnz .LBB117_30
	s_branch .LBB117_58
.LBB117_38:                             ;   in Loop: Header=BB117_15 Depth=1
	v_cvt_f32_u32_e32 v1, s5
	s_sub_i32 s3, 0, s5
	v_add_u32_e32 v2, s5, v12
	v_max_u32_e32 v2, s36, v2
	v_rcp_iflag_f32_e32 v1, v1
	s_lshl_b32 s2, s5, 1
	v_sub_u32_e32 v2, v2, v0
	v_cmp_ne_u32_e32 vcc, s2, v2
	v_mul_f32_e32 v1, 0x4f7ffffe, v1
	v_cvt_u32_f32_e32 v1, v1
	v_cndmask_b32_e64 v8, 0, 1, vcc
	v_or_b32_e32 v8, s2, v8
	v_sub_u32_e32 v2, v2, v8
	v_mul_lo_u32 v3, s3, v1
	s_not_b32 s6, s12
	s_ashr_i32 s13, s6, 31
	s_abs_i32 s8, s12
	v_mul_hi_u32 v3, v1, v3
	v_mul_lo_u32 v4, s33, v12
	s_cmp_eq_u32 s5, 1
	s_mov_b64 s[2:3], -1
	v_add_u32_e32 v1, v1, v3
	v_mul_hi_u32 v3, v2, v1
	v_xor_b32_e32 v4, s13, v4
                                        ; implicit-def: $vgpr1
	v_mul_lo_u32 v8, v3, s5
	v_add_u32_e32 v13, 1, v3
	v_sub_u32_e32 v2, v2, v8
	v_subrev_u32_e32 v8, s5, v2
	v_cmp_le_u32_e64 s[6:7], s5, v2
	v_cndmask_b32_e64 v3, v3, v13, s[6:7]
	v_cndmask_b32_e64 v2, v2, v8, s[6:7]
	v_add_u32_e32 v8, 1, v3
	v_cmp_le_u32_e64 s[6:7], s5, v2
	v_cndmask_b32_e64 v2, v3, v8, s[6:7]
	v_addc_co_u32_e32 v2, vcc, 0, v2, vcc
	v_mul_hi_u32 v3, s8, v2
	v_mul_lo_u32 v2, s8, v2
	s_cselect_b64 s[8:9], -1, 0
	v_cmp_eq_u32_e32 vcc, 0, v3
	v_cmp_le_u32_e64 s[6:7], v2, v4
	s_and_b64 s[8:9], vcc, s[8:9]
	s_and_b64 s[8:9], s[8:9], s[6:7]
	v_mov_b32_e32 v3, v0
	s_and_saveexec_b64 s[6:7], s[8:9]
	s_cbranch_execz .LBB117_48
; %bb.39:                               ;   in Loop: Header=BB117_15 Depth=1
	v_add_u32_e32 v13, 1, v12
	v_mov_b32_e32 v15, v13
	s_waitcnt vmcnt(0)
	v_lshlrev_b32_e32 v17, 16, v16
	v_mov_b32_e32 v1, 0
	v_mov_b32_e32 v14, v12
                                        ; implicit-def: $vgpr16
	s_mov_b64 s[44:45], exec
	v_readlane_b32 s2, v52, 28
	v_readlane_b32 s3, v52, 29
	s_and_b64 s[2:3], s[44:45], s[2:3]
	s_mov_b64 exec, s[2:3]
	s_cbranch_execz .LBB117_43
; %bb.40:                               ;   in Loop: Header=BB117_15 Depth=1
	v_mov_b32_e32 v15, v13
	s_mov_b32 s2, 0
	s_mov_b64 s[84:85], 0
	v_mov_b32_e32 v48, v30
	v_mov_b32_e32 v49, v25
	;; [unrolled: 1-line block ×3, first 2 shown]
	s_mov_b32 s3, 0x5040100
.LBB117_41:                             ;   Parent Loop BB117_15 Depth=1
                                        ; =>  This Inner Loop Header: Depth=2
	v_mul_lo_u32 v8, v14, s33
	v_mul_lo_u32 v1, v15, s22
	v_mov_b32_e32 v13, s42
	v_add_u32_e32 v48, -8, v48
	v_lshlrev_b64 v[2:3], 1, v[8:9]
	s_add_i32 s2, s2, 16
	v_add_co_u32_e32 v18, vcc, s40, v2
	v_mov_b32_e32 v2, v9
	v_lshlrev_b64 v[1:2], 1, v[1:2]
	v_addc_co_u32_e32 v19, vcc, v13, v3, vcc
	v_add_co_u32_e32 v1, vcc, s40, v1
	v_addc_co_u32_e32 v2, vcc, v13, v2, vcc
	global_load_ushort v3, v[18:19], off
	s_nop 0
	global_load_ushort v18, v[1:2], off
	v_add_u32_e32 v2, 2, v15
	v_mul_lo_u32 v2, v2, s22
	s_waitcnt vmcnt(1)
	v_alignbit_b32 v1, v3, v17, 16
	v_add_u32_e32 v3, 2, v14
	v_mul_lo_u32 v8, v3, s33
	v_lshlrev_b64 v[3:4], 1, v[8:9]
	v_add_co_u32_e32 v16, vcc, s40, v3
	v_mov_b32_e32 v3, v9
	v_lshlrev_b64 v[2:3], 1, v[2:3]
	v_addc_co_u32_e32 v17, vcc, v13, v4, vcc
	v_add_co_u32_e32 v2, vcc, s40, v2
	v_addc_co_u32_e32 v3, vcc, v13, v3, vcc
	global_load_ushort v4, v[16:17], off
	global_load_ushort v19, v[2:3], off
	v_add_u32_e32 v3, 4, v15
	v_mul_lo_u32 v3, v3, s22
	s_waitcnt vmcnt(1)
	v_perm_b32 v2, v4, v18, s3
	v_add_u32_e32 v4, 4, v14
	v_mul_lo_u32 v8, v4, s33
	v_mov_b32_e32 v4, v9
	v_lshlrev_b64 v[3:4], 1, v[3:4]
	v_lshlrev_b64 v[16:17], 1, v[8:9]
	v_add_co_u32_e32 v16, vcc, s40, v16
	v_addc_co_u32_e32 v17, vcc, v13, v17, vcc
	v_add_co_u32_e32 v3, vcc, s40, v3
	v_addc_co_u32_e32 v4, vcc, v13, v4, vcc
	global_load_ushort v8, v[16:17], off
	s_nop 0
	global_load_ushort v4, v[3:4], off
	v_add_u32_e32 v16, 6, v15
	v_mul_lo_u32 v16, v16, s22
	s_waitcnt vmcnt(1)
	v_perm_b32 v3, v8, v19, s3
	v_add_u32_e32 v8, 6, v14
	v_mul_lo_u32 v8, v8, s33
	v_lshlrev_b64 v[17:18], 1, v[8:9]
	v_add_co_u32_e32 v50, vcc, s40, v17
	v_mov_b32_e32 v17, v9
	v_lshlrev_b64 v[16:17], 1, v[16:17]
	v_addc_co_u32_e32 v51, vcc, v13, v18, vcc
	v_add_co_u32_e32 v16, vcc, s40, v16
	v_addc_co_u32_e32 v17, vcc, v13, v17, vcc
	global_load_ushort v8, v[50:51], off
	global_load_ushort v18, v[16:17], off
	s_waitcnt vmcnt(1)
	v_perm_b32 v4, v8, v4, s3
	ds_write_b128 v49, v[1:4]
	v_add_u32_e32 v2, 8, v14
	v_mul_lo_u32 v8, v2, s33
	v_add_u32_e32 v1, 8, v15
	v_mul_lo_u32 v1, v1, s22
	v_lshlrev_b64 v[2:3], 1, v[8:9]
	v_add_co_u32_e32 v16, vcc, s40, v2
	v_mov_b32_e32 v2, v9
	v_lshlrev_b64 v[1:2], 1, v[1:2]
	v_addc_co_u32_e32 v17, vcc, v13, v3, vcc
	v_add_co_u32_e32 v1, vcc, s40, v1
	v_addc_co_u32_e32 v2, vcc, v13, v2, vcc
	global_load_ushort v3, v[16:17], off
	global_load_ushort v19, v[1:2], off
	v_add_u32_e32 v2, 10, v15
	v_mul_lo_u32 v2, v2, s22
	s_waitcnt vmcnt(1)
	v_perm_b32 v1, v3, v18, s3
	v_add_u32_e32 v3, 10, v14
	v_mul_lo_u32 v8, v3, s33
	v_lshlrev_b64 v[3:4], 1, v[8:9]
	v_add_co_u32_e32 v16, vcc, s40, v3
	v_mov_b32_e32 v3, v9
	v_lshlrev_b64 v[2:3], 1, v[2:3]
	v_addc_co_u32_e32 v17, vcc, v13, v4, vcc
	v_add_co_u32_e32 v2, vcc, s40, v2
	v_addc_co_u32_e32 v3, vcc, v13, v3, vcc
	global_load_ushort v4, v[16:17], off
	global_load_ushort v18, v[2:3], off
	v_add_u32_e32 v3, 12, v15
	v_mul_lo_u32 v3, v3, s22
	s_waitcnt vmcnt(1)
	v_perm_b32 v2, v4, v19, s3
	v_add_u32_e32 v4, 12, v14
	v_mul_lo_u32 v8, v4, s33
	v_mov_b32_e32 v4, v9
	v_lshlrev_b64 v[3:4], 1, v[3:4]
	v_mov_b32_e32 v19, v9
	v_lshlrev_b64 v[16:17], 1, v[8:9]
	v_add_co_u32_e32 v16, vcc, s40, v16
	v_addc_co_u32_e32 v17, vcc, v13, v17, vcc
	v_add_co_u32_e32 v3, vcc, s40, v3
	v_addc_co_u32_e32 v4, vcc, v13, v4, vcc
	global_load_ushort v8, v[16:17], off
	s_nop 0
	global_load_ushort v4, v[3:4], off
	v_add_u32_e32 v16, 14, v15
	v_add_u32_e32 v15, 16, v15
	s_waitcnt vmcnt(1)
	v_perm_b32 v3, v8, v18, s3
	v_add_u32_e32 v8, 14, v14
	v_mul_lo_u32 v8, v8, s33
	v_mul_lo_u32 v18, v16, s22
	v_add_u32_e32 v14, 16, v14
	v_lshlrev_b64 v[16:17], 1, v[8:9]
	v_lshlrev_b64 v[18:19], 1, v[18:19]
	v_add_co_u32_e32 v16, vcc, s40, v16
	v_addc_co_u32_e32 v17, vcc, v13, v17, vcc
	v_add_co_u32_e32 v18, vcc, s40, v18
	v_addc_co_u32_e32 v19, vcc, v13, v19, vcc
	global_load_ushort v8, v[16:17], off
	s_nop 0
	global_load_ushort v16, v[18:19], off
	v_cmp_eq_u32_e32 vcc, 0, v48
	s_or_b64 s[84:85], vcc, s[84:85]
	s_waitcnt vmcnt(1)
	v_perm_b32 v4, v8, v4, s3
	s_waitcnt vmcnt(0)
	v_perm_b32 v17, v16, v8, s3
	ds_write_b128 v49, v[1:4] offset:16
	v_add_u32_e32 v49, 32, v49
	v_mov_b32_e32 v1, s2
	s_andn2_b64 exec, exec, s[84:85]
	s_cbranch_execnz .LBB117_41
; %bb.42:                               ;   in Loop: Header=BB117_15 Depth=1
	s_or_b64 exec, exec, s[84:85]
.LBB117_43:                             ;   in Loop: Header=BB117_15 Depth=1
	s_or_b64 exec, exec, s[44:45]
	s_mov_b64 s[2:3], exec
	v_readlane_b32 s8, v52, 30
	v_readlane_b32 s9, v52, 31
	s_and_b64 s[8:9], s[2:3], s[8:9]
	s_mov_b64 exec, s[8:9]
	s_cbranch_execz .LBB117_47
; %bb.44:                               ;   in Loop: Header=BB117_15 Depth=1
	v_lshl_add_u32 v1, v1, 1, v25
	s_mov_b64 s[8:9], 0
	v_mov_b32_e32 v2, v32
	s_mov_b32 s13, 0x5040100
.LBB117_45:                             ;   Parent Loop BB117_15 Depth=1
                                        ; =>  This Inner Loop Header: Depth=2
	v_mul_lo_u32 v8, v14, s33
	v_mul_lo_u32 v3, v15, s22
	v_mov_b32_e32 v4, v9
	v_mov_b32_e32 v13, s42
	v_lshlrev_b64 v[18:19], 1, v[8:9]
	v_lshlrev_b64 v[3:4], 1, v[3:4]
	v_add_co_u32_e32 v18, vcc, s40, v18
	v_addc_co_u32_e32 v19, vcc, v13, v19, vcc
	v_add_co_u32_e32 v3, vcc, s40, v3
	v_addc_co_u32_e32 v4, vcc, v13, v4, vcc
	global_load_ushort v8, v[18:19], off
	global_load_ushort v16, v[3:4], off
	v_add_u32_e32 v2, -4, v2
	v_cmp_eq_u32_e32 vcc, 0, v2
	v_add_u32_e32 v15, 2, v15
	v_add_u32_e32 v14, 2, v14
	s_or_b64 s[8:9], vcc, s[8:9]
	s_waitcnt vmcnt(1)
	v_alignbit_b32 v4, v8, v17, 16
	s_waitcnt vmcnt(0)
	v_perm_b32 v3, v16, v8, s13
	ds_write_b32 v1, v4
	v_add_u32_e32 v1, 4, v1
	v_mov_b32_e32 v17, v3
	s_andn2_b64 exec, exec, s[8:9]
	s_cbranch_execnz .LBB117_45
; %bb.46:                               ;   in Loop: Header=BB117_15 Depth=1
	s_or_b64 exec, exec, s[8:9]
.LBB117_47:                             ;   in Loop: Header=BB117_15 Depth=1
	s_or_b64 exec, exec, s[2:3]
	v_readlane_b32 s2, v52, 32
	v_add_u32_e32 v12, v12, v28
	v_readlane_b32 s3, v52, 33
	v_add_u32_e32 v1, -1, v12
	s_orn2_b64 s[2:3], s[2:3], exec
	v_mov_b32_e32 v3, v29
.LBB117_48:                             ;   in Loop: Header=BB117_15 Depth=1
	s_or_b64 exec, exec, s[6:7]
	v_mov_b32_e32 v2, s12
	s_and_b64 s[6:7], s[2:3], exec
	s_andn2_saveexec_b64 s[2:3], s[34:35]
	s_cbranch_execz .LBB117_34
.LBB117_49:                             ;   in Loop: Header=BB117_15 Depth=1
	v_mov_b32_e32 v2, s12
	s_or_b64 s[6:7], s[6:7], exec
	v_mov_b32_e32 v3, v0
	s_or_b64 exec, exec, s[2:3]
	s_and_saveexec_b64 s[2:3], s[6:7]
	s_cbranch_execz .LBB117_53
.LBB117_50:                             ;   in Loop: Header=BB117_15 Depth=1
	v_mul_lo_u32 v8, s33, v12
	s_sub_i32 s8, 0, s5
	s_mov_b64 s[6:7], 0
.LBB117_51:                             ;   Parent Loop BB117_15 Depth=1
                                        ; =>  This Inner Loop Header: Depth=2
	v_mov_b32_e32 v4, v12
	v_lshlrev_b64 v[12:13], 1, v[8:9]
	v_mov_b32_e32 v14, s42
	v_add_co_u32_e32 v12, vcc, s40, v12
	v_addc_co_u32_e32 v13, vcc, v14, v13, vcc
	s_waitcnt vmcnt(0)
	v_mov_b32_e32 v1, v16
	global_load_ushort v16, v[12:13], off
	v_add_u32_e32 v12, s5, v4
	v_lshlrev_b32_e32 v3, 1, v3
	v_cmp_le_u32_e32 vcc, s36, v12
	ds_write_b16 v3, v1
	v_add_u32_e32 v8, v8, v2
	s_or_b64 s[6:7], vcc, s[6:7]
	v_mov_b32_e32 v3, v4
	s_andn2_b64 exec, exec, s[6:7]
	s_cbranch_execnz .LBB117_51
; %bb.52:                               ;   in Loop: Header=BB117_15 Depth=1
	s_or_b64 exec, exec, s[6:7]
	v_add_u32_e32 v1, s8, v12
.LBB117_53:                             ;   in Loop: Header=BB117_15 Depth=1
	s_or_b64 exec, exec, s[2:3]
.LBB117_54:                             ;   in Loop: Header=BB117_15 Depth=1
	s_or_b64 exec, exec, s[30:31]
	v_lshlrev_b32_e32 v1, 1, v1
	s_waitcnt vmcnt(0)
	ds_write_b16 v1, v16
.LBB117_55:                             ;   in Loop: Header=BB117_15 Depth=1
	s_or_b64 exec, exec, s[26:27]
	s_waitcnt lgkmcnt(0)
	s_barrier
	s_mov_b64 s[2:3], exec
	v_readlane_b32 s6, v52, 7
	v_readlane_b32 s7, v52, 8
	s_and_b64 s[6:7], s[2:3], s[6:7]
	s_mov_b64 exec, s[6:7]
; %bb.56:                               ;   in Loop: Header=BB117_15 Depth=1
	v_mov_b32_e32 v1, s36
	ds_write_b32 v9, v1 offset:4096
; %bb.57:                               ;   in Loop: Header=BB117_15 Depth=1
	s_or_b64 exec, exec, s[2:3]
	s_mov_b64 s[6:7], -1
	s_waitcnt lgkmcnt(0)
	s_barrier
.LBB117_58:                             ;   in Loop: Header=BB117_15 Depth=1
	s_mov_b32 s5, 0
	s_and_b64 vcc, exec, s[6:7]
	s_cbranch_vccz .LBB117_60
; %bb.59:                               ;   in Loop: Header=BB117_15 Depth=1
	ds_read_b32 v1, v9 offset:4096
	s_waitcnt lgkmcnt(0)
	v_readfirstlane_b32 s5, v1
.LBB117_60:                             ;   in Loop: Header=BB117_15 Depth=1
	s_cmp_lt_i32 s5, 1
	s_mov_b64 s[2:3], -1
                                        ; implicit-def: $vgpr1
	s_cbranch_scc1 .LBB117_70
; %bb.61:                               ;   in Loop: Header=BB117_15 Depth=1
	s_and_b64 vcc, exec, s[2:3]
	s_cbranch_vccnz .LBB117_81
.LBB117_62:                             ;   in Loop: Header=BB117_15 Depth=1
	s_lshl_b32 s5, s49, 6
	s_and_saveexec_b64 s[2:3], s[0:1]
.LBB117_63:                             ;   in Loop: Header=BB117_15 Depth=1
	v_lshl_add_u32 v8, s5, 2, v27
	ds_write_b128 v8, v[1:4]
.LBB117_64:                             ;   in Loop: Header=BB117_15 Depth=1
	s_or_b64 exec, exec, s[2:3]
	s_waitcnt lgkmcnt(0)
	s_barrier
	s_mov_b64 s[2:3], exec
	v_readlane_b32 s6, v52, 13
	v_readlane_b32 s7, v52, 14
	s_and_b64 s[6:7], s[2:3], s[6:7]
	s_mov_b64 exec, s[6:7]
	s_cbranch_execz .LBB117_95
; %bb.65:                               ;   in Loop: Header=BB117_15 Depth=1
	v_readlane_b32 s6, v52, 19
	v_readlane_b32 s7, v52, 20
	s_andn2_b64 vcc, exec, s[6:7]
	v_mov_b32_e32 v1, 0
	s_cbranch_vccnz .LBB117_94
; %bb.66:                               ;   in Loop: Header=BB117_15 Depth=1
	v_readlane_b32 s6, v52, 34
	v_readlane_b32 s7, v52, 35
	s_andn2_b64 vcc, exec, s[6:7]
	s_cbranch_vccnz .LBB117_90
; %bb.67:                               ;   in Loop: Header=BB117_15 Depth=1
	v_lshl_add_u32 v2, s49, 8, v38
	s_mov_b32 s6, 0
	v_mov_b32_e32 v1, 0
.LBB117_68:                             ;   Parent Loop BB117_15 Depth=1
                                        ; =>  This Inner Loop Header: Depth=2
	ds_read2_b32 v[3:4], v2 offset1:4
	ds_read2_b32 v[12:13], v2 offset0:8 offset1:12
	ds_read2_b32 v[14:15], v2 offset0:16 offset1:20
	ds_read2_b32 v[16:17], v2 offset0:24 offset1:28
	s_add_i32 s6, s6, 8
	s_waitcnt lgkmcnt(3)
	v_add3_u32 v1, v3, v1, v4
	s_waitcnt lgkmcnt(2)
	v_add3_u32 v1, v12, v1, v13
	;; [unrolled: 2-line block ×3, first 2 shown]
	v_add_u32_e32 v2, 0x80, v2
	s_cmp_eq_u32 s23, s6
	s_waitcnt lgkmcnt(0)
	v_add3_u32 v1, v16, v1, v17
	s_cbranch_scc0 .LBB117_68
; %bb.69:                               ;   in Loop: Header=BB117_15 Depth=1
	s_mov_b32 s6, s23
	s_branch .LBB117_91
.LBB117_70:                             ;   in Loop: Header=BB117_15 Depth=1
	v_mov_b32_e32 v1, 0
	v_mov_b32_e32 v2, 0
	;; [unrolled: 1-line block ×4, first 2 shown]
	s_mov_b64 s[84:85], exec
	v_readlane_b32 s2, v52, 40
	v_readlane_b32 s3, v52, 41
	s_and_b64 s[2:3], s[84:85], s[2:3]
	s_mov_b64 exec, s[2:3]
	s_cbranch_execz .LBB117_74
; %bb.71:                               ;   in Loop: Header=BB117_15 Depth=1
	s_mov_b32 s2, 0
	s_mov_b64 s[86:87], 0
	s_mov_b32 s3, 0
	s_mov_b32 s8, 0
	;; [unrolled: 1-line block ×4, first 2 shown]
	v_mov_b32_e32 v12, v23
.LBB117_72:                             ;   Parent Loop BB117_15 Depth=1
                                        ; =>  This Inner Loop Header: Depth=2
	v_add_u32_e32 v8, s2, v39
	v_lshlrev_b64 v[1:2], 1, v[8:9]
	v_mov_b32_e32 v3, s42
	v_add_co_u32_e32 v1, vcc, s40, v1
	v_addc_co_u32_e32 v2, vcc, v3, v2, vcc
	v_add_u32_e32 v8, s2, v33
	global_load_ushort v4, v[1:2], off
	v_lshlrev_b64 v[1:2], 1, v[8:9]
	v_add_u32_e32 v8, s2, v34
	v_add_co_u32_e32 v1, vcc, s40, v1
	v_addc_co_u32_e32 v2, vcc, v3, v2, vcc
	global_load_ushort v13, v[1:2], off
	v_lshlrev_b64 v[1:2], 1, v[8:9]
	v_add_u32_e32 v8, s2, v35
	v_add_co_u32_e32 v1, vcc, s40, v1
	v_addc_co_u32_e32 v2, vcc, v3, v2, vcc
	;; [unrolled: 5-line block ×3, first 2 shown]
	global_load_ushort v1, v[1:2], off
	s_add_i32 s2, s2, s10
	s_waitcnt vmcnt(3)
	v_cmp_lt_i16_e32 vcc, -1, v4
	v_cndmask_b32_e32 v2, v41, v42, vcc
	v_lshlrev_b32_e32 v3, 16, v4
	v_cmp_o_f32_e32 vcc, v3, v3
	v_xor_b32_sdwa v2, v2, v4 dst_sel:DWORD dst_unused:UNUSED_PAD src0_sel:DWORD src1_sel:WORD_0
	v_cndmask_b32_e32 v2, v41, v2, vcc
	s_waitcnt vmcnt(2)
	v_cmp_lt_i16_e32 vcc, -1, v13
	v_cndmask_b32_e32 v3, v41, v42, vcc
	v_lshlrev_b32_e32 v4, 16, v13
	v_cmp_o_f32_e32 vcc, v4, v4
	v_xor_b32_sdwa v3, v3, v13 dst_sel:DWORD dst_unused:UNUSED_PAD src0_sel:DWORD src1_sel:WORD_0
	v_cndmask_b32_e32 v3, v41, v3, vcc
	;; [unrolled: 7-line block ×3, first 2 shown]
	s_waitcnt vmcnt(0)
	v_cmp_lt_i16_e32 vcc, -1, v1
	v_cndmask_b32_e32 v8, v41, v42, vcc
	v_lshlrev_b32_e32 v13, 16, v1
	v_cmp_o_f32_e32 vcc, v13, v13
	v_xor_b32_sdwa v1, v8, v1 dst_sel:DWORD dst_unused:UNUSED_PAD src0_sel:DWORD src1_sel:WORD_0
	v_and_b32_e32 v8, v2, v45
	v_bfe_u32 v2, v2, s4, 2
	v_cndmask_b32_e32 v1, v41, v1, vcc
	v_cmp_eq_u32_e32 vcc, v8, v37
	v_and_b32_e32 v8, v3, v45
	v_bfe_u32 v3, v3, s4, 2
	v_cmp_eq_u32_e64 s[34:35], 0, v2
	v_cmp_eq_u32_e64 s[6:7], v8, v37
	v_and_b32_e32 v8, v4, v45
	v_bfe_u32 v4, v4, s4, 2
	s_and_b64 s[14:15], vcc, s[34:35]
	v_cmp_eq_u32_e64 s[34:35], 0, v3
	v_cmp_eq_u32_e64 s[26:27], v8, v37
	v_and_b32_e32 v8, v1, v45
	v_bfe_u32 v1, v1, s4, 2
	s_and_b64 s[16:17], s[6:7], s[34:35]
	v_cmp_eq_u32_e64 s[34:35], 0, v4
	v_cmp_eq_u32_e64 s[30:31], v8, v37
	s_and_b64 s[18:19], s[26:27], s[34:35]
	v_cmp_eq_u32_e64 s[34:35], 0, v1
	v_cndmask_b32_e64 v8, 0, 1, s[14:15]
	s_and_b64 s[24:25], s[30:31], s[34:35]
	v_cmp_ne_u32_e64 s[34:35], 0, v8
	v_cndmask_b32_e64 v8, 0, 1, s[16:17]
	s_bcnt1_i32_b64 s13, s[34:35]
	v_cmp_ne_u32_e64 s[34:35], 0, v8
	v_cndmask_b32_e64 v8, 0, 1, s[18:19]
	s_bcnt1_i32_b64 s14, s[34:35]
	;; [unrolled: 3-line block ×3, first 2 shown]
	v_cmp_ne_u32_e64 s[34:35], 0, v8
	s_add_i32 s12, s12, s13
	s_bcnt1_i32_b64 s16, s[34:35]
	s_add_i32 s12, s12, s14
	v_cmp_eq_u32_e64 s[34:35], 1, v2
	s_add_i32 s12, s12, s15
	s_and_b64 s[14:15], vcc, s[34:35]
	v_cmp_eq_u32_e64 s[34:35], 1, v3
	s_add_i32 s12, s12, s16
	s_and_b64 s[16:17], s[6:7], s[34:35]
	v_cmp_eq_u32_e64 s[34:35], 1, v4
	s_and_b64 s[18:19], s[26:27], s[34:35]
	v_cmp_eq_u32_e64 s[34:35], 1, v1
	v_cndmask_b32_e64 v8, 0, 1, s[14:15]
	s_and_b64 s[24:25], s[30:31], s[34:35]
	v_cmp_ne_u32_e64 s[34:35], 0, v8
	v_cndmask_b32_e64 v8, 0, 1, s[16:17]
	s_bcnt1_i32_b64 s13, s[34:35]
	v_cmp_ne_u32_e64 s[34:35], 0, v8
	v_cndmask_b32_e64 v8, 0, 1, s[18:19]
	s_bcnt1_i32_b64 s14, s[34:35]
	;; [unrolled: 3-line block ×3, first 2 shown]
	v_cmp_ne_u32_e64 s[34:35], 0, v8
	s_add_i32 s9, s9, s13
	s_bcnt1_i32_b64 s16, s[34:35]
	s_add_i32 s9, s9, s14
	v_cmp_eq_u32_e64 s[34:35], 2, v2
	s_add_i32 s9, s9, s15
	s_and_b64 s[14:15], vcc, s[34:35]
	v_cmp_eq_u32_e64 s[34:35], 2, v3
	s_add_i32 s9, s9, s16
	s_and_b64 s[16:17], s[6:7], s[34:35]
	v_cmp_eq_u32_e64 s[34:35], 2, v4
	s_and_b64 s[18:19], s[26:27], s[34:35]
	v_cmp_eq_u32_e64 s[34:35], 2, v1
	v_cndmask_b32_e64 v8, 0, 1, s[14:15]
	s_and_b64 s[24:25], s[30:31], s[34:35]
	v_cmp_ne_u32_e64 s[34:35], 0, v8
	v_cndmask_b32_e64 v8, 0, 1, s[16:17]
	s_bcnt1_i32_b64 s13, s[34:35]
	v_cmp_ne_u32_e64 s[34:35], 0, v8
	v_cndmask_b32_e64 v8, 0, 1, s[18:19]
	s_bcnt1_i32_b64 s14, s[34:35]
	;; [unrolled: 3-line block ×3, first 2 shown]
	v_cmp_ne_u32_e64 s[34:35], 0, v8
	s_add_i32 s8, s8, s13
	s_bcnt1_i32_b64 s16, s[34:35]
	s_add_i32 s8, s8, s14
	v_cmp_eq_u32_e64 s[34:35], 3, v2
	s_add_i32 s8, s8, s15
	s_and_b64 s[14:15], vcc, s[34:35]
	v_cmp_eq_u32_e32 vcc, 3, v3
	s_and_b64 s[6:7], s[6:7], vcc
	v_cmp_eq_u32_e32 vcc, 3, v4
	s_add_i32 s8, s8, s16
	s_and_b64 s[16:17], s[26:27], vcc
	v_cmp_eq_u32_e32 vcc, 3, v1
	v_cndmask_b32_e64 v1, 0, 1, s[14:15]
	s_and_b64 s[18:19], s[30:31], vcc
	v_cmp_ne_u32_e32 vcc, 0, v1
	v_cndmask_b32_e64 v1, 0, 1, s[6:7]
	s_bcnt1_i32_b64 s13, vcc
	v_cmp_ne_u32_e32 vcc, 0, v1
	v_cndmask_b32_e64 v1, 0, 1, s[16:17]
	s_bcnt1_i32_b64 s6, vcc
	v_cmp_ne_u32_e32 vcc, 0, v1
	v_cndmask_b32_e64 v1, 0, 1, s[18:19]
	s_add_i32 s3, s3, s13
	s_bcnt1_i32_b64 s7, vcc
	v_cmp_ne_u32_e32 vcc, 0, v1
	s_add_i32 s3, s3, s6
	s_bcnt1_i32_b64 s14, vcc
	s_add_i32 s3, s3, s7
	s_add_i32 s3, s3, s14
	v_cmp_le_u32_e32 vcc, s60, v12
	s_or_b64 s[86:87], vcc, s[86:87]
	v_mov_b32_e32 v1, s12
	v_mov_b32_e32 v2, s9
	;; [unrolled: 1-line block ×4, first 2 shown]
	s_andn2_b64 exec, exec, s[86:87]
	s_cbranch_execnz .LBB117_72
; %bb.73:                               ;   in Loop: Header=BB117_15 Depth=1
	s_or_b64 exec, exec, s[86:87]
.LBB117_74:                             ;   in Loop: Header=BB117_15 Depth=1
	s_or_b64 exec, exec, s[84:85]
	s_mov_b64 s[2:3], exec
	v_readlane_b32 s6, v52, 42
	v_readlane_b32 s7, v52, 43
	s_and_b64 s[6:7], s[2:3], s[6:7]
	s_mov_b64 exec, s[6:7]
	s_cbranch_execz .LBB117_80
; %bb.75:                               ;   in Loop: Header=BB117_15 Depth=1
	global_load_ushort v14, v[10:11], off
	s_mov_b64 s[12:13], 0
	v_mov_b32_e32 v8, v36
	v_mov_b32_e32 v12, v31
	s_branch .LBB117_77
.LBB117_76:                             ;   in Loop: Header=BB117_77 Depth=2
	s_or_b64 exec, exec, s[8:9]
	s_and_b64 s[6:7], exec, vcc
	s_waitcnt vmcnt(0)
	v_cmp_lt_i16_e32 vcc, -1, v14
	v_cndmask_b32_e32 v15, v41, v42, vcc
	v_lshlrev_b32_e32 v16, 16, v14
	v_cmp_o_f32_e32 vcc, v16, v16
	v_xor_b32_sdwa v14, v15, v14 dst_sel:DWORD dst_unused:UNUSED_PAD src0_sel:DWORD src1_sel:WORD_0
	v_cndmask_b32_e32 v14, v41, v14, vcc
	v_and_b32_e32 v15, v14, v45
	v_bfe_u32 v14, v14, s4, 2
	s_or_b64 s[12:13], s[6:7], s[12:13]
	v_cmp_eq_u32_e32 vcc, v15, v37
	v_cmp_eq_u32_e64 s[6:7], 0, v14
	s_and_b64 s[6:7], vcc, s[6:7]
	v_cndmask_b32_e64 v15, 0, 1, s[6:7]
	v_cmp_ne_u32_e64 s[6:7], 0, v15
	s_bcnt1_i32_b64 s6, s[6:7]
	v_add_u32_e32 v1, s6, v1
	v_cmp_eq_u32_e64 s[6:7], 1, v14
	s_and_b64 s[6:7], vcc, s[6:7]
	v_cndmask_b32_e64 v15, 0, 1, s[6:7]
	v_cmp_ne_u32_e64 s[6:7], 0, v15
	s_bcnt1_i32_b64 s6, s[6:7]
	v_add_u32_e32 v2, s6, v2
	;; [unrolled: 6-line block ×3, first 2 shown]
	v_cmp_eq_u32_e64 s[6:7], 3, v14
	s_and_b64 s[6:7], vcc, s[6:7]
	v_cndmask_b32_e64 v14, 0, 1, s[6:7]
	v_cmp_ne_u32_e32 vcc, 0, v14
	s_bcnt1_i32_b64 s6, vcc
	v_add_u32_e32 v4, s6, v4
	v_add_u32_e32 v8, s54, v8
	v_mov_b32_e32 v14, v13
	s_andn2_b64 exec, exec, s[12:13]
	s_cbranch_execz .LBB117_79
.LBB117_77:                             ;   Parent Loop BB117_15 Depth=1
                                        ; =>  This Inner Loop Header: Depth=2
	v_add_u32_e32 v12, s48, v12
	v_cmp_gt_u32_e64 s[6:7], s36, v12
	v_cmp_le_u32_e32 vcc, s36, v12
	v_mov_b32_e32 v13, 0
	s_and_saveexec_b64 s[8:9], s[6:7]
	s_cbranch_execz .LBB117_76
; %bb.78:                               ;   in Loop: Header=BB117_77 Depth=2
	v_lshlrev_b64 v[15:16], 1, v[8:9]
	v_mov_b32_e32 v13, s42
	v_add_co_u32_e64 v15, s[6:7], s40, v15
	v_addc_co_u32_e64 v16, s[6:7], v13, v16, s[6:7]
	global_load_ushort v13, v[15:16], off
	s_branch .LBB117_76
.LBB117_79:                             ;   in Loop: Header=BB117_15 Depth=1
	s_or_b64 exec, exec, s[12:13]
.LBB117_80:                             ;   in Loop: Header=BB117_15 Depth=1
	s_or_b64 exec, exec, s[2:3]
	s_branch .LBB117_62
.LBB117_81:                             ;   in Loop: Header=BB117_15 Depth=1
	v_readlane_b32 s2, v52, 39
	s_mul_hi_u32 s2, s5, s2
	s_mul_i32 s2, s2, s21
	s_sub_i32 s2, s5, s2
	s_sub_i32 s3, s2, s21
	s_cmp_ge_u32 s2, s21
	s_cselect_b32 s2, s3, s2
	s_sub_i32 s3, s2, s21
	s_cmp_ge_u32 s2, s21
	s_cselect_b32 s2, s3, s2
	s_sub_i32 s2, s5, s2
	v_cmp_gt_u32_e32 vcc, s2, v23
	v_mov_b32_e32 v1, 0
	v_mov_b32_e32 v2, 0
	;; [unrolled: 1-line block ×4, first 2 shown]
	s_and_saveexec_b64 s[84:85], vcc
	s_cbranch_execz .LBB117_85
; %bb.82:                               ;   in Loop: Header=BB117_15 Depth=1
	s_mov_b32 s3, 0
	s_mov_b64 s[86:87], 0
	v_mov_b32_e32 v8, v40
	s_mov_b32 s8, 0
	s_mov_b32 s9, 0
	s_mov_b32 s12, 0
	v_mov_b32_e32 v12, v23
.LBB117_83:                             ;   Parent Loop BB117_15 Depth=1
                                        ; =>  This Inner Loop Header: Depth=2
	ds_read_b64 v[1:2], v8
	v_add_u32_e32 v12, s21, v12
	v_add_u32_e32 v8, s11, v8
	s_waitcnt lgkmcnt(0)
	v_cmp_lt_i16_e32 vcc, -1, v1
	v_cndmask_b32_e32 v3, v41, v42, vcc
	v_lshlrev_b32_e32 v4, 16, v1
	v_cmp_o_f32_e32 vcc, v4, v4
	v_xor_b32_sdwa v3, v3, v1 dst_sel:DWORD dst_unused:UNUSED_PAD src0_sel:DWORD src1_sel:WORD_0
	v_cndmask_b32_e32 v3, v41, v3, vcc
	v_cmp_gt_i16_sdwa vcc, v1, v43 src0_sel:WORD_1 src1_sel:DWORD
	v_cndmask_b32_e32 v4, v41, v42, vcc
	v_and_b32_e32 v13, 0xffff0000, v1
	v_cmp_o_f32_e32 vcc, v13, v13
	v_xor_b32_sdwa v1, v4, v1 dst_sel:DWORD dst_unused:UNUSED_PAD src0_sel:DWORD src1_sel:WORD_1
	v_cndmask_b32_e32 v1, v41, v1, vcc
	v_cmp_lt_i16_e32 vcc, -1, v2
	v_cndmask_b32_e32 v4, v41, v42, vcc
	v_lshlrev_b32_e32 v13, 16, v2
	v_cmp_o_f32_e32 vcc, v13, v13
	v_xor_b32_sdwa v4, v4, v2 dst_sel:DWORD dst_unused:UNUSED_PAD src0_sel:DWORD src1_sel:WORD_0
	v_cndmask_b32_e32 v4, v41, v4, vcc
	v_cmp_gt_i16_sdwa vcc, v2, v43 src0_sel:WORD_1 src1_sel:DWORD
	v_cndmask_b32_e32 v13, v41, v42, vcc
	v_and_b32_e32 v14, 0xffff0000, v2
	v_cmp_o_f32_e32 vcc, v14, v14
	v_xor_b32_sdwa v2, v13, v2 dst_sel:DWORD dst_unused:UNUSED_PAD src0_sel:DWORD src1_sel:WORD_1
	v_and_b32_e32 v13, v3, v45
	v_bfe_u32 v3, v3, s4, 2
	v_cndmask_b32_e32 v2, v41, v2, vcc
	v_cmp_eq_u32_e32 vcc, v13, v37
	v_and_b32_e32 v13, v1, v45
	v_bfe_u32 v1, v1, s4, 2
	v_cmp_eq_u32_e64 s[34:35], 0, v3
	v_cmp_eq_u32_e64 s[6:7], v13, v37
	v_and_b32_e32 v13, v4, v45
	v_bfe_u32 v4, v4, s4, 2
	s_and_b64 s[14:15], vcc, s[34:35]
	v_cmp_eq_u32_e64 s[34:35], 0, v1
	v_cmp_eq_u32_e64 s[26:27], v13, v37
	v_and_b32_e32 v13, v2, v45
	v_bfe_u32 v2, v2, s4, 2
	s_and_b64 s[16:17], s[6:7], s[34:35]
	v_cmp_eq_u32_e64 s[34:35], 0, v4
	v_cmp_eq_u32_e64 s[30:31], v13, v37
	s_and_b64 s[18:19], s[26:27], s[34:35]
	v_cmp_eq_u32_e64 s[34:35], 0, v2
	v_cndmask_b32_e64 v13, 0, 1, s[14:15]
	s_and_b64 s[24:25], s[30:31], s[34:35]
	v_cmp_ne_u32_e64 s[34:35], 0, v13
	v_cndmask_b32_e64 v13, 0, 1, s[16:17]
	s_bcnt1_i32_b64 s13, s[34:35]
	v_cmp_ne_u32_e64 s[34:35], 0, v13
	v_cndmask_b32_e64 v13, 0, 1, s[18:19]
	s_bcnt1_i32_b64 s14, s[34:35]
	;; [unrolled: 3-line block ×3, first 2 shown]
	v_cmp_ne_u32_e64 s[34:35], 0, v13
	s_add_i32 s12, s12, s13
	s_bcnt1_i32_b64 s16, s[34:35]
	s_add_i32 s12, s12, s14
	v_cmp_eq_u32_e64 s[34:35], 1, v3
	s_add_i32 s12, s12, s15
	s_and_b64 s[14:15], vcc, s[34:35]
	v_cmp_eq_u32_e64 s[34:35], 1, v1
	s_add_i32 s12, s12, s16
	s_and_b64 s[16:17], s[6:7], s[34:35]
	v_cmp_eq_u32_e64 s[34:35], 1, v4
	s_and_b64 s[18:19], s[26:27], s[34:35]
	v_cmp_eq_u32_e64 s[34:35], 1, v2
	v_cndmask_b32_e64 v13, 0, 1, s[14:15]
	s_and_b64 s[24:25], s[30:31], s[34:35]
	v_cmp_ne_u32_e64 s[34:35], 0, v13
	v_cndmask_b32_e64 v13, 0, 1, s[16:17]
	s_bcnt1_i32_b64 s13, s[34:35]
	v_cmp_ne_u32_e64 s[34:35], 0, v13
	v_cndmask_b32_e64 v13, 0, 1, s[18:19]
	s_bcnt1_i32_b64 s14, s[34:35]
	;; [unrolled: 3-line block ×3, first 2 shown]
	v_cmp_ne_u32_e64 s[34:35], 0, v13
	s_add_i32 s9, s9, s13
	s_bcnt1_i32_b64 s16, s[34:35]
	s_add_i32 s9, s9, s14
	v_cmp_eq_u32_e64 s[34:35], 2, v3
	s_add_i32 s9, s9, s15
	s_and_b64 s[14:15], vcc, s[34:35]
	v_cmp_eq_u32_e64 s[34:35], 2, v1
	s_add_i32 s9, s9, s16
	s_and_b64 s[16:17], s[6:7], s[34:35]
	v_cmp_eq_u32_e64 s[34:35], 2, v4
	s_and_b64 s[18:19], s[26:27], s[34:35]
	v_cmp_eq_u32_e64 s[34:35], 2, v2
	v_cndmask_b32_e64 v13, 0, 1, s[14:15]
	s_and_b64 s[24:25], s[30:31], s[34:35]
	v_cmp_ne_u32_e64 s[34:35], 0, v13
	v_cndmask_b32_e64 v13, 0, 1, s[16:17]
	s_bcnt1_i32_b64 s13, s[34:35]
	v_cmp_ne_u32_e64 s[34:35], 0, v13
	v_cndmask_b32_e64 v13, 0, 1, s[18:19]
	s_bcnt1_i32_b64 s14, s[34:35]
	;; [unrolled: 3-line block ×3, first 2 shown]
	v_cmp_ne_u32_e64 s[34:35], 0, v13
	s_add_i32 s8, s8, s13
	s_bcnt1_i32_b64 s16, s[34:35]
	s_add_i32 s8, s8, s14
	v_cmp_eq_u32_e64 s[34:35], 3, v3
	s_add_i32 s8, s8, s15
	s_and_b64 s[14:15], vcc, s[34:35]
	v_cmp_eq_u32_e32 vcc, 3, v1
	s_and_b64 s[6:7], s[6:7], vcc
	v_cmp_eq_u32_e32 vcc, 3, v4
	s_add_i32 s8, s8, s16
	s_and_b64 s[16:17], s[26:27], vcc
	v_cmp_eq_u32_e32 vcc, 3, v2
	v_cndmask_b32_e64 v1, 0, 1, s[14:15]
	s_and_b64 s[18:19], s[30:31], vcc
	v_cmp_ne_u32_e32 vcc, 0, v1
	v_cndmask_b32_e64 v1, 0, 1, s[6:7]
	s_bcnt1_i32_b64 s13, vcc
	v_cmp_ne_u32_e32 vcc, 0, v1
	v_cndmask_b32_e64 v1, 0, 1, s[16:17]
	s_bcnt1_i32_b64 s6, vcc
	v_cmp_ne_u32_e32 vcc, 0, v1
	v_cndmask_b32_e64 v1, 0, 1, s[18:19]
	s_add_i32 s3, s3, s13
	s_bcnt1_i32_b64 s7, vcc
	v_cmp_ne_u32_e32 vcc, 0, v1
	s_add_i32 s3, s3, s6
	s_bcnt1_i32_b64 s14, vcc
	s_add_i32 s3, s3, s7
	s_add_i32 s3, s3, s14
	v_cmp_le_u32_e32 vcc, s2, v12
	s_or_b64 s[86:87], vcc, s[86:87]
	v_mov_b32_e32 v1, s12
	v_mov_b32_e32 v2, s9
	;; [unrolled: 1-line block ×4, first 2 shown]
	s_andn2_b64 exec, exec, s[86:87]
	s_cbranch_execnz .LBB117_83
; %bb.84:                               ;   in Loop: Header=BB117_15 Depth=1
	s_or_b64 exec, exec, s[86:87]
.LBB117_85:                             ;   in Loop: Header=BB117_15 Depth=1
	s_or_b64 exec, exec, s[84:85]
	v_add_u32_e32 v8, s2, v0
	v_cmp_gt_u32_e32 vcc, s5, v8
	s_and_saveexec_b64 s[14:15], vcc
	s_cbranch_execz .LBB117_89
; %bb.86:                               ;   in Loop: Header=BB117_15 Depth=1
	v_lshlrev_b32_e32 v12, 1, v8
	s_mov_b64 s[2:3], 0
.LBB117_87:                             ;   Parent Loop BB117_15 Depth=1
                                        ; =>  This Inner Loop Header: Depth=2
	ds_read_u16 v13, v12
	v_add_u32_e32 v8, s48, v8
	v_add_u32_e32 v12, s38, v12
	s_waitcnt lgkmcnt(0)
	v_cmp_lt_i16_e32 vcc, -1, v13
	v_cndmask_b32_e32 v14, v41, v42, vcc
	v_lshlrev_b32_e32 v15, 16, v13
	v_cmp_o_f32_e32 vcc, v15, v15
	v_xor_b32_sdwa v13, v14, v13 dst_sel:DWORD dst_unused:UNUSED_PAD src0_sel:DWORD src1_sel:WORD_0
	v_cndmask_b32_e32 v13, v41, v13, vcc
	v_and_b32_e32 v14, v13, v45
	v_bfe_u32 v13, v13, s4, 2
	v_cmp_eq_u32_e32 vcc, v14, v37
	v_cmp_eq_u32_e64 s[6:7], 0, v13
	s_and_b64 s[6:7], vcc, s[6:7]
	v_cndmask_b32_e64 v14, 0, 1, s[6:7]
	v_cmp_ne_u32_e64 s[6:7], 0, v14
	s_bcnt1_i32_b64 s6, s[6:7]
	v_add_u32_e32 v1, s6, v1
	v_cmp_eq_u32_e64 s[6:7], 1, v13
	s_and_b64 s[6:7], vcc, s[6:7]
	v_cndmask_b32_e64 v14, 0, 1, s[6:7]
	v_cmp_ne_u32_e64 s[6:7], 0, v14
	s_bcnt1_i32_b64 s6, s[6:7]
	v_add_u32_e32 v2, s6, v2
	;; [unrolled: 6-line block ×3, first 2 shown]
	v_cmp_eq_u32_e64 s[6:7], 3, v13
	s_and_b64 s[6:7], vcc, s[6:7]
	v_cndmask_b32_e64 v13, 0, 1, s[6:7]
	v_cmp_ne_u32_e32 vcc, 0, v13
	s_bcnt1_i32_b64 s6, vcc
	v_cmp_le_u32_e32 vcc, s5, v8
	v_add_u32_e32 v4, s6, v4
	s_or_b64 s[2:3], vcc, s[2:3]
	s_andn2_b64 exec, exec, s[2:3]
	s_cbranch_execnz .LBB117_87
; %bb.88:                               ;   in Loop: Header=BB117_15 Depth=1
	s_or_b64 exec, exec, s[2:3]
.LBB117_89:                             ;   in Loop: Header=BB117_15 Depth=1
	s_or_b64 exec, exec, s[14:15]
	s_lshl_b32 s5, s49, 6
	s_and_saveexec_b64 s[2:3], s[0:1]
	s_cbranch_execnz .LBB117_63
	s_branch .LBB117_64
.LBB117_90:                             ;   in Loop: Header=BB117_15 Depth=1
	v_mov_b32_e32 v1, 0
	s_mov_b32 s6, 0
.LBB117_91:                             ;   in Loop: Header=BB117_15 Depth=1
	v_readlane_b32 s8, v52, 37
	v_readlane_b32 s9, v52, 38
	s_andn2_b64 vcc, exec, s[8:9]
	s_cbranch_vccnz .LBB117_94
; %bb.92:                               ;   in Loop: Header=BB117_15 Depth=1
	s_lshl_b32 s7, s49, 8
	s_lshl_b32 s6, s6, 4
	s_add_i32 s7, s7, s6
	v_add_u32_e32 v2, s7, v38
	v_readlane_b32 s6, v52, 36
.LBB117_93:                             ;   Parent Loop BB117_15 Depth=1
                                        ; =>  This Inner Loop Header: Depth=2
	ds_read_b32 v3, v2
	s_add_i32 s6, s6, -1
	v_add_u32_e32 v2, 16, v2
	s_cmp_lg_u32 s6, 0
	s_waitcnt lgkmcnt(0)
	v_add_u32_e32 v1, v3, v1
	s_cbranch_scc1 .LBB117_93
.LBB117_94:                             ;   in Loop: Header=BB117_15 Depth=1
	v_add_lshl_u32 v2, s5, v24, 2
	ds_write_b32 v2, v1 offset:3072
.LBB117_95:                             ;   in Loop: Header=BB117_15 Depth=1
	s_or_b64 exec, exec, s[2:3]
	s_lshl_b32 s2, s5, 2
	v_mov_b32_e32 v1, s2
	s_waitcnt lgkmcnt(0)
	s_barrier
	ds_read_b128 v[1:4], v1 offset:3072
	v_readlane_b32 s2, v52, 11
	s_lshl_b32 s50, 3, s4
	v_readlane_b32 s3, v52, 12
	s_not_b32 s51, s50
	s_waitcnt lgkmcnt(0)
	v_readfirstlane_b32 s5, v1
	v_readfirstlane_b32 s46, v2
	;; [unrolled: 1-line block ×4, first 2 shown]
	v_cmp_eq_u32_e64 s[26:27], 1, v47
	s_mov_b64 s[90:91], -1
	s_mov_b64 s[30:31], 0
	s_andn2_b64 vcc, exec, s[2:3]
	s_mov_b64 s[84:85], 0
	s_mov_b64 s[34:35], 0
                                        ; implicit-def: $sgpr86_sgpr87
                                        ; implicit-def: $sgpr88_sgpr89
                                        ; implicit-def: $vgpr4
                                        ; implicit-def: $vgpr1
                                        ; implicit-def: $vgpr3
                                        ; implicit-def: $vgpr2
                                        ; implicit-def: $vgpr8
	s_cbranch_vccnz .LBB117_253
; %bb.96:                               ;   in Loop: Header=BB117_15 Depth=1
	s_cmp_eq_u32 s5, 1
	s_cselect_b64 s[2:3], -1, 0
	s_and_b64 s[6:7], s[2:3], s[26:27]
	s_mov_b64 s[8:9], -1
	v_mov_b32_e32 v3, v37
	v_mov_b32_e32 v2, v45
	v_mov_b32_e32 v8, v46
                                        ; implicit-def: $sgpr88_sgpr89
                                        ; implicit-def: $sgpr86_sgpr87
	s_and_saveexec_b64 s[2:3], s[6:7]
	s_cbranch_execz .LBB117_122
; %bb.97:                               ;   in Loop: Header=BB117_15 Depth=1
	ds_read_b32 v1, v9 offset:4096
	s_waitcnt lgkmcnt(0)
	s_barrier
	v_readfirstlane_b32 s28, v1
	s_mov_b64 s[8:9], exec
	v_readlane_b32 s12, v52, 21
	v_readlane_b32 s13, v52, 22
	s_and_b64 s[12:13], s[8:9], s[12:13]
	s_mov_b64 exec, s[12:13]
; %bb.98:                               ;   in Loop: Header=BB117_15 Depth=1
	ds_write_b16 v26, v9
; %bb.99:                               ;   in Loop: Header=BB117_15 Depth=1
	s_or_b64 exec, exec, s[8:9]
	v_and_b32_e32 v3, s51, v37
	v_or_b32_e32 v2, s50, v45
	s_mov_b64 s[86:87], -1
	s_mov_b64 s[88:89], 0
	s_cmp_eq_u32 s28, 0
	s_mov_b64 s[12:13], 0
	s_mov_b64 s[14:15], -1
	s_waitcnt lgkmcnt(0)
	s_barrier
                                        ; implicit-def: $vgpr8
	s_cbranch_scc1 .LBB117_110
; %bb.100:                              ;   in Loop: Header=BB117_15 Depth=1
	v_readlane_b32 s8, v52, 23
	s_add_i32 s8, s28, s8
	v_readlane_b32 s9, v52, 44
	s_mul_hi_u32 s9, s8, s9
	s_mul_i32 s9, s9, s48
	s_sub_i32 s9, s8, s9
	s_sub_i32 s12, s9, s48
	s_cmp_ge_u32 s9, s48
	s_cselect_b32 s9, s12, s9
	s_sub_i32 s12, s9, s48
	s_cmp_ge_u32 s9, s48
	s_cselect_b32 s9, s12, s9
	s_sub_i32 s29, s8, s9
	v_cmp_gt_u32_e32 vcc, s29, v0
	s_mov_b64 s[14:15], 0
	s_mov_b64 s[12:13], 0
                                        ; implicit-def: $vgpr8
	s_and_saveexec_b64 s[16:17], vcc
	s_cbranch_execz .LBB117_109
; %bb.101:                              ;   in Loop: Header=BB117_15 Depth=1
	v_mov_b32_e32 v1, v25
	v_mov_b32_e32 v4, v0
                                        ; implicit-def: $sgpr8_sgpr9
	s_branch .LBB117_104
.LBB117_102:                            ;   in Loop: Header=BB117_104 Depth=2
	s_or_b64 exec, exec, s[18:19]
	s_waitcnt lgkmcnt(0)
	s_barrier
	ds_read_b32 v8, v9 offset:3072
	s_mov_b64 s[18:19], -1
	s_mov_b64 s[24:25], -1
	s_waitcnt lgkmcnt(0)
	s_barrier
	v_and_b32_e32 v12, 0x7fff, v8
	v_cmp_ne_u32_e32 vcc, 0, v12
	s_cbranch_vccz .LBB117_107
.LBB117_103:                            ;   in Loop: Header=BB117_104 Depth=2
	s_and_b64 s[18:19], exec, s[18:19]
	s_or_b64 s[12:13], s[18:19], s[12:13]
	s_andn2_b64 s[8:9], s[8:9], exec
	s_and_b64 s[18:19], s[24:25], exec
	s_or_b64 s[8:9], s[8:9], s[18:19]
	s_andn2_b64 exec, exec, s[12:13]
	s_cbranch_execz .LBB117_108
.LBB117_104:                            ;   Parent Loop BB117_15 Depth=1
                                        ; =>  This Inner Loop Header: Depth=2
	v_cmp_gt_u32_e32 vcc, s28, v4
	s_and_saveexec_b64 s[18:19], vcc
	s_cbranch_execz .LBB117_102
; %bb.105:                              ;   in Loop: Header=BB117_104 Depth=2
	ds_read_u16 v8, v1
	s_waitcnt lgkmcnt(0)
	v_cmp_lt_i16_e32 vcc, -1, v8
	v_cndmask_b32_e32 v12, v41, v42, vcc
	v_lshlrev_b32_e32 v13, 16, v8
	v_cmp_o_f32_e32 vcc, v13, v13
	v_xor_b32_sdwa v12, v12, v8 dst_sel:DWORD dst_unused:UNUSED_PAD src0_sel:DWORD src1_sel:WORD_0
	v_cndmask_b32_e32 v12, v41, v12, vcc
	v_and_b32_e32 v12, v12, v2
	v_cmp_eq_u32_e32 vcc, v12, v3
	s_and_b64 exec, exec, vcc
	s_cbranch_execz .LBB117_102
; %bb.106:                              ;   in Loop: Header=BB117_104 Depth=2
	s_movk_i32 s24, 0x3f80
	v_perm_b32 v8, v8, s24, v44
	ds_write_b32 v9, v8 offset:3072
	s_branch .LBB117_102
.LBB117_107:                            ;   in Loop: Header=BB117_104 Depth=2
	v_add_u32_e32 v4, s48, v4
	v_cmp_le_u32_e32 vcc, s29, v4
	v_add_u32_e32 v1, s38, v1
	s_mov_b64 s[24:25], 0
	s_orn2_b64 s[18:19], vcc, exec
	s_branch .LBB117_103
.LBB117_108:                            ;   in Loop: Header=BB117_15 Depth=1
	s_or_b64 exec, exec, s[12:13]
	v_lshrrev_b32_e32 v8, 16, v8
	s_and_b64 s[12:13], s[8:9], exec
.LBB117_109:                            ;   in Loop: Header=BB117_15 Depth=1
	s_or_b64 exec, exec, s[16:17]
.LBB117_110:                            ;   in Loop: Header=BB117_15 Depth=1
	s_and_b64 vcc, exec, s[14:15]
	s_cbranch_vccz .LBB117_121
; %bb.111:                              ;   in Loop: Header=BB117_15 Depth=1
                                        ; implicit-def: $vgpr8
	s_mov_b64 s[14:15], exec
	v_readlane_b32 s8, v52, 45
	v_readlane_b32 s9, v52, 46
	s_and_b64 s[8:9], s[14:15], s[8:9]
	s_mov_b64 exec, s[8:9]
	s_cbranch_execz .LBB117_120
; %bb.112:                              ;   in Loop: Header=BB117_15 Depth=1
	s_mov_b64 s[16:17], 0
	v_mov_b32_e32 v8, v7
	v_mov_b32_e32 v1, v0
                                        ; implicit-def: $sgpr18_sgpr19
	s_branch .LBB117_115
.LBB117_113:                            ;   in Loop: Header=BB117_115 Depth=2
	s_or_b64 exec, exec, s[8:9]
	s_waitcnt lgkmcnt(0)
	s_barrier
	ds_read_b32 v4, v9 offset:3072
	s_mov_b64 s[8:9], -1
	s_mov_b64 s[24:25], -1
	s_waitcnt lgkmcnt(0)
	s_barrier
	v_and_b32_e32 v12, 0x7fff, v4
	v_cmp_ne_u32_e32 vcc, 0, v12
	s_cbranch_vccz .LBB117_118
.LBB117_114:                            ;   in Loop: Header=BB117_115 Depth=2
	s_and_b64 s[8:9], exec, s[8:9]
	s_or_b64 s[16:17], s[8:9], s[16:17]
	s_andn2_b64 s[8:9], s[18:19], exec
	s_and_b64 s[18:19], s[24:25], exec
	s_or_b64 s[18:19], s[8:9], s[18:19]
	s_andn2_b64 exec, exec, s[16:17]
	s_cbranch_execz .LBB117_119
.LBB117_115:                            ;   Parent Loop BB117_15 Depth=1
                                        ; =>  This Inner Loop Header: Depth=2
	v_cmp_gt_u32_e32 vcc, s36, v1
	s_and_saveexec_b64 s[8:9], vcc
	s_cbranch_execz .LBB117_113
; %bb.116:                              ;   in Loop: Header=BB117_115 Depth=2
	v_lshlrev_b64 v[12:13], 1, v[8:9]
	v_mov_b32_e32 v4, s42
	v_add_co_u32_e32 v12, vcc, s40, v12
	v_addc_co_u32_e32 v13, vcc, v4, v13, vcc
	global_load_ushort v4, v[12:13], off
	s_waitcnt vmcnt(0)
	v_cmp_lt_i16_e32 vcc, -1, v4
	v_cndmask_b32_e32 v12, v41, v42, vcc
	v_lshlrev_b32_e32 v13, 16, v4
	v_xor_b32_sdwa v12, v12, v4 dst_sel:DWORD dst_unused:UNUSED_PAD src0_sel:DWORD src1_sel:WORD_0
	v_cmp_o_f32_e32 vcc, v13, v13
	v_cndmask_b32_e32 v12, v41, v12, vcc
	v_and_b32_e32 v12, v12, v2
	v_cmp_eq_u32_e32 vcc, v12, v3
	s_and_b64 exec, exec, vcc
	s_cbranch_execz .LBB117_113
; %bb.117:                              ;   in Loop: Header=BB117_115 Depth=2
	s_movk_i32 s24, 0x3f80
	v_perm_b32 v4, v4, s24, v44
	ds_write_b32 v9, v4 offset:3072
	s_branch .LBB117_113
.LBB117_118:                            ;   in Loop: Header=BB117_115 Depth=2
	v_add_u32_e32 v1, s48, v1
	v_cmp_le_u32_e32 vcc, s61, v1
	v_add_u32_e32 v8, s54, v8
	s_mov_b64 s[24:25], 0
	s_orn2_b64 s[8:9], vcc, exec
	s_branch .LBB117_114
.LBB117_119:                            ;   in Loop: Header=BB117_15 Depth=1
	s_or_b64 exec, exec, s[16:17]
	s_andn2_b64 s[8:9], s[12:13], exec
	s_and_b64 s[12:13], s[18:19], exec
	v_lshrrev_b32_e32 v8, 16, v4
	s_or_b64 s[12:13], s[8:9], s[12:13]
.LBB117_120:                            ;   in Loop: Header=BB117_15 Depth=1
	s_or_b64 exec, exec, s[14:15]
	s_mov_b64 s[86:87], 0
	s_mov_b64 s[88:89], -1
.LBB117_121:                            ;   in Loop: Header=BB117_15 Depth=1
	s_orn2_b64 s[8:9], s[12:13], exec
.LBB117_122:                            ;   in Loop: Header=BB117_15 Depth=1
	s_or_b64 exec, exec, s[2:3]
	s_mov_b64 s[90:91], 0
	s_mov_b64 s[84:85], 0
	;; [unrolled: 1-line block ×3, first 2 shown]
                                        ; implicit-def: $vgpr4
                                        ; implicit-def: $vgpr1
	s_and_saveexec_b64 s[92:93], s[8:9]
	s_cbranch_execz .LBB117_252
; %bb.123:                              ;   in Loop: Header=BB117_15 Depth=1
	s_xor_b64 s[8:9], s[6:7], -1
	s_mov_b64 s[6:7], 0
	v_mov_b32_e32 v4, 1
	v_mov_b32_e32 v1, 1
	s_and_saveexec_b64 s[2:3], s[8:9]
	s_cbranch_execz .LBB117_132
; %bb.124:                              ;   in Loop: Header=BB117_15 Depth=1
	v_cmp_ge_u32_e32 vcc, s5, v47
	s_and_saveexec_b64 s[6:7], vcc
	s_xor_b64 s[6:7], exec, s[6:7]
	s_cbranch_execz .LBB117_129
; %bb.125:                              ;   in Loop: Header=BB117_15 Depth=1
	ds_read_b32 v1, v9 offset:4096
	v_and_b32_e32 v3, s51, v3
	v_or_b32_e32 v2, s50, v2
	s_waitcnt lgkmcnt(0)
	v_cmp_ne_u32_e32 vcc, 0, v1
	s_cbranch_vccnz .LBB117_129
; %bb.126:                              ;   in Loop: Header=BB117_15 Depth=1
	s_mov_b64 s[8:9], exec
	v_readlane_b32 s12, v52, 7
	v_readlane_b32 s13, v52, 8
	s_and_b64 s[12:13], s[8:9], s[12:13]
	s_mov_b64 exec, s[12:13]
; %bb.127:                              ;   in Loop: Header=BB117_15 Depth=1
	v_mov_b32_e32 v1, s5
	ds_write_b32 v9, v1 offset:4100
; %bb.128:                              ;   in Loop: Header=BB117_15 Depth=1
	s_or_b64 exec, exec, s[8:9]
	s_waitcnt lgkmcnt(0)
	s_barrier
.LBB117_129:                            ;   in Loop: Header=BB117_15 Depth=1
	s_or_saveexec_b64 s[6:7], s[6:7]
	s_mov_b64 s[8:9], 0
	v_mov_b32_e32 v1, 8
	v_mov_b32_e32 v4, v47
	s_xor_b64 exec, exec, s[6:7]
; %bb.130:                              ;   in Loop: Header=BB117_15 Depth=1
	s_mov_b64 s[8:9], exec
	v_subrev_u32_e32 v4, s5, v47
	v_mov_b32_e32 v1, 0
; %bb.131:                              ;   in Loop: Header=BB117_15 Depth=1
	s_or_b64 exec, exec, s[6:7]
	s_and_b64 s[6:7], s[8:9], exec
.LBB117_132:                            ;   in Loop: Header=BB117_15 Depth=1
	s_or_b64 exec, exec, s[2:3]
	s_mov_b64 s[2:3], -1
                                        ; implicit-def: $sgpr34_sgpr35
                                        ; implicit-def: $sgpr84_sgpr85
	s_and_saveexec_b64 s[8:9], s[6:7]
	s_xor_b64 s[6:7], exec, s[8:9]
	s_cbranch_execz .LBB117_249
; %bb.133:                              ;   in Loop: Header=BB117_15 Depth=1
	s_cmp_eq_u32 s46, 1
	s_cselect_b64 s[2:3], -1, 0
	v_cmp_eq_u32_e32 vcc, 1, v4
	s_and_b64 s[14:15], s[2:3], vcc
	s_mov_b64 s[8:9], -1
                                        ; implicit-def: $sgpr84_sgpr85
                                        ; implicit-def: $sgpr34_sgpr35
	s_and_saveexec_b64 s[2:3], s[14:15]
	s_cbranch_execz .LBB117_159
; %bb.134:                              ;   in Loop: Header=BB117_15 Depth=1
	ds_read_b32 v8, v9 offset:4096
	s_waitcnt lgkmcnt(0)
	s_barrier
	v_readfirstlane_b32 s44, v8
	s_mov_b64 s[8:9], exec
	v_readlane_b32 s12, v52, 21
	v_readlane_b32 s13, v52, 22
	s_and_b64 s[12:13], s[8:9], s[12:13]
	s_mov_b64 exec, s[12:13]
; %bb.135:                              ;   in Loop: Header=BB117_15 Depth=1
	ds_write_b16 v26, v9
; %bb.136:                              ;   in Loop: Header=BB117_15 Depth=1
	s_or_b64 exec, exec, s[8:9]
	v_and_b32_e32 v3, s51, v3
	v_lshl_or_b32 v3, 1, s4, v3
	v_or_b32_e32 v2, s50, v2
	s_mov_b64 s[34:35], -1
	s_mov_b64 s[84:85], 0
	s_cmp_eq_u32 s44, 0
	s_mov_b64 s[12:13], 0
	s_mov_b64 s[16:17], -1
	s_waitcnt lgkmcnt(0)
	s_barrier
                                        ; implicit-def: $vgpr8
	s_cbranch_scc1 .LBB117_147
; %bb.137:                              ;   in Loop: Header=BB117_15 Depth=1
	v_readlane_b32 s8, v52, 23
	s_add_i32 s8, s44, s8
	v_readlane_b32 s9, v52, 44
	s_mul_hi_u32 s9, s8, s9
	s_mul_i32 s9, s9, s48
	s_sub_i32 s9, s8, s9
	s_sub_i32 s12, s9, s48
	s_cmp_ge_u32 s9, s48
	s_cselect_b32 s9, s12, s9
	s_sub_i32 s12, s9, s48
	s_cmp_ge_u32 s9, s48
	s_cselect_b32 s9, s12, s9
	s_sub_i32 s45, s8, s9
	v_cmp_gt_u32_e32 vcc, s45, v0
	s_mov_b64 s[16:17], 0
	s_mov_b64 s[12:13], 0
                                        ; implicit-def: $vgpr8
	s_and_saveexec_b64 s[18:19], vcc
	s_cbranch_execz .LBB117_146
; %bb.138:                              ;   in Loop: Header=BB117_15 Depth=1
	v_mov_b32_e32 v8, v25
	v_mov_b32_e32 v12, v0
                                        ; implicit-def: $sgpr24_sgpr25
	s_branch .LBB117_141
.LBB117_139:                            ;   in Loop: Header=BB117_141 Depth=2
	s_or_b64 exec, exec, s[8:9]
	s_waitcnt lgkmcnt(0)
	s_barrier
	ds_read_b32 v13, v9 offset:3072
	s_mov_b64 s[8:9], -1
	s_mov_b64 s[28:29], -1
	s_waitcnt lgkmcnt(0)
	s_barrier
	v_and_b32_e32 v14, 0x7fff, v13
	v_cmp_ne_u32_e32 vcc, 0, v14
	s_cbranch_vccz .LBB117_144
.LBB117_140:                            ;   in Loop: Header=BB117_141 Depth=2
	s_and_b64 s[8:9], exec, s[8:9]
	s_or_b64 s[12:13], s[8:9], s[12:13]
	s_andn2_b64 s[8:9], s[24:25], exec
	s_and_b64 s[24:25], s[28:29], exec
	s_or_b64 s[24:25], s[8:9], s[24:25]
	s_andn2_b64 exec, exec, s[12:13]
	s_cbranch_execz .LBB117_145
.LBB117_141:                            ;   Parent Loop BB117_15 Depth=1
                                        ; =>  This Inner Loop Header: Depth=2
	v_cmp_gt_u32_e32 vcc, s44, v12
	s_and_saveexec_b64 s[8:9], vcc
	s_cbranch_execz .LBB117_139
; %bb.142:                              ;   in Loop: Header=BB117_141 Depth=2
	ds_read_u16 v13, v8
	s_waitcnt lgkmcnt(0)
	v_cmp_lt_i16_e32 vcc, -1, v13
	v_cndmask_b32_e32 v14, v41, v42, vcc
	v_lshlrev_b32_e32 v15, 16, v13
	v_cmp_o_f32_e32 vcc, v15, v15
	v_xor_b32_sdwa v14, v14, v13 dst_sel:DWORD dst_unused:UNUSED_PAD src0_sel:DWORD src1_sel:WORD_0
	v_cndmask_b32_e32 v14, v41, v14, vcc
	v_and_b32_e32 v14, v14, v2
	v_cmp_eq_u32_e32 vcc, v14, v3
	s_and_b64 exec, exec, vcc
	s_cbranch_execz .LBB117_139
; %bb.143:                              ;   in Loop: Header=BB117_141 Depth=2
	s_movk_i32 s28, 0x3f80
	v_perm_b32 v13, v13, s28, v44
	ds_write_b32 v9, v13 offset:3072
	s_branch .LBB117_139
.LBB117_144:                            ;   in Loop: Header=BB117_141 Depth=2
	v_add_u32_e32 v12, s48, v12
	v_cmp_le_u32_e32 vcc, s45, v12
	v_add_u32_e32 v8, s38, v8
	s_mov_b64 s[28:29], 0
	s_orn2_b64 s[8:9], vcc, exec
	s_branch .LBB117_140
.LBB117_145:                            ;   in Loop: Header=BB117_15 Depth=1
	s_or_b64 exec, exec, s[12:13]
	v_lshrrev_b32_e32 v8, 16, v13
	s_and_b64 s[12:13], s[24:25], exec
.LBB117_146:                            ;   in Loop: Header=BB117_15 Depth=1
	s_or_b64 exec, exec, s[18:19]
.LBB117_147:                            ;   in Loop: Header=BB117_15 Depth=1
	s_and_b64 vcc, exec, s[16:17]
	s_cbranch_vccz .LBB117_158
; %bb.148:                              ;   in Loop: Header=BB117_15 Depth=1
                                        ; implicit-def: $vgpr8
	s_mov_b64 s[16:17], exec
	v_readlane_b32 s8, v52, 45
	v_readlane_b32 s9, v52, 46
	s_and_b64 s[8:9], s[16:17], s[8:9]
	s_mov_b64 exec, s[8:9]
	s_cbranch_execz .LBB117_157
; %bb.149:                              ;   in Loop: Header=BB117_15 Depth=1
	s_mov_b64 s[18:19], 0
	v_mov_b32_e32 v8, v7
	v_mov_b32_e32 v12, v0
                                        ; implicit-def: $sgpr24_sgpr25
	s_branch .LBB117_152
.LBB117_150:                            ;   in Loop: Header=BB117_152 Depth=2
	s_or_b64 exec, exec, s[8:9]
	s_waitcnt lgkmcnt(0)
	s_barrier
	ds_read_b32 v13, v9 offset:3072
	s_mov_b64 s[8:9], -1
	s_mov_b64 s[28:29], -1
	s_waitcnt lgkmcnt(0)
	s_barrier
	v_and_b32_e32 v14, 0x7fff, v13
	v_cmp_eq_u32_e32 vcc, 0, v14
	s_cbranch_vccnz .LBB117_155
.LBB117_151:                            ;   in Loop: Header=BB117_152 Depth=2
	s_and_b64 s[8:9], exec, s[8:9]
	s_or_b64 s[18:19], s[8:9], s[18:19]
	s_andn2_b64 s[8:9], s[24:25], exec
	s_and_b64 s[24:25], s[28:29], exec
	s_or_b64 s[24:25], s[8:9], s[24:25]
	s_andn2_b64 exec, exec, s[18:19]
	s_cbranch_execz .LBB117_156
.LBB117_152:                            ;   Parent Loop BB117_15 Depth=1
                                        ; =>  This Inner Loop Header: Depth=2
	v_cmp_gt_u32_e32 vcc, s36, v12
	s_and_saveexec_b64 s[8:9], vcc
	s_cbranch_execz .LBB117_150
; %bb.153:                              ;   in Loop: Header=BB117_152 Depth=2
	v_lshlrev_b64 v[13:14], 1, v[8:9]
	v_mov_b32_e32 v15, s42
	v_add_co_u32_e32 v13, vcc, s40, v13
	v_addc_co_u32_e32 v14, vcc, v15, v14, vcc
	global_load_ushort v13, v[13:14], off
	s_waitcnt vmcnt(0)
	v_cmp_lt_i16_e32 vcc, -1, v13
	v_cndmask_b32_e32 v14, v41, v42, vcc
	v_lshlrev_b32_e32 v15, 16, v13
	v_xor_b32_sdwa v14, v14, v13 dst_sel:DWORD dst_unused:UNUSED_PAD src0_sel:DWORD src1_sel:WORD_0
	v_cmp_o_f32_e32 vcc, v15, v15
	v_cndmask_b32_e32 v14, v41, v14, vcc
	v_and_b32_e32 v14, v14, v2
	v_cmp_eq_u32_e32 vcc, v14, v3
	s_and_b64 exec, exec, vcc
	s_cbranch_execz .LBB117_150
; %bb.154:                              ;   in Loop: Header=BB117_152 Depth=2
	s_movk_i32 s28, 0x3f80
	v_perm_b32 v13, v13, s28, v44
	ds_write_b32 v9, v13 offset:3072
	s_branch .LBB117_150
.LBB117_155:                            ;   in Loop: Header=BB117_152 Depth=2
	v_add_u32_e32 v12, s48, v12
	v_cmp_le_u32_e32 vcc, s61, v12
	v_add_u32_e32 v8, s54, v8
	s_mov_b64 s[28:29], 0
	s_orn2_b64 s[8:9], vcc, exec
	s_branch .LBB117_151
.LBB117_156:                            ;   in Loop: Header=BB117_15 Depth=1
	s_or_b64 exec, exec, s[18:19]
	s_andn2_b64 s[8:9], s[12:13], exec
	s_and_b64 s[12:13], s[24:25], exec
	v_lshrrev_b32_e32 v8, 16, v13
	s_or_b64 s[12:13], s[8:9], s[12:13]
.LBB117_157:                            ;   in Loop: Header=BB117_15 Depth=1
	s_or_b64 exec, exec, s[16:17]
	s_mov_b64 s[34:35], 0
	s_mov_b64 s[84:85], -1
.LBB117_158:                            ;   in Loop: Header=BB117_15 Depth=1
	s_orn2_b64 s[8:9], s[12:13], exec
.LBB117_159:                            ;   in Loop: Header=BB117_15 Depth=1
	s_or_b64 exec, exec, s[2:3]
	s_mov_b64 s[2:3], 0
	s_and_saveexec_b64 s[94:95], s[8:9]
	s_cbranch_execz .LBB117_248
; %bb.160:                              ;   in Loop: Header=BB117_15 Depth=1
	s_xor_b64 s[12:13], s[14:15], -1
	s_mov_b64 s[8:9], 0
	v_mov_b32_e32 v12, 1
	v_mov_b32_e32 v1, 1
	s_and_saveexec_b64 s[2:3], s[12:13]
	s_cbranch_execz .LBB117_169
; %bb.161:                              ;   in Loop: Header=BB117_15 Depth=1
	v_cmp_ge_u32_e32 vcc, s46, v4
	s_and_saveexec_b64 s[8:9], vcc
	s_xor_b64 s[8:9], exec, s[8:9]
	s_cbranch_execz .LBB117_166
; %bb.162:                              ;   in Loop: Header=BB117_15 Depth=1
	v_and_b32_e32 v1, s51, v3
	v_lshl_or_b32 v3, 1, s4, v1
	ds_read_b32 v1, v9 offset:4096
	v_or_b32_e32 v2, s50, v2
	s_waitcnt lgkmcnt(0)
	v_cmp_ne_u32_e32 vcc, 0, v1
	s_cbranch_vccnz .LBB117_166
; %bb.163:                              ;   in Loop: Header=BB117_15 Depth=1
	s_mov_b64 s[12:13], exec
	v_readlane_b32 s14, v52, 7
	v_readlane_b32 s15, v52, 8
	s_and_b64 s[14:15], s[12:13], s[14:15]
	s_mov_b64 exec, s[14:15]
; %bb.164:                              ;   in Loop: Header=BB117_15 Depth=1
	v_mov_b32_e32 v1, s46
	ds_write_b32 v9, v1 offset:4100
; %bb.165:                              ;   in Loop: Header=BB117_15 Depth=1
	s_or_b64 exec, exec, s[12:13]
	s_waitcnt lgkmcnt(0)
	s_barrier
.LBB117_166:                            ;   in Loop: Header=BB117_15 Depth=1
	s_or_saveexec_b64 s[8:9], s[8:9]
	s_mov_b64 s[12:13], 0
	v_mov_b32_e32 v1, 8
	s_xor_b64 exec, exec, s[8:9]
; %bb.167:                              ;   in Loop: Header=BB117_15 Depth=1
	s_mov_b64 s[12:13], exec
	v_subrev_u32_e32 v4, s46, v4
	v_mov_b32_e32 v1, 0
; %bb.168:                              ;   in Loop: Header=BB117_15 Depth=1
	s_or_b64 exec, exec, s[8:9]
	s_and_b64 s[8:9], s[12:13], exec
	v_mov_b32_e32 v12, v4
.LBB117_169:                            ;   in Loop: Header=BB117_15 Depth=1
	s_or_b64 exec, exec, s[2:3]
	s_mov_b64 s[2:3], -1
                                        ; implicit-def: $sgpr52_sgpr53
                                        ; implicit-def: $sgpr14_sgpr15
	s_and_saveexec_b64 s[44:45], s[8:9]
	s_cbranch_execz .LBB117_247
; %bb.170:                              ;   in Loop: Header=BB117_15 Depth=1
	s_cmp_eq_u32 s47, 1
	s_cselect_b64 s[2:3], -1, 0
	v_cmp_eq_u32_e32 vcc, 1, v12
	s_and_b64 s[18:19], s[2:3], vcc
	s_mov_b64 s[8:9], -1
                                        ; implicit-def: $sgpr14_sgpr15
                                        ; implicit-def: $sgpr52_sgpr53
	s_and_saveexec_b64 s[2:3], s[18:19]
	s_cbranch_execz .LBB117_196
; %bb.171:                              ;   in Loop: Header=BB117_15 Depth=1
	ds_read_b32 v4, v9 offset:4096
	s_waitcnt lgkmcnt(0)
	s_barrier
	v_readfirstlane_b32 s56, v4
	s_mov_b64 s[8:9], exec
	v_readlane_b32 s12, v52, 21
	v_readlane_b32 s13, v52, 22
	s_and_b64 s[12:13], s[8:9], s[12:13]
	s_mov_b64 exec, s[12:13]
; %bb.172:                              ;   in Loop: Header=BB117_15 Depth=1
	ds_write_b16 v26, v9
; %bb.173:                              ;   in Loop: Header=BB117_15 Depth=1
	s_or_b64 exec, exec, s[8:9]
	v_and_b32_e32 v3, s51, v3
	v_lshl_or_b32 v3, 2, s4, v3
	v_or_b32_e32 v2, s50, v2
	s_mov_b64 s[52:53], -1
	s_mov_b64 s[14:15], 0
	s_cmp_eq_u32 s56, 0
	s_mov_b64 s[12:13], 0
	s_mov_b64 s[16:17], -1
	s_waitcnt lgkmcnt(0)
	s_barrier
                                        ; implicit-def: $vgpr8
	s_cbranch_scc1 .LBB117_184
; %bb.174:                              ;   in Loop: Header=BB117_15 Depth=1
	v_readlane_b32 s8, v52, 23
	s_add_i32 s8, s56, s8
	v_readlane_b32 s9, v52, 44
	s_mul_hi_u32 s9, s8, s9
	s_mul_i32 s9, s9, s48
	s_sub_i32 s9, s8, s9
	s_sub_i32 s12, s9, s48
	s_cmp_ge_u32 s9, s48
	s_cselect_b32 s9, s12, s9
	s_sub_i32 s12, s9, s48
	s_cmp_ge_u32 s9, s48
	s_cselect_b32 s9, s12, s9
	s_sub_i32 s57, s8, s9
	v_cmp_gt_u32_e32 vcc, s57, v0
	s_mov_b64 s[16:17], 0
	s_mov_b64 s[12:13], 0
                                        ; implicit-def: $vgpr8
	s_and_saveexec_b64 s[28:29], vcc
	s_cbranch_execz .LBB117_183
; %bb.175:                              ;   in Loop: Header=BB117_15 Depth=1
	v_mov_b32_e32 v4, v25
	v_mov_b32_e32 v8, v0
                                        ; implicit-def: $sgpr24_sgpr25
	s_branch .LBB117_178
.LBB117_176:                            ;   in Loop: Header=BB117_178 Depth=2
	s_or_b64 exec, exec, s[8:9]
	s_waitcnt lgkmcnt(0)
	s_barrier
	ds_read_b32 v13, v9 offset:3072
	s_mov_b64 s[8:9], -1
	s_mov_b64 s[52:53], -1
	s_waitcnt lgkmcnt(0)
	s_barrier
	v_and_b32_e32 v14, 0x7fff, v13
	v_cmp_ne_u32_e32 vcc, 0, v14
	s_cbranch_vccz .LBB117_181
.LBB117_177:                            ;   in Loop: Header=BB117_178 Depth=2
	s_and_b64 s[8:9], exec, s[8:9]
	s_or_b64 s[12:13], s[8:9], s[12:13]
	s_andn2_b64 s[8:9], s[24:25], exec
	s_and_b64 s[24:25], s[52:53], exec
	s_or_b64 s[24:25], s[8:9], s[24:25]
	s_andn2_b64 exec, exec, s[12:13]
	s_cbranch_execz .LBB117_182
.LBB117_178:                            ;   Parent Loop BB117_15 Depth=1
                                        ; =>  This Inner Loop Header: Depth=2
	v_cmp_gt_u32_e32 vcc, s56, v8
	s_and_saveexec_b64 s[8:9], vcc
	s_cbranch_execz .LBB117_176
; %bb.179:                              ;   in Loop: Header=BB117_178 Depth=2
	ds_read_u16 v13, v4
	s_waitcnt lgkmcnt(0)
	v_cmp_lt_i16_e32 vcc, -1, v13
	v_cndmask_b32_e32 v14, v41, v42, vcc
	v_lshlrev_b32_e32 v15, 16, v13
	v_cmp_o_f32_e32 vcc, v15, v15
	v_xor_b32_sdwa v14, v14, v13 dst_sel:DWORD dst_unused:UNUSED_PAD src0_sel:DWORD src1_sel:WORD_0
	v_cndmask_b32_e32 v14, v41, v14, vcc
	v_and_b32_e32 v14, v14, v2
	v_cmp_eq_u32_e32 vcc, v14, v3
	s_and_b64 exec, exec, vcc
	s_cbranch_execz .LBB117_176
; %bb.180:                              ;   in Loop: Header=BB117_178 Depth=2
	s_movk_i32 s52, 0x3f80
	v_perm_b32 v13, v13, s52, v44
	ds_write_b32 v9, v13 offset:3072
	s_branch .LBB117_176
.LBB117_181:                            ;   in Loop: Header=BB117_178 Depth=2
	v_add_u32_e32 v8, s48, v8
	v_cmp_le_u32_e32 vcc, s57, v8
	v_add_u32_e32 v4, s38, v4
	s_mov_b64 s[52:53], 0
	s_orn2_b64 s[8:9], vcc, exec
	s_branch .LBB117_177
.LBB117_182:                            ;   in Loop: Header=BB117_15 Depth=1
	s_or_b64 exec, exec, s[12:13]
	v_lshrrev_b32_e32 v8, 16, v13
	s_and_b64 s[12:13], s[24:25], exec
	s_mov_b64 s[52:53], -1
.LBB117_183:                            ;   in Loop: Header=BB117_15 Depth=1
	s_or_b64 exec, exec, s[28:29]
.LBB117_184:                            ;   in Loop: Header=BB117_15 Depth=1
	s_and_b64 vcc, exec, s[16:17]
	s_cbranch_vccz .LBB117_195
; %bb.185:                              ;   in Loop: Header=BB117_15 Depth=1
                                        ; implicit-def: $vgpr8
	s_mov_b64 s[14:15], exec
	v_readlane_b32 s8, v52, 45
	v_readlane_b32 s9, v52, 46
	s_and_b64 s[8:9], s[14:15], s[8:9]
	s_mov_b64 exec, s[8:9]
	s_cbranch_execz .LBB117_194
; %bb.186:                              ;   in Loop: Header=BB117_15 Depth=1
	s_mov_b64 s[16:17], 0
	v_mov_b32_e32 v8, v7
	v_mov_b32_e32 v4, v0
                                        ; implicit-def: $sgpr24_sgpr25
	s_branch .LBB117_189
.LBB117_187:                            ;   in Loop: Header=BB117_189 Depth=2
	s_or_b64 exec, exec, s[8:9]
	s_waitcnt lgkmcnt(0)
	s_barrier
	ds_read_b32 v13, v9 offset:3072
	s_mov_b64 s[8:9], -1
	s_mov_b64 s[28:29], -1
	s_waitcnt lgkmcnt(0)
	s_barrier
	v_and_b32_e32 v14, 0x7fff, v13
	v_cmp_eq_u32_e32 vcc, 0, v14
	s_cbranch_vccnz .LBB117_192
.LBB117_188:                            ;   in Loop: Header=BB117_189 Depth=2
	s_and_b64 s[8:9], exec, s[8:9]
	s_or_b64 s[16:17], s[8:9], s[16:17]
	s_andn2_b64 s[8:9], s[24:25], exec
	s_and_b64 s[24:25], s[28:29], exec
	s_or_b64 s[24:25], s[8:9], s[24:25]
	s_andn2_b64 exec, exec, s[16:17]
	s_cbranch_execz .LBB117_193
.LBB117_189:                            ;   Parent Loop BB117_15 Depth=1
                                        ; =>  This Inner Loop Header: Depth=2
	v_cmp_gt_u32_e32 vcc, s36, v4
	s_and_saveexec_b64 s[8:9], vcc
	s_cbranch_execz .LBB117_187
; %bb.190:                              ;   in Loop: Header=BB117_189 Depth=2
	v_lshlrev_b64 v[13:14], 1, v[8:9]
	v_mov_b32_e32 v15, s42
	v_add_co_u32_e32 v13, vcc, s40, v13
	v_addc_co_u32_e32 v14, vcc, v15, v14, vcc
	global_load_ushort v13, v[13:14], off
	s_waitcnt vmcnt(0)
	v_cmp_lt_i16_e32 vcc, -1, v13
	v_cndmask_b32_e32 v14, v41, v42, vcc
	v_lshlrev_b32_e32 v15, 16, v13
	v_xor_b32_sdwa v14, v14, v13 dst_sel:DWORD dst_unused:UNUSED_PAD src0_sel:DWORD src1_sel:WORD_0
	v_cmp_o_f32_e32 vcc, v15, v15
	v_cndmask_b32_e32 v14, v41, v14, vcc
	v_and_b32_e32 v14, v14, v2
	v_cmp_eq_u32_e32 vcc, v14, v3
	s_and_b64 exec, exec, vcc
	s_cbranch_execz .LBB117_187
; %bb.191:                              ;   in Loop: Header=BB117_189 Depth=2
	s_movk_i32 s28, 0x3f80
	v_perm_b32 v13, v13, s28, v44
	ds_write_b32 v9, v13 offset:3072
	s_branch .LBB117_187
.LBB117_192:                            ;   in Loop: Header=BB117_189 Depth=2
	v_add_u32_e32 v4, s48, v4
	v_cmp_le_u32_e32 vcc, s61, v4
	v_add_u32_e32 v8, s54, v8
	s_mov_b64 s[28:29], 0
	s_orn2_b64 s[8:9], vcc, exec
	s_branch .LBB117_188
.LBB117_193:                            ;   in Loop: Header=BB117_15 Depth=1
	s_or_b64 exec, exec, s[16:17]
	s_andn2_b64 s[8:9], s[12:13], exec
	s_and_b64 s[12:13], s[24:25], exec
	v_lshrrev_b32_e32 v8, 16, v13
	s_or_b64 s[12:13], s[8:9], s[12:13]
.LBB117_194:                            ;   in Loop: Header=BB117_15 Depth=1
	s_or_b64 exec, exec, s[14:15]
	s_mov_b64 s[52:53], 0
	s_mov_b64 s[14:15], -1
.LBB117_195:                            ;   in Loop: Header=BB117_15 Depth=1
	s_orn2_b64 s[8:9], s[12:13], exec
.LBB117_196:                            ;   in Loop: Header=BB117_15 Depth=1
	s_or_b64 exec, exec, s[2:3]
	s_mov_b64 s[2:3], 0
	s_and_saveexec_b64 s[16:17], s[8:9]
	s_cbranch_execz .LBB117_246
; %bb.197:                              ;   in Loop: Header=BB117_15 Depth=1
	s_xor_b64 s[8:9], s[18:19], -1
	s_mov_b64 s[24:25], 0
	v_mov_b32_e32 v4, 1
	v_mov_b32_e32 v1, 1
	s_and_saveexec_b64 s[2:3], s[8:9]
	s_cbranch_execz .LBB117_206
; %bb.198:                              ;   in Loop: Header=BB117_15 Depth=1
	v_cmp_ge_u32_e32 vcc, s47, v12
	s_and_saveexec_b64 s[8:9], vcc
	s_xor_b64 s[8:9], exec, s[8:9]
	s_cbranch_execz .LBB117_203
; %bb.199:                              ;   in Loop: Header=BB117_15 Depth=1
	v_and_b32_e32 v1, s51, v3
	v_lshl_or_b32 v3, 2, s4, v1
	ds_read_b32 v1, v9 offset:4096
	v_or_b32_e32 v2, s50, v2
	s_waitcnt lgkmcnt(0)
	v_cmp_ne_u32_e32 vcc, 0, v1
	s_cbranch_vccnz .LBB117_203
; %bb.200:                              ;   in Loop: Header=BB117_15 Depth=1
	s_mov_b64 s[12:13], exec
	v_readlane_b32 s18, v52, 7
	v_readlane_b32 s19, v52, 8
	s_and_b64 s[18:19], s[12:13], s[18:19]
	s_mov_b64 exec, s[18:19]
; %bb.201:                              ;   in Loop: Header=BB117_15 Depth=1
	v_mov_b32_e32 v1, s47
	ds_write_b32 v9, v1 offset:4100
; %bb.202:                              ;   in Loop: Header=BB117_15 Depth=1
	s_or_b64 exec, exec, s[12:13]
	s_waitcnt lgkmcnt(0)
	s_barrier
.LBB117_203:                            ;   in Loop: Header=BB117_15 Depth=1
	s_or_saveexec_b64 s[8:9], s[8:9]
	s_mov_b64 s[12:13], 0
	v_mov_b32_e32 v1, 8
	s_xor_b64 exec, exec, s[8:9]
; %bb.204:                              ;   in Loop: Header=BB117_15 Depth=1
	s_mov_b64 s[12:13], exec
	v_subrev_u32_e32 v12, s47, v12
	v_mov_b32_e32 v1, 0
; %bb.205:                              ;   in Loop: Header=BB117_15 Depth=1
	s_or_b64 exec, exec, s[8:9]
	s_and_b64 s[24:25], s[12:13], exec
	v_mov_b32_e32 v4, v12
.LBB117_206:                            ;   in Loop: Header=BB117_15 Depth=1
	s_or_b64 exec, exec, s[2:3]
	s_mov_b64 s[8:9], -1
                                        ; implicit-def: $sgpr2_sgpr3
                                        ; implicit-def: $sgpr58_sgpr59
	s_and_saveexec_b64 s[18:19], s[24:25]
	s_cbranch_execz .LBB117_245
; %bb.207:                              ;   in Loop: Header=BB117_15 Depth=1
	s_cmp_eq_u32 s39, 1
	s_cselect_b64 s[2:3], -1, 0
	v_cmp_eq_u32_e32 vcc, 1, v4
	s_and_b64 s[28:29], s[2:3], vcc
                                        ; implicit-def: $sgpr2_sgpr3
                                        ; implicit-def: $sgpr58_sgpr59
	s_and_saveexec_b64 s[56:57], s[28:29]
	s_cbranch_execz .LBB117_233
; %bb.208:                              ;   in Loop: Header=BB117_15 Depth=1
	ds_read_b32 v8, v9 offset:4096
	s_waitcnt lgkmcnt(0)
	s_barrier
	v_readfirstlane_b32 s12, v8
	s_mov_b64 s[2:3], exec
	v_readlane_b32 s8, v52, 21
	v_readlane_b32 s9, v52, 22
	s_and_b64 s[8:9], s[2:3], s[8:9]
	s_mov_b64 exec, s[8:9]
; %bb.209:                              ;   in Loop: Header=BB117_15 Depth=1
	ds_write_b16 v26, v9
; %bb.210:                              ;   in Loop: Header=BB117_15 Depth=1
	s_or_b64 exec, exec, s[2:3]
	s_mov_b64 s[2:3], -1
	v_writelane_b32 v52, s2, 47
	v_or_b32_e32 v3, s50, v3
	v_or_b32_e32 v2, s50, v2
	v_writelane_b32 v52, s3, 48
	s_mov_b64 s[2:3], 0
	s_cmp_eq_u32 s12, 0
	s_mov_b64 s[58:59], 0
	s_mov_b64 s[24:25], -1
	s_waitcnt lgkmcnt(0)
	s_barrier
                                        ; implicit-def: $vgpr8
	s_cbranch_scc1 .LBB117_221
; %bb.211:                              ;   in Loop: Header=BB117_15 Depth=1
	v_readlane_b32 s8, v52, 23
	s_add_i32 s8, s12, s8
	v_readlane_b32 s9, v52, 44
	s_mul_hi_u32 s9, s8, s9
	s_mul_i32 s9, s9, s48
	s_sub_i32 s9, s8, s9
	s_sub_i32 s13, s9, s48
	s_cmp_ge_u32 s9, s48
	s_cselect_b32 s9, s13, s9
	s_sub_i32 s13, s9, s48
	s_cmp_ge_u32 s9, s48
	s_cselect_b32 s9, s13, s9
	s_sub_i32 s13, s8, s9
	s_mov_b64 s[24:25], 0
	v_cmp_gt_u32_e32 vcc, s13, v0
                                        ; implicit-def: $vgpr8
	s_mov_b64 s[8:9], exec
	v_writelane_b32 v52, s8, 49
	v_writelane_b32 v52, s9, 50
	s_and_b64 s[8:9], s[8:9], vcc
	s_mov_b64 exec, s[8:9]
	s_cbranch_execz .LBB117_220
; %bb.212:                              ;   in Loop: Header=BB117_15 Depth=1
	v_writelane_b32 v52, s28, 51
	v_writelane_b32 v52, s29, 52
	;; [unrolled: 1-line block ×3, first 2 shown]
	v_mov_b32_e32 v8, v25
	v_mov_b32_e32 v12, v0
	v_writelane_b32 v52, s53, 54
                                        ; implicit-def: $sgpr8_sgpr9
	s_branch .LBB117_215
.LBB117_213:                            ;   in Loop: Header=BB117_215 Depth=2
	s_or_b64 exec, exec, s[52:53]
	s_waitcnt lgkmcnt(0)
	s_barrier
	ds_read_b32 v13, v9 offset:3072
	s_mov_b64 s[52:53], -1
	s_mov_b64 s[28:29], -1
	s_waitcnt lgkmcnt(0)
	s_barrier
	v_and_b32_e32 v14, 0x7fff, v13
	v_cmp_ne_u32_e32 vcc, 0, v14
	s_cbranch_vccz .LBB117_218
.LBB117_214:                            ;   in Loop: Header=BB117_215 Depth=2
	s_and_b64 s[52:53], exec, s[52:53]
	s_or_b64 s[58:59], s[52:53], s[58:59]
	s_andn2_b64 s[8:9], s[8:9], exec
	s_and_b64 s[28:29], s[28:29], exec
	s_or_b64 s[8:9], s[8:9], s[28:29]
	s_andn2_b64 exec, exec, s[58:59]
	s_cbranch_execz .LBB117_219
.LBB117_215:                            ;   Parent Loop BB117_15 Depth=1
                                        ; =>  This Inner Loop Header: Depth=2
	v_cmp_gt_u32_e32 vcc, s12, v12
	s_and_saveexec_b64 s[52:53], vcc
	s_cbranch_execz .LBB117_213
; %bb.216:                              ;   in Loop: Header=BB117_215 Depth=2
	ds_read_u16 v13, v8
	s_waitcnt lgkmcnt(0)
	v_cmp_lt_i16_e32 vcc, -1, v13
	v_cndmask_b32_e32 v14, v41, v42, vcc
	v_lshlrev_b32_e32 v15, 16, v13
	v_cmp_o_f32_e32 vcc, v15, v15
	v_xor_b32_sdwa v14, v14, v13 dst_sel:DWORD dst_unused:UNUSED_PAD src0_sel:DWORD src1_sel:WORD_0
	v_cndmask_b32_e32 v14, v41, v14, vcc
	v_and_b32_e32 v14, v14, v2
	v_cmp_eq_u32_e32 vcc, v14, v3
	s_and_b64 exec, exec, vcc
	s_cbranch_execz .LBB117_213
; %bb.217:                              ;   in Loop: Header=BB117_215 Depth=2
	s_movk_i32 s28, 0x3f80
	v_perm_b32 v13, v13, s28, v44
	ds_write_b32 v9, v13 offset:3072
	s_branch .LBB117_213
.LBB117_218:                            ;   in Loop: Header=BB117_215 Depth=2
	v_add_u32_e32 v12, s48, v12
	v_cmp_le_u32_e32 vcc, s13, v12
	v_add_u32_e32 v8, s38, v8
	s_mov_b64 s[28:29], 0
	s_orn2_b64 s[52:53], vcc, exec
	s_branch .LBB117_214
.LBB117_219:                            ;   in Loop: Header=BB117_15 Depth=1
	s_or_b64 exec, exec, s[58:59]
	v_readlane_b32 s52, v52, 53
	v_readlane_b32 s28, v52, 51
	v_lshrrev_b32_e32 v8, 16, v13
	s_and_b64 s[58:59], s[8:9], exec
	v_readlane_b32 s53, v52, 54
	v_readlane_b32 s29, v52, 52
.LBB117_220:                            ;   in Loop: Header=BB117_15 Depth=1
	v_readlane_b32 s8, v52, 49
	v_readlane_b32 s9, v52, 50
	s_or_b64 exec, exec, s[8:9]
.LBB117_221:                            ;   in Loop: Header=BB117_15 Depth=1
	s_and_b64 vcc, exec, s[24:25]
	s_cbranch_vccz .LBB117_232
; %bb.222:                              ;   in Loop: Header=BB117_15 Depth=1
                                        ; implicit-def: $vgpr8
	s_mov_b64 s[2:3], exec
	v_readlane_b32 s8, v52, 45
	v_readlane_b32 s9, v52, 46
	s_and_b64 s[8:9], s[2:3], s[8:9]
	s_mov_b64 exec, s[8:9]
	s_cbranch_execz .LBB117_231
; %bb.223:                              ;   in Loop: Header=BB117_15 Depth=1
	v_writelane_b32 v52, s28, 51
	s_mov_b64 s[12:13], 0
	v_mov_b32_e32 v8, v7
	v_mov_b32_e32 v12, v0
	v_writelane_b32 v52, s29, 52
                                        ; implicit-def: $sgpr24_sgpr25
	s_branch .LBB117_226
.LBB117_224:                            ;   in Loop: Header=BB117_226 Depth=2
	s_or_b64 exec, exec, s[8:9]
	s_waitcnt lgkmcnt(0)
	s_barrier
	ds_read_b32 v13, v9 offset:3072
	s_mov_b64 s[8:9], -1
	s_mov_b64 s[28:29], -1
	s_waitcnt lgkmcnt(0)
	s_barrier
	v_and_b32_e32 v14, 0x7fff, v13
	v_cmp_eq_u32_e32 vcc, 0, v14
	s_cbranch_vccnz .LBB117_229
.LBB117_225:                            ;   in Loop: Header=BB117_226 Depth=2
	s_and_b64 s[8:9], exec, s[8:9]
	s_or_b64 s[12:13], s[8:9], s[12:13]
	s_andn2_b64 s[8:9], s[24:25], exec
	s_and_b64 s[24:25], s[28:29], exec
	s_or_b64 s[24:25], s[8:9], s[24:25]
	s_andn2_b64 exec, exec, s[12:13]
	s_cbranch_execz .LBB117_230
.LBB117_226:                            ;   Parent Loop BB117_15 Depth=1
                                        ; =>  This Inner Loop Header: Depth=2
	v_cmp_gt_u32_e32 vcc, s36, v12
	s_and_saveexec_b64 s[8:9], vcc
	s_cbranch_execz .LBB117_224
; %bb.227:                              ;   in Loop: Header=BB117_226 Depth=2
	v_lshlrev_b64 v[13:14], 1, v[8:9]
	v_mov_b32_e32 v15, s42
	v_add_co_u32_e32 v13, vcc, s40, v13
	v_addc_co_u32_e32 v14, vcc, v15, v14, vcc
	global_load_ushort v13, v[13:14], off
	s_waitcnt vmcnt(0)
	v_cmp_lt_i16_e32 vcc, -1, v13
	v_cndmask_b32_e32 v14, v41, v42, vcc
	v_lshlrev_b32_e32 v15, 16, v13
	v_xor_b32_sdwa v14, v14, v13 dst_sel:DWORD dst_unused:UNUSED_PAD src0_sel:DWORD src1_sel:WORD_0
	v_cmp_o_f32_e32 vcc, v15, v15
	v_cndmask_b32_e32 v14, v41, v14, vcc
	v_and_b32_e32 v14, v14, v2
	v_cmp_eq_u32_e32 vcc, v14, v3
	s_and_b64 exec, exec, vcc
	s_cbranch_execz .LBB117_224
; %bb.228:                              ;   in Loop: Header=BB117_226 Depth=2
	s_movk_i32 s28, 0x3f80
	v_perm_b32 v13, v13, s28, v44
	ds_write_b32 v9, v13 offset:3072
	s_branch .LBB117_224
.LBB117_229:                            ;   in Loop: Header=BB117_226 Depth=2
	v_add_u32_e32 v12, s48, v12
	v_cmp_le_u32_e32 vcc, s61, v12
	v_add_u32_e32 v8, s54, v8
	s_mov_b64 s[28:29], 0
	s_orn2_b64 s[8:9], vcc, exec
	s_branch .LBB117_225
.LBB117_230:                            ;   in Loop: Header=BB117_15 Depth=1
	s_or_b64 exec, exec, s[12:13]
	s_andn2_b64 s[8:9], s[58:59], exec
	s_and_b64 s[12:13], s[24:25], exec
	v_readlane_b32 s28, v52, 51
	v_lshrrev_b32_e32 v8, 16, v13
	s_or_b64 s[58:59], s[8:9], s[12:13]
	v_readlane_b32 s29, v52, 52
.LBB117_231:                            ;   in Loop: Header=BB117_15 Depth=1
	s_or_b64 exec, exec, s[2:3]
	s_mov_b64 s[2:3], 0
	v_writelane_b32 v52, s2, 47
	v_writelane_b32 v52, s3, 48
	s_mov_b64 s[2:3], -1
.LBB117_232:                            ;   in Loop: Header=BB117_15 Depth=1
	s_orn2_b64 s[8:9], s[58:59], exec
	v_readlane_b32 s58, v52, 47
	v_readlane_b32 s59, v52, 48
.LBB117_233:                            ;   in Loop: Header=BB117_15 Depth=1
	s_or_b64 exec, exec, s[56:57]
	s_mov_b64 s[24:25], 0
	s_and_saveexec_b64 s[56:57], s[8:9]
	s_cbranch_execz .LBB117_244
; %bb.234:                              ;   in Loop: Header=BB117_15 Depth=1
	s_xor_b64 s[12:13], s[28:29], -1
	v_mov_b32_e32 v1, 1
	v_mov_b32_e32 v12, 1
	s_and_saveexec_b64 s[8:9], s[12:13]
	s_cbranch_execz .LBB117_243
; %bb.235:                              ;   in Loop: Header=BB117_15 Depth=1
	v_cmp_ge_u32_e32 vcc, s39, v4
	s_and_saveexec_b64 s[12:13], vcc
	s_xor_b64 s[24:25], exec, s[12:13]
	s_cbranch_execz .LBB117_240
; %bb.236:                              ;   in Loop: Header=BB117_15 Depth=1
	ds_read_b32 v1, v9 offset:4096
	v_or_b32_e32 v3, s50, v3
	v_or_b32_e32 v2, s50, v2
	s_waitcnt lgkmcnt(0)
	v_cmp_ne_u32_e32 vcc, 0, v1
	s_cbranch_vccnz .LBB117_240
; %bb.237:                              ;   in Loop: Header=BB117_15 Depth=1
	s_mov_b64 s[28:29], exec
	v_readlane_b32 s12, v52, 7
	v_readlane_b32 s13, v52, 8
	s_and_b64 s[12:13], s[28:29], s[12:13]
	s_mov_b64 exec, s[12:13]
; %bb.238:                              ;   in Loop: Header=BB117_15 Depth=1
	v_mov_b32_e32 v1, s39
	ds_write_b32 v9, v1 offset:4100
; %bb.239:                              ;   in Loop: Header=BB117_15 Depth=1
	s_or_b64 exec, exec, s[28:29]
	s_waitcnt lgkmcnt(0)
	s_barrier
.LBB117_240:                            ;   in Loop: Header=BB117_15 Depth=1
	s_andn2_saveexec_b64 s[24:25], s[24:25]
; %bb.241:                              ;   in Loop: Header=BB117_15 Depth=1
	v_subrev_u32_e32 v4, s39, v4
; %bb.242:                              ;   in Loop: Header=BB117_15 Depth=1
	s_or_b64 exec, exec, s[24:25]
	v_mov_b32_e32 v1, 8
	v_mov_b32_e32 v12, v4
.LBB117_243:                            ;   in Loop: Header=BB117_15 Depth=1
	s_or_b64 exec, exec, s[8:9]
	s_mov_b64 s[24:25], exec
	v_mov_b32_e32 v4, v12
.LBB117_244:                            ;   in Loop: Header=BB117_15 Depth=1
	s_or_b64 exec, exec, s[56:57]
	s_orn2_b64 s[8:9], s[24:25], exec
.LBB117_245:                            ;   in Loop: Header=BB117_15 Depth=1
	s_or_b64 exec, exec, s[18:19]
	s_andn2_b64 s[12:13], s[14:15], exec
	s_and_b64 s[2:3], s[2:3], exec
	s_or_b64 s[14:15], s[12:13], s[2:3]
	s_andn2_b64 s[2:3], s[52:53], exec
	s_and_b64 s[12:13], s[58:59], exec
	s_or_b64 s[52:53], s[2:3], s[12:13]
	s_and_b64 s[2:3], s[8:9], exec
	v_mov_b32_e32 v12, v4
.LBB117_246:                            ;   in Loop: Header=BB117_15 Depth=1
	s_or_b64 exec, exec, s[16:17]
	s_orn2_b64 s[2:3], s[2:3], exec
.LBB117_247:                            ;   in Loop: Header=BB117_15 Depth=1
	s_or_b64 exec, exec, s[44:45]
	s_andn2_b64 s[8:9], s[84:85], exec
	s_and_b64 s[12:13], s[14:15], exec
	s_or_b64 s[84:85], s[8:9], s[12:13]
	s_andn2_b64 s[8:9], s[34:35], exec
	s_and_b64 s[12:13], s[52:53], exec
	s_or_b64 s[34:35], s[8:9], s[12:13]
	s_and_b64 s[2:3], s[2:3], exec
	v_mov_b32_e32 v4, v12
.LBB117_248:                            ;   in Loop: Header=BB117_15 Depth=1
	s_or_b64 exec, exec, s[94:95]
	s_orn2_b64 s[2:3], s[2:3], exec
.LBB117_249:                            ;   in Loop: Header=BB117_15 Depth=1
	s_or_b64 exec, exec, s[6:7]
	s_mov_b64 s[6:7], 0
	s_mov_b64 s[8:9], 0
	s_and_saveexec_b64 s[12:13], s[2:3]
	s_xor_b64 s[2:3], exec, s[12:13]
; %bb.250:                              ;   in Loop: Header=BB117_15 Depth=1
	v_cmp_eq_u32_e32 vcc, 8, v1
	v_cmp_ne_u32_e64 s[6:7], 8, v1
	s_and_b64 s[8:9], s[6:7], exec
	s_and_b64 s[6:7], vcc, exec
; %bb.251:                              ;   in Loop: Header=BB117_15 Depth=1
	s_or_b64 exec, exec, s[2:3]
	s_andn2_b64 s[2:3], s[88:89], exec
	s_and_b64 s[12:13], s[84:85], exec
	s_or_b64 s[88:89], s[2:3], s[12:13]
	s_andn2_b64 s[2:3], s[86:87], exec
	s_and_b64 s[12:13], s[34:35], exec
	s_or_b64 s[86:87], s[2:3], s[12:13]
	s_and_b64 s[34:35], s[8:9], exec
	s_and_b64 s[84:85], s[6:7], exec
.LBB117_252:                            ;   in Loop: Header=BB117_15 Depth=1
	s_or_b64 exec, exec, s[92:93]
.LBB117_253:                            ;   in Loop: Header=BB117_15 Depth=1
	s_and_b64 vcc, exec, s[90:91]
	s_cbranch_vccz .LBB117_266
; %bb.254:                              ;   in Loop: Header=BB117_15 Depth=1
	s_cmp_eq_u32 s39, 1
	s_cselect_b64 s[2:3], -1, 0
	s_and_b64 s[6:7], s[2:3], s[26:27]
	s_mov_b64 s[8:9], -1
                                        ; implicit-def: $sgpr26_sgpr27
                                        ; implicit-def: $sgpr30_sgpr31
	s_and_saveexec_b64 s[2:3], s[6:7]
	s_cbranch_execz .LBB117_281
; %bb.255:                              ;   in Loop: Header=BB117_15 Depth=1
	ds_read_b32 v1, v9 offset:4096
	s_waitcnt lgkmcnt(0)
	s_barrier
	v_readfirstlane_b32 s28, v1
	s_mov_b64 s[8:9], exec
	v_readlane_b32 s12, v52, 21
	v_readlane_b32 s13, v52, 22
	s_and_b64 s[12:13], s[8:9], s[12:13]
	s_mov_b64 exec, s[12:13]
; %bb.256:                              ;   in Loop: Header=BB117_15 Depth=1
	ds_write_b16 v26, v9
; %bb.257:                              ;   in Loop: Header=BB117_15 Depth=1
	s_or_b64 exec, exec, s[8:9]
	v_or_b32_e32 v37, s50, v37
	v_or_b32_e32 v45, s50, v45
	s_mov_b64 s[30:31], -1
	s_mov_b64 s[26:27], 0
	s_cmp_eq_u32 s28, 0
	s_mov_b64 s[12:13], 0
	s_mov_b64 s[14:15], -1
	s_waitcnt lgkmcnt(0)
	s_barrier
                                        ; implicit-def: $vgpr46
	s_cbranch_scc1 .LBB117_269
; %bb.258:                              ;   in Loop: Header=BB117_15 Depth=1
	v_readlane_b32 s8, v52, 23
	s_add_i32 s8, s28, s8
	v_readlane_b32 s9, v52, 44
	s_mul_hi_u32 s9, s8, s9
	s_mul_i32 s9, s9, s48
	s_sub_i32 s9, s8, s9
	s_sub_i32 s12, s9, s48
	s_cmp_ge_u32 s9, s48
	s_cselect_b32 s9, s12, s9
	s_sub_i32 s12, s9, s48
	s_cmp_ge_u32 s9, s48
	s_cselect_b32 s9, s12, s9
	s_sub_i32 s29, s8, s9
	v_cmp_gt_u32_e32 vcc, s29, v0
	s_mov_b64 s[14:15], 0
	s_mov_b64 s[12:13], 0
                                        ; implicit-def: $vgpr46
	s_and_saveexec_b64 s[16:17], vcc
	s_cbranch_execz .LBB117_268
; %bb.259:                              ;   in Loop: Header=BB117_15 Depth=1
	v_mov_b32_e32 v1, v25
	v_mov_b32_e32 v2, v0
                                        ; implicit-def: $sgpr18_sgpr19
	s_branch .LBB117_262
.LBB117_260:                            ;   in Loop: Header=BB117_262 Depth=2
	s_or_b64 exec, exec, s[8:9]
	s_waitcnt lgkmcnt(0)
	s_barrier
	ds_read_b32 v3, v9 offset:3072
	s_mov_b64 s[8:9], -1
	s_mov_b64 s[24:25], -1
	s_waitcnt lgkmcnt(0)
	s_barrier
	v_and_b32_e32 v4, 0x7fff, v3
	v_cmp_ne_u32_e32 vcc, 0, v4
	s_cbranch_vccz .LBB117_265
.LBB117_261:                            ;   in Loop: Header=BB117_262 Depth=2
	s_and_b64 s[8:9], exec, s[8:9]
	s_or_b64 s[12:13], s[8:9], s[12:13]
	s_andn2_b64 s[8:9], s[18:19], exec
	s_and_b64 s[18:19], s[24:25], exec
	s_or_b64 s[18:19], s[8:9], s[18:19]
	s_andn2_b64 exec, exec, s[12:13]
	s_cbranch_execz .LBB117_267
.LBB117_262:                            ;   Parent Loop BB117_15 Depth=1
                                        ; =>  This Inner Loop Header: Depth=2
	v_cmp_gt_u32_e32 vcc, s28, v2
	s_and_saveexec_b64 s[8:9], vcc
	s_cbranch_execz .LBB117_260
; %bb.263:                              ;   in Loop: Header=BB117_262 Depth=2
	ds_read_u16 v3, v1
	s_waitcnt lgkmcnt(0)
	v_cmp_lt_i16_e32 vcc, -1, v3
	v_cndmask_b32_e32 v4, v41, v42, vcc
	v_lshlrev_b32_e32 v8, 16, v3
	v_cmp_o_f32_e32 vcc, v8, v8
	v_xor_b32_sdwa v4, v4, v3 dst_sel:DWORD dst_unused:UNUSED_PAD src0_sel:DWORD src1_sel:WORD_0
	v_cndmask_b32_e32 v4, v41, v4, vcc
	v_and_b32_e32 v4, v4, v45
	v_cmp_eq_u32_e32 vcc, v4, v37
	s_and_b64 exec, exec, vcc
	s_cbranch_execz .LBB117_260
; %bb.264:                              ;   in Loop: Header=BB117_262 Depth=2
	s_movk_i32 s24, 0x3f80
	v_perm_b32 v3, v3, s24, v44
	ds_write_b32 v9, v3 offset:3072
	s_branch .LBB117_260
.LBB117_265:                            ;   in Loop: Header=BB117_262 Depth=2
	v_add_u32_e32 v2, s48, v2
	v_cmp_le_u32_e32 vcc, s29, v2
	v_add_u32_e32 v1, s38, v1
	s_mov_b64 s[24:25], 0
	s_orn2_b64 s[8:9], vcc, exec
	s_branch .LBB117_261
.LBB117_266:                            ;   in Loop: Header=BB117_15 Depth=1
	s_mov_b64 s[26:27], 0
	v_mov_b32_e32 v37, v3
	v_mov_b32_e32 v45, v2
	;; [unrolled: 1-line block ×3, first 2 shown]
	s_and_saveexec_b64 s[2:3], s[84:85]
	s_cbranch_execnz .LBB117_412
	s_branch .LBB117_413
.LBB117_267:                            ;   in Loop: Header=BB117_15 Depth=1
	s_or_b64 exec, exec, s[12:13]
	v_lshrrev_b32_e32 v46, 16, v3
	s_and_b64 s[12:13], s[18:19], exec
.LBB117_268:                            ;   in Loop: Header=BB117_15 Depth=1
	s_or_b64 exec, exec, s[16:17]
.LBB117_269:                            ;   in Loop: Header=BB117_15 Depth=1
	s_and_b64 vcc, exec, s[14:15]
	s_cbranch_vccz .LBB117_280
; %bb.270:                              ;   in Loop: Header=BB117_15 Depth=1
                                        ; implicit-def: $vgpr46
	s_mov_b64 s[14:15], exec
	v_readlane_b32 s8, v52, 45
	v_readlane_b32 s9, v52, 46
	s_and_b64 s[8:9], s[14:15], s[8:9]
	s_mov_b64 exec, s[8:9]
	s_cbranch_execz .LBB117_279
; %bb.271:                              ;   in Loop: Header=BB117_15 Depth=1
	s_mov_b64 s[16:17], 0
	v_mov_b32_e32 v8, v7
	v_mov_b32_e32 v1, v0
                                        ; implicit-def: $sgpr18_sgpr19
	s_branch .LBB117_274
.LBB117_272:                            ;   in Loop: Header=BB117_274 Depth=2
	s_or_b64 exec, exec, s[8:9]
	s_waitcnt lgkmcnt(0)
	s_barrier
	ds_read_b32 v2, v9 offset:3072
	s_mov_b64 s[8:9], -1
	s_mov_b64 s[24:25], -1
	s_waitcnt lgkmcnt(0)
	s_barrier
	v_and_b32_e32 v3, 0x7fff, v2
	v_cmp_ne_u32_e32 vcc, 0, v3
	s_cbranch_vccz .LBB117_277
.LBB117_273:                            ;   in Loop: Header=BB117_274 Depth=2
	s_and_b64 s[8:9], exec, s[8:9]
	s_or_b64 s[16:17], s[8:9], s[16:17]
	s_andn2_b64 s[8:9], s[18:19], exec
	s_and_b64 s[18:19], s[24:25], exec
	s_or_b64 s[18:19], s[8:9], s[18:19]
	s_andn2_b64 exec, exec, s[16:17]
	s_cbranch_execz .LBB117_278
.LBB117_274:                            ;   Parent Loop BB117_15 Depth=1
                                        ; =>  This Inner Loop Header: Depth=2
	v_cmp_gt_u32_e32 vcc, s36, v1
	s_and_saveexec_b64 s[8:9], vcc
	s_cbranch_execz .LBB117_272
; %bb.275:                              ;   in Loop: Header=BB117_274 Depth=2
	v_lshlrev_b64 v[2:3], 1, v[8:9]
	v_mov_b32_e32 v4, s42
	v_add_co_u32_e32 v2, vcc, s40, v2
	v_addc_co_u32_e32 v3, vcc, v4, v3, vcc
	global_load_ushort v2, v[2:3], off
	s_waitcnt vmcnt(0)
	v_cmp_lt_i16_e32 vcc, -1, v2
	v_cndmask_b32_e32 v3, v41, v42, vcc
	v_lshlrev_b32_e32 v4, 16, v2
	v_xor_b32_sdwa v3, v3, v2 dst_sel:DWORD dst_unused:UNUSED_PAD src0_sel:DWORD src1_sel:WORD_0
	v_cmp_o_f32_e32 vcc, v4, v4
	v_cndmask_b32_e32 v3, v41, v3, vcc
	v_and_b32_e32 v3, v3, v45
	v_cmp_eq_u32_e32 vcc, v3, v37
	s_and_b64 exec, exec, vcc
	s_cbranch_execz .LBB117_272
; %bb.276:                              ;   in Loop: Header=BB117_274 Depth=2
	s_movk_i32 s24, 0x3f80
	v_perm_b32 v2, v2, s24, v44
	ds_write_b32 v9, v2 offset:3072
	s_branch .LBB117_272
.LBB117_277:                            ;   in Loop: Header=BB117_274 Depth=2
	v_add_u32_e32 v1, s48, v1
	v_cmp_le_u32_e32 vcc, s61, v1
	v_add_u32_e32 v8, s54, v8
	s_mov_b64 s[24:25], 0
	s_orn2_b64 s[8:9], vcc, exec
	s_branch .LBB117_273
.LBB117_278:                            ;   in Loop: Header=BB117_15 Depth=1
	s_or_b64 exec, exec, s[16:17]
	s_andn2_b64 s[8:9], s[12:13], exec
	s_and_b64 s[12:13], s[18:19], exec
	v_lshrrev_b32_e32 v46, 16, v2
	s_or_b64 s[12:13], s[8:9], s[12:13]
.LBB117_279:                            ;   in Loop: Header=BB117_15 Depth=1
	s_or_b64 exec, exec, s[14:15]
	s_mov_b64 s[30:31], 0
	s_mov_b64 s[26:27], -1
.LBB117_280:                            ;   in Loop: Header=BB117_15 Depth=1
	s_orn2_b64 s[8:9], s[12:13], exec
.LBB117_281:                            ;   in Loop: Header=BB117_15 Depth=1
	s_or_b64 exec, exec, s[2:3]
                                        ; implicit-def: $vgpr4
                                        ; implicit-def: $vgpr1
	s_and_saveexec_b64 s[86:87], s[8:9]
	s_cbranch_execz .LBB117_411
; %bb.282:                              ;   in Loop: Header=BB117_15 Depth=1
	s_xor_b64 s[8:9], s[6:7], -1
	s_mov_b64 s[6:7], 0
	v_mov_b32_e32 v4, 1
	v_mov_b32_e32 v1, 1
	s_and_saveexec_b64 s[2:3], s[8:9]
	s_cbranch_execz .LBB117_291
; %bb.283:                              ;   in Loop: Header=BB117_15 Depth=1
	v_cmp_ge_u32_e32 vcc, s39, v47
	s_and_saveexec_b64 s[6:7], vcc
	s_xor_b64 s[6:7], exec, s[6:7]
	s_cbranch_execz .LBB117_288
; %bb.284:                              ;   in Loop: Header=BB117_15 Depth=1
	ds_read_b32 v1, v9 offset:4096
	v_or_b32_e32 v37, s50, v37
	v_or_b32_e32 v45, s50, v45
	s_waitcnt lgkmcnt(0)
	v_cmp_ne_u32_e32 vcc, 0, v1
	s_cbranch_vccnz .LBB117_288
; %bb.285:                              ;   in Loop: Header=BB117_15 Depth=1
	s_mov_b64 s[8:9], exec
	v_readlane_b32 s12, v52, 7
	v_readlane_b32 s13, v52, 8
	s_and_b64 s[12:13], s[8:9], s[12:13]
	s_mov_b64 exec, s[12:13]
; %bb.286:                              ;   in Loop: Header=BB117_15 Depth=1
	v_mov_b32_e32 v1, s39
	ds_write_b32 v9, v1 offset:4100
; %bb.287:                              ;   in Loop: Header=BB117_15 Depth=1
	s_or_b64 exec, exec, s[8:9]
	s_waitcnt lgkmcnt(0)
	s_barrier
.LBB117_288:                            ;   in Loop: Header=BB117_15 Depth=1
	s_or_saveexec_b64 s[6:7], s[6:7]
	s_mov_b64 s[8:9], 0
	v_mov_b32_e32 v1, 5
	s_xor_b64 exec, exec, s[6:7]
; %bb.289:                              ;   in Loop: Header=BB117_15 Depth=1
	v_subrev_u32_e32 v47, s39, v47
	v_mov_b32_e32 v1, 0
	s_mov_b64 s[8:9], exec
; %bb.290:                              ;   in Loop: Header=BB117_15 Depth=1
	s_or_b64 exec, exec, s[6:7]
	s_and_b64 s[6:7], s[8:9], exec
	v_mov_b32_e32 v4, v47
.LBB117_291:                            ;   in Loop: Header=BB117_15 Depth=1
	s_or_b64 exec, exec, s[2:3]
	s_mov_b64 s[2:3], -1
                                        ; implicit-def: $sgpr88_sgpr89
                                        ; implicit-def: $sgpr90_sgpr91
	s_and_saveexec_b64 s[8:9], s[6:7]
	s_xor_b64 s[6:7], exec, s[8:9]
	s_cbranch_execz .LBB117_408
; %bb.292:                              ;   in Loop: Header=BB117_15 Depth=1
	s_cmp_eq_u32 s47, 1
	s_cselect_b64 s[2:3], -1, 0
	v_cmp_eq_u32_e32 vcc, 1, v4
	s_and_b64 s[14:15], s[2:3], vcc
	s_mov_b64 s[8:9], -1
                                        ; implicit-def: $sgpr90_sgpr91
                                        ; implicit-def: $sgpr88_sgpr89
	s_and_saveexec_b64 s[2:3], s[14:15]
	s_cbranch_execz .LBB117_318
; %bb.293:                              ;   in Loop: Header=BB117_15 Depth=1
	ds_read_b32 v2, v9 offset:4096
	s_waitcnt lgkmcnt(0)
	s_barrier
	v_readfirstlane_b32 s39, v2
	s_mov_b64 s[8:9], exec
	v_readlane_b32 s12, v52, 21
	v_readlane_b32 s13, v52, 22
	s_and_b64 s[12:13], s[8:9], s[12:13]
	s_mov_b64 exec, s[12:13]
; %bb.294:                              ;   in Loop: Header=BB117_15 Depth=1
	ds_write_b16 v26, v9
; %bb.295:                              ;   in Loop: Header=BB117_15 Depth=1
	s_or_b64 exec, exec, s[8:9]
	v_and_b32_e32 v2, s51, v37
	v_lshl_or_b32 v37, 2, s4, v2
	v_or_b32_e32 v45, s50, v45
	s_mov_b64 s[88:89], -1
	s_mov_b64 s[90:91], 0
	s_cmp_eq_u32 s39, 0
	s_mov_b64 s[12:13], 0
	s_mov_b64 s[16:17], -1
	s_waitcnt lgkmcnt(0)
	s_barrier
                                        ; implicit-def: $vgpr46
	s_cbranch_scc1 .LBB117_306
; %bb.296:                              ;   in Loop: Header=BB117_15 Depth=1
	v_readlane_b32 s8, v52, 23
	s_add_i32 s8, s39, s8
	v_readlane_b32 s9, v52, 44
	s_mul_hi_u32 s9, s8, s9
	s_mul_i32 s9, s9, s48
	s_sub_i32 s9, s8, s9
	s_sub_i32 s12, s9, s48
	s_cmp_ge_u32 s9, s48
	s_cselect_b32 s9, s12, s9
	s_sub_i32 s12, s9, s48
	s_cmp_ge_u32 s9, s48
	s_cselect_b32 s9, s12, s9
	s_sub_i32 s44, s8, s9
	v_cmp_gt_u32_e32 vcc, s44, v0
	s_mov_b64 s[16:17], 0
	s_mov_b64 s[12:13], 0
                                        ; implicit-def: $vgpr46
	s_and_saveexec_b64 s[18:19], vcc
	s_cbranch_execz .LBB117_305
; %bb.297:                              ;   in Loop: Header=BB117_15 Depth=1
	v_mov_b32_e32 v2, v25
	v_mov_b32_e32 v3, v0
                                        ; implicit-def: $sgpr24_sgpr25
	s_branch .LBB117_300
.LBB117_298:                            ;   in Loop: Header=BB117_300 Depth=2
	s_or_b64 exec, exec, s[8:9]
	s_waitcnt lgkmcnt(0)
	s_barrier
	ds_read_b32 v8, v9 offset:3072
	s_mov_b64 s[8:9], -1
	s_mov_b64 s[28:29], -1
	s_waitcnt lgkmcnt(0)
	s_barrier
	v_and_b32_e32 v12, 0x7fff, v8
	v_cmp_ne_u32_e32 vcc, 0, v12
	s_cbranch_vccz .LBB117_303
.LBB117_299:                            ;   in Loop: Header=BB117_300 Depth=2
	s_and_b64 s[8:9], exec, s[8:9]
	s_or_b64 s[12:13], s[8:9], s[12:13]
	s_andn2_b64 s[8:9], s[24:25], exec
	s_and_b64 s[24:25], s[28:29], exec
	s_or_b64 s[24:25], s[8:9], s[24:25]
	s_andn2_b64 exec, exec, s[12:13]
	s_cbranch_execz .LBB117_304
.LBB117_300:                            ;   Parent Loop BB117_15 Depth=1
                                        ; =>  This Inner Loop Header: Depth=2
	v_cmp_gt_u32_e32 vcc, s39, v3
	s_and_saveexec_b64 s[8:9], vcc
	s_cbranch_execz .LBB117_298
; %bb.301:                              ;   in Loop: Header=BB117_300 Depth=2
	ds_read_u16 v8, v2
	s_waitcnt lgkmcnt(0)
	v_cmp_lt_i16_e32 vcc, -1, v8
	v_cndmask_b32_e32 v12, v41, v42, vcc
	v_lshlrev_b32_e32 v13, 16, v8
	v_cmp_o_f32_e32 vcc, v13, v13
	v_xor_b32_sdwa v12, v12, v8 dst_sel:DWORD dst_unused:UNUSED_PAD src0_sel:DWORD src1_sel:WORD_0
	v_cndmask_b32_e32 v12, v41, v12, vcc
	v_and_b32_e32 v12, v12, v45
	v_cmp_eq_u32_e32 vcc, v12, v37
	s_and_b64 exec, exec, vcc
	s_cbranch_execz .LBB117_298
; %bb.302:                              ;   in Loop: Header=BB117_300 Depth=2
	s_movk_i32 s28, 0x3f80
	v_perm_b32 v8, v8, s28, v44
	ds_write_b32 v9, v8 offset:3072
	s_branch .LBB117_298
.LBB117_303:                            ;   in Loop: Header=BB117_300 Depth=2
	v_add_u32_e32 v3, s48, v3
	v_cmp_le_u32_e32 vcc, s44, v3
	v_add_u32_e32 v2, s38, v2
	s_mov_b64 s[28:29], 0
	s_orn2_b64 s[8:9], vcc, exec
	s_branch .LBB117_299
.LBB117_304:                            ;   in Loop: Header=BB117_15 Depth=1
	s_or_b64 exec, exec, s[12:13]
	v_lshrrev_b32_e32 v46, 16, v8
	s_and_b64 s[12:13], s[24:25], exec
.LBB117_305:                            ;   in Loop: Header=BB117_15 Depth=1
	s_or_b64 exec, exec, s[18:19]
.LBB117_306:                            ;   in Loop: Header=BB117_15 Depth=1
	s_and_b64 vcc, exec, s[16:17]
	s_cbranch_vccz .LBB117_317
; %bb.307:                              ;   in Loop: Header=BB117_15 Depth=1
                                        ; implicit-def: $vgpr46
	s_mov_b64 s[16:17], exec
	v_readlane_b32 s8, v52, 45
	v_readlane_b32 s9, v52, 46
	s_and_b64 s[8:9], s[16:17], s[8:9]
	s_mov_b64 exec, s[8:9]
	s_cbranch_execz .LBB117_316
; %bb.308:                              ;   in Loop: Header=BB117_15 Depth=1
	s_mov_b64 s[18:19], 0
	v_mov_b32_e32 v8, v7
	v_mov_b32_e32 v2, v0
                                        ; implicit-def: $sgpr24_sgpr25
	s_branch .LBB117_311
.LBB117_309:                            ;   in Loop: Header=BB117_311 Depth=2
	s_or_b64 exec, exec, s[8:9]
	s_waitcnt lgkmcnt(0)
	s_barrier
	ds_read_b32 v3, v9 offset:3072
	s_mov_b64 s[8:9], -1
	s_mov_b64 s[28:29], -1
	s_waitcnt lgkmcnt(0)
	s_barrier
	v_and_b32_e32 v12, 0x7fff, v3
	v_cmp_eq_u32_e32 vcc, 0, v12
	s_cbranch_vccnz .LBB117_314
.LBB117_310:                            ;   in Loop: Header=BB117_311 Depth=2
	s_and_b64 s[8:9], exec, s[8:9]
	s_or_b64 s[18:19], s[8:9], s[18:19]
	s_andn2_b64 s[8:9], s[24:25], exec
	s_and_b64 s[24:25], s[28:29], exec
	s_or_b64 s[24:25], s[8:9], s[24:25]
	s_andn2_b64 exec, exec, s[18:19]
	s_cbranch_execz .LBB117_315
.LBB117_311:                            ;   Parent Loop BB117_15 Depth=1
                                        ; =>  This Inner Loop Header: Depth=2
	v_cmp_gt_u32_e32 vcc, s36, v2
	s_and_saveexec_b64 s[8:9], vcc
	s_cbranch_execz .LBB117_309
; %bb.312:                              ;   in Loop: Header=BB117_311 Depth=2
	v_lshlrev_b64 v[12:13], 1, v[8:9]
	v_mov_b32_e32 v3, s42
	v_add_co_u32_e32 v12, vcc, s40, v12
	v_addc_co_u32_e32 v13, vcc, v3, v13, vcc
	global_load_ushort v3, v[12:13], off
	s_waitcnt vmcnt(0)
	v_cmp_lt_i16_e32 vcc, -1, v3
	v_cndmask_b32_e32 v12, v41, v42, vcc
	v_lshlrev_b32_e32 v13, 16, v3
	v_xor_b32_sdwa v12, v12, v3 dst_sel:DWORD dst_unused:UNUSED_PAD src0_sel:DWORD src1_sel:WORD_0
	v_cmp_o_f32_e32 vcc, v13, v13
	v_cndmask_b32_e32 v12, v41, v12, vcc
	v_and_b32_e32 v12, v12, v45
	v_cmp_eq_u32_e32 vcc, v12, v37
	s_and_b64 exec, exec, vcc
	s_cbranch_execz .LBB117_309
; %bb.313:                              ;   in Loop: Header=BB117_311 Depth=2
	s_movk_i32 s28, 0x3f80
	v_perm_b32 v3, v3, s28, v44
	ds_write_b32 v9, v3 offset:3072
	s_branch .LBB117_309
.LBB117_314:                            ;   in Loop: Header=BB117_311 Depth=2
	v_add_u32_e32 v2, s48, v2
	v_cmp_le_u32_e32 vcc, s61, v2
	v_add_u32_e32 v8, s54, v8
	s_mov_b64 s[28:29], 0
	s_orn2_b64 s[8:9], vcc, exec
	s_branch .LBB117_310
.LBB117_315:                            ;   in Loop: Header=BB117_15 Depth=1
	s_or_b64 exec, exec, s[18:19]
	s_andn2_b64 s[8:9], s[12:13], exec
	s_and_b64 s[12:13], s[24:25], exec
	v_lshrrev_b32_e32 v46, 16, v3
	s_or_b64 s[12:13], s[8:9], s[12:13]
.LBB117_316:                            ;   in Loop: Header=BB117_15 Depth=1
	s_or_b64 exec, exec, s[16:17]
	s_mov_b64 s[88:89], 0
	s_mov_b64 s[90:91], -1
.LBB117_317:                            ;   in Loop: Header=BB117_15 Depth=1
	s_orn2_b64 s[8:9], s[12:13], exec
.LBB117_318:                            ;   in Loop: Header=BB117_15 Depth=1
	s_or_b64 exec, exec, s[2:3]
	s_mov_b64 s[2:3], 0
	s_and_saveexec_b64 s[92:93], s[8:9]
	s_cbranch_execz .LBB117_407
; %bb.319:                              ;   in Loop: Header=BB117_15 Depth=1
	s_xor_b64 s[12:13], s[14:15], -1
	s_mov_b64 s[8:9], 0
	v_mov_b32_e32 v2, 1
	v_mov_b32_e32 v1, 1
	s_and_saveexec_b64 s[2:3], s[12:13]
	s_cbranch_execz .LBB117_328
; %bb.320:                              ;   in Loop: Header=BB117_15 Depth=1
	v_cmp_ge_u32_e32 vcc, s47, v4
	s_and_saveexec_b64 s[8:9], vcc
	s_xor_b64 s[8:9], exec, s[8:9]
	s_cbranch_execz .LBB117_325
; %bb.321:                              ;   in Loop: Header=BB117_15 Depth=1
	v_and_b32_e32 v1, s51, v37
	v_lshl_or_b32 v37, 2, s4, v1
	ds_read_b32 v1, v9 offset:4096
	v_or_b32_e32 v45, s50, v45
	s_waitcnt lgkmcnt(0)
	v_cmp_ne_u32_e32 vcc, 0, v1
	s_cbranch_vccnz .LBB117_325
; %bb.322:                              ;   in Loop: Header=BB117_15 Depth=1
	s_mov_b64 s[12:13], exec
	v_readlane_b32 s14, v52, 7
	v_readlane_b32 s15, v52, 8
	s_and_b64 s[14:15], s[12:13], s[14:15]
	s_mov_b64 exec, s[14:15]
; %bb.323:                              ;   in Loop: Header=BB117_15 Depth=1
	v_mov_b32_e32 v1, s47
	ds_write_b32 v9, v1 offset:4100
; %bb.324:                              ;   in Loop: Header=BB117_15 Depth=1
	s_or_b64 exec, exec, s[12:13]
	s_waitcnt lgkmcnt(0)
	s_barrier
.LBB117_325:                            ;   in Loop: Header=BB117_15 Depth=1
	s_or_saveexec_b64 s[8:9], s[8:9]
	s_mov_b64 s[12:13], 0
	v_mov_b32_e32 v1, 5
	s_xor_b64 exec, exec, s[8:9]
; %bb.326:                              ;   in Loop: Header=BB117_15 Depth=1
	v_subrev_u32_e32 v4, s47, v4
	v_mov_b32_e32 v1, 0
	s_mov_b64 s[12:13], exec
; %bb.327:                              ;   in Loop: Header=BB117_15 Depth=1
	s_or_b64 exec, exec, s[8:9]
	s_and_b64 s[8:9], s[12:13], exec
	v_mov_b32_e32 v2, v4
.LBB117_328:                            ;   in Loop: Header=BB117_15 Depth=1
	s_or_b64 exec, exec, s[2:3]
	s_mov_b64 s[2:3], -1
                                        ; implicit-def: $sgpr44_sgpr45
                                        ; implicit-def: $sgpr58_sgpr59
	s_and_saveexec_b64 s[94:95], s[8:9]
	s_cbranch_execz .LBB117_406
; %bb.329:                              ;   in Loop: Header=BB117_15 Depth=1
	s_cmp_eq_u32 s46, 1
	s_cselect_b64 s[2:3], -1, 0
	v_cmp_eq_u32_e32 vcc, 1, v2
	s_and_b64 s[16:17], s[2:3], vcc
	s_mov_b64 s[8:9], -1
                                        ; implicit-def: $sgpr58_sgpr59
                                        ; implicit-def: $sgpr44_sgpr45
	s_and_saveexec_b64 s[2:3], s[16:17]
	s_cbranch_execz .LBB117_355
; %bb.330:                              ;   in Loop: Header=BB117_15 Depth=1
	ds_read_b32 v3, v9 offset:4096
	s_waitcnt lgkmcnt(0)
	s_barrier
	v_readfirstlane_b32 s39, v3
	s_mov_b64 s[8:9], exec
	v_readlane_b32 s12, v52, 21
	v_readlane_b32 s13, v52, 22
	s_and_b64 s[12:13], s[8:9], s[12:13]
	s_mov_b64 exec, s[12:13]
; %bb.331:                              ;   in Loop: Header=BB117_15 Depth=1
	ds_write_b16 v26, v9
; %bb.332:                              ;   in Loop: Header=BB117_15 Depth=1
	s_or_b64 exec, exec, s[8:9]
	v_and_b32_e32 v3, s51, v37
	v_lshl_or_b32 v37, 1, s4, v3
	v_or_b32_e32 v45, s50, v45
	s_mov_b64 s[44:45], -1
	s_mov_b64 s[58:59], 0
	s_cmp_eq_u32 s39, 0
	s_mov_b64 s[12:13], 0
	s_mov_b64 s[14:15], -1
	s_waitcnt lgkmcnt(0)
	s_barrier
                                        ; implicit-def: $vgpr46
	s_cbranch_scc1 .LBB117_343
; %bb.333:                              ;   in Loop: Header=BB117_15 Depth=1
	v_readlane_b32 s8, v52, 23
	s_add_i32 s8, s39, s8
	v_readlane_b32 s9, v52, 44
	s_mul_hi_u32 s9, s8, s9
	s_mul_i32 s9, s9, s48
	s_sub_i32 s9, s8, s9
	s_sub_i32 s12, s9, s48
	s_cmp_ge_u32 s9, s48
	s_cselect_b32 s9, s12, s9
	s_sub_i32 s12, s9, s48
	s_cmp_ge_u32 s9, s48
	s_cselect_b32 s9, s12, s9
	s_sub_i32 s47, s8, s9
	v_cmp_gt_u32_e32 vcc, s47, v0
	s_mov_b64 s[14:15], 0
	s_mov_b64 s[12:13], 0
                                        ; implicit-def: $vgpr46
	s_and_saveexec_b64 s[18:19], vcc
	s_cbranch_execz .LBB117_342
; %bb.334:                              ;   in Loop: Header=BB117_15 Depth=1
	v_mov_b32_e32 v3, v25
	v_mov_b32_e32 v4, v0
                                        ; implicit-def: $sgpr24_sgpr25
	s_branch .LBB117_337
.LBB117_335:                            ;   in Loop: Header=BB117_337 Depth=2
	s_or_b64 exec, exec, s[8:9]
	s_waitcnt lgkmcnt(0)
	s_barrier
	ds_read_b32 v8, v9 offset:3072
	s_mov_b64 s[8:9], -1
	s_mov_b64 s[28:29], -1
	s_waitcnt lgkmcnt(0)
	s_barrier
	v_and_b32_e32 v12, 0x7fff, v8
	v_cmp_ne_u32_e32 vcc, 0, v12
	s_cbranch_vccz .LBB117_340
.LBB117_336:                            ;   in Loop: Header=BB117_337 Depth=2
	s_and_b64 s[8:9], exec, s[8:9]
	s_or_b64 s[12:13], s[8:9], s[12:13]
	s_andn2_b64 s[8:9], s[24:25], exec
	s_and_b64 s[24:25], s[28:29], exec
	s_or_b64 s[24:25], s[8:9], s[24:25]
	s_andn2_b64 exec, exec, s[12:13]
	s_cbranch_execz .LBB117_341
.LBB117_337:                            ;   Parent Loop BB117_15 Depth=1
                                        ; =>  This Inner Loop Header: Depth=2
	v_cmp_gt_u32_e32 vcc, s39, v4
	s_and_saveexec_b64 s[8:9], vcc
	s_cbranch_execz .LBB117_335
; %bb.338:                              ;   in Loop: Header=BB117_337 Depth=2
	ds_read_u16 v8, v3
	s_waitcnt lgkmcnt(0)
	v_cmp_lt_i16_e32 vcc, -1, v8
	v_cndmask_b32_e32 v12, v41, v42, vcc
	v_lshlrev_b32_e32 v13, 16, v8
	v_cmp_o_f32_e32 vcc, v13, v13
	v_xor_b32_sdwa v12, v12, v8 dst_sel:DWORD dst_unused:UNUSED_PAD src0_sel:DWORD src1_sel:WORD_0
	v_cndmask_b32_e32 v12, v41, v12, vcc
	v_and_b32_e32 v12, v12, v45
	v_cmp_eq_u32_e32 vcc, v12, v37
	s_and_b64 exec, exec, vcc
	s_cbranch_execz .LBB117_335
; %bb.339:                              ;   in Loop: Header=BB117_337 Depth=2
	s_movk_i32 s28, 0x3f80
	v_perm_b32 v8, v8, s28, v44
	ds_write_b32 v9, v8 offset:3072
	s_branch .LBB117_335
.LBB117_340:                            ;   in Loop: Header=BB117_337 Depth=2
	v_add_u32_e32 v4, s48, v4
	v_cmp_le_u32_e32 vcc, s47, v4
	v_add_u32_e32 v3, s38, v3
	s_mov_b64 s[28:29], 0
	s_orn2_b64 s[8:9], vcc, exec
	s_branch .LBB117_336
.LBB117_341:                            ;   in Loop: Header=BB117_15 Depth=1
	s_or_b64 exec, exec, s[12:13]
	v_lshrrev_b32_e32 v46, 16, v8
	s_and_b64 s[12:13], s[24:25], exec
.LBB117_342:                            ;   in Loop: Header=BB117_15 Depth=1
	s_or_b64 exec, exec, s[18:19]
.LBB117_343:                            ;   in Loop: Header=BB117_15 Depth=1
	s_and_b64 vcc, exec, s[14:15]
	s_cbranch_vccz .LBB117_354
; %bb.344:                              ;   in Loop: Header=BB117_15 Depth=1
                                        ; implicit-def: $vgpr46
	s_mov_b64 s[14:15], exec
	v_readlane_b32 s8, v52, 45
	v_readlane_b32 s9, v52, 46
	s_and_b64 s[8:9], s[14:15], s[8:9]
	s_mov_b64 exec, s[8:9]
	s_cbranch_execz .LBB117_353
; %bb.345:                              ;   in Loop: Header=BB117_15 Depth=1
	s_mov_b64 s[18:19], 0
	v_mov_b32_e32 v8, v7
	v_mov_b32_e32 v3, v0
                                        ; implicit-def: $sgpr24_sgpr25
	s_branch .LBB117_348
.LBB117_346:                            ;   in Loop: Header=BB117_348 Depth=2
	s_or_b64 exec, exec, s[8:9]
	s_waitcnt lgkmcnt(0)
	s_barrier
	ds_read_b32 v4, v9 offset:3072
	s_mov_b64 s[8:9], -1
	s_mov_b64 s[28:29], -1
	s_waitcnt lgkmcnt(0)
	s_barrier
	v_and_b32_e32 v12, 0x7fff, v4
	v_cmp_eq_u32_e32 vcc, 0, v12
	s_cbranch_vccnz .LBB117_351
.LBB117_347:                            ;   in Loop: Header=BB117_348 Depth=2
	s_and_b64 s[8:9], exec, s[8:9]
	s_or_b64 s[18:19], s[8:9], s[18:19]
	s_andn2_b64 s[8:9], s[24:25], exec
	s_and_b64 s[24:25], s[28:29], exec
	s_or_b64 s[24:25], s[8:9], s[24:25]
	s_andn2_b64 exec, exec, s[18:19]
	s_cbranch_execz .LBB117_352
.LBB117_348:                            ;   Parent Loop BB117_15 Depth=1
                                        ; =>  This Inner Loop Header: Depth=2
	v_cmp_gt_u32_e32 vcc, s36, v3
	s_and_saveexec_b64 s[8:9], vcc
	s_cbranch_execz .LBB117_346
; %bb.349:                              ;   in Loop: Header=BB117_348 Depth=2
	v_lshlrev_b64 v[12:13], 1, v[8:9]
	v_mov_b32_e32 v4, s42
	v_add_co_u32_e32 v12, vcc, s40, v12
	v_addc_co_u32_e32 v13, vcc, v4, v13, vcc
	global_load_ushort v4, v[12:13], off
	s_waitcnt vmcnt(0)
	v_cmp_lt_i16_e32 vcc, -1, v4
	v_cndmask_b32_e32 v12, v41, v42, vcc
	v_lshlrev_b32_e32 v13, 16, v4
	v_xor_b32_sdwa v12, v12, v4 dst_sel:DWORD dst_unused:UNUSED_PAD src0_sel:DWORD src1_sel:WORD_0
	v_cmp_o_f32_e32 vcc, v13, v13
	v_cndmask_b32_e32 v12, v41, v12, vcc
	v_and_b32_e32 v12, v12, v45
	v_cmp_eq_u32_e32 vcc, v12, v37
	s_and_b64 exec, exec, vcc
	s_cbranch_execz .LBB117_346
; %bb.350:                              ;   in Loop: Header=BB117_348 Depth=2
	s_movk_i32 s28, 0x3f80
	v_perm_b32 v4, v4, s28, v44
	ds_write_b32 v9, v4 offset:3072
	s_branch .LBB117_346
.LBB117_351:                            ;   in Loop: Header=BB117_348 Depth=2
	v_add_u32_e32 v3, s48, v3
	v_cmp_le_u32_e32 vcc, s61, v3
	v_add_u32_e32 v8, s54, v8
	s_mov_b64 s[28:29], 0
	s_orn2_b64 s[8:9], vcc, exec
	s_branch .LBB117_347
.LBB117_352:                            ;   in Loop: Header=BB117_15 Depth=1
	s_or_b64 exec, exec, s[18:19]
	s_andn2_b64 s[8:9], s[12:13], exec
	s_and_b64 s[12:13], s[24:25], exec
	v_lshrrev_b32_e32 v46, 16, v4
	s_or_b64 s[12:13], s[8:9], s[12:13]
.LBB117_353:                            ;   in Loop: Header=BB117_15 Depth=1
	s_or_b64 exec, exec, s[14:15]
	s_mov_b64 s[44:45], 0
	s_mov_b64 s[58:59], -1
.LBB117_354:                            ;   in Loop: Header=BB117_15 Depth=1
	s_orn2_b64 s[8:9], s[12:13], exec
.LBB117_355:                            ;   in Loop: Header=BB117_15 Depth=1
	s_or_b64 exec, exec, s[2:3]
	s_mov_b64 s[2:3], 0
	s_and_saveexec_b64 s[14:15], s[8:9]
	s_cbranch_execz .LBB117_405
; %bb.356:                              ;   in Loop: Header=BB117_15 Depth=1
	s_xor_b64 s[12:13], s[16:17], -1
	s_mov_b64 s[8:9], 0
	v_mov_b32_e32 v3, 1
	v_mov_b32_e32 v1, 1
	s_and_saveexec_b64 s[2:3], s[12:13]
	s_cbranch_execz .LBB117_365
; %bb.357:                              ;   in Loop: Header=BB117_15 Depth=1
	v_cmp_ge_u32_e32 vcc, s46, v2
	s_and_saveexec_b64 s[8:9], vcc
	s_xor_b64 s[8:9], exec, s[8:9]
	s_cbranch_execz .LBB117_362
; %bb.358:                              ;   in Loop: Header=BB117_15 Depth=1
	v_and_b32_e32 v1, s51, v37
	v_lshl_or_b32 v37, 1, s4, v1
	ds_read_b32 v1, v9 offset:4096
	v_or_b32_e32 v45, s50, v45
	s_waitcnt lgkmcnt(0)
	v_cmp_ne_u32_e32 vcc, 0, v1
	s_cbranch_vccnz .LBB117_362
; %bb.359:                              ;   in Loop: Header=BB117_15 Depth=1
	s_mov_b64 s[12:13], exec
	v_readlane_b32 s16, v52, 7
	v_readlane_b32 s17, v52, 8
	s_and_b64 s[16:17], s[12:13], s[16:17]
	s_mov_b64 exec, s[16:17]
; %bb.360:                              ;   in Loop: Header=BB117_15 Depth=1
	v_mov_b32_e32 v1, s46
	ds_write_b32 v9, v1 offset:4100
; %bb.361:                              ;   in Loop: Header=BB117_15 Depth=1
	s_or_b64 exec, exec, s[12:13]
	s_waitcnt lgkmcnt(0)
	s_barrier
.LBB117_362:                            ;   in Loop: Header=BB117_15 Depth=1
	s_or_saveexec_b64 s[8:9], s[8:9]
	s_mov_b64 s[12:13], 0
	v_mov_b32_e32 v1, 5
	s_xor_b64 exec, exec, s[8:9]
; %bb.363:                              ;   in Loop: Header=BB117_15 Depth=1
	v_subrev_u32_e32 v2, s46, v2
	v_mov_b32_e32 v1, 0
	s_mov_b64 s[12:13], exec
; %bb.364:                              ;   in Loop: Header=BB117_15 Depth=1
	s_or_b64 exec, exec, s[8:9]
	s_and_b64 s[8:9], s[12:13], exec
	v_mov_b32_e32 v3, v2
.LBB117_365:                            ;   in Loop: Header=BB117_15 Depth=1
	s_or_b64 exec, exec, s[2:3]
	s_mov_b64 s[2:3], -1
                                        ; implicit-def: $sgpr28_sgpr29
                                        ; implicit-def: $sgpr18_sgpr19
	s_and_saveexec_b64 s[16:17], s[8:9]
	s_cbranch_execz .LBB117_404
; %bb.366:                              ;   in Loop: Header=BB117_15 Depth=1
	s_cmp_eq_u32 s5, 1
	s_cselect_b64 s[2:3], -1, 0
	v_cmp_eq_u32_e32 vcc, 1, v3
	s_mov_b64 s[8:9], -1
	s_and_b64 s[12:13], s[2:3], vcc
                                        ; implicit-def: $sgpr28_sgpr29
                                        ; implicit-def: $sgpr18_sgpr19
	s_mov_b64 s[2:3], exec
	v_writelane_b32 v52, s12, 47
	v_writelane_b32 v52, s13, 48
	s_and_b64 s[12:13], s[2:3], s[12:13]
	s_mov_b64 exec, s[12:13]
	s_cbranch_execz .LBB117_392
; %bb.367:                              ;   in Loop: Header=BB117_15 Depth=1
	ds_read_b32 v2, v9 offset:4096
	s_waitcnt lgkmcnt(0)
	s_barrier
	v_readfirstlane_b32 s39, v2
	s_mov_b64 s[8:9], exec
	v_readlane_b32 s12, v52, 21
	v_readlane_b32 s13, v52, 22
	s_and_b64 s[12:13], s[8:9], s[12:13]
	s_mov_b64 exec, s[12:13]
; %bb.368:                              ;   in Loop: Header=BB117_15 Depth=1
	ds_write_b16 v26, v9
; %bb.369:                              ;   in Loop: Header=BB117_15 Depth=1
	s_or_b64 exec, exec, s[8:9]
	v_and_b32_e32 v37, s51, v37
	v_or_b32_e32 v45, s50, v45
	s_mov_b64 s[18:19], -1
	s_mov_b64 s[28:29], 0
	s_cmp_eq_u32 s39, 0
	s_mov_b64 s[56:57], 0
	s_mov_b64 s[46:47], -1
	s_waitcnt lgkmcnt(0)
	s_barrier
                                        ; implicit-def: $vgpr46
	s_cbranch_scc1 .LBB117_380
; %bb.370:                              ;   in Loop: Header=BB117_15 Depth=1
	v_readlane_b32 s8, v52, 23
	s_add_i32 s8, s39, s8
	v_readlane_b32 s9, v52, 44
	s_mul_hi_u32 s9, s8, s9
	s_mul_i32 s9, s9, s48
	s_sub_i32 s9, s8, s9
	s_sub_i32 s12, s9, s48
	s_cmp_ge_u32 s9, s48
	s_cselect_b32 s9, s12, s9
	s_sub_i32 s12, s9, s48
	s_cmp_ge_u32 s9, s48
	s_cselect_b32 s9, s12, s9
	s_sub_i32 s12, s8, s9
	v_cmp_gt_u32_e32 vcc, s12, v0
	s_mov_b64 s[46:47], 0
                                        ; implicit-def: $vgpr46
	s_and_saveexec_b64 s[24:25], vcc
	s_cbranch_execz .LBB117_379
; %bb.371:                              ;   in Loop: Header=BB117_15 Depth=1
	v_writelane_b32 v52, s24, 49
	v_writelane_b32 v52, s25, 50
	s_mov_b64 s[24:25], 0
	v_mov_b32_e32 v2, v25
	v_mov_b32_e32 v4, v0
                                        ; implicit-def: $sgpr56_sgpr57
	s_branch .LBB117_374
.LBB117_372:                            ;   in Loop: Header=BB117_374 Depth=2
	s_or_b64 exec, exec, s[8:9]
	s_waitcnt lgkmcnt(0)
	s_barrier
	ds_read_b32 v8, v9 offset:3072
	s_mov_b64 s[8:9], -1
	s_mov_b64 s[52:53], -1
	s_waitcnt lgkmcnt(0)
	s_barrier
	v_and_b32_e32 v12, 0x7fff, v8
	v_cmp_ne_u32_e32 vcc, 0, v12
	s_cbranch_vccz .LBB117_377
.LBB117_373:                            ;   in Loop: Header=BB117_374 Depth=2
	s_and_b64 s[8:9], exec, s[8:9]
	s_or_b64 s[24:25], s[8:9], s[24:25]
	s_andn2_b64 s[8:9], s[56:57], exec
	s_and_b64 s[52:53], s[52:53], exec
	s_or_b64 s[56:57], s[8:9], s[52:53]
	s_andn2_b64 exec, exec, s[24:25]
	s_cbranch_execz .LBB117_378
.LBB117_374:                            ;   Parent Loop BB117_15 Depth=1
                                        ; =>  This Inner Loop Header: Depth=2
	v_cmp_gt_u32_e32 vcc, s39, v4
	s_and_saveexec_b64 s[8:9], vcc
	s_cbranch_execz .LBB117_372
; %bb.375:                              ;   in Loop: Header=BB117_374 Depth=2
	ds_read_u16 v8, v2
	s_waitcnt lgkmcnt(0)
	v_cmp_lt_i16_e32 vcc, -1, v8
	v_cndmask_b32_e32 v12, v41, v42, vcc
	v_lshlrev_b32_e32 v13, 16, v8
	v_cmp_o_f32_e32 vcc, v13, v13
	v_xor_b32_sdwa v12, v12, v8 dst_sel:DWORD dst_unused:UNUSED_PAD src0_sel:DWORD src1_sel:WORD_0
	v_cndmask_b32_e32 v12, v41, v12, vcc
	v_and_b32_e32 v12, v12, v45
	v_cmp_eq_u32_e32 vcc, v12, v37
	s_and_b64 exec, exec, vcc
	s_cbranch_execz .LBB117_372
; %bb.376:                              ;   in Loop: Header=BB117_374 Depth=2
	s_movk_i32 s13, 0x3f80
	v_perm_b32 v8, v8, s13, v44
	ds_write_b32 v9, v8 offset:3072
	s_branch .LBB117_372
.LBB117_377:                            ;   in Loop: Header=BB117_374 Depth=2
	v_add_u32_e32 v4, s48, v4
	v_cmp_le_u32_e32 vcc, s12, v4
	v_add_u32_e32 v2, s38, v2
	s_mov_b64 s[52:53], 0
	s_orn2_b64 s[8:9], vcc, exec
	s_branch .LBB117_373
.LBB117_378:                            ;   in Loop: Header=BB117_15 Depth=1
	s_or_b64 exec, exec, s[24:25]
	v_readlane_b32 s24, v52, 49
	v_lshrrev_b32_e32 v46, 16, v8
	s_and_b64 s[56:57], s[56:57], exec
	v_readlane_b32 s25, v52, 50
.LBB117_379:                            ;   in Loop: Header=BB117_15 Depth=1
	s_or_b64 exec, exec, s[24:25]
.LBB117_380:                            ;   in Loop: Header=BB117_15 Depth=1
	s_and_b64 vcc, exec, s[46:47]
	s_cbranch_vccz .LBB117_391
; %bb.381:                              ;   in Loop: Header=BB117_15 Depth=1
                                        ; implicit-def: $vgpr46
	s_mov_b64 s[18:19], exec
	v_readlane_b32 s8, v52, 45
	v_readlane_b32 s9, v52, 46
	s_and_b64 s[8:9], s[18:19], s[8:9]
	s_mov_b64 exec, s[8:9]
	s_cbranch_execz .LBB117_390
; %bb.382:                              ;   in Loop: Header=BB117_15 Depth=1
	s_mov_b64 s[24:25], 0
	v_mov_b32_e32 v8, v7
	v_mov_b32_e32 v2, v0
                                        ; implicit-def: $sgpr28_sgpr29
	s_branch .LBB117_385
.LBB117_383:                            ;   in Loop: Header=BB117_385 Depth=2
	s_or_b64 exec, exec, s[8:9]
	s_waitcnt lgkmcnt(0)
	s_barrier
	ds_read_b32 v4, v9 offset:3072
	s_mov_b64 s[8:9], -1
	s_mov_b64 s[52:53], -1
	s_waitcnt lgkmcnt(0)
	s_barrier
	v_and_b32_e32 v12, 0x7fff, v4
	v_cmp_eq_u32_e32 vcc, 0, v12
	s_cbranch_vccnz .LBB117_388
.LBB117_384:                            ;   in Loop: Header=BB117_385 Depth=2
	s_and_b64 s[8:9], exec, s[8:9]
	s_or_b64 s[24:25], s[8:9], s[24:25]
	s_andn2_b64 s[8:9], s[28:29], exec
	s_and_b64 s[12:13], s[52:53], exec
	s_or_b64 s[28:29], s[8:9], s[12:13]
	s_andn2_b64 exec, exec, s[24:25]
	s_cbranch_execz .LBB117_389
.LBB117_385:                            ;   Parent Loop BB117_15 Depth=1
                                        ; =>  This Inner Loop Header: Depth=2
	v_cmp_gt_u32_e32 vcc, s36, v2
	s_and_saveexec_b64 s[8:9], vcc
	s_cbranch_execz .LBB117_383
; %bb.386:                              ;   in Loop: Header=BB117_385 Depth=2
	v_lshlrev_b64 v[12:13], 1, v[8:9]
	v_mov_b32_e32 v4, s42
	v_add_co_u32_e32 v12, vcc, s40, v12
	v_addc_co_u32_e32 v13, vcc, v4, v13, vcc
	global_load_ushort v4, v[12:13], off
	s_waitcnt vmcnt(0)
	v_cmp_lt_i16_e32 vcc, -1, v4
	v_cndmask_b32_e32 v12, v41, v42, vcc
	v_lshlrev_b32_e32 v13, 16, v4
	v_xor_b32_sdwa v12, v12, v4 dst_sel:DWORD dst_unused:UNUSED_PAD src0_sel:DWORD src1_sel:WORD_0
	v_cmp_o_f32_e32 vcc, v13, v13
	v_cndmask_b32_e32 v12, v41, v12, vcc
	v_and_b32_e32 v12, v12, v45
	v_cmp_eq_u32_e32 vcc, v12, v37
	s_and_b64 exec, exec, vcc
	s_cbranch_execz .LBB117_383
; %bb.387:                              ;   in Loop: Header=BB117_385 Depth=2
	s_movk_i32 s12, 0x3f80
	v_perm_b32 v4, v4, s12, v44
	ds_write_b32 v9, v4 offset:3072
	s_branch .LBB117_383
.LBB117_388:                            ;   in Loop: Header=BB117_385 Depth=2
	v_add_u32_e32 v2, s48, v2
	v_cmp_le_u32_e32 vcc, s61, v2
	v_add_u32_e32 v8, s54, v8
	s_mov_b64 s[52:53], 0
	s_orn2_b64 s[8:9], vcc, exec
	s_branch .LBB117_384
.LBB117_389:                            ;   in Loop: Header=BB117_15 Depth=1
	s_or_b64 exec, exec, s[24:25]
	s_andn2_b64 s[8:9], s[56:57], exec
	s_and_b64 s[12:13], s[28:29], exec
	v_lshrrev_b32_e32 v46, 16, v4
	s_or_b64 s[56:57], s[8:9], s[12:13]
.LBB117_390:                            ;   in Loop: Header=BB117_15 Depth=1
	s_or_b64 exec, exec, s[18:19]
	s_mov_b64 s[18:19], 0
	s_mov_b64 s[28:29], -1
.LBB117_391:                            ;   in Loop: Header=BB117_15 Depth=1
	s_orn2_b64 s[8:9], s[56:57], exec
.LBB117_392:                            ;   in Loop: Header=BB117_15 Depth=1
	s_or_b64 exec, exec, s[2:3]
	s_mov_b64 s[24:25], 0
	s_and_saveexec_b64 s[2:3], s[8:9]
	s_cbranch_execz .LBB117_403
; %bb.393:                              ;   in Loop: Header=BB117_15 Depth=1
	v_readlane_b32 s8, v52, 47
	v_readlane_b32 s9, v52, 48
	s_xor_b64 s[8:9], s[8:9], -1
	v_mov_b32_e32 v1, 1
	v_mov_b32_e32 v2, 1
	s_and_saveexec_b64 s[12:13], s[8:9]
	s_cbranch_execz .LBB117_402
; %bb.394:                              ;   in Loop: Header=BB117_15 Depth=1
	v_cmp_ge_u32_e32 vcc, s5, v3
	s_and_saveexec_b64 s[8:9], vcc
	s_xor_b64 s[8:9], exec, s[8:9]
	s_cbranch_execz .LBB117_399
; %bb.395:                              ;   in Loop: Header=BB117_15 Depth=1
	ds_read_b32 v1, v9 offset:4096
	v_and_b32_e32 v37, s51, v37
	v_or_b32_e32 v45, s50, v45
	s_waitcnt lgkmcnt(0)
	v_cmp_ne_u32_e32 vcc, 0, v1
	s_cbranch_vccnz .LBB117_399
; %bb.396:                              ;   in Loop: Header=BB117_15 Depth=1
	s_mov_b64 s[24:25], exec
	v_readlane_b32 s46, v52, 7
	v_readlane_b32 s47, v52, 8
	s_and_b64 s[46:47], s[24:25], s[46:47]
	s_mov_b64 exec, s[46:47]
; %bb.397:                              ;   in Loop: Header=BB117_15 Depth=1
	v_mov_b32_e32 v1, s5
	ds_write_b32 v9, v1 offset:4100
; %bb.398:                              ;   in Loop: Header=BB117_15 Depth=1
	s_or_b64 exec, exec, s[24:25]
	s_waitcnt lgkmcnt(0)
	s_barrier
.LBB117_399:                            ;   in Loop: Header=BB117_15 Depth=1
	s_andn2_saveexec_b64 s[8:9], s[8:9]
; %bb.400:                              ;   in Loop: Header=BB117_15 Depth=1
	v_subrev_u32_e32 v3, s5, v3
; %bb.401:                              ;   in Loop: Header=BB117_15 Depth=1
	s_or_b64 exec, exec, s[8:9]
	v_mov_b32_e32 v1, 5
	v_mov_b32_e32 v2, v3
.LBB117_402:                            ;   in Loop: Header=BB117_15 Depth=1
	s_or_b64 exec, exec, s[12:13]
	s_mov_b64 s[24:25], exec
	v_mov_b32_e32 v3, v2
.LBB117_403:                            ;   in Loop: Header=BB117_15 Depth=1
	s_or_b64 exec, exec, s[2:3]
	s_orn2_b64 s[2:3], s[24:25], exec
.LBB117_404:                            ;   in Loop: Header=BB117_15 Depth=1
	s_or_b64 exec, exec, s[16:17]
	s_andn2_b64 s[8:9], s[58:59], exec
	s_and_b64 s[12:13], s[28:29], exec
	s_or_b64 s[58:59], s[8:9], s[12:13]
	s_andn2_b64 s[8:9], s[44:45], exec
	s_and_b64 s[12:13], s[18:19], exec
	s_or_b64 s[44:45], s[8:9], s[12:13]
	s_and_b64 s[2:3], s[2:3], exec
	v_mov_b32_e32 v2, v3
.LBB117_405:                            ;   in Loop: Header=BB117_15 Depth=1
	s_or_b64 exec, exec, s[14:15]
	s_orn2_b64 s[2:3], s[2:3], exec
.LBB117_406:                            ;   in Loop: Header=BB117_15 Depth=1
	s_or_b64 exec, exec, s[94:95]
	s_andn2_b64 s[8:9], s[90:91], exec
	s_and_b64 s[12:13], s[58:59], exec
	s_or_b64 s[90:91], s[8:9], s[12:13]
	s_andn2_b64 s[8:9], s[88:89], exec
	s_and_b64 s[12:13], s[44:45], exec
	s_or_b64 s[88:89], s[8:9], s[12:13]
	s_and_b64 s[2:3], s[2:3], exec
	v_mov_b32_e32 v4, v2
.LBB117_407:                            ;   in Loop: Header=BB117_15 Depth=1
	s_or_b64 exec, exec, s[92:93]
	s_orn2_b64 s[2:3], s[2:3], exec
.LBB117_408:                            ;   in Loop: Header=BB117_15 Depth=1
	s_or_b64 exec, exec, s[6:7]
	s_mov_b64 s[6:7], s[84:85]
	s_mov_b64 s[8:9], s[34:35]
	s_and_saveexec_b64 s[12:13], s[2:3]
; %bb.409:                              ;   in Loop: Header=BB117_15 Depth=1
	v_cmp_ne_u32_e64 s[6:7], 5, v1
	v_cmp_eq_u32_e32 vcc, 5, v1
	s_andn2_b64 s[2:3], s[34:35], exec
	s_and_b64 s[6:7], s[6:7], exec
	s_or_b64 s[8:9], s[2:3], s[6:7]
	s_andn2_b64 s[2:3], s[84:85], exec
	s_and_b64 s[6:7], vcc, exec
	s_or_b64 s[6:7], s[2:3], s[6:7]
; %bb.410:                              ;   in Loop: Header=BB117_15 Depth=1
	s_or_b64 exec, exec, s[12:13]
	s_andn2_b64 s[2:3], s[26:27], exec
	s_and_b64 s[12:13], s[90:91], exec
	s_or_b64 s[26:27], s[2:3], s[12:13]
	s_andn2_b64 s[2:3], s[30:31], exec
	s_and_b64 s[12:13], s[88:89], exec
	s_or_b64 s[30:31], s[2:3], s[12:13]
	;; [unrolled: 3-line block ×4, first 2 shown]
.LBB117_411:                            ;   in Loop: Header=BB117_15 Depth=1
	s_or_b64 exec, exec, s[86:87]
	s_mov_b64 s[86:87], 0
	s_mov_b64 s[88:89], 0
	s_and_saveexec_b64 s[2:3], s[84:85]
.LBB117_412:                            ;   in Loop: Header=BB117_15 Depth=1
	v_mov_b32_e32 v1, 0
	s_or_b64 s[34:35], s[34:35], exec
.LBB117_413:                            ;   in Loop: Header=BB117_15 Depth=1
	s_or_b64 exec, exec, s[2:3]
	s_andn2_b64 s[2:3], s[80:81], exec
	s_and_b64 s[8:9], s[26:27], exec
	s_or_b64 s[80:81], s[2:3], s[8:9]
	s_andn2_b64 s[2:3], s[78:79], exec
	s_and_b64 s[8:9], s[30:31], exec
	s_or_b64 s[78:79], s[2:3], s[8:9]
	;; [unrolled: 3-line block ×3, first 2 shown]
	s_andn2_b64 s[2:3], s[74:75], exec
	s_and_b64 s[8:9], s[86:87], exec
	s_mov_b64 s[6:7], -1
	s_andn2_b64 s[82:83], s[82:83], exec
	s_or_b64 s[74:75], s[2:3], s[8:9]
	v_mov_b32_e32 v47, v4
	s_and_saveexec_b64 s[2:3], s[34:35]
	s_xor_b64 s[2:3], exec, s[2:3]
	s_cbranch_execz .LBB117_14
; %bb.414:                              ;   in Loop: Header=BB117_15 Depth=1
	v_cmp_eq_u32_e32 vcc, 0, v1
	s_mov_b64 s[8:9], -1
	s_and_saveexec_b64 s[12:13], vcc
	s_cbranch_execz .LBB117_13
; %bb.415:                              ;   in Loop: Header=BB117_15 Depth=1
	s_xor_b32 s49, s49, 1
	s_add_i32 s14, s4, -2
	s_cmp_eq_u32 s4, 0
	s_cselect_b64 s[4:5], -1, 0
	s_xor_b64 s[8:9], exec, -1
	s_orn2_b64 s[6:7], s[4:5], exec
	s_mov_b32 s4, s14
	s_branch .LBB117_13
.LBB117_416:
	s_or_b64 exec, exec, s[62:63]
	s_xor_b64 s[6:7], s[72:73], -1
	s_xor_b64 s[14:15], s[68:69], -1
	;; [unrolled: 1-line block ×5, first 2 shown]
	s_mov_b64 s[8:9], 0
	s_and_saveexec_b64 s[10:11], s[4:5]
	s_xor_b64 s[10:11], exec, s[10:11]
	s_cbranch_execnz .LBB117_421
; %bb.417:
	s_andn2_saveexec_b64 s[0:1], s[10:11]
	s_cbranch_execnz .LBB117_440
.LBB117_418:
	s_or_b64 exec, exec, s[0:1]
	s_and_saveexec_b64 s[0:1], s[8:9]
.LBB117_419:
	; divergent unreachable
.LBB117_420:
	s_endpgm
.LBB117_421:
	s_and_saveexec_b64 s[4:5], s[12:13]
	s_xor_b64 s[12:13], exec, s[4:5]
	s_cbranch_execz .LBB117_438
; %bb.422:
	s_and_saveexec_b64 s[4:5], s[14:15]
	s_xor_b64 s[14:15], exec, s[4:5]
	s_cbranch_execz .LBB117_436
; %bb.423:
	;; [unrolled: 4-line block ×3, first 2 shown]
	s_and_saveexec_b64 s[4:5], s[2:3]
	s_xor_b64 s[2:3], exec, s[4:5]
; %bb.425:
	v_and_b32_e32 v1, 0x8000, v37
	v_mov_b32_e32 v2, 0x8000
	v_mov_b32_e32 v3, 0xffff
	v_cmp_eq_u32_e32 vcc, 0, v1
	v_cndmask_b32_e32 v1, v2, v3, vcc
	v_xor_b32_e32 v46, v1, v37
; %bb.426:
	s_or_b64 exec, exec, s[2:3]
	s_mov_b64 s[2:3], exec
	v_readlane_b32 s4, v52, 7
	v_readlane_b32 s5, v52, 8
	v_readlane_b32 s44, v52, 9
	s_and_b64 s[4:5], s[2:3], s[4:5]
	v_readlane_b32 s45, v52, 10
	s_mov_b64 exec, s[4:5]
; %bb.427:
	v_mov_b32_e32 v1, 0
	ds_write_b32 v1, v1 offset:4108
; %bb.428:
	s_or_b64 exec, exec, s[2:3]
	v_mov_b32_e32 v4, 0
	s_waitcnt lgkmcnt(0)
	s_barrier
	s_mov_b64 s[2:3], exec
	v_readlane_b32 s4, v52, 17
	v_readlane_b32 s5, v52, 18
	s_and_b64 s[4:5], s[2:3], s[4:5]
	s_mov_b64 exec, s[4:5]
	s_cbranch_execz .LBB117_430
; %bb.429:
	global_load_ushort v4, v[5:6], off
.LBB117_430:
	s_or_b64 exec, exec, s[2:3]
	v_readlane_b32 s4, v52, 3
	v_readlane_b32 s5, v52, 4
	s_load_dword s3, s[4:5], 0x23c
	v_readlane_b32 s2, v52, 0
	s_mul_i32 s2, s2, s20
	s_add_i32 s30, s36, 63
	s_add_i32 s2, s2, s41
	s_waitcnt lgkmcnt(0)
	s_mul_i32 s3, s3, s55
	s_load_dword s31, s[4:5], 0x2a8
	s_load_dword s34, s[4:5], 0x1c8
	s_add_i32 s4, s3, s43
	s_mov_b32 s3, 0
	s_andn2_b32 s30, s30, 63
	s_lshl_b64 s[6:7], s[2:3], 1
	v_readlane_b32 s8, v52, 1
	v_mov_b32_e32 v8, 0xffff
	v_mov_b32_e32 v9, 0x8000
	v_cmp_lt_i16_e32 vcc, -1, v46
	v_readlane_b32 s9, v52, 2
	s_add_u32 s35, s8, s6
	s_mov_b32 s5, s3
	v_cndmask_b32_e32 v1, v8, v9, vcc
	v_lshlrev_b32_e32 v2, 16, v46
	s_addc_u32 s38, s9, s7
	s_lshl_b64 s[2:3], s[4:5], 3
	v_readlane_b32 s4, v52, 5
	v_xor_b32_sdwa v1, v1, v46 dst_sel:DWORD dst_unused:UNUSED_PAD src0_sel:DWORD src1_sel:WORD_0
	v_cmp_o_f32_e32 vcc, v2, v2
	v_readlane_b32 s5, v52, 6
	s_add_u32 s39, s4, s2
	v_cndmask_b32_e32 v7, v8, v1, vcc
	s_addc_u32 s41, s5, s3
	v_cmp_gt_u32_e32 vcc, s30, v0
	s_mov_b64 s[18:19], -1
	s_mov_b64 s[2:3], 0
	s_mov_b64 s[4:5], 0
	s_and_saveexec_b64 s[8:9], vcc
	s_cbranch_execnz .LBB117_441
; %bb.431:
	s_or_b64 exec, exec, s[8:9]
	s_and_saveexec_b64 s[6:7], s[18:19]
	s_cbranch_execnz .LBB117_458
.LBB117_432:
	s_or_b64 exec, exec, s[6:7]
	s_and_saveexec_b64 s[0:1], s[4:5]
	s_xor_b64 s[0:1], exec, s[0:1]
	s_cbranch_execnz .LBB117_483
.LBB117_433:
	s_or_b64 exec, exec, s[0:1]
	s_and_b64 s[8:9], s[2:3], exec
.LBB117_434:
	s_andn2_saveexec_b64 s[0:1], s[16:17]
	s_cbranch_execnz .LBB117_485
.LBB117_435:
	s_or_b64 exec, exec, s[0:1]
	s_and_b64 s[8:9], s[8:9], exec
.LBB117_436:
	s_andn2_saveexec_b64 s[0:1], s[14:15]
	s_cbranch_execnz .LBB117_484
.LBB117_437:
	s_or_b64 exec, exec, s[0:1]
	s_and_b64 s[8:9], s[8:9], exec
.LBB117_438:
	s_andn2_saveexec_b64 s[0:1], s[12:13]
	s_cbranch_execnz .LBB117_479
.LBB117_439:
	s_or_b64 exec, exec, s[0:1]
	s_and_b64 s[8:9], s[8:9], exec
	s_andn2_saveexec_b64 s[0:1], s[10:11]
	s_cbranch_execz .LBB117_418
.LBB117_440:
	s_or_b64 s[8:9], s[8:9], exec
	s_trap 2
	s_or_b64 exec, exec, s[0:1]
	s_and_saveexec_b64 s[0:1], s[8:9]
	s_cbranch_execnz .LBB117_419
	s_branch .LBB117_420
.LBB117_441:
	v_add_u32_e32 v1, s48, v0
	v_mul_lo_u32 v1, s33, v1
	s_mov_b64 s[18:19], 0
	v_mov_b32_e32 v2, 0
	v_mov_b32_e32 v3, v0
                                        ; implicit-def: $sgpr20_sgpr21
                                        ; implicit-def: $vgpr11
	s_branch .LBB117_443
.LBB117_442:                            ;   in Loop: Header=BB117_443 Depth=1
	s_or_b64 exec, exec, s[24:25]
	s_xor_b64 s[4:5], s[22:23], -1
	s_and_b64 s[6:7], exec, s[6:7]
	s_or_b64 s[18:19], s[6:7], s[18:19]
	s_andn2_b64 s[6:7], s[20:21], exec
	s_and_b64 s[4:5], s[4:5], exec
	s_or_b64 s[20:21], s[6:7], s[4:5]
	v_mov_b32_e32 v3, v10
	s_waitcnt vmcnt(0)
	v_mov_b32_e32 v4, v12
	s_andn2_b64 exec, exec, s[18:19]
	s_cbranch_execz .LBB117_457
.LBB117_443:                            ; =>This Inner Loop Header: Depth=1
	v_add_u32_e32 v10, s48, v3
	v_cmp_gt_u32_e64 s[4:5], s36, v10
	v_mov_b32_e32 v12, 0
	s_and_saveexec_b64 s[6:7], s[4:5]
	s_cbranch_execz .LBB117_445
; %bb.444:                              ;   in Loop: Header=BB117_443 Depth=1
	v_lshlrev_b64 v[12:13], 1, v[1:2]
	v_mov_b32_e32 v14, s42
	v_add_co_u32_e64 v12, s[4:5], s40, v12
	v_addc_co_u32_e64 v13, s[4:5], v14, v13, s[4:5]
	global_load_ushort v12, v[12:13], off
.LBB117_445:                            ;   in Loop: Header=BB117_443 Depth=1
	s_or_b64 exec, exec, s[6:7]
	v_cmp_gt_u32_e64 s[4:5], s36, v3
	s_mov_b64 s[22:23], 0
	s_and_saveexec_b64 s[6:7], s[4:5]
	s_cbranch_execz .LBB117_447
; %bb.446:                              ;   in Loop: Header=BB117_443 Depth=1
	s_waitcnt vmcnt(0)
	v_cmp_lt_i16_e64 s[4:5], -1, v4
	v_cndmask_b32_e64 v13, v8, v9, s[4:5]
	v_lshlrev_b32_e32 v14, 16, v4
	v_xor_b32_sdwa v13, v13, v4 dst_sel:DWORD dst_unused:UNUSED_PAD src0_sel:DWORD src1_sel:WORD_0
	v_cmp_o_f32_e64 s[4:5], v14, v14
	v_cndmask_b32_e64 v13, v8, v13, s[4:5]
	v_cmp_gt_u32_e64 s[4:5], v13, v7
	v_cndmask_b32_e64 v14, 0, 1, s[4:5]
	v_cmp_lt_u32_e64 s[4:5], v13, v7
	v_cndmask_b32_e64 v13, 0, 1, s[4:5]
	v_cndmask_b32_e64 v13, v13, v14, s[44:45]
	v_and_b32_e32 v13, 1, v13
	v_cmp_eq_u32_e64 s[4:5], 1, v13
	s_and_b64 s[22:23], s[4:5], exec
.LBB117_447:                            ;   in Loop: Header=BB117_443 Depth=1
	s_or_b64 exec, exec, s[6:7]
	v_cndmask_b32_e64 v13, 0, 1, s[22:23]
	v_cmp_ne_u32_e64 s[4:5], 0, v13
	s_cmp_lg_u64 s[4:5], 0
	s_cselect_b64 s[6:7], -1, 0
	s_and_b64 s[6:7], s[0:1], s[6:7]
	s_and_saveexec_b64 s[24:25], s[6:7]
	s_cbranch_execz .LBB117_451
; %bb.448:                              ;   in Loop: Header=BB117_443 Depth=1
	s_mov_b64 s[28:29], exec
	s_waitcnt lgkmcnt(0)
	v_mbcnt_lo_u32_b32 v11, s28, 0
	v_mbcnt_hi_u32_b32 v11, s29, v11
	s_bcnt1_i32_b64 s43, s[4:5]
	v_cmp_eq_u32_e64 s[6:7], 0, v11
                                        ; implicit-def: $vgpr13
	s_and_saveexec_b64 s[26:27], s[6:7]
; %bb.449:                              ;   in Loop: Header=BB117_443 Depth=1
	s_bcnt1_i32_b64 s6, s[28:29]
	s_mul_i32 s6, s43, s6
	v_mov_b32_e32 v13, s6
	ds_add_rtn_u32 v13, v2, v13 offset:4108
; %bb.450:                              ;   in Loop: Header=BB117_443 Depth=1
	s_or_b64 exec, exec, s[26:27]
	s_waitcnt lgkmcnt(0)
	v_readfirstlane_b32 s6, v13
	v_mov_b32_e32 v13, s6
	v_mad_u32_u24 v11, s43, v11, v13
.LBB117_451:                            ;   in Loop: Header=BB117_443 Depth=1
	s_or_b64 exec, exec, s[24:25]
	s_waitcnt lgkmcnt(0)
	ds_bpermute_b32 v11, v20, v11
	s_mov_b64 s[6:7], -1
	s_mov_b64 s[26:27], -1
	s_and_saveexec_b64 s[24:25], s[22:23]
	s_cbranch_execz .LBB117_455
; %bb.452:                              ;   in Loop: Header=BB117_443 Depth=1
	v_and_b32_e32 v14, s4, v22
	v_and_b32_e32 v13, s5, v21
	v_bcnt_u32_b32 v14, v14, 0
	v_bcnt_u32_b32 v13, v13, v14
	s_waitcnt lgkmcnt(0)
	v_add_u32_e32 v13, v11, v13
	v_cmp_gt_u32_e64 s[4:5], s37, v13
	s_mov_b64 s[22:23], 0
	s_and_saveexec_b64 s[26:27], s[4:5]
	s_cbranch_execz .LBB117_454
; %bb.453:                              ;   in Loop: Header=BB117_443 Depth=1
	v_mul_lo_u32 v14, v13, s34
	v_mov_b32_e32 v15, v2
	v_mul_lo_u32 v13, v13, s31
	v_mov_b32_e32 v16, s38
	v_lshlrev_b64 v[14:15], 1, v[14:15]
	s_mov_b64 s[22:23], exec
	v_add_co_u32_e64 v14, s[4:5], s35, v14
	v_addc_co_u32_e64 v15, s[4:5], v16, v15, s[4:5]
	s_waitcnt vmcnt(0)
	global_store_short v[14:15], v4, off
	v_mov_b32_e32 v14, v2
	v_lshlrev_b64 v[13:14], 3, v[13:14]
	v_mov_b32_e32 v15, s41
	v_add_co_u32_e64 v13, s[4:5], s39, v13
	v_mov_b32_e32 v4, v2
	v_addc_co_u32_e64 v14, s[4:5], v15, v14, s[4:5]
	global_store_dwordx2 v[13:14], v[3:4], off
.LBB117_454:                            ;   in Loop: Header=BB117_443 Depth=1
	s_or_b64 exec, exec, s[26:27]
	s_orn2_b64 s[26:27], s[22:23], exec
.LBB117_455:                            ;   in Loop: Header=BB117_443 Depth=1
	s_or_b64 exec, exec, s[24:25]
	s_mov_b64 s[22:23], -1
	s_and_saveexec_b64 s[24:25], s[26:27]
	s_cbranch_execz .LBB117_442
; %bb.456:                              ;   in Loop: Header=BB117_443 Depth=1
	v_cmp_le_u32_e64 s[4:5], s30, v10
	v_add_u32_e32 v1, s54, v1
	s_xor_b64 s[22:23], exec, -1
	s_orn2_b64 s[6:7], s[4:5], exec
	s_branch .LBB117_442
.LBB117_457:
	s_or_b64 exec, exec, s[18:19]
	s_mov_b64 s[4:5], exec
	s_orn2_b64 s[18:19], s[20:21], exec
	s_or_b64 exec, exec, s[8:9]
	s_and_saveexec_b64 s[6:7], s[18:19]
	s_cbranch_execz .LBB117_432
.LBB117_458:
	v_mov_b32_e32 v1, 0
	s_waitcnt vmcnt(0) lgkmcnt(0)
	s_barrier
	s_mov_b64 s[2:3], exec
	v_readlane_b32 s8, v52, 17
	v_readlane_b32 s9, v52, 18
	s_and_b64 s[8:9], s[2:3], s[8:9]
	s_mov_b64 exec, s[8:9]
	s_cbranch_execz .LBB117_460
; %bb.459:
	global_load_ushort v1, v[5:6], off
.LBB117_460:
	s_or_b64 exec, exec, s[2:3]
	s_mov_b64 s[2:3], 0
	s_and_saveexec_b64 s[8:9], vcc
	s_cbranch_execz .LBB117_482
; %bb.461:
	v_add_u32_e32 v2, s48, v0
	v_mul_lo_u32 v2, s33, v2
	s_mov_b64 s[18:19], 0
	v_mov_b32_e32 v3, 0
	v_mov_b32_e32 v4, 0xffff
	;; [unrolled: 1-line block ×3, first 2 shown]
                                        ; implicit-def: $sgpr20_sgpr21
                                        ; implicit-def: $vgpr8
	s_branch .LBB117_464
.LBB117_462:                            ;   in Loop: Header=BB117_464 Depth=1
	s_or_b64 exec, exec, s[24:25]
	s_orn2_b64 s[26:27], s[28:29], exec
	s_orn2_b64 s[24:25], s[22:23], exec
.LBB117_463:                            ;   in Loop: Header=BB117_464 Depth=1
	s_or_b64 exec, exec, s[2:3]
	s_xor_b64 s[2:3], s[26:27], -1
	s_and_b64 s[22:23], exec, s[24:25]
	s_or_b64 s[18:19], s[22:23], s[18:19]
	s_andn2_b64 s[20:21], s[20:21], exec
	s_and_b64 s[2:3], s[2:3], exec
	s_or_b64 s[20:21], s[20:21], s[2:3]
	v_mov_b32_e32 v0, v6
	s_waitcnt vmcnt(0)
	v_mov_b32_e32 v1, v9
	s_andn2_b64 exec, exec, s[18:19]
	s_cbranch_execz .LBB117_480
.LBB117_464:                            ; =>This Inner Loop Header: Depth=1
	v_add_u32_e32 v6, s48, v0
	v_cmp_gt_u32_e32 vcc, s36, v6
	v_mov_b32_e32 v9, 0
	s_and_saveexec_b64 s[2:3], vcc
	s_cbranch_execz .LBB117_466
; %bb.465:                              ;   in Loop: Header=BB117_464 Depth=1
	v_lshlrev_b64 v[9:10], 1, v[2:3]
	v_mov_b32_e32 v11, s42
	v_add_co_u32_e32 v9, vcc, s40, v9
	v_addc_co_u32_e32 v10, vcc, v11, v10, vcc
	global_load_ushort v9, v[9:10], off
.LBB117_466:                            ;   in Loop: Header=BB117_464 Depth=1
	s_or_b64 exec, exec, s[2:3]
	v_cmp_gt_u32_e32 vcc, s36, v0
	s_mov_b64 s[22:23], 0
	s_and_saveexec_b64 s[2:3], vcc
	s_cbranch_execz .LBB117_468
; %bb.467:                              ;   in Loop: Header=BB117_464 Depth=1
	s_waitcnt vmcnt(0)
	v_cmp_lt_i16_e32 vcc, -1, v1
	v_cndmask_b32_e32 v10, v4, v5, vcc
	v_lshlrev_b32_e32 v11, 16, v1
	v_xor_b32_sdwa v10, v10, v1 dst_sel:DWORD dst_unused:UNUSED_PAD src0_sel:DWORD src1_sel:WORD_0
	v_cmp_o_f32_e32 vcc, v11, v11
	v_cndmask_b32_e32 v10, v4, v10, vcc
	v_cmp_eq_u32_e32 vcc, v10, v7
	s_and_b64 s[22:23], vcc, exec
.LBB117_468:                            ;   in Loop: Header=BB117_464 Depth=1
	s_or_b64 exec, exec, s[2:3]
	v_cndmask_b32_e64 v10, 0, 1, s[22:23]
	v_cmp_ne_u32_e32 vcc, 0, v10
	s_cmp_lg_u64 vcc, 0
	s_cselect_b64 s[2:3], -1, 0
	s_and_b64 s[2:3], s[0:1], s[2:3]
	s_and_saveexec_b64 s[24:25], s[2:3]
	s_cbranch_execz .LBB117_472
; %bb.469:                              ;   in Loop: Header=BB117_464 Depth=1
	s_mov_b64 s[28:29], exec
	v_mbcnt_lo_u32_b32 v8, s28, 0
	v_mbcnt_hi_u32_b32 v8, s29, v8
	s_bcnt1_i32_b64 s33, vcc
	v_cmp_eq_u32_e64 s[2:3], 0, v8
                                        ; implicit-def: $vgpr10
	s_and_saveexec_b64 s[26:27], s[2:3]
; %bb.470:                              ;   in Loop: Header=BB117_464 Depth=1
	s_bcnt1_i32_b64 s2, s[28:29]
	s_mul_i32 s2, s33, s2
	v_mov_b32_e32 v10, s2
	ds_add_rtn_u32 v10, v3, v10 offset:4108
; %bb.471:                              ;   in Loop: Header=BB117_464 Depth=1
	s_or_b64 exec, exec, s[26:27]
	s_waitcnt lgkmcnt(0)
	v_readfirstlane_b32 s2, v10
	v_mov_b32_e32 v10, s2
	v_mad_u32_u24 v8, s33, v8, v10
.LBB117_472:                            ;   in Loop: Header=BB117_464 Depth=1
	s_or_b64 exec, exec, s[24:25]
	ds_bpermute_b32 v8, v20, v8
	s_cmp_eq_u64 vcc, 0
	s_cselect_b64 s[26:27], -1, 0
	s_mov_b64 s[24:25], -1
	s_waitcnt lgkmcnt(0)
	v_cmp_gt_u32_e64 s[2:3], s37, v8
	s_or_b64 s[28:29], s[26:27], s[2:3]
	s_mov_b64 s[26:27], -1
	s_and_saveexec_b64 s[2:3], s[28:29]
	s_cbranch_execz .LBB117_463
; %bb.473:                              ;   in Loop: Header=BB117_464 Depth=1
	v_and_b32_e32 v11, vcc_lo, v22
	v_and_b32_e32 v10, vcc_hi, v21
	v_bcnt_u32_b32 v11, v11, 0
	v_bcnt_u32_b32 v10, v10, v11
	v_sub_u32_e32 v11, s37, v8
	v_cmp_gt_u32_e32 vcc, v11, v10
	s_and_b64 s[44:45], s[22:23], vcc
	s_mov_b64 s[22:23], -1
	s_mov_b64 s[28:29], -1
	s_and_saveexec_b64 s[24:25], s[44:45]
	s_cbranch_execz .LBB117_477
; %bb.474:                              ;   in Loop: Header=BB117_464 Depth=1
	v_add_u32_e32 v10, v8, v10
	v_cmp_gt_u32_e32 vcc, s37, v10
	s_mov_b64 s[26:27], 0
	s_and_saveexec_b64 s[28:29], vcc
	s_cbranch_execz .LBB117_476
; %bb.475:                              ;   in Loop: Header=BB117_464 Depth=1
	v_mul_lo_u32 v11, v10, s34
	v_mov_b32_e32 v12, v3
	v_mul_lo_u32 v10, v10, s31
	v_mov_b32_e32 v13, s38
	v_lshlrev_b64 v[11:12], 1, v[11:12]
	s_mov_b64 s[26:27], exec
	v_add_co_u32_e32 v11, vcc, s35, v11
	v_addc_co_u32_e32 v12, vcc, v13, v12, vcc
	s_waitcnt vmcnt(0)
	global_store_short v[11:12], v1, off
	v_mov_b32_e32 v11, v3
	v_lshlrev_b64 v[10:11], 3, v[10:11]
	v_mov_b32_e32 v12, s41
	v_add_co_u32_e32 v10, vcc, s39, v10
	v_mov_b32_e32 v1, v3
	v_addc_co_u32_e32 v11, vcc, v12, v11, vcc
	global_store_dwordx2 v[10:11], v[0:1], off
.LBB117_476:                            ;   in Loop: Header=BB117_464 Depth=1
	s_or_b64 exec, exec, s[28:29]
	s_xor_b64 s[28:29], exec, -1
	s_orn2_b64 s[26:27], s[26:27], exec
.LBB117_477:                            ;   in Loop: Header=BB117_464 Depth=1
	s_or_b64 exec, exec, s[24:25]
	s_and_saveexec_b64 s[24:25], s[26:27]
	s_cbranch_execz .LBB117_462
; %bb.478:                              ;   in Loop: Header=BB117_464 Depth=1
	v_cmp_le_u32_e32 vcc, s30, v6
	v_add_u32_e32 v2, s54, v2
	s_or_b64 s[28:29], s[28:29], exec
	s_orn2_b64 s[22:23], vcc, exec
	s_branch .LBB117_462
.LBB117_479:
	s_or_b64 s[8:9], s[8:9], exec
	s_trap 2
	s_branch .LBB117_439
.LBB117_480:
	s_or_b64 exec, exec, s[18:19]
	s_mov_b64 s[0:1], 0
	s_and_saveexec_b64 s[2:3], s[20:21]
	s_xor_b64 s[2:3], exec, s[2:3]
	s_cbranch_execnz .LBB117_486
.LBB117_481:
	s_or_b64 exec, exec, s[2:3]
	s_and_b64 s[2:3], s[0:1], exec
.LBB117_482:
	s_or_b64 exec, exec, s[8:9]
	s_and_b64 s[2:3], s[2:3], exec
	s_andn2_b64 s[4:5], s[4:5], exec
	s_or_b64 exec, exec, s[6:7]
	s_and_saveexec_b64 s[0:1], s[4:5]
	s_xor_b64 s[0:1], exec, s[0:1]
	s_cbranch_execz .LBB117_433
.LBB117_483:
	s_trap 2
	s_or_b64 s[2:3], s[2:3], exec
	s_branch .LBB117_433
.LBB117_484:
	s_or_b64 s[8:9], s[8:9], exec
	s_trap 2
	s_branch .LBB117_437
.LBB117_485:
	s_trap 2
	s_or_b64 s[8:9], s[8:9], exec
	s_branch .LBB117_435
.LBB117_486:
	s_mov_b64 s[0:1], exec
	s_trap 2
	s_branch .LBB117_481
	.section	.rodata,"a",@progbits
	.p2align	6, 0x0
	.amdhsa_kernel _ZN2at6native6sbtopk10gatherTopKIN3c108BFloat16EjLin1ELb0EEEvNS_4cuda6detail10TensorInfoIKT_T0_EESA_SA_bSA_SA_NS7_IS8_SA_EESA_NS7_IlSA_EESA_PS8_
		.amdhsa_group_segment_fixed_size 4112
		.amdhsa_private_segment_fixed_size 0
		.amdhsa_kernarg_size 952
		.amdhsa_user_sgpr_count 6
		.amdhsa_user_sgpr_private_segment_buffer 1
		.amdhsa_user_sgpr_dispatch_ptr 0
		.amdhsa_user_sgpr_queue_ptr 0
		.amdhsa_user_sgpr_kernarg_segment_ptr 1
		.amdhsa_user_sgpr_dispatch_id 0
		.amdhsa_user_sgpr_flat_scratch_init 0
		.amdhsa_user_sgpr_private_segment_size 0
		.amdhsa_uses_dynamic_stack 0
		.amdhsa_system_sgpr_private_segment_wavefront_offset 0
		.amdhsa_system_sgpr_workgroup_id_x 1
		.amdhsa_system_sgpr_workgroup_id_y 1
		.amdhsa_system_sgpr_workgroup_id_z 1
		.amdhsa_system_sgpr_workgroup_info 0
		.amdhsa_system_vgpr_workitem_id 0
		.amdhsa_next_free_vgpr 53
		.amdhsa_next_free_sgpr 96
		.amdhsa_reserve_vcc 1
		.amdhsa_reserve_flat_scratch 0
		.amdhsa_float_round_mode_32 0
		.amdhsa_float_round_mode_16_64 0
		.amdhsa_float_denorm_mode_32 3
		.amdhsa_float_denorm_mode_16_64 3
		.amdhsa_dx10_clamp 1
		.amdhsa_ieee_mode 1
		.amdhsa_fp16_overflow 0
		.amdhsa_exception_fp_ieee_invalid_op 0
		.amdhsa_exception_fp_denorm_src 0
		.amdhsa_exception_fp_ieee_div_zero 0
		.amdhsa_exception_fp_ieee_overflow 0
		.amdhsa_exception_fp_ieee_underflow 0
		.amdhsa_exception_fp_ieee_inexact 0
		.amdhsa_exception_int_div_zero 0
	.end_amdhsa_kernel
	.section	.text._ZN2at6native6sbtopk10gatherTopKIN3c108BFloat16EjLin1ELb0EEEvNS_4cuda6detail10TensorInfoIKT_T0_EESA_SA_bSA_SA_NS7_IS8_SA_EESA_NS7_IlSA_EESA_PS8_,"axG",@progbits,_ZN2at6native6sbtopk10gatherTopKIN3c108BFloat16EjLin1ELb0EEEvNS_4cuda6detail10TensorInfoIKT_T0_EESA_SA_bSA_SA_NS7_IS8_SA_EESA_NS7_IlSA_EESA_PS8_,comdat
.Lfunc_end117:
	.size	_ZN2at6native6sbtopk10gatherTopKIN3c108BFloat16EjLin1ELb0EEEvNS_4cuda6detail10TensorInfoIKT_T0_EESA_SA_bSA_SA_NS7_IS8_SA_EESA_NS7_IlSA_EESA_PS8_, .Lfunc_end117-_ZN2at6native6sbtopk10gatherTopKIN3c108BFloat16EjLin1ELb0EEEvNS_4cuda6detail10TensorInfoIKT_T0_EESA_SA_bSA_SA_NS7_IS8_SA_EESA_NS7_IlSA_EESA_PS8_
                                        ; -- End function
	.set _ZN2at6native6sbtopk10gatherTopKIN3c108BFloat16EjLin1ELb0EEEvNS_4cuda6detail10TensorInfoIKT_T0_EESA_SA_bSA_SA_NS7_IS8_SA_EESA_NS7_IlSA_EESA_PS8_.num_vgpr, 53
	.set _ZN2at6native6sbtopk10gatherTopKIN3c108BFloat16EjLin1ELb0EEEvNS_4cuda6detail10TensorInfoIKT_T0_EESA_SA_bSA_SA_NS7_IS8_SA_EESA_NS7_IlSA_EESA_PS8_.num_agpr, 0
	.set _ZN2at6native6sbtopk10gatherTopKIN3c108BFloat16EjLin1ELb0EEEvNS_4cuda6detail10TensorInfoIKT_T0_EESA_SA_bSA_SA_NS7_IS8_SA_EESA_NS7_IlSA_EESA_PS8_.numbered_sgpr, 96
	.set _ZN2at6native6sbtopk10gatherTopKIN3c108BFloat16EjLin1ELb0EEEvNS_4cuda6detail10TensorInfoIKT_T0_EESA_SA_bSA_SA_NS7_IS8_SA_EESA_NS7_IlSA_EESA_PS8_.num_named_barrier, 0
	.set _ZN2at6native6sbtopk10gatherTopKIN3c108BFloat16EjLin1ELb0EEEvNS_4cuda6detail10TensorInfoIKT_T0_EESA_SA_bSA_SA_NS7_IS8_SA_EESA_NS7_IlSA_EESA_PS8_.private_seg_size, 0
	.set _ZN2at6native6sbtopk10gatherTopKIN3c108BFloat16EjLin1ELb0EEEvNS_4cuda6detail10TensorInfoIKT_T0_EESA_SA_bSA_SA_NS7_IS8_SA_EESA_NS7_IlSA_EESA_PS8_.uses_vcc, 1
	.set _ZN2at6native6sbtopk10gatherTopKIN3c108BFloat16EjLin1ELb0EEEvNS_4cuda6detail10TensorInfoIKT_T0_EESA_SA_bSA_SA_NS7_IS8_SA_EESA_NS7_IlSA_EESA_PS8_.uses_flat_scratch, 0
	.set _ZN2at6native6sbtopk10gatherTopKIN3c108BFloat16EjLin1ELb0EEEvNS_4cuda6detail10TensorInfoIKT_T0_EESA_SA_bSA_SA_NS7_IS8_SA_EESA_NS7_IlSA_EESA_PS8_.has_dyn_sized_stack, 0
	.set _ZN2at6native6sbtopk10gatherTopKIN3c108BFloat16EjLin1ELb0EEEvNS_4cuda6detail10TensorInfoIKT_T0_EESA_SA_bSA_SA_NS7_IS8_SA_EESA_NS7_IlSA_EESA_PS8_.has_recursion, 0
	.set _ZN2at6native6sbtopk10gatherTopKIN3c108BFloat16EjLin1ELb0EEEvNS_4cuda6detail10TensorInfoIKT_T0_EESA_SA_bSA_SA_NS7_IS8_SA_EESA_NS7_IlSA_EESA_PS8_.has_indirect_call, 0
	.section	.AMDGPU.csdata,"",@progbits
; Kernel info:
; codeLenInByte = 17716
; TotalNumSgprs: 100
; NumVgprs: 53
; ScratchSize: 0
; MemoryBound: 0
; FloatMode: 240
; IeeeMode: 1
; LDSByteSize: 4112 bytes/workgroup (compile time only)
; SGPRBlocks: 12
; VGPRBlocks: 13
; NumSGPRsForWavesPerEU: 100
; NumVGPRsForWavesPerEU: 53
; Occupancy: 4
; WaveLimiterHint : 1
; COMPUTE_PGM_RSRC2:SCRATCH_EN: 0
; COMPUTE_PGM_RSRC2:USER_SGPR: 6
; COMPUTE_PGM_RSRC2:TRAP_HANDLER: 0
; COMPUTE_PGM_RSRC2:TGID_X_EN: 1
; COMPUTE_PGM_RSRC2:TGID_Y_EN: 1
; COMPUTE_PGM_RSRC2:TGID_Z_EN: 1
; COMPUTE_PGM_RSRC2:TIDIG_COMP_CNT: 0
	.section	.text._ZN2at6native6mbtopk23computeBlockDigitCountsIhmjLi1EEEvNS_4cuda6detail10TensorInfoIKT_T0_EEjPjjS8_iijT1_PSB_Ps,"axG",@progbits,_ZN2at6native6mbtopk23computeBlockDigitCountsIhmjLi1EEEvNS_4cuda6detail10TensorInfoIKT_T0_EEjPjjS8_iijT1_PSB_Ps,comdat
	.protected	_ZN2at6native6mbtopk23computeBlockDigitCountsIhmjLi1EEEvNS_4cuda6detail10TensorInfoIKT_T0_EEjPjjS8_iijT1_PSB_Ps ; -- Begin function _ZN2at6native6mbtopk23computeBlockDigitCountsIhmjLi1EEEvNS_4cuda6detail10TensorInfoIKT_T0_EEjPjjS8_iijT1_PSB_Ps
	.globl	_ZN2at6native6mbtopk23computeBlockDigitCountsIhmjLi1EEEvNS_4cuda6detail10TensorInfoIKT_T0_EEjPjjS8_iijT1_PSB_Ps
	.p2align	8
	.type	_ZN2at6native6mbtopk23computeBlockDigitCountsIhmjLi1EEEvNS_4cuda6detail10TensorInfoIKT_T0_EEjPjjS8_iijT1_PSB_Ps,@function
_ZN2at6native6mbtopk23computeBlockDigitCountsIhmjLi1EEEvNS_4cuda6detail10TensorInfoIKT_T0_EEjPjjS8_iijT1_PSB_Ps: ; @_ZN2at6native6mbtopk23computeBlockDigitCountsIhmjLi1EEEvNS_4cuda6detail10TensorInfoIKT_T0_EEjPjjS8_iijT1_PSB_Ps
; %bb.0:
	s_load_dwordx4 s[0:3], s[4:5], 0x1c0
	s_load_dword s9, s[4:5], 0x1b0
	s_load_dwordx2 s[10:11], s[4:5], 0x1e0
	s_mov_b32 s13, 0
	s_waitcnt lgkmcnt(0)
	v_cvt_f32_u32_e32 v1, s2
	s_mul_i32 s8, s11, s8
	s_add_i32 s7, s8, s7
	v_rcp_iflag_f32_e32 v1, v1
	s_mul_i32 s14, s7, s10
	s_sub_i32 s11, 0, s2
	s_add_i32 s14, s14, s6
	v_mul_f32_e32 v1, 0x4f7ffffe, v1
	v_cvt_u32_f32_e32 v1, v1
	v_readfirstlane_b32 s6, v1
	s_mul_i32 s11, s11, s6
	s_mul_hi_u32 s7, s6, s11
	s_add_i32 s6, s6, s7
	s_mul_hi_u32 s6, s14, s6
	s_mul_i32 s7, s6, s2
	s_sub_i32 s7, s14, s7
	s_add_i32 s8, s6, 1
	s_sub_i32 s10, s7, s2
	s_cmp_ge_u32 s7, s2
	s_cselect_b32 s6, s8, s6
	s_cselect_b32 s7, s10, s7
	s_add_i32 s8, s6, 1
	s_cmp_ge_u32 s7, s2
	s_cselect_b32 s12, s8, s6
	s_cmp_ge_u32 s12, s9
	s_cbranch_scc1 .LBB118_27
; %bb.1:
	s_load_dwordx4 s[8:11], s[4:5], 0x1d0
	s_lshl_b64 s[6:7], s[12:13], 2
	s_movk_i32 s13, 0x100
	v_cmp_gt_u32_e32 vcc, s13, v0
	v_lshlrev_b32_e32 v1, 2, v0
	s_waitcnt lgkmcnt(0)
	s_add_u32 s8, s8, s6
	s_addc_u32 s9, s9, s7
	s_and_saveexec_b64 s[6:7], vcc
; %bb.2:
	v_mov_b32_e32 v2, 0
	ds_write_b32 v1, v2
; %bb.3:
	s_or_b64 exec, exec, s[6:7]
	s_load_dword s13, s[4:5], 0x1a0
	s_mul_i32 s6, s12, s2
	s_sub_i32 s6, s14, s6
	s_add_i32 s16, s6, 1
	s_mul_i32 s6, s1, s6
	s_lshl_b32 s15, s6, 8
	s_waitcnt lgkmcnt(0)
	s_sub_i32 s6, s13, s15
	s_add_u32 s6, s6, 0xff
	s_addc_u32 s7, 0, 0
	s_lshr_b64 s[6:7], s[6:7], 8
	s_cmp_lt_u32 s16, s2
	s_cselect_b32 s17, s1, s6
	s_cmp_lt_i32 s17, 1
	s_mov_b32 s16, 0
	s_barrier
	s_cbranch_scc1 .LBB118_25
; %bb.4:
	s_load_dwordx2 s[18:19], s[4:5], 0xd0
	s_load_dwordx2 s[6:7], s[4:5], 0x1b8
	;; [unrolled: 1-line block ×3, first 2 shown]
	s_load_dword s2, s[8:9], 0x0
	s_waitcnt lgkmcnt(0)
	s_mul_i32 s1, s19, s12
	s_mul_hi_u32 s4, s18, s12
	s_add_i32 s1, s4, s1
	s_mul_i32 s4, s18, s12
	s_add_u32 s4, s20, s4
	s_addc_u32 s5, s21, s1
	s_and_b32 s12, s0, 0xff
	s_cmp_lt_u32 s17, 4
	s_cbranch_scc1 .LBB118_19
; %bb.5:
	s_and_b32 s16, s17, 0x7ffffffc
	v_add_u32_e32 v2, s15, v0
	s_mov_b32 s18, 0
	v_mov_b32_e32 v3, 1
	s_branch .LBB118_7
.LBB118_6:                              ;   in Loop: Header=BB118_7 Depth=1
	s_or_b64 exec, exec, s[8:9]
	s_add_i32 s18, s18, 4
	s_cmp_eq_u32 s16, s18
	v_add_u32_e32 v2, 0x400, v2
	s_cbranch_scc1 .LBB118_19
.LBB118_7:                              ; =>This Inner Loop Header: Depth=1
	v_cmp_gt_u32_e64 s[0:1], s13, v2
	s_and_saveexec_b64 s[8:9], s[0:1]
	s_cbranch_execz .LBB118_10
; %bb.8:                                ;   in Loop: Header=BB118_7 Depth=1
	v_mov_b32_e32 v4, s4
	v_mov_b32_e32 v5, s5
	v_mad_u64_u32 v[4:5], s[0:1], s6, v2, v[4:5]
	v_mad_u64_u32 v[5:6], s[0:1], s7, v2, v[5:6]
	global_load_ubyte v4, v[4:5], off
	s_waitcnt vmcnt(0)
	v_xor_b32_e32 v5, s2, v4
	v_and_b32_e32 v5, s3, v5
	v_cmp_eq_u32_e64 s[0:1], 0, v5
	s_and_b64 exec, exec, s[0:1]
; %bb.9:                                ;   in Loop: Header=BB118_7 Depth=1
	v_lshrrev_b32_e32 v4, s12, v4
	v_lshlrev_b32_e32 v4, 2, v4
	ds_add_u32 v4, v3
.LBB118_10:                             ;   in Loop: Header=BB118_7 Depth=1
	s_or_b64 exec, exec, s[8:9]
	v_add_u32_e32 v4, 0x100, v2
	v_cmp_gt_u32_e64 s[0:1], s13, v4
	s_and_saveexec_b64 s[8:9], s[0:1]
	s_cbranch_execz .LBB118_13
; %bb.11:                               ;   in Loop: Header=BB118_7 Depth=1
	v_mov_b32_e32 v6, s5
	v_mov_b32_e32 v5, s4
	v_mad_u64_u32 v[5:6], s[0:1], s6, v4, v[5:6]
	v_mad_u64_u32 v[6:7], s[0:1], s7, v4, v[6:7]
	global_load_ubyte v4, v[5:6], off
	s_waitcnt vmcnt(0)
	v_xor_b32_e32 v5, s2, v4
	v_and_b32_e32 v5, s3, v5
	v_cmp_eq_u32_e64 s[0:1], 0, v5
	s_and_b64 exec, exec, s[0:1]
; %bb.12:                               ;   in Loop: Header=BB118_7 Depth=1
	v_lshrrev_b32_e32 v4, s12, v4
	v_lshlrev_b32_e32 v4, 2, v4
	ds_add_u32 v4, v3
.LBB118_13:                             ;   in Loop: Header=BB118_7 Depth=1
	s_or_b64 exec, exec, s[8:9]
	v_add_u32_e32 v4, 0x200, v2
	v_cmp_gt_u32_e64 s[0:1], s13, v4
	s_and_saveexec_b64 s[8:9], s[0:1]
	s_cbranch_execz .LBB118_16
; %bb.14:                               ;   in Loop: Header=BB118_7 Depth=1
	v_mov_b32_e32 v6, s5
	v_mov_b32_e32 v5, s4
	v_mad_u64_u32 v[5:6], s[0:1], s6, v4, v[5:6]
	v_mad_u64_u32 v[6:7], s[0:1], s7, v4, v[6:7]
	global_load_ubyte v4, v[5:6], off
	s_waitcnt vmcnt(0)
	v_xor_b32_e32 v5, s2, v4
	v_and_b32_e32 v5, s3, v5
	v_cmp_eq_u32_e64 s[0:1], 0, v5
	s_and_b64 exec, exec, s[0:1]
; %bb.15:                               ;   in Loop: Header=BB118_7 Depth=1
	v_lshrrev_b32_e32 v4, s12, v4
	v_lshlrev_b32_e32 v4, 2, v4
	ds_add_u32 v4, v3
.LBB118_16:                             ;   in Loop: Header=BB118_7 Depth=1
	s_or_b64 exec, exec, s[8:9]
	v_add_u32_e32 v4, 0x300, v2
	v_cmp_gt_u32_e64 s[0:1], s13, v4
	s_and_saveexec_b64 s[8:9], s[0:1]
	s_cbranch_execz .LBB118_6
; %bb.17:                               ;   in Loop: Header=BB118_7 Depth=1
	v_mov_b32_e32 v6, s5
	v_mov_b32_e32 v5, s4
	v_mad_u64_u32 v[5:6], s[0:1], s6, v4, v[5:6]
	v_mad_u64_u32 v[6:7], s[0:1], s7, v4, v[6:7]
	global_load_ubyte v4, v[5:6], off
	s_waitcnt vmcnt(0)
	v_xor_b32_e32 v5, s2, v4
	v_and_b32_e32 v5, s3, v5
	v_cmp_eq_u32_e64 s[0:1], 0, v5
	s_and_b64 exec, exec, s[0:1]
	s_cbranch_execz .LBB118_6
; %bb.18:                               ;   in Loop: Header=BB118_7 Depth=1
	v_lshrrev_b32_e32 v4, s12, v4
	v_lshlrev_b32_e32 v4, 2, v4
	ds_add_u32 v4, v3
	s_branch .LBB118_6
.LBB118_19:
	s_and_b32 s17, s17, 3
	s_cmp_eq_u32 s17, 0
	s_cbranch_scc1 .LBB118_25
; %bb.20:
	s_lshl_b32 s0, s16, 8
	s_add_i32 s0, s0, s15
	v_add_u32_e32 v2, s0, v0
	v_mov_b32_e32 v3, 1
	s_branch .LBB118_22
.LBB118_21:                             ;   in Loop: Header=BB118_22 Depth=1
	s_or_b64 exec, exec, s[8:9]
	s_add_i32 s17, s17, -1
	s_cmp_lg_u32 s17, 0
	v_add_u32_e32 v2, 0x100, v2
	s_cbranch_scc0 .LBB118_25
.LBB118_22:                             ; =>This Inner Loop Header: Depth=1
	v_cmp_gt_u32_e64 s[0:1], s13, v2
	s_and_saveexec_b64 s[8:9], s[0:1]
	s_cbranch_execz .LBB118_21
; %bb.23:                               ;   in Loop: Header=BB118_22 Depth=1
	v_mov_b32_e32 v4, s4
	v_mov_b32_e32 v5, s5
	v_mad_u64_u32 v[4:5], s[0:1], s6, v2, v[4:5]
	v_mad_u64_u32 v[5:6], s[0:1], s7, v2, v[5:6]
	global_load_ubyte v4, v[4:5], off
	s_waitcnt vmcnt(0)
	v_xor_b32_e32 v5, s2, v4
	v_and_b32_e32 v5, s3, v5
	v_cmp_eq_u32_e64 s[0:1], 0, v5
	s_and_b64 exec, exec, s[0:1]
	s_cbranch_execz .LBB118_21
; %bb.24:                               ;   in Loop: Header=BB118_22 Depth=1
	v_lshrrev_b32_e32 v4, s12, v4
	v_lshlrev_b32_e32 v4, 2, v4
	ds_add_u32 v4, v3
	s_branch .LBB118_21
.LBB118_25:
	s_waitcnt lgkmcnt(0)
	s_barrier
	s_and_saveexec_b64 s[0:1], vcc
	s_cbranch_execz .LBB118_27
; %bb.26:
	v_lshl_or_b32 v2, s14, 8, v0
	v_mov_b32_e32 v3, 0
	ds_read_b32 v5, v1
	v_lshlrev_b64 v[2:3], 1, v[2:3]
	v_mov_b32_e32 v4, s11
	v_add_co_u32_e32 v0, vcc, s10, v2
	v_addc_co_u32_e32 v1, vcc, v4, v3, vcc
	s_waitcnt lgkmcnt(0)
	global_store_short v[0:1], v5, off
.LBB118_27:
	s_endpgm
	.section	.rodata,"a",@progbits
	.p2align	6, 0x0
	.amdhsa_kernel _ZN2at6native6mbtopk23computeBlockDigitCountsIhmjLi1EEEvNS_4cuda6detail10TensorInfoIKT_T0_EEjPjjS8_iijT1_PSB_Ps
		.amdhsa_group_segment_fixed_size 1024
		.amdhsa_private_segment_fixed_size 0
		.amdhsa_kernarg_size 736
		.amdhsa_user_sgpr_count 6
		.amdhsa_user_sgpr_private_segment_buffer 1
		.amdhsa_user_sgpr_dispatch_ptr 0
		.amdhsa_user_sgpr_queue_ptr 0
		.amdhsa_user_sgpr_kernarg_segment_ptr 1
		.amdhsa_user_sgpr_dispatch_id 0
		.amdhsa_user_sgpr_flat_scratch_init 0
		.amdhsa_user_sgpr_private_segment_size 0
		.amdhsa_uses_dynamic_stack 0
		.amdhsa_system_sgpr_private_segment_wavefront_offset 0
		.amdhsa_system_sgpr_workgroup_id_x 1
		.amdhsa_system_sgpr_workgroup_id_y 1
		.amdhsa_system_sgpr_workgroup_id_z 1
		.amdhsa_system_sgpr_workgroup_info 0
		.amdhsa_system_vgpr_workitem_id 0
		.amdhsa_next_free_vgpr 8
		.amdhsa_next_free_sgpr 22
		.amdhsa_reserve_vcc 1
		.amdhsa_reserve_flat_scratch 0
		.amdhsa_float_round_mode_32 0
		.amdhsa_float_round_mode_16_64 0
		.amdhsa_float_denorm_mode_32 3
		.amdhsa_float_denorm_mode_16_64 3
		.amdhsa_dx10_clamp 1
		.amdhsa_ieee_mode 1
		.amdhsa_fp16_overflow 0
		.amdhsa_exception_fp_ieee_invalid_op 0
		.amdhsa_exception_fp_denorm_src 0
		.amdhsa_exception_fp_ieee_div_zero 0
		.amdhsa_exception_fp_ieee_overflow 0
		.amdhsa_exception_fp_ieee_underflow 0
		.amdhsa_exception_fp_ieee_inexact 0
		.amdhsa_exception_int_div_zero 0
	.end_amdhsa_kernel
	.section	.text._ZN2at6native6mbtopk23computeBlockDigitCountsIhmjLi1EEEvNS_4cuda6detail10TensorInfoIKT_T0_EEjPjjS8_iijT1_PSB_Ps,"axG",@progbits,_ZN2at6native6mbtopk23computeBlockDigitCountsIhmjLi1EEEvNS_4cuda6detail10TensorInfoIKT_T0_EEjPjjS8_iijT1_PSB_Ps,comdat
.Lfunc_end118:
	.size	_ZN2at6native6mbtopk23computeBlockDigitCountsIhmjLi1EEEvNS_4cuda6detail10TensorInfoIKT_T0_EEjPjjS8_iijT1_PSB_Ps, .Lfunc_end118-_ZN2at6native6mbtopk23computeBlockDigitCountsIhmjLi1EEEvNS_4cuda6detail10TensorInfoIKT_T0_EEjPjjS8_iijT1_PSB_Ps
                                        ; -- End function
	.set _ZN2at6native6mbtopk23computeBlockDigitCountsIhmjLi1EEEvNS_4cuda6detail10TensorInfoIKT_T0_EEjPjjS8_iijT1_PSB_Ps.num_vgpr, 8
	.set _ZN2at6native6mbtopk23computeBlockDigitCountsIhmjLi1EEEvNS_4cuda6detail10TensorInfoIKT_T0_EEjPjjS8_iijT1_PSB_Ps.num_agpr, 0
	.set _ZN2at6native6mbtopk23computeBlockDigitCountsIhmjLi1EEEvNS_4cuda6detail10TensorInfoIKT_T0_EEjPjjS8_iijT1_PSB_Ps.numbered_sgpr, 22
	.set _ZN2at6native6mbtopk23computeBlockDigitCountsIhmjLi1EEEvNS_4cuda6detail10TensorInfoIKT_T0_EEjPjjS8_iijT1_PSB_Ps.num_named_barrier, 0
	.set _ZN2at6native6mbtopk23computeBlockDigitCountsIhmjLi1EEEvNS_4cuda6detail10TensorInfoIKT_T0_EEjPjjS8_iijT1_PSB_Ps.private_seg_size, 0
	.set _ZN2at6native6mbtopk23computeBlockDigitCountsIhmjLi1EEEvNS_4cuda6detail10TensorInfoIKT_T0_EEjPjjS8_iijT1_PSB_Ps.uses_vcc, 1
	.set _ZN2at6native6mbtopk23computeBlockDigitCountsIhmjLi1EEEvNS_4cuda6detail10TensorInfoIKT_T0_EEjPjjS8_iijT1_PSB_Ps.uses_flat_scratch, 0
	.set _ZN2at6native6mbtopk23computeBlockDigitCountsIhmjLi1EEEvNS_4cuda6detail10TensorInfoIKT_T0_EEjPjjS8_iijT1_PSB_Ps.has_dyn_sized_stack, 0
	.set _ZN2at6native6mbtopk23computeBlockDigitCountsIhmjLi1EEEvNS_4cuda6detail10TensorInfoIKT_T0_EEjPjjS8_iijT1_PSB_Ps.has_recursion, 0
	.set _ZN2at6native6mbtopk23computeBlockDigitCountsIhmjLi1EEEvNS_4cuda6detail10TensorInfoIKT_T0_EEjPjjS8_iijT1_PSB_Ps.has_indirect_call, 0
	.section	.AMDGPU.csdata,"",@progbits
; Kernel info:
; codeLenInByte = 1016
; TotalNumSgprs: 26
; NumVgprs: 8
; ScratchSize: 0
; MemoryBound: 0
; FloatMode: 240
; IeeeMode: 1
; LDSByteSize: 1024 bytes/workgroup (compile time only)
; SGPRBlocks: 3
; VGPRBlocks: 1
; NumSGPRsForWavesPerEU: 26
; NumVGPRsForWavesPerEU: 8
; Occupancy: 10
; WaveLimiterHint : 1
; COMPUTE_PGM_RSRC2:SCRATCH_EN: 0
; COMPUTE_PGM_RSRC2:USER_SGPR: 6
; COMPUTE_PGM_RSRC2:TRAP_HANDLER: 0
; COMPUTE_PGM_RSRC2:TGID_X_EN: 1
; COMPUTE_PGM_RSRC2:TGID_Y_EN: 1
; COMPUTE_PGM_RSRC2:TGID_Z_EN: 1
; COMPUTE_PGM_RSRC2:TIDIG_COMP_CNT: 0
	.section	.text._ZN2at6native6mbtopk10gatherTopKIhmLi1EEEvNS_4cuda6detail10TensorInfoIKT_T0_EES8_S8_bjS8_NS5_IS6_S8_EES8_NS5_IlS8_EES8_jjPS6_PjSD_j,"axG",@progbits,_ZN2at6native6mbtopk10gatherTopKIhmLi1EEEvNS_4cuda6detail10TensorInfoIKT_T0_EES8_S8_bjS8_NS5_IS6_S8_EES8_NS5_IlS8_EES8_jjPS6_PjSD_j,comdat
	.protected	_ZN2at6native6mbtopk10gatherTopKIhmLi1EEEvNS_4cuda6detail10TensorInfoIKT_T0_EES8_S8_bjS8_NS5_IS6_S8_EES8_NS5_IlS8_EES8_jjPS6_PjSD_j ; -- Begin function _ZN2at6native6mbtopk10gatherTopKIhmLi1EEEvNS_4cuda6detail10TensorInfoIKT_T0_EES8_S8_bjS8_NS5_IS6_S8_EES8_NS5_IlS8_EES8_jjPS6_PjSD_j
	.globl	_ZN2at6native6mbtopk10gatherTopKIhmLi1EEEvNS_4cuda6detail10TensorInfoIKT_T0_EES8_S8_bjS8_NS5_IS6_S8_EES8_NS5_IlS8_EES8_jjPS6_PjSD_j
	.p2align	8
	.type	_ZN2at6native6mbtopk10gatherTopKIhmLi1EEEvNS_4cuda6detail10TensorInfoIKT_T0_EES8_S8_bjS8_NS5_IS6_S8_EES8_NS5_IlS8_EES8_jjPS6_PjSD_j,@function
_ZN2at6native6mbtopk10gatherTopKIhmLi1EEEvNS_4cuda6detail10TensorInfoIKT_T0_EES8_S8_bjS8_NS5_IS6_S8_EES8_NS5_IlS8_EES8_jjPS6_PjSD_j: ; @_ZN2at6native6mbtopk10gatherTopKIhmLi1EEEvNS_4cuda6detail10TensorInfoIKT_T0_EES8_S8_bjS8_NS5_IS6_S8_EES8_NS5_IlS8_EES8_jjPS6_PjSD_j
; %bb.0:
	s_load_dwordx2 s[0:1], s[4:5], 0x538
	s_load_dword s2, s[4:5], 0x530
	s_waitcnt lgkmcnt(0)
	s_mul_i32 s1, s1, s8
	s_add_i32 s1, s1, s7
	s_mul_i32 s0, s1, s0
	s_add_i32 s0, s0, s6
	s_cmp_ge_u32 s0, s2
	s_cbranch_scc1 .LBB119_42
; %bb.1:
	s_load_dwordx2 s[20:21], s[4:5], 0x510
	s_load_dwordx4 s[8:11], s[4:5], 0x1a0
	s_waitcnt lgkmcnt(0)
	v_cvt_f32_u32_e32 v1, s21
	s_sub_i32 s2, 0, s21
	s_lshl_b32 s1, s20, 8
	v_rcp_iflag_f32_e32 v1, v1
	v_mul_f32_e32 v1, 0x4f7ffffe, v1
	v_cvt_u32_f32_e32 v1, v1
	v_readfirstlane_b32 s3, v1
	s_mul_i32 s2, s2, s3
	s_mul_hi_u32 s2, s3, s2
	s_add_i32 s3, s3, s2
	s_mul_hi_u32 s2, s0, s3
	s_mul_i32 s3, s2, s21
	s_sub_i32 s3, s0, s3
	s_add_i32 s6, s2, 1
	s_sub_i32 s7, s3, s21
	s_cmp_ge_u32 s3, s21
	s_cselect_b32 s2, s6, s2
	s_cselect_b32 s3, s7, s3
	s_add_i32 s6, s2, 1
	s_cmp_ge_u32 s3, s21
	s_cselect_b32 s38, s6, s2
	s_mul_i32 s22, s38, s21
	s_sub_i32 s39, s0, s22
	s_add_i32 s0, s39, 1
	s_cmp_lt_u32 s0, s21
	s_mul_i32 s33, s39, s1
	s_cbranch_scc1 .LBB119_3
; %bb.2:
	s_sub_u32 s0, s8, s33
	s_subb_u32 s1, s9, 0
	s_add_u32 s0, s0, 0xff
	s_addc_u32 s1, s1, 0
	s_ashr_i32 s2, s1, 31
	s_lshr_b32 s2, s2, 24
	s_add_u32 s0, s0, s2
	s_addc_u32 s1, s1, 0
	s_lshr_b64 s[0:1], s[0:1], 8
	s_mov_b32 s20, s0
.LBB119_3:
	s_load_dwordx4 s[12:15], s[4:5], 0x518
	v_mov_b32_e32 v1, s38
	v_cmp_ne_u32_e64 s[0:1], 0, v0
	v_cmp_eq_u32_e64 s[2:3], 0, v0
	s_waitcnt lgkmcnt(0)
	global_load_ubyte v8, v1, s[12:13]
	s_load_dwordx2 s[6:7], s[4:5], 0x0
	s_load_dwordx2 s[28:29], s[4:5], 0xd0
	;; [unrolled: 1-line block ×4, first 2 shown]
	s_and_saveexec_b64 s[12:13], s[2:3]
	s_cbranch_execz .LBB119_19
; %bb.4:
	s_load_dwordx2 s[30:31], s[4:5], 0x528
	s_mov_b32 s23, 0
	s_lshl_b64 s[34:35], s[22:23], 2
	s_add_u32 s16, s14, s34
	s_addc_u32 s17, s15, s35
	s_waitcnt lgkmcnt(0)
	s_add_u32 s18, s30, s34
	s_addc_u32 s19, s31, s35
	s_mov_b32 s22, 0
	s_mov_b32 s40, 0
	s_cmp_lt_u32 s21, 4
	s_cbranch_scc1 .LBB119_16
; %bb.5:
	s_mov_b32 s41, 0
.LBB119_6:                              ; =>This Inner Loop Header: Depth=1
	s_add_u32 s36, s14, s34
	s_addc_u32 s37, s15, s35
	s_load_dwordx4 s[16:19], s[36:37], 0x0
	s_add_u32 s36, s30, s34
	s_addc_u32 s37, s31, s35
	s_cmp_ge_u32 s41, s39
	s_cbranch_scc0 .LBB119_13
; %bb.7:                                ;   in Loop: Header=BB119_6 Depth=1
	s_add_i32 s42, s41, 1
	s_cmp_ge_u32 s42, s39
	s_cbranch_scc0 .LBB119_14
.LBB119_8:                              ;   in Loop: Header=BB119_6 Depth=1
	s_add_i32 s42, s42, 1
	s_cmp_ge_u32 s42, s39
	s_cbranch_scc0 .LBB119_15
.LBB119_9:                              ;   in Loop: Header=BB119_6 Depth=1
	s_add_i32 s42, s42, 1
	s_cmp_ge_u32 s42, s39
	s_cbranch_scc1 .LBB119_11
.LBB119_10:                             ;   in Loop: Header=BB119_6 Depth=1
	s_load_dword s36, s[36:37], 0xc
	s_waitcnt lgkmcnt(0)
	s_add_i32 s23, s23, s19
	s_add_i32 s22, s36, s22
.LBB119_11:                             ;   in Loop: Header=BB119_6 Depth=1
	s_waitcnt lgkmcnt(0)
	s_add_i32 s16, s16, s40
	s_add_i32 s16, s16, s17
	;; [unrolled: 1-line block ×4, first 2 shown]
	s_add_u32 s14, s14, 16
	s_addc_u32 s15, s15, 0
	s_add_u32 s30, s30, 16
	s_addc_u32 s31, s31, 0
	s_add_i32 s37, s42, 4
	s_add_u32 s18, s30, s34
	s_addc_u32 s19, s31, s35
	s_add_u32 s16, s14, s34
	s_addc_u32 s17, s15, s35
	s_add_i32 s36, s42, 1
	s_cmp_ge_u32 s37, s21
	s_cbranch_scc1 .LBB119_17
; %bb.12:                               ;   in Loop: Header=BB119_6 Depth=1
	s_mov_b32 s41, s36
	s_branch .LBB119_6
.LBB119_13:                             ;   in Loop: Header=BB119_6 Depth=1
	s_load_dword s42, s[36:37], 0x0
	s_waitcnt lgkmcnt(0)
	s_add_i32 s23, s16, s23
	s_add_i32 s22, s42, s22
	;; [unrolled: 1-line block ×3, first 2 shown]
	s_cmp_ge_u32 s42, s39
	s_cbranch_scc1 .LBB119_8
.LBB119_14:                             ;   in Loop: Header=BB119_6 Depth=1
	s_load_dword s43, s[36:37], 0x4
	s_waitcnt lgkmcnt(0)
	s_add_i32 s23, s23, s17
	s_add_i32 s22, s43, s22
	;; [unrolled: 1-line block ×3, first 2 shown]
	s_cmp_ge_u32 s42, s39
	s_cbranch_scc1 .LBB119_9
.LBB119_15:                             ;   in Loop: Header=BB119_6 Depth=1
	s_load_dword s43, s[36:37], 0x8
	s_waitcnt lgkmcnt(0)
	s_add_i32 s23, s23, s18
	s_add_i32 s22, s43, s22
	;; [unrolled: 1-line block ×3, first 2 shown]
	s_cmp_ge_u32 s42, s39
	s_cbranch_scc0 .LBB119_10
	s_branch .LBB119_11
.LBB119_16:
	s_mov_b32 s14, 0
	s_cmp_ge_u32 s14, s21
	s_cbranch_scc0 .LBB119_40
	s_branch .LBB119_18
.LBB119_17:
	s_add_i32 s14, s41, 4
	s_cmp_ge_u32 s14, s21
	s_cbranch_scc0 .LBB119_40
.LBB119_18:
	v_mov_b32_e32 v1, s22
	v_mov_b32_e32 v2, s40
	;; [unrolled: 1-line block ×4, first 2 shown]
	ds_write_b96 v4, v[1:3] offset:1056
.LBB119_19:
	s_or_b64 exec, exec, s[12:13]
	s_load_dwordx4 s[12:15], s[4:5], 0x1b8
	s_load_dwordx4 s[16:19], s[4:5], 0x360
	s_cmp_eq_u32 s20, 0
	s_waitcnt vmcnt(0) lgkmcnt(0)
	s_barrier
	s_cbranch_scc1 .LBB119_42
; %bb.20:
	s_mul_i32 s23, s27, s38
	s_mul_hi_u32 s27, s26, s38
	v_mov_b32_e32 v5, 0
	s_mul_i32 s21, s29, s38
	s_mul_hi_u32 s22, s28, s38
	s_add_i32 s27, s27, s23
	s_mul_i32 s23, s25, s38
	s_mul_hi_u32 s25, s24, s38
	ds_read_b96 v[1:3], v5 offset:1056
	s_add_i32 s21, s22, s21
	s_mul_i32 s22, s28, s38
	s_add_i32 s25, s25, s23
	s_add_u32 s22, s6, s22
	s_mul_i32 s26, s26, s38
	s_addc_u32 s23, s7, s21
	s_mul_i32 s24, s24, s38
	s_add_u32 s14, s14, s26
	s_addc_u32 s15, s15, s27
	s_lshl_b64 s[6:7], s[24:25], 3
	s_waitcnt lgkmcnt(0)
	v_add_u32_e32 v1, v1, v2
	v_lshrrev_b32_e32 v2, 3, v0
	s_add_u32 s21, s18, s6
	s_load_dword s6, s[4:5], 0x1b0
	v_and_b32_e32 v2, 28, v2
	v_lshl_add_u32 v9, v0, 2, v2
	v_lshrrev_b32_e32 v2, 1, v0
	s_addc_u32 s26, s19, s7
	s_load_dwordx2 s[18:19], s[4:5], 0x508
	v_and_b32_e32 v10, 0x7c, v2
	v_add_u32_e32 v2, -1, v0
	v_lshrrev_b32_e32 v4, 3, v2
	v_and_b32_e32 v4, 0x1ffffffc, v4
	s_waitcnt lgkmcnt(0)
	s_bitcmp1_b32 s6, 0
	v_cmp_gt_u32_e64 s[6:7], 64, v0
	v_lshlrev_b32_e32 v11, 4, v0
	v_lshl_add_u32 v12, v2, 2, v4
	v_add_u32_e32 v4, s33, v0
	v_mbcnt_lo_u32_b32 v0, -1, 0
	s_cselect_b64 s[4:5], -1, 0
	v_mbcnt_hi_u32_b32 v0, -1, v0
                                        ; implicit-def: $vgpr13
	s_branch .LBB119_23
.LBB119_21:                             ;   in Loop: Header=BB119_23 Depth=1
	s_or_b64 exec, exec, s[24:25]
	v_add_u32_e32 v1, v2, v1
.LBB119_22:                             ;   in Loop: Header=BB119_23 Depth=1
	s_add_i32 s20, s20, -1
	v_add_u32_e32 v3, v14, v3
	s_cmp_lg_u32 s20, 0
	v_add_u32_e32 v4, 0x100, v4
	s_cbranch_scc0 .LBB119_42
.LBB119_23:                             ; =>This Inner Loop Header: Depth=1
	v_cmp_gt_u64_e32 vcc, s[8:9], v[4:5]
	v_mov_b32_e32 v2, v5
	v_mov_b32_e32 v6, v5
	s_and_saveexec_b64 s[24:25], vcc
	s_cbranch_execz .LBB119_25
; %bb.24:                               ;   in Loop: Header=BB119_23 Depth=1
	v_mov_b32_e32 v6, s22
	v_mov_b32_e32 v7, s23
	v_mad_u64_u32 v[6:7], s[28:29], s12, v4, v[6:7]
	v_mov_b32_e32 v2, v7
	v_mad_u64_u32 v[13:14], s[28:29], s13, v4, v[2:3]
	v_mov_b32_e32 v7, v13
	global_load_ubyte v13, v[6:7], off
	s_waitcnt vmcnt(0)
	v_cmp_gt_u16_sdwa s[28:29], v13, v8 src0_sel:DWORD src1_sel:BYTE_0
	v_cndmask_b32_e64 v2, 0, 1, s[28:29]
	v_cmp_lt_u16_sdwa s[28:29], v13, v8 src0_sel:DWORD src1_sel:BYTE_0
	v_cndmask_b32_e64 v6, 0, 1, s[28:29]
	v_cndmask_b32_e64 v2, v6, v2, s[4:5]
	v_cmp_eq_u16_sdwa s[28:29], v13, v8 src0_sel:DWORD src1_sel:BYTE_0
	v_and_b32_e32 v2, 1, v2
	v_cndmask_b32_e64 v6, 0, 1, s[28:29]
.LBB119_25:                             ;   in Loop: Header=BB119_23 Depth=1
	s_or_b64 exec, exec, s[24:25]
	ds_write_b32 v9, v2
	s_waitcnt vmcnt(0) lgkmcnt(0)
	s_barrier
	s_and_saveexec_b64 s[24:25], s[6:7]
	s_cbranch_execz .LBB119_27
; %bb.26:                               ;   in Loop: Header=BB119_23 Depth=1
	v_add_u32_e32 v7, v10, v11
	ds_read2_b32 v[14:15], v7 offset1:1
	ds_read2_b32 v[16:17], v7 offset0:2 offset1:3
	v_and_b32_e32 v18, 15, v0
	v_cmp_ne_u32_e32 vcc, 0, v18
	s_waitcnt lgkmcnt(1)
	v_add_u32_e32 v15, v15, v14
	s_waitcnt lgkmcnt(0)
	v_add3_u32 v15, v15, v16, v17
	v_bfe_i32 v17, v0, 4, 1
	; wave barrier
	s_nop 0
	v_mov_b32_dpp v16, v15 row_shr:1 row_mask:0xf bank_mask:0xf
	v_cndmask_b32_e32 v16, 0, v16, vcc
	v_add_u32_e32 v15, v16, v15
	v_cmp_lt_u32_e32 vcc, 1, v18
	s_nop 0
	v_mov_b32_dpp v16, v15 row_shr:2 row_mask:0xf bank_mask:0xf
	v_cndmask_b32_e32 v16, 0, v16, vcc
	v_add_u32_e32 v15, v15, v16
	v_cmp_lt_u32_e32 vcc, 3, v18
	;; [unrolled: 5-line block ×4, first 2 shown]
	s_nop 0
	v_mov_b32_dpp v16, v15 row_bcast:15 row_mask:0xf bank_mask:0xf
	v_and_b32_e32 v16, v17, v16
	v_add_u32_e32 v15, v15, v16
	v_and_b32_e32 v17, 64, v0
	s_nop 0
	v_mov_b32_dpp v16, v15 row_bcast:31 row_mask:0xf bank_mask:0xf
	v_cndmask_b32_e32 v16, 0, v16, vcc
	v_add_u32_e32 v15, v15, v16
	v_add_u32_e32 v16, -1, v0
	v_cmp_lt_i32_e32 vcc, v16, v17
	v_cndmask_b32_e32 v16, v16, v0, vcc
	v_lshlrev_b32_e32 v16, 2, v16
	ds_bpermute_b32 v15, v16, v15
	s_waitcnt lgkmcnt(0)
	v_add_u32_e32 v14, v15, v14
	v_cndmask_b32_e64 v16, v14, v2, s[2:3]
	ds_write_b32 v7, v16
	; wave barrier
	ds_read2_b32 v[14:15], v7 offset0:1 offset1:2
	ds_read_b32 v17, v7 offset:12
	s_waitcnt lgkmcnt(1)
	v_add_u32_e32 v14, v14, v16
	v_add_u32_e32 v15, v15, v14
	ds_write2_b32 v7, v14, v15 offset0:1 offset1:2
	s_waitcnt lgkmcnt(1)
	v_add_u32_e32 v14, v17, v15
	ds_write_b32 v7, v14 offset:12
.LBB119_27:                             ;   in Loop: Header=BB119_23 Depth=1
	s_or_b64 exec, exec, s[24:25]
	v_mov_b32_e32 v7, 0
	s_waitcnt lgkmcnt(0)
	s_barrier
	s_and_saveexec_b64 s[24:25], s[0:1]
; %bb.28:                               ;   in Loop: Header=BB119_23 Depth=1
	ds_read_b32 v7, v12
; %bb.29:                               ;   in Loop: Header=BB119_23 Depth=1
	s_or_b64 exec, exec, s[24:25]
	ds_read_b32 v14, v5 offset:1048
	v_cmp_ne_u32_e32 vcc, 0, v2
	s_waitcnt lgkmcnt(0)
	s_barrier
	s_and_saveexec_b64 s[24:25], vcc
	s_cbranch_execz .LBB119_31
; %bb.30:                               ;   in Loop: Header=BB119_23 Depth=1
	v_mov_b32_e32 v16, s15
	v_add_u32_e32 v7, v7, v3
	v_mov_b32_e32 v15, s14
	v_mad_u64_u32 v[15:16], s[28:29], s16, v7, v[15:16]
	v_mad_u64_u32 v[17:18], s[28:29], s18, v7, 0
	v_mov_b32_e32 v2, v16
	v_mad_u64_u32 v[19:20], s[28:29], s17, v7, v[2:3]
	v_mov_b32_e32 v2, v18
	v_mad_u64_u32 v[20:21], s[28:29], s19, v7, v[2:3]
	v_mov_b32_e32 v16, v19
	global_store_byte v[15:16], v13, off
	v_mov_b32_e32 v18, v20
	v_lshlrev_b64 v[15:16], 3, v[17:18]
	v_mov_b32_e32 v2, s26
	v_add_co_u32_e32 v15, vcc, s21, v15
	v_addc_co_u32_e32 v16, vcc, v2, v16, vcc
	global_store_dwordx2 v[15:16], v[4:5], off
.LBB119_31:                             ;   in Loop: Header=BB119_23 Depth=1
	s_or_b64 exec, exec, s[24:25]
	v_mov_b32_e32 v2, v5
	v_cmp_le_u64_e32 vcc, s[10:11], v[1:2]
	s_cbranch_vccnz .LBB119_22
; %bb.32:                               ;   in Loop: Header=BB119_23 Depth=1
	ds_write_b32 v9, v6
	s_waitcnt vmcnt(0) lgkmcnt(0)
	s_barrier
	s_and_saveexec_b64 s[24:25], s[6:7]
	s_cbranch_execz .LBB119_34
; %bb.33:                               ;   in Loop: Header=BB119_23 Depth=1
	v_add_u32_e32 v2, v10, v11
	ds_read2_b32 v[15:16], v2 offset1:1
	ds_read2_b32 v[17:18], v2 offset0:2 offset1:3
	v_and_b32_e32 v7, 15, v0
	v_cmp_ne_u32_e32 vcc, 0, v7
	s_waitcnt lgkmcnt(1)
	v_add_u32_e32 v16, v16, v15
	s_waitcnt lgkmcnt(0)
	v_add3_u32 v16, v16, v17, v18
	; wave barrier
	s_nop 1
	v_mov_b32_dpp v17, v16 row_shr:1 row_mask:0xf bank_mask:0xf
	v_cndmask_b32_e32 v17, 0, v17, vcc
	v_add_u32_e32 v16, v17, v16
	v_cmp_lt_u32_e32 vcc, 1, v7
	s_nop 0
	v_mov_b32_dpp v17, v16 row_shr:2 row_mask:0xf bank_mask:0xf
	v_cndmask_b32_e32 v17, 0, v17, vcc
	v_add_u32_e32 v16, v16, v17
	v_cmp_lt_u32_e32 vcc, 3, v7
	;; [unrolled: 5-line block ×3, first 2 shown]
	s_nop 0
	v_mov_b32_dpp v17, v16 row_shr:8 row_mask:0xf bank_mask:0xf
	v_cndmask_b32_e32 v7, 0, v17, vcc
	v_add_u32_e32 v7, v16, v7
	v_bfe_i32 v17, v0, 4, 1
	v_cmp_lt_u32_e32 vcc, 31, v0
	v_mov_b32_dpp v16, v7 row_bcast:15 row_mask:0xf bank_mask:0xf
	v_and_b32_e32 v16, v17, v16
	v_add_u32_e32 v7, v7, v16
	v_and_b32_e32 v17, 64, v0
	s_nop 0
	v_mov_b32_dpp v16, v7 row_bcast:31 row_mask:0xf bank_mask:0xf
	v_cndmask_b32_e32 v16, 0, v16, vcc
	v_add_u32_e32 v7, v7, v16
	v_add_u32_e32 v16, -1, v0
	v_cmp_lt_i32_e32 vcc, v16, v17
	v_cndmask_b32_e32 v16, v16, v0, vcc
	v_lshlrev_b32_e32 v16, 2, v16
	ds_bpermute_b32 v7, v16, v7
	s_waitcnt lgkmcnt(0)
	v_add_u32_e32 v7, v7, v15
	v_cndmask_b32_e64 v7, v7, v6, s[2:3]
	ds_write_b32 v2, v7
	; wave barrier
	ds_read2_b32 v[15:16], v2 offset0:1 offset1:2
	ds_read_b32 v17, v2 offset:12
	s_waitcnt lgkmcnt(1)
	v_add_u32_e32 v7, v15, v7
	v_add_u32_e32 v15, v16, v7
	ds_write2_b32 v2, v7, v15 offset0:1 offset1:2
	s_waitcnt lgkmcnt(1)
	v_add_u32_e32 v7, v17, v15
	ds_write_b32 v2, v7 offset:12
.LBB119_34:                             ;   in Loop: Header=BB119_23 Depth=1
	s_or_b64 exec, exec, s[24:25]
	v_mov_b32_e32 v7, 0
	s_waitcnt lgkmcnt(0)
	s_barrier
	s_and_saveexec_b64 s[24:25], s[0:1]
; %bb.35:                               ;   in Loop: Header=BB119_23 Depth=1
	ds_read_b32 v7, v12
; %bb.36:                               ;   in Loop: Header=BB119_23 Depth=1
	s_or_b64 exec, exec, s[24:25]
	ds_read_b32 v2, v5 offset:1048
	v_cmp_ne_u32_e32 vcc, 0, v6
	s_waitcnt lgkmcnt(0)
	s_barrier
	s_and_saveexec_b64 s[24:25], vcc
	s_cbranch_execz .LBB119_21
; %bb.37:                               ;   in Loop: Header=BB119_23 Depth=1
	v_add_u32_e32 v6, v7, v1
	v_mov_b32_e32 v7, v5
	v_cmp_gt_u64_e32 vcc, s[10:11], v[6:7]
	s_and_b64 exec, exec, vcc
	s_cbranch_execz .LBB119_21
; %bb.38:                               ;   in Loop: Header=BB119_23 Depth=1
	v_mov_b32_e32 v16, s15
	v_mov_b32_e32 v15, s14
	v_mad_u64_u32 v[15:16], s[28:29], s16, v6, v[15:16]
	v_mad_u64_u32 v[17:18], s[28:29], s18, v6, 0
	v_mov_b32_e32 v7, v16
	v_mad_u64_u32 v[19:20], s[28:29], s17, v6, v[7:8]
	v_mov_b32_e32 v7, v18
	;; [unrolled: 2-line block ×3, first 2 shown]
	global_store_byte v[15:16], v13, off
	v_mov_b32_e32 v18, v6
	v_lshlrev_b64 v[6:7], 3, v[17:18]
	v_mov_b32_e32 v15, s26
	v_add_co_u32_e32 v6, vcc, s21, v6
	v_addc_co_u32_e32 v7, vcc, v15, v7, vcc
	global_store_dwordx2 v[6:7], v[4:5], off
	s_branch .LBB119_21
.LBB119_39:                             ;   in Loop: Header=BB119_40 Depth=1
	s_add_u32 s16, s16, 4
	s_addc_u32 s17, s17, 0
	s_waitcnt lgkmcnt(0)
	s_add_i32 s40, s15, s40
	s_add_u32 s18, s18, 4
	s_addc_u32 s19, s19, 0
	s_add_i32 s14, s14, 1
	s_cmp_lt_u32 s14, s21
	s_cbranch_scc0 .LBB119_18
.LBB119_40:                             ; =>This Inner Loop Header: Depth=1
	s_load_dword s15, s[16:17], 0x0
	s_cmp_ge_u32 s14, s39
	s_cbranch_scc1 .LBB119_39
; %bb.41:                               ;   in Loop: Header=BB119_40 Depth=1
	s_load_dword s30, s[18:19], 0x0
	s_waitcnt lgkmcnt(0)
	s_add_i32 s23, s15, s23
	s_add_i32 s22, s30, s22
	s_branch .LBB119_39
.LBB119_42:
	s_endpgm
	.section	.rodata,"a",@progbits
	.p2align	6, 0x0
	.amdhsa_kernel _ZN2at6native6mbtopk10gatherTopKIhmLi1EEEvNS_4cuda6detail10TensorInfoIKT_T0_EES8_S8_bjS8_NS5_IS6_S8_EES8_NS5_IlS8_EES8_jjPS6_PjSD_j
		.amdhsa_group_segment_fixed_size 1068
		.amdhsa_private_segment_fixed_size 0
		.amdhsa_kernarg_size 1592
		.amdhsa_user_sgpr_count 6
		.amdhsa_user_sgpr_private_segment_buffer 1
		.amdhsa_user_sgpr_dispatch_ptr 0
		.amdhsa_user_sgpr_queue_ptr 0
		.amdhsa_user_sgpr_kernarg_segment_ptr 1
		.amdhsa_user_sgpr_dispatch_id 0
		.amdhsa_user_sgpr_flat_scratch_init 0
		.amdhsa_user_sgpr_private_segment_size 0
		.amdhsa_uses_dynamic_stack 0
		.amdhsa_system_sgpr_private_segment_wavefront_offset 0
		.amdhsa_system_sgpr_workgroup_id_x 1
		.amdhsa_system_sgpr_workgroup_id_y 1
		.amdhsa_system_sgpr_workgroup_id_z 1
		.amdhsa_system_sgpr_workgroup_info 0
		.amdhsa_system_vgpr_workitem_id 0
		.amdhsa_next_free_vgpr 22
		.amdhsa_next_free_sgpr 44
		.amdhsa_reserve_vcc 1
		.amdhsa_reserve_flat_scratch 0
		.amdhsa_float_round_mode_32 0
		.amdhsa_float_round_mode_16_64 0
		.amdhsa_float_denorm_mode_32 3
		.amdhsa_float_denorm_mode_16_64 3
		.amdhsa_dx10_clamp 1
		.amdhsa_ieee_mode 1
		.amdhsa_fp16_overflow 0
		.amdhsa_exception_fp_ieee_invalid_op 0
		.amdhsa_exception_fp_denorm_src 0
		.amdhsa_exception_fp_ieee_div_zero 0
		.amdhsa_exception_fp_ieee_overflow 0
		.amdhsa_exception_fp_ieee_underflow 0
		.amdhsa_exception_fp_ieee_inexact 0
		.amdhsa_exception_int_div_zero 0
	.end_amdhsa_kernel
	.section	.text._ZN2at6native6mbtopk10gatherTopKIhmLi1EEEvNS_4cuda6detail10TensorInfoIKT_T0_EES8_S8_bjS8_NS5_IS6_S8_EES8_NS5_IlS8_EES8_jjPS6_PjSD_j,"axG",@progbits,_ZN2at6native6mbtopk10gatherTopKIhmLi1EEEvNS_4cuda6detail10TensorInfoIKT_T0_EES8_S8_bjS8_NS5_IS6_S8_EES8_NS5_IlS8_EES8_jjPS6_PjSD_j,comdat
.Lfunc_end119:
	.size	_ZN2at6native6mbtopk10gatherTopKIhmLi1EEEvNS_4cuda6detail10TensorInfoIKT_T0_EES8_S8_bjS8_NS5_IS6_S8_EES8_NS5_IlS8_EES8_jjPS6_PjSD_j, .Lfunc_end119-_ZN2at6native6mbtopk10gatherTopKIhmLi1EEEvNS_4cuda6detail10TensorInfoIKT_T0_EES8_S8_bjS8_NS5_IS6_S8_EES8_NS5_IlS8_EES8_jjPS6_PjSD_j
                                        ; -- End function
	.set _ZN2at6native6mbtopk10gatherTopKIhmLi1EEEvNS_4cuda6detail10TensorInfoIKT_T0_EES8_S8_bjS8_NS5_IS6_S8_EES8_NS5_IlS8_EES8_jjPS6_PjSD_j.num_vgpr, 22
	.set _ZN2at6native6mbtopk10gatherTopKIhmLi1EEEvNS_4cuda6detail10TensorInfoIKT_T0_EES8_S8_bjS8_NS5_IS6_S8_EES8_NS5_IlS8_EES8_jjPS6_PjSD_j.num_agpr, 0
	.set _ZN2at6native6mbtopk10gatherTopKIhmLi1EEEvNS_4cuda6detail10TensorInfoIKT_T0_EES8_S8_bjS8_NS5_IS6_S8_EES8_NS5_IlS8_EES8_jjPS6_PjSD_j.numbered_sgpr, 44
	.set _ZN2at6native6mbtopk10gatherTopKIhmLi1EEEvNS_4cuda6detail10TensorInfoIKT_T0_EES8_S8_bjS8_NS5_IS6_S8_EES8_NS5_IlS8_EES8_jjPS6_PjSD_j.num_named_barrier, 0
	.set _ZN2at6native6mbtopk10gatherTopKIhmLi1EEEvNS_4cuda6detail10TensorInfoIKT_T0_EES8_S8_bjS8_NS5_IS6_S8_EES8_NS5_IlS8_EES8_jjPS6_PjSD_j.private_seg_size, 0
	.set _ZN2at6native6mbtopk10gatherTopKIhmLi1EEEvNS_4cuda6detail10TensorInfoIKT_T0_EES8_S8_bjS8_NS5_IS6_S8_EES8_NS5_IlS8_EES8_jjPS6_PjSD_j.uses_vcc, 1
	.set _ZN2at6native6mbtopk10gatherTopKIhmLi1EEEvNS_4cuda6detail10TensorInfoIKT_T0_EES8_S8_bjS8_NS5_IS6_S8_EES8_NS5_IlS8_EES8_jjPS6_PjSD_j.uses_flat_scratch, 0
	.set _ZN2at6native6mbtopk10gatherTopKIhmLi1EEEvNS_4cuda6detail10TensorInfoIKT_T0_EES8_S8_bjS8_NS5_IS6_S8_EES8_NS5_IlS8_EES8_jjPS6_PjSD_j.has_dyn_sized_stack, 0
	.set _ZN2at6native6mbtopk10gatherTopKIhmLi1EEEvNS_4cuda6detail10TensorInfoIKT_T0_EES8_S8_bjS8_NS5_IS6_S8_EES8_NS5_IlS8_EES8_jjPS6_PjSD_j.has_recursion, 0
	.set _ZN2at6native6mbtopk10gatherTopKIhmLi1EEEvNS_4cuda6detail10TensorInfoIKT_T0_EES8_S8_bjS8_NS5_IS6_S8_EES8_NS5_IlS8_EES8_jjPS6_PjSD_j.has_indirect_call, 0
	.section	.AMDGPU.csdata,"",@progbits
; Kernel info:
; codeLenInByte = 2144
; TotalNumSgprs: 48
; NumVgprs: 22
; ScratchSize: 0
; MemoryBound: 0
; FloatMode: 240
; IeeeMode: 1
; LDSByteSize: 1068 bytes/workgroup (compile time only)
; SGPRBlocks: 5
; VGPRBlocks: 5
; NumSGPRsForWavesPerEU: 48
; NumVGPRsForWavesPerEU: 22
; Occupancy: 10
; WaveLimiterHint : 1
; COMPUTE_PGM_RSRC2:SCRATCH_EN: 0
; COMPUTE_PGM_RSRC2:USER_SGPR: 6
; COMPUTE_PGM_RSRC2:TRAP_HANDLER: 0
; COMPUTE_PGM_RSRC2:TGID_X_EN: 1
; COMPUTE_PGM_RSRC2:TGID_Y_EN: 1
; COMPUTE_PGM_RSRC2:TGID_Z_EN: 1
; COMPUTE_PGM_RSRC2:TIDIG_COMP_CNT: 0
	.section	.text._ZN2at6native6sbtopk10gatherTopKIhmLi1ELb0EEEvNS_4cuda6detail10TensorInfoIKT_T0_EES8_S8_bS8_S8_NS5_IS6_S8_EES8_NS5_IlS8_EES8_PS6_,"axG",@progbits,_ZN2at6native6sbtopk10gatherTopKIhmLi1ELb0EEEvNS_4cuda6detail10TensorInfoIKT_T0_EES8_S8_bS8_S8_NS5_IS6_S8_EES8_NS5_IlS8_EES8_PS6_,comdat
	.protected	_ZN2at6native6sbtopk10gatherTopKIhmLi1ELb0EEEvNS_4cuda6detail10TensorInfoIKT_T0_EES8_S8_bS8_S8_NS5_IS6_S8_EES8_NS5_IlS8_EES8_PS6_ ; -- Begin function _ZN2at6native6sbtopk10gatherTopKIhmLi1ELb0EEEvNS_4cuda6detail10TensorInfoIKT_T0_EES8_S8_bS8_S8_NS5_IS6_S8_EES8_NS5_IlS8_EES8_PS6_
	.globl	_ZN2at6native6sbtopk10gatherTopKIhmLi1ELb0EEEvNS_4cuda6detail10TensorInfoIKT_T0_EES8_S8_bS8_S8_NS5_IS6_S8_EES8_NS5_IlS8_EES8_PS6_
	.p2align	8
	.type	_ZN2at6native6sbtopk10gatherTopKIhmLi1ELb0EEEvNS_4cuda6detail10TensorInfoIKT_T0_EES8_S8_bS8_S8_NS5_IS6_S8_EES8_NS5_IlS8_EES8_PS6_,@function
_ZN2at6native6sbtopk10gatherTopKIhmLi1ELb0EEEvNS_4cuda6detail10TensorInfoIKT_T0_EES8_S8_bS8_S8_NS5_IS6_S8_EES8_NS5_IlS8_EES8_PS6_: ; @_ZN2at6native6sbtopk10gatherTopKIhmLi1ELb0EEEvNS_4cuda6detail10TensorInfoIKT_T0_EES8_S8_bS8_S8_NS5_IS6_S8_EES8_NS5_IlS8_EES8_PS6_
; %bb.0:
	s_load_dwordx2 s[12:13], s[4:5], 0x520
	s_load_dwordx4 s[24:27], s[4:5], 0x1b8
	s_add_u32 s10, s4, 0x520
	s_addc_u32 s11, s5, 0
	s_mov_b32 s17, 0
	s_waitcnt lgkmcnt(0)
	s_mul_i32 s0, s13, s8
	s_add_i32 s0, s0, s7
	s_mul_i32 s0, s0, s12
	s_add_i32 s16, s0, s6
	v_mov_b32_e32 v1, s16
	v_mov_b32_e32 v2, s17
	v_cmp_le_u64_e32 vcc, s[24:25], v[1:2]
	s_cbranch_vccnz .LBB120_480
; %bb.1:
	s_load_dwordx2 s[0:1], s[4:5], 0x440
                                        ; implicit-def: $vgpr54 : SGPR spill to VGPR lane
	v_cmp_eq_u32_e64 s[14:15], 0, v0
	s_waitcnt lgkmcnt(0)
	v_writelane_b32 v54, s0, 0
	v_writelane_b32 v54, s1, 1
	s_load_dwordx2 s[0:1], s[4:5], 0x370
	s_waitcnt lgkmcnt(0)
	v_writelane_b32 v54, s0, 2
	v_writelane_b32 v54, s1, 3
	s_load_dwordx2 s[0:1], s[4:5], 0x298
	s_waitcnt lgkmcnt(0)
	v_writelane_b32 v54, s0, 4
	v_writelane_b32 v54, s1, 5
	s_load_dwordx4 s[28:31], s[4:5], 0x1a0
	s_load_dwordx2 s[0:1], s[4:5], 0x1c8
	s_waitcnt lgkmcnt(0)
	v_writelane_b32 v54, s0, 6
	v_writelane_b32 v54, s1, 7
	s_load_dwordx2 s[0:1], s[4:5], 0xd0
	s_load_dwordx2 s[8:9], s[4:5], 0x0
	s_mov_b64 s[2:3], exec
	v_writelane_b32 v54, s14, 8
	v_writelane_b32 v54, s15, 9
	s_and_b64 s[14:15], s[2:3], s[14:15]
	s_mov_b64 exec, s[14:15]
	s_cbranch_execz .LBB120_3
; %bb.2:
	v_mov_b32_e32 v1, 0
	v_mov_b32_e32 v3, s28
	;; [unrolled: 1-line block ×4, first 2 shown]
	ds_write_b32 v1, v1 offset:5144
	ds_write_b128 v1, v[1:4] offset:5120
.LBB120_3:
	s_or_b64 exec, exec, s[2:3]
	s_mov_b32 s14, s16
	s_waitcnt lgkmcnt(0)
	s_mul_i32 s1, s1, s16
	s_mul_hi_u32 s2, s0, s16
	v_writelane_b32 v54, s14, 10
	s_add_i32 s2, s2, s1
	v_writelane_b32 v54, s15, 11
	s_mul_i32 s0, s0, s16
	v_writelane_b32 v54, s0, 12
	s_add_u32 s46, s8, s0
	v_mad_u64_u32 v[4:5], s[0:1], s26, v0, 0
	v_mov_b32_e32 v1, 0xc00
	s_addc_u32 s47, s9, s2
	v_mov_b32_e32 v3, v5
	v_mad_u64_u32 v[6:7], s[0:1], s27, v0, v[3:4]
	v_mov_b32_e32 v2, 0
	v_cmp_gt_u64_e64 s[0:1], s[28:29], v[1:2]
	v_mov_b32_e32 v1, s47
	v_add_co_u32_e32 v12, vcc, s46, v4
	v_mov_b32_e32 v3, 0
	v_addc_co_u32_e32 v13, vcc, v1, v6, vcc
	v_add_u32_e32 v2, 2, v0
	v_cmp_gt_u64_e32 vcc, s[28:29], v[2:3]
	v_mov_b32_e32 v1, s29
	v_mov_b32_e32 v5, v6
	v_cndmask_b32_e32 v6, 0, v1, vcc
	v_mov_b32_e32 v1, s28
	v_cndmask_b32_e32 v1, v2, v1, vcc
	v_not_b32_e32 v2, v0
	v_writelane_b32 v54, s2, 13
	v_add_co_u32_e32 v1, vcc, v1, v2
	v_writelane_b32 v54, s0, 14
	v_addc_co_u32_e32 v2, vcc, -1, v6, vcc
	v_writelane_b32 v54, s1, 15
	v_cmp_lt_u64_e64 s[0:1], 3, v[1:2]
	v_and_b32_e32 v16, -4, v1
	v_writelane_b32 v54, s0, 16
	v_mov_b32_e32 v17, v2
	v_writelane_b32 v54, s1, 17
	v_cmp_ne_u64_e64 s[0:1], v[1:2], v[16:17]
	v_lshlrev_b32_e32 v14, 2, v0
	v_writelane_b32 v54, s0, 18
	v_or_b32_e32 v2, 3, v14
	v_writelane_b32 v54, s1, 19
	v_mad_u64_u32 v[18:19], s[0:1], s26, v2, 0
	v_or_b32_e32 v10, 2, v14
	v_mad_u64_u32 v[20:21], s[0:1], s26, v10, 0
	v_mbcnt_lo_u32_b32 v8, -1, 0
	v_mbcnt_hi_u32_b32 v31, -1, v8
	v_mov_b32_e32 v1, v19
	v_mov_b32_e32 v8, s26
	v_mad_u64_u32 v[1:2], s[0:1], s27, v2, v[1:2]
	v_mov_b32_e32 v9, s27
	v_mov_b32_e32 v2, v21
	v_mad_u64_u32 v[21:22], s[0:1], s26, v14, v[8:9]
	v_mad_u64_u32 v[8:9], s[0:1], s27, v10, v[2:3]
	v_mov_b32_e32 v2, v22
	v_mad_u64_u32 v[9:10], s[0:1], s27, v14, v[2:3]
	v_writelane_b32 v54, s4, 20
	s_load_dword s0, s[4:5], 0x1b0
	v_writelane_b32 v54, s5, 21
	v_cmp_gt_u32_e32 vcc, 64, v0
	v_cmp_gt_i32_e64 s[2:3], 4, v31
	v_mov_b32_e32 v32, v1
	s_waitcnt lgkmcnt(0)
	s_bitcmp1_b32 s0, 0
	s_cselect_b64 s[0:1], -1, 0
	v_writelane_b32 v54, s0, 22
	v_writelane_b32 v54, s1, 23
	s_xor_b64 s[0:1], s[0:1], -1
	v_writelane_b32 v54, s0, 24
	v_writelane_b32 v54, s1, 25
	s_and_b64 s[2:3], vcc, s[2:3]
	v_writelane_b32 v54, s2, 26
	v_mov_b32_e32 v1, v3
	v_writelane_b32 v54, s3, 27
	v_cmp_gt_u64_e64 s[2:3], s[28:29], v[0:1]
	v_writelane_b32 v54, s2, 28
	s_barrier
	v_writelane_b32 v54, s3, 29
	s_load_dword s2, s[10:11], 0xc
	v_cmp_gt_u32_e64 s[4:5], 2, v0
	v_writelane_b32 v54, s4, 30
	v_writelane_b32 v54, s5, 31
	v_lshlrev_b32_e32 v2, 2, v31
	s_waitcnt lgkmcnt(0)
	s_and_b32 s33, s2, 0xffff
	s_bfe_u32 s2, s2, 0xa0006
	s_cmp_gt_u32 s33, 63
	s_cselect_b64 s[4:5], -1, 0
	v_writelane_b32 v54, s4, 32
	s_add_u32 s3, s33, -1
	v_writelane_b32 v54, s5, 33
	s_addc_u32 s4, 0, -1
	v_writelane_b32 v54, s3, 34
	s_add_u32 s3, s3, s28
	v_writelane_b32 v54, s3, 35
	v_writelane_b32 v54, s4, 36
	s_addc_u32 s3, s4, s29
	v_writelane_b32 v54, s2, 37
	s_cmp_lt_u32 s6, s12
	v_writelane_b32 v54, s3, 38
	s_cselect_b32 s3, 12, 18
	s_add_u32 s4, s10, s3
	s_addc_u32 s5, s11, 0
	v_writelane_b32 v54, s4, 39
	s_add_i32 s3, s2, -1
	v_writelane_b32 v54, s5, 40
	s_bfe_u32 s4, s33, 0x30006
	s_and_b32 s3, s3, 0xffff
	s_cmp_gt_u32 s3, 6
	s_cselect_b64 s[6:7], -1, 0
	v_writelane_b32 v54, s6, 41
	s_and_b32 s52, s2, 0x3f8
	v_writelane_b32 v54, s7, 42
	s_cmp_lg_u32 s4, 0
	v_writelane_b32 v54, s4, 43
	s_cselect_b64 s[2:3], -1, 0
	v_writelane_b32 v54, s2, 44
	v_writelane_b32 v54, s3, 45
	s_mul_i32 s2, s27, s33
	s_mul_hi_u32 s3, s26, s33
	s_add_i32 s2, s3, s2
	v_writelane_b32 v54, s2, 46
	s_mul_i32 s2, s26, s33
	v_and_b32_e32 v30, 0x100, v2
	v_lshrrev_b32_e32 v2, 1, v0
	v_writelane_b32 v54, s2, 47
	s_mov_b32 s2, 0
	v_lshlrev_b64 v[6:7], v31, -1
	v_and_b32_e32 v2, 0x1e0, v2
	s_mov_b32 s56, s26
	v_writelane_b32 v54, s2, 48
	v_or_b32_e32 v35, 0xc00, v2
	s_mov_b32 s50, s27
	v_lshlrev_b64 v[22:23], 2, v[4:5]
	v_mov_b32_e32 v2, 0xc00
	v_mov_b32_e32 v24, s30
	v_writelane_b32 v54, s56, 49
	v_not_b32_e32 v28, v7
	v_not_b32_e32 v29, v6
	v_mov_b32_e32 v33, v8
	v_mov_b32_e32 v34, v9
	s_mov_b32 s51, 0
	v_cmp_eq_u32_e64 s[0:1], 0, v31
	v_mov_b32_e32 v15, v3
	s_mov_b32 s49, s26
	s_mov_b32 s48, s27
	;; [unrolled: 1-line block ×5, first 2 shown]
	s_lshl_b64 s[64:65], s[26:27], 2
	v_lshl_or_b32 v37, v31, 3, v2
	s_mov_b64 s[66:67], 0
	v_mov_b32_e32 v38, 0x4f800000
	v_mov_b32_e32 v39, 8
	;; [unrolled: 1-line block ×4, first 2 shown]
	v_add_co_u32_e32 v19, vcc, v16, v0
	v_mov_b32_e32 v25, s31
	v_mov_b32_e32 v40, 0
	v_writelane_b32 v54, s50, 50
                                        ; implicit-def: $sgpr68_sgpr69
                                        ; implicit-def: $sgpr70_sgpr71
                                        ; implicit-def: $sgpr74_sgpr75
                                        ; implicit-def: $sgpr76_sgpr77
                                        ; implicit-def: $sgpr72_sgpr73
                                        ; implicit-def: $sgpr78_sgpr79
                                        ; implicit-def: $sgpr80_sgpr81
                                        ; implicit-def: $sgpr82_sgpr83
                                        ; implicit-def: $sgpr84_sgpr85
                                        ; implicit-def: $sgpr86_sgpr87
	v_writelane_b32 v54, s12, 51
	s_branch .LBB120_6
.LBB120_4:                              ;   in Loop: Header=BB120_6 Depth=1
	s_or_b64 exec, exec, s[8:9]
	s_andn2_b64 s[8:9], s[86:87], exec
	s_and_b64 s[6:7], s[6:7], exec
	v_mov_b32_e32 v25, v5
	s_or_b64 s[86:87], s[8:9], s[6:7]
	s_andn2_b64 s[84:85], s[84:85], exec
	s_andn2_b64 s[82:83], s[82:83], exec
	;; [unrolled: 1-line block ×4, first 2 shown]
	s_orn2_b64 s[4:5], s[4:5], exec
	v_mov_b32_e32 v24, v4
.LBB120_5:                              ;   in Loop: Header=BB120_6 Depth=1
	s_or_b64 exec, exec, s[2:3]
	s_and_b64 s[2:3], exec, s[4:5]
	s_or_b64 s[66:67], s[2:3], s[66:67]
	s_andn2_b64 s[2:3], s[72:73], exec
	s_and_b64 s[4:5], s[86:87], exec
	s_or_b64 s[72:73], s[2:3], s[4:5]
	s_andn2_b64 s[2:3], s[76:77], exec
	s_and_b64 s[4:5], s[84:85], exec
	;; [unrolled: 3-line block ×5, first 2 shown]
	s_or_b64 s[68:69], s[2:3], s[4:5]
	s_andn2_b64 exec, exec, s[66:67]
	s_cbranch_execz .LBB120_476
.LBB120_6:                              ; =>This Loop Header: Depth=1
                                        ;     Child Loop BB120_11 Depth 2
                                        ;     Child Loop BB120_25 Depth 2
	;; [unrolled: 1-line block ×25, first 2 shown]
	ds_read_b128 v[4:7], v3 offset:5120
	s_waitcnt lgkmcnt(0)
	v_readfirstlane_b32 s39, v5
	v_readfirstlane_b32 s38, v4
	s_cmp_lg_u64 s[38:39], 0
	s_cbranch_scc1 .LBB120_38
; %bb.7:                                ;   in Loop: Header=BB120_6 Depth=1
	v_readlane_b32 s2, v54, 14
	v_readlane_b32 s3, v54, 15
	s_and_b64 vcc, exec, s[2:3]
	s_cbranch_vccz .LBB120_19
; %bb.8:                                ;   in Loop: Header=BB120_6 Depth=1
	s_mov_b64 s[2:3], 0xc01
	v_cmp_gt_u64_e32 vcc, s[2:3], v[6:7]
	s_mov_b64 s[2:3], 0
	s_and_b64 vcc, exec, vcc
	s_mov_b64 s[4:5], 0
	s_mov_b32 s19, s49
	s_mov_b32 s20, s48
	;; [unrolled: 1-line block ×3, first 2 shown]
	v_readlane_b32 s22, v54, 51
	s_cbranch_vccz .LBB120_20
; %bb.9:                                ;   in Loop: Header=BB120_6 Depth=1
	v_readlane_b32 s4, v54, 39
	v_readlane_b32 s5, v54, 40
	s_nop 4
	global_load_ushort v6, v3, s[4:5]
	global_load_ubyte v2, v[12:13], off
	v_mov_b32_e32 v4, s46
	v_mov_b32_e32 v5, s47
	s_mov_b64 s[8:9], 0
	s_waitcnt vmcnt(1)
	v_and_b32_e32 v8, 0xffff, v6
	v_readfirstlane_b32 s6, v6
	v_add_co_u32_e32 v6, vcc, v0, v8
	v_addc_co_u32_e64 v7, s[4:5], 0, 0, vcc
	v_mul_lo_u32 v7, s26, v7
	v_mul_lo_u32 v9, s27, v6
	v_mad_u64_u32 v[4:5], s[4:5], s26, v6, v[4:5]
	s_and_b32 s6, 0xffff, s6
	s_mul_i32 s4, s27, s6
	s_mul_hi_u32 s5, s26, s6
	v_add3_u32 v5, v9, v5, v7
	v_mov_b32_e32 v7, v1
	s_mul_i32 s16, s26, s6
	s_add_i32 s17, s5, s4
	v_mov_b32_e32 v6, v0
	s_branch .LBB120_11
.LBB120_10:                             ;   in Loop: Header=BB120_11 Depth=2
	s_or_b64 exec, exec, s[6:7]
	v_mov_b32_e32 v2, s17
	v_add_co_u32_e32 v4, vcc, s16, v4
	v_addc_co_u32_e32 v5, vcc, v5, v2, vcc
	v_mov_b32_e32 v2, v9
	s_andn2_b64 exec, exec, s[8:9]
	s_cbranch_execz .LBB120_93
.LBB120_11:                             ;   Parent Loop BB120_6 Depth=1
                                        ; =>  This Inner Loop Header: Depth=2
	v_add_co_u32_e32 v6, vcc, v6, v8
	v_addc_co_u32_e32 v7, vcc, 0, v7, vcc
	v_cmp_gt_u64_e64 s[6:7], s[28:29], v[6:7]
	v_cmp_le_u64_e32 vcc, s[28:29], v[6:7]
	s_waitcnt lgkmcnt(0)
	v_mov_b32_e32 v10, 0
	v_mov_b32_e32 v9, 0
	s_and_saveexec_b64 s[4:5], s[6:7]
	s_cbranch_execz .LBB120_13
; %bb.12:                               ;   in Loop: Header=BB120_11 Depth=2
	global_load_ubyte v9, v[4:5], off
.LBB120_13:                             ;   in Loop: Header=BB120_11 Depth=2
	s_or_b64 exec, exec, s[4:5]
	s_waitcnt vmcnt(0)
	v_and_b32_e32 v11, v2, v40
	v_cmp_eq_u32_sdwa s[4:5], v11, v36 src0_sel:BYTE_0 src1_sel:DWORD
	s_cmp_lg_u64 s[4:5], 0
	s_cselect_b64 s[6:7], -1, 0
	s_and_b64 s[6:7], s[0:1], s[6:7]
	s_and_saveexec_b64 s[10:11], s[6:7]
	s_cbranch_execz .LBB120_17
; %bb.14:                               ;   in Loop: Header=BB120_11 Depth=2
	s_mov_b64 s[14:15], exec
	v_mbcnt_lo_u32_b32 v10, s14, 0
	v_mbcnt_hi_u32_b32 v10, s15, v10
	s_bcnt1_i32_b64 s18, s[4:5]
	v_cmp_eq_u32_e64 s[6:7], 0, v10
                                        ; implicit-def: $vgpr11
	s_and_saveexec_b64 s[12:13], s[6:7]
; %bb.15:                               ;   in Loop: Header=BB120_11 Depth=2
	s_bcnt1_i32_b64 s6, s[14:15]
	s_mul_i32 s6, s18, s6
	v_mov_b32_e32 v11, s6
	ds_add_rtn_u32 v11, v3, v11 offset:5144
; %bb.16:                               ;   in Loop: Header=BB120_11 Depth=2
	s_or_b64 exec, exec, s[12:13]
	s_waitcnt lgkmcnt(0)
	v_readfirstlane_b32 s6, v11
	v_mov_b32_e32 v11, s6
	v_mad_u32_u24 v10, s18, v10, v11
.LBB120_17:                             ;   in Loop: Header=BB120_11 Depth=2
	s_or_b64 exec, exec, s[10:11]
	ds_bpermute_b32 v10, v30, v10
	s_and_b64 s[6:7], exec, vcc
	s_or_b64 s[8:9], s[6:7], s[8:9]
	s_and_saveexec_b64 s[6:7], s[4:5]
	s_cbranch_execz .LBB120_10
; %bb.18:                               ;   in Loop: Header=BB120_11 Depth=2
	v_and_b32_e32 v26, s4, v29
	v_and_b32_e32 v11, s5, v28
	v_bcnt_u32_b32 v26, v26, 0
	v_bcnt_u32_b32 v11, v11, v26
	s_waitcnt lgkmcnt(0)
	v_add_u32_e32 v10, v10, v11
	ds_write_b8 v10, v2
	s_branch .LBB120_10
.LBB120_19:                             ;   in Loop: Header=BB120_6 Depth=1
	s_mov_b64 s[2:3], -1
	s_mov_b64 s[4:5], 0
	s_mov_b32 s19, s49
	s_mov_b32 s20, s48
	;; [unrolled: 1-line block ×3, first 2 shown]
	v_readlane_b32 s22, v54, 51
.LBB120_20:                             ;   in Loop: Header=BB120_6 Depth=1
	s_and_b64 vcc, exec, s[2:3]
	s_cbranch_vccz .LBB120_36
.LBB120_21:                             ;   in Loop: Header=BB120_6 Depth=1
	s_mov_b64 s[2:3], exec
	v_readlane_b32 s4, v54, 28
	v_readlane_b32 s5, v54, 29
	s_and_b64 s[4:5], s[2:3], s[4:5]
	s_mov_b64 exec, s[4:5]
	s_cbranch_execz .LBB120_33
; %bb.22:                               ;   in Loop: Header=BB120_6 Depth=1
	v_readlane_b32 s4, v54, 39
	v_readlane_b32 s5, v54, 40
	s_nop 4
	global_load_ushort v2, v3, s[4:5]
	global_load_ubyte v42, v[12:13], off
	v_mov_b32_e32 v6, v0
	s_waitcnt vmcnt(1)
	v_readfirstlane_b32 s4, v2
	v_add_u32_sdwa v2, v2, v0 dst_sel:DWORD dst_unused:UNUSED_PAD src0_sel:WORD_0 src1_sel:DWORD
	v_cmp_gt_u64_e32 vcc, s[28:29], v[2:3]
	s_and_saveexec_b64 s[8:9], vcc
	s_cbranch_execz .LBB120_32
; %bb.23:                               ;   in Loop: Header=BB120_6 Depth=1
	s_and_b32 s12, s4, 0xffff
	s_cmp_eq_u32 s12, 1
	v_readlane_b32 s6, v54, 16
                                        ; implicit-def: $vgpr6_vgpr7
	s_cselect_b64 s[4:5], -1, 0
	v_readlane_b32 s7, v54, 17
	v_mov_b32_e32 v8, v1
	v_mov_b32_e32 v5, v3
	s_and_b64 s[4:5], s[6:7], s[4:5]
	s_mov_b64 s[10:11], -1
	v_mov_b32_e32 v7, v0
	v_mov_b32_e32 v4, v2
	s_and_saveexec_b64 s[6:7], s[4:5]
	s_cbranch_execz .LBB120_27
; %bb.24:                               ;   in Loop: Header=BB120_6 Depth=1
	v_add_co_u32_e32 v8, vcc, 3, v2
	v_addc_co_u32_e64 v9, s[4:5], 0, 0, vcc
	v_add_co_u32_e32 v6, vcc, 2, v2
	v_addc_co_u32_e64 v7, s[4:5], 0, 0, vcc
	;; [unrolled: 2-line block ×3, first 2 shown]
	v_mov_b32_e32 v27, v17
	v_mov_b32_e32 v11, v9
	s_waitcnt vmcnt(0)
	v_lshlrev_b32_e32 v44, 24, v42
	s_mov_b64 s[10:11], 0
	v_mov_b32_e32 v26, v16
	v_mov_b32_e32 v43, v0
	;; [unrolled: 1-line block ×9, first 2 shown]
	s_mov_b32 s13, 0xc0c0004
.LBB120_25:                             ;   Parent Loop BB120_6 Depth=1
                                        ; =>  This Inner Loop Header: Depth=2
	v_mul_lo_u32 v42, v9, s19
	v_mul_lo_u32 v47, v8, s20
	v_mad_u64_u32 v[45:46], s[4:5], v8, s19, 0
	v_mul_lo_u32 v48, v7, s26
	v_mul_lo_u32 v49, v6, s27
	v_add3_u32 v42, v46, v47, v42
	v_mad_u64_u32 v[46:47], s[4:5], v6, s26, 0
	v_mul_lo_u32 v51, v4, s50
	v_mul_lo_u32 v53, v11, s21
	v_add3_u32 v50, v47, v49, v48
	v_mul_lo_u32 v49, v5, s56
	v_mad_u64_u32 v[47:48], s[4:5], v4, s56, 0
	v_add3_u32 v48, v48, v51, v49
	v_add_co_u32_e32 v47, vcc, s46, v47
	v_mov_b32_e32 v51, s47
	v_addc_co_u32_e32 v48, vcc, v51, v48, vcc
	v_add_co_u32_e32 v49, vcc, s46, v46
	v_addc_co_u32_e32 v50, vcc, v51, v50, vcc
	v_add_co_u32_e32 v45, vcc, s46, v45
	v_addc_co_u32_e32 v46, vcc, v51, v42, vcc
	v_mov_b32_e32 v52, s47
	v_mov_b32_e32 v51, s46
	v_mad_u64_u32 v[51:52], s[4:5], v10, s21, v[51:52]
	v_mul_lo_u32 v42, v10, s22
	v_add_co_u32_e32 v10, vcc, 4, v10
	v_addc_co_u32_e32 v11, vcc, 0, v11, vcc
	v_add3_u32 v52, v53, v52, v42
	global_load_ubyte v42, v[51:52], off
	s_nop 0
	global_load_ubyte v49, v[49:50], off
	s_nop 0
	global_load_ubyte v47, v[47:48], off
	v_add_co_u32_e32 v8, vcc, 4, v8
	global_load_ubyte v45, v[45:46], off
	v_addc_co_u32_e32 v9, vcc, 0, v9, vcc
	v_add_co_u32_e32 v6, vcc, 4, v6
	v_addc_co_u32_e32 v7, vcc, 0, v7, vcc
	v_add_co_u32_e32 v4, vcc, 4, v4
	v_addc_co_u32_e32 v5, vcc, 0, v5, vcc
	v_add_co_u32_e32 v26, vcc, -4, v26
	s_mov_b32 s4, 0xc0c0007
	v_addc_co_u32_e32 v27, vcc, -1, v27, vcc
	v_cmp_eq_u64_e32 vcc, 0, v[26:27]
	s_or_b64 s[10:11], vcc, s[10:11]
	s_waitcnt vmcnt(1)
	v_perm_b32 v48, v47, v49, s13
	v_perm_b32 v44, v44, v47, s4
	s_waitcnt vmcnt(0)
	v_perm_b32 v46, v45, v42, s13
	v_perm_b32 v45, v49, v45, s13
	v_lshl_or_b32 v46, v46, 16, v48
	v_lshl_or_b32 v44, v45, 16, v44
	ds_write_b32 v43, v44
	v_add_u32_e32 v43, 4, v43
	v_mov_b32_e32 v44, v46
	s_andn2_b64 exec, exec, s[10:11]
	s_cbranch_execnz .LBB120_25
; %bb.26:                               ;   in Loop: Header=BB120_6 Depth=1
	s_or_b64 exec, exec, s[10:11]
	v_readlane_b32 s4, v54, 18
	v_add_co_u32_e32 v4, vcc, v2, v16
	v_readlane_b32 s5, v54, 19
	v_addc_co_u32_e32 v5, vcc, 0, v17, vcc
	v_add_co_u32_e32 v6, vcc, -1, v4
	s_orn2_b64 s[10:11], s[4:5], exec
	v_mov_b32_e32 v7, v19
	v_mov_b32_e32 v8, v20
.LBB120_27:                             ;   in Loop: Header=BB120_6 Depth=1
	s_or_b64 exec, exec, s[6:7]
	s_and_saveexec_b64 s[4:5], s[10:11]
	s_cbranch_execz .LBB120_31
; %bb.28:                               ;   in Loop: Header=BB120_6 Depth=1
	v_mov_b32_e32 v8, s46
	v_mov_b32_e32 v9, s47
	v_mad_u64_u32 v[9:10], s[6:7], s26, v4, v[8:9]
	v_mul_lo_u32 v2, s26, v5
	v_mul_lo_u32 v6, s27, v4
	s_mul_i32 s6, s27, s12
	s_mul_hi_u32 s7, s26, s12
	s_mov_b64 s[10:11], 0
	s_sub_u32 s13, 0, s12
	v_add3_u32 v10, v6, v10, v2
	s_add_i32 s14, s7, s6
.LBB120_29:                             ;   Parent Loop BB120_6 Depth=1
                                        ; =>  This Inner Loop Header: Depth=2
	global_load_ubyte v2, v[9:10], off
	v_mov_b32_e32 v27, v5
	v_mov_b32_e32 v26, v4
	v_add_co_u32_e32 v4, vcc, s12, v26
	s_mul_i32 s6, s26, s12
	v_addc_co_u32_e32 v5, vcc, 0, v27, vcc
	v_mov_b32_e32 v6, s14
	v_add_co_u32_e32 v9, vcc, s6, v9
	v_addc_co_u32_e32 v10, vcc, v10, v6, vcc
	v_cmp_le_u64_e32 vcc, s[28:29], v[4:5]
	s_waitcnt vmcnt(1)
	ds_write_b8 v7, v42
	v_mov_b32_e32 v7, v26
	v_add_co_u32_e64 v6, s[6:7], s13, v4
	s_or_b64 s[10:11], vcc, s[10:11]
	v_mov_b32_e32 v8, v27
	s_waitcnt vmcnt(0)
	v_mov_b32_e32 v42, v2
	s_andn2_b64 exec, exec, s[10:11]
	s_cbranch_execnz .LBB120_29
; %bb.30:                               ;   in Loop: Header=BB120_6 Depth=1
	s_or_b64 exec, exec, s[10:11]
	v_mov_b32_e32 v42, v2
.LBB120_31:                             ;   in Loop: Header=BB120_6 Depth=1
	s_or_b64 exec, exec, s[4:5]
.LBB120_32:                             ;   in Loop: Header=BB120_6 Depth=1
	s_or_b64 exec, exec, s[8:9]
	s_waitcnt vmcnt(0)
	ds_write_b8 v6, v42
.LBB120_33:                             ;   in Loop: Header=BB120_6 Depth=1
	s_or_b64 exec, exec, s[2:3]
	s_waitcnt lgkmcnt(0)
	s_barrier
	s_mov_b64 s[2:3], exec
	v_readlane_b32 s4, v54, 8
	v_readlane_b32 s5, v54, 9
	s_and_b64 s[4:5], s[2:3], s[4:5]
	s_mov_b64 exec, s[4:5]
; %bb.34:                               ;   in Loop: Header=BB120_6 Depth=1
	v_mov_b32_e32 v4, s28
	v_mov_b32_e32 v5, s29
	ds_write_b64 v3, v[4:5] offset:5120
; %bb.35:                               ;   in Loop: Header=BB120_6 Depth=1
	s_or_b64 exec, exec, s[2:3]
	s_mov_b64 s[4:5], -1
	s_waitcnt lgkmcnt(0)
	s_barrier
.LBB120_36:                             ;   in Loop: Header=BB120_6 Depth=1
	s_mov_b64 s[38:39], 0
	s_and_b64 vcc, exec, s[4:5]
	s_cbranch_vccz .LBB120_38
; %bb.37:                               ;   in Loop: Header=BB120_6 Depth=1
	ds_read_b64 v[4:5], v3 offset:5120
	s_waitcnt lgkmcnt(0)
	v_readfirstlane_b32 s38, v4
.LBB120_38:                             ;   in Loop: Header=BB120_6 Depth=1
	s_cmp_lt_i32 s38, 1
	s_mov_b64 s[2:3], -1
                                        ; implicit-def: $vgpr10_vgpr11
                                        ; implicit-def: $vgpr6_vgpr7
	s_cbranch_scc0 .LBB120_53
; %bb.39:                               ;   in Loop: Header=BB120_6 Depth=1
	v_readlane_b32 s2, v54, 39
	v_readlane_b32 s3, v54, 40
	s_nop 4
	global_load_ushort v2, v3, s[2:3]
	s_mov_b32 s2, s51
	s_waitcnt vmcnt(0)
	v_readfirstlane_b32 s3, v2
	s_and_b32 s10, s3, 0xffff
	s_lshl_b32 s8, s10, 2
	s_mov_b32 s3, s29
	s_cmp_lg_u64 s[2:3], 0
	s_cbranch_scc0 .LBB120_71
; %bb.40:                               ;   in Loop: Header=BB120_6 Depth=1
	v_cvt_f32_u32_e32 v2, s8
	s_sub_u32 s4, 0, s8
	s_subb_u32 s5, 0, 0
	v_mac_f32_e32 v2, 0, v38
	v_rcp_f32_e32 v2, v2
	v_mul_f32_e32 v2, 0x5f7ffffc, v2
	v_mul_f32_e32 v4, 0x2f800000, v2
	v_trunc_f32_e32 v4, v4
	v_mac_f32_e32 v2, 0xcf800000, v4
	v_cvt_u32_f32_e32 v4, v4
	v_cvt_u32_f32_e32 v2, v2
	v_readfirstlane_b32 s6, v4
	v_readfirstlane_b32 s2, v2
	s_mul_i32 s3, s4, s6
	s_mul_hi_u32 s9, s4, s2
	s_mul_i32 s7, s5, s2
	s_add_i32 s3, s9, s3
	s_mul_i32 s11, s4, s2
	s_add_i32 s3, s3, s7
	s_mul_hi_u32 s9, s2, s11
	s_mul_i32 s12, s2, s3
	s_mul_hi_u32 s7, s2, s3
	s_add_u32 s9, s9, s12
	s_addc_u32 s7, 0, s7
	s_mul_hi_u32 s13, s6, s11
	s_mul_i32 s11, s6, s11
	s_add_u32 s9, s9, s11
	s_mul_hi_u32 s12, s6, s3
	s_addc_u32 s7, s7, s13
	s_addc_u32 s9, s12, 0
	s_mul_i32 s3, s6, s3
	s_add_u32 s3, s7, s3
	s_addc_u32 s7, 0, s9
	s_add_u32 s9, s2, s3
	s_cselect_b64 s[2:3], -1, 0
	s_cmp_lg_u64 s[2:3], 0
	s_addc_u32 s6, s6, s7
	s_mul_i32 s2, s4, s6
	s_mul_hi_u32 s3, s4, s9
	s_add_i32 s2, s3, s2
	s_mul_i32 s5, s5, s9
	s_add_i32 s2, s2, s5
	s_mul_i32 s4, s4, s9
	s_mul_hi_u32 s5, s6, s4
	s_mul_i32 s7, s6, s4
	s_mul_i32 s12, s9, s2
	s_mul_hi_u32 s4, s9, s4
	s_mul_hi_u32 s11, s9, s2
	s_add_u32 s4, s4, s12
	s_addc_u32 s11, 0, s11
	s_add_u32 s4, s4, s7
	s_mul_hi_u32 s3, s6, s2
	s_addc_u32 s4, s11, s5
	s_addc_u32 s3, s3, 0
	s_mul_i32 s2, s6, s2
	s_add_u32 s2, s4, s2
	s_addc_u32 s4, 0, s3
	s_add_u32 s5, s9, s2
	s_cselect_b64 s[2:3], -1, 0
	s_cmp_lg_u64 s[2:3], 0
	s_addc_u32 s2, s6, s4
	s_mul_i32 s4, s28, s2
	s_mul_hi_u32 s6, s28, s5
	s_mul_hi_u32 s3, s28, s2
	s_add_u32 s4, s6, s4
	s_addc_u32 s3, 0, s3
	s_mul_hi_u32 s7, s29, s5
	s_mul_i32 s5, s29, s5
	s_add_u32 s4, s4, s5
	s_mul_hi_u32 s6, s29, s2
	s_addc_u32 s3, s3, s7
	s_addc_u32 s4, s6, 0
	s_mul_i32 s2, s29, s2
	s_add_u32 s2, s3, s2
	s_addc_u32 s3, 0, s4
	s_mul_i32 s3, s8, s3
	s_mul_hi_u32 s4, s8, s2
	s_add_i32 s4, s4, s3
	s_mul_i32 s2, s8, s2
	s_sub_u32 s5, s28, s2
	s_cselect_b64 s[2:3], -1, 0
	s_cmp_lg_u64 s[2:3], 0
	s_subb_u32 s4, s29, s4
	s_sub_u32 s6, s5, s8
	s_cselect_b64 s[2:3], -1, 0
	s_cmp_lg_u64 s[2:3], 0
	s_subb_u32 s7, s4, 0
	;; [unrolled: 4-line block ×3, first 2 shown]
	s_cmp_ge_u32 s6, s8
	s_cselect_b32 s3, -1, 0
	s_cmp_eq_u32 s7, 0
	s_cselect_b32 s3, s3, -1
	s_cmp_lg_u32 s3, 0
	s_cselect_b32 s2, s2, s7
	s_cselect_b32 s6, s9, s6
	s_cmp_ge_u32 s5, s8
	s_cselect_b32 s3, -1, 0
	s_cmp_eq_u32 s4, 0
	s_cselect_b32 s3, s3, -1
	s_cmp_lg_u32 s3, 0
	s_cselect_b32 s3, s2, s4
	s_cselect_b32 s2, s6, s5
	s_cbranch_execnz .LBB120_42
.LBB120_41:                             ;   in Loop: Header=BB120_6 Depth=1
	v_cvt_f32_u32_e32 v2, s8
	s_sub_i32 s2, 0, s8
	v_rcp_iflag_f32_e32 v2, v2
	v_mul_f32_e32 v2, 0x4f7ffffe, v2
	v_cvt_u32_f32_e32 v2, v2
	v_readfirstlane_b32 s3, v2
	s_mul_i32 s2, s2, s3
	s_mul_hi_u32 s2, s3, s2
	s_add_i32 s3, s3, s2
	s_mul_hi_u32 s2, s28, s3
	s_mul_i32 s2, s2, s8
	s_sub_i32 s2, s28, s2
	s_sub_i32 s3, s2, s8
	s_cmp_ge_u32 s2, s8
	s_cselect_b32 s2, s3, s2
	s_sub_i32 s3, s2, s8
	s_cmp_ge_u32 s2, s8
	s_cselect_b32 s50, s3, s2
	s_mov_b64 s[2:3], s[50:51]
	v_readlane_b32 s50, v54, 50
.LBB120_42:                             ;   in Loop: Header=BB120_6 Depth=1
	s_sub_u32 s2, s28, s2
	s_subb_u32 s3, s29, s3
	v_cmp_gt_u64_e32 vcc, s[2:3], v[14:15]
	v_mov_b32_e32 v4, 0
	v_mov_b32_e32 v6, 0
	v_mov_b32_e32 v8, 0
	v_mov_b32_e32 v10, 0
	v_mov_b32_e32 v5, 0
	v_mov_b32_e32 v7, 0
	v_mov_b32_e32 v9, 0
	v_mov_b32_e32 v11, 0
	s_and_saveexec_b64 s[12:13], vcc
	s_cbranch_execz .LBB120_46
; %bb.43:                               ;   in Loop: Header=BB120_6 Depth=1
	s_mul_i32 s4, s65, s10
	s_mul_hi_u32 s5, s64, s10
	v_mov_b32_e32 v27, v15
	s_add_i32 s4, s5, s4
	s_mov_b64 s[14:15], 0
	s_mov_b64 s[20:21], s[46:47]
	;; [unrolled: 1-line block ×6, first 2 shown]
	v_mov_b32_e32 v26, v14
.LBB120_44:                             ;   Parent Loop BB120_6 Depth=1
                                        ; =>  This Inner Loop Header: Depth=2
	v_add_co_u32_e32 v4, vcc, s20, v22
	v_mov_b32_e32 v2, s21
	v_addc_co_u32_e32 v5, vcc, v2, v23, vcc
	global_load_ubyte v6, v[4:5], off
	v_add_co_u32_e32 v4, vcc, s20, v21
	v_addc_co_u32_e32 v5, vcc, v2, v34, vcc
	global_load_ubyte v7, v[4:5], off
	v_add_co_u32_e32 v4, vcc, s20, v20
	;; [unrolled: 3-line block ×3, first 2 shown]
	v_addc_co_u32_e32 v5, vcc, v2, v32, vcc
	global_load_ubyte v2, v[4:5], off
	s_waitcnt vmcnt(3)
	v_and_b32_e32 v4, v40, v6
	v_cmp_eq_u32_e32 vcc, v4, v36
	s_waitcnt vmcnt(2)
	v_and_b32_e32 v4, v40, v7
	v_cmp_eq_u32_e64 s[6:7], v4, v36
	v_bfe_u32 v5, v7, s53, 2
	s_waitcnt vmcnt(1)
	v_and_b32_e32 v4, v40, v8
	v_cmp_eq_u32_e64 s[18:19], v4, v36
	s_waitcnt vmcnt(0)
	v_and_b32_e32 v4, v40, v2
	v_cmp_eq_u32_e64 s[22:23], v4, v36
	v_bfe_u32 v4, v6, s53, 2
	v_cmp_eq_u32_e64 s[24:25], 0, v4
	v_bfe_u32 v6, v8, s53, 2
	s_and_b64 s[16:17], vcc, s[24:25]
	v_cmp_eq_u32_e64 s[24:25], 0, v5
	v_bfe_u32 v2, v2, s53, 2
	s_and_b64 s[36:37], s[6:7], s[24:25]
	v_cmp_eq_u32_e64 s[24:25], 0, v6
	s_and_b64 s[54:55], s[18:19], s[24:25]
	v_cmp_eq_u32_e64 s[24:25], 0, v2
	v_cndmask_b32_e64 v7, 0, 1, s[16:17]
	s_and_b64 s[58:59], s[22:23], s[24:25]
	v_cmp_ne_u32_e64 s[24:25], 0, v7
	v_cndmask_b32_e64 v7, 0, 1, s[36:37]
	s_bcnt1_i32_b64 s5, s[24:25]
	v_cmp_ne_u32_e64 s[24:25], 0, v7
	v_cndmask_b32_e64 v7, 0, 1, s[54:55]
	s_bcnt1_i32_b64 s9, s[24:25]
	;; [unrolled: 3-line block ×3, first 2 shown]
	v_cmp_ne_u32_e64 s[24:25], 0, v7
	s_bcnt1_i32_b64 s16, s[24:25]
	s_add_u32 s5, s5, s44
	s_addc_u32 s17, 0, s45
	s_add_u32 s5, s5, s9
	s_addc_u32 s9, s17, 0
	;; [unrolled: 2-line block ×3, first 2 shown]
	s_add_u32 s44, s5, s16
	v_cmp_eq_u32_e64 s[24:25], 1, v4
	s_addc_u32 s45, s9, 0
	s_and_b64 s[16:17], vcc, s[24:25]
	v_cmp_eq_u32_e64 s[24:25], 1, v5
	s_and_b64 s[36:37], s[6:7], s[24:25]
	v_cmp_eq_u32_e64 s[24:25], 1, v6
	s_and_b64 s[54:55], s[18:19], s[24:25]
	v_cmp_eq_u32_e64 s[24:25], 1, v2
	v_cndmask_b32_e64 v7, 0, 1, s[16:17]
	s_and_b64 s[58:59], s[22:23], s[24:25]
	v_cmp_ne_u32_e64 s[24:25], 0, v7
	v_cndmask_b32_e64 v7, 0, 1, s[36:37]
	s_bcnt1_i32_b64 s5, s[24:25]
	v_cmp_ne_u32_e64 s[24:25], 0, v7
	v_cndmask_b32_e64 v7, 0, 1, s[54:55]
	s_bcnt1_i32_b64 s9, s[24:25]
	;; [unrolled: 3-line block ×3, first 2 shown]
	v_cmp_ne_u32_e64 s[24:25], 0, v7
	s_bcnt1_i32_b64 s16, s[24:25]
	s_add_u32 s5, s5, s42
	s_addc_u32 s17, 0, s43
	s_add_u32 s5, s5, s9
	s_addc_u32 s9, s17, 0
	;; [unrolled: 2-line block ×3, first 2 shown]
	s_add_u32 s42, s5, s16
	v_cmp_eq_u32_e64 s[24:25], 2, v4
	s_addc_u32 s43, s9, 0
	s_and_b64 s[16:17], vcc, s[24:25]
	v_cmp_eq_u32_e64 s[24:25], 2, v5
	s_and_b64 s[36:37], s[6:7], s[24:25]
	v_cmp_eq_u32_e64 s[24:25], 2, v6
	s_and_b64 s[54:55], s[18:19], s[24:25]
	v_cmp_eq_u32_e64 s[24:25], 2, v2
	v_cndmask_b32_e64 v7, 0, 1, s[16:17]
	s_and_b64 s[58:59], s[22:23], s[24:25]
	v_cmp_ne_u32_e64 s[24:25], 0, v7
	v_cndmask_b32_e64 v7, 0, 1, s[36:37]
	s_bcnt1_i32_b64 s5, s[24:25]
	v_cmp_ne_u32_e64 s[24:25], 0, v7
	v_cndmask_b32_e64 v7, 0, 1, s[54:55]
	s_bcnt1_i32_b64 s9, s[24:25]
	;; [unrolled: 3-line block ×3, first 2 shown]
	v_cmp_ne_u32_e64 s[24:25], 0, v7
	s_bcnt1_i32_b64 s16, s[24:25]
	s_add_u32 s5, s5, s40
	s_addc_u32 s17, 0, s41
	s_add_u32 s5, s5, s9
	s_addc_u32 s9, s17, 0
	;; [unrolled: 2-line block ×3, first 2 shown]
	s_add_u32 s40, s5, s16
	v_cmp_eq_u32_e64 s[24:25], 3, v4
	s_addc_u32 s41, s9, 0
	s_and_b64 s[16:17], vcc, s[24:25]
	v_cmp_eq_u32_e32 vcc, 3, v5
	s_and_b64 s[6:7], s[6:7], vcc
	v_cmp_eq_u32_e32 vcc, 3, v6
	s_and_b64 s[18:19], s[18:19], vcc
	v_cmp_eq_u32_e32 vcc, 3, v2
	v_cndmask_b32_e64 v2, 0, 1, s[16:17]
	s_and_b64 s[22:23], s[22:23], vcc
	v_cmp_ne_u32_e32 vcc, 0, v2
	v_cndmask_b32_e64 v2, 0, 1, s[6:7]
	s_bcnt1_i32_b64 s5, vcc
	v_cmp_ne_u32_e32 vcc, 0, v2
	v_cndmask_b32_e64 v2, 0, 1, s[18:19]
	s_bcnt1_i32_b64 s6, vcc
	;; [unrolled: 3-line block ×3, first 2 shown]
	v_cmp_ne_u32_e32 vcc, 0, v2
	s_bcnt1_i32_b64 s9, vcc
	s_add_u32 s5, s5, s34
	s_addc_u32 s11, 0, s35
	s_add_u32 s5, s5, s6
	s_addc_u32 s6, s11, 0
	;; [unrolled: 2-line block ×3, first 2 shown]
	s_add_u32 s34, s5, s9
	v_add_co_u32_e32 v26, vcc, s8, v26
	s_addc_u32 s35, s6, 0
	v_addc_co_u32_e32 v27, vcc, 0, v27, vcc
	s_mul_i32 s5, s64, s10
	s_add_u32 s20, s20, s5
	v_cmp_le_u64_e32 vcc, s[2:3], v[26:27]
	s_addc_u32 s21, s21, s4
	v_mov_b32_e32 v4, s44
	v_mov_b32_e32 v6, s42
	;; [unrolled: 1-line block ×4, first 2 shown]
	s_or_b64 s[14:15], vcc, s[14:15]
	v_mov_b32_e32 v5, s45
	v_mov_b32_e32 v7, s43
	;; [unrolled: 1-line block ×4, first 2 shown]
	s_andn2_b64 exec, exec, s[14:15]
	s_cbranch_execnz .LBB120_44
; %bb.45:                               ;   in Loop: Header=BB120_6 Depth=1
	s_or_b64 exec, exec, s[14:15]
.LBB120_46:                             ;   in Loop: Header=BB120_6 Depth=1
	s_or_b64 exec, exec, s[12:13]
	v_mov_b32_e32 v2, s3
	v_add_co_u32_e32 v26, vcc, s2, v0
	v_addc_co_u32_e32 v27, vcc, 0, v2, vcc
	v_cmp_gt_u64_e32 vcc, s[28:29], v[26:27]
	s_and_saveexec_b64 s[2:3], vcc
	s_cbranch_execz .LBB120_52
; %bb.47:                               ;   in Loop: Header=BB120_6 Depth=1
	v_mov_b32_e32 v42, s46
	v_mov_b32_e32 v43, s47
	v_mad_u64_u32 v[42:43], s[4:5], v26, s26, v[42:43]
	v_mul_lo_u32 v2, v26, s27
	v_mul_lo_u32 v44, v27, s26
	s_mov_b64 s[8:9], 0
	v_add3_u32 v43, v44, v43, v2
	global_load_ubyte v42, v[42:43], off
	s_branch .LBB120_49
.LBB120_48:                             ;   in Loop: Header=BB120_49 Depth=2
	s_or_b64 exec, exec, s[4:5]
	s_waitcnt vmcnt(0)
	v_and_b32_e32 v42, 0xff, v42
	s_and_b64 s[4:5], exec, vcc
	v_and_b32_e32 v43, v40, v42
	v_bfe_u32 v42, v42, s53, 2
	s_or_b64 s[8:9], s[4:5], s[8:9]
	v_cmp_eq_u32_e32 vcc, v43, v36
	v_cmp_eq_u32_e64 s[6:7], 0, v42
	s_and_b64 s[4:5], vcc, s[6:7]
	v_cndmask_b32_e64 v43, 0, 1, s[4:5]
	v_cmp_ne_u32_e64 s[6:7], 0, v43
	s_bcnt1_i32_b64 s4, s[6:7]
	v_add_co_u32_e64 v4, s[6:7], s4, v4
	v_addc_co_u32_e64 v5, s[6:7], 0, v5, s[6:7]
	v_cmp_eq_u32_e64 s[6:7], 1, v42
	s_and_b64 s[4:5], vcc, s[6:7]
	v_cndmask_b32_e64 v43, 0, 1, s[4:5]
	v_cmp_ne_u32_e64 s[6:7], 0, v43
	s_bcnt1_i32_b64 s4, s[6:7]
	v_add_co_u32_e64 v6, s[6:7], s4, v6
	v_addc_co_u32_e64 v7, s[6:7], 0, v7, s[6:7]
	;; [unrolled: 7-line block ×3, first 2 shown]
	v_cmp_eq_u32_e64 s[6:7], 3, v42
	s_and_b64 s[4:5], vcc, s[6:7]
	v_cndmask_b32_e64 v42, 0, 1, s[4:5]
	v_cmp_ne_u32_e32 vcc, 0, v42
	s_bcnt1_i32_b64 s4, vcc
	v_add_co_u32_e32 v10, vcc, s4, v10
	v_addc_co_u32_e32 v11, vcc, 0, v11, vcc
	v_mov_b32_e32 v42, v2
	s_andn2_b64 exec, exec, s[8:9]
	s_cbranch_execz .LBB120_51
.LBB120_49:                             ;   Parent Loop BB120_6 Depth=1
                                        ; =>  This Inner Loop Header: Depth=2
	v_add_co_u32_e32 v26, vcc, s10, v26
	v_addc_co_u32_e32 v27, vcc, 0, v27, vcc
	v_cmp_gt_u64_e64 s[6:7], s[28:29], v[26:27]
	v_cmp_le_u64_e32 vcc, s[28:29], v[26:27]
	v_mov_b32_e32 v2, 0
	s_and_saveexec_b64 s[4:5], s[6:7]
	s_cbranch_execz .LBB120_48
; %bb.50:                               ;   in Loop: Header=BB120_49 Depth=2
	v_mov_b32_e32 v43, s46
	v_mov_b32_e32 v44, s47
	v_mad_u64_u32 v[43:44], s[6:7], v26, s26, v[43:44]
	v_mul_lo_u32 v2, v26, s27
	v_mul_lo_u32 v45, v27, s26
	v_add3_u32 v44, v45, v44, v2
	global_load_ubyte v2, v[43:44], off
	s_branch .LBB120_48
.LBB120_51:                             ;   in Loop: Header=BB120_6 Depth=1
	s_or_b64 exec, exec, s[8:9]
.LBB120_52:                             ;   in Loop: Header=BB120_6 Depth=1
	s_or_b64 exec, exec, s[2:3]
	s_mov_b64 s[2:3], 0
.LBB120_53:                             ;   in Loop: Header=BB120_6 Depth=1
	s_and_b64 vcc, exec, s[2:3]
	s_cbranch_vccz .LBB120_63
; %bb.54:                               ;   in Loop: Header=BB120_6 Depth=1
	v_readlane_b32 s2, v54, 39
	v_readlane_b32 s3, v54, 40
	v_mov_b32_e32 v8, 0
	v_mov_b32_e32 v9, 0
	s_nop 2
	global_load_ushort v2, v3, s[2:3]
	s_waitcnt vmcnt(0)
	v_readfirstlane_b32 s2, v2
	s_and_b32 s4, 0xffff, s2
	s_lshl_b32 s5, s4, 2
	v_cvt_f32_u32_e32 v4, s5
	s_sub_i32 s2, 0, s5
	v_rcp_iflag_f32_e32 v6, v4
	v_mov_b32_e32 v4, 0
	v_mov_b32_e32 v5, 0
	v_mul_f32_e32 v6, 0x4f7ffffe, v6
	v_cvt_u32_f32_e32 v10, v6
	v_mov_b32_e32 v6, 0
	v_mov_b32_e32 v7, 0
	v_readfirstlane_b32 s3, v10
	s_mul_i32 s2, s2, s3
	s_mul_hi_u32 s2, s3, s2
	s_add_i32 s3, s3, s2
	s_mul_hi_u32 s2, s38, s3
	s_mul_i32 s3, s2, s5
	s_sub_i32 s3, s38, s3
	s_add_i32 s6, s2, 1
	s_sub_i32 s7, s3, s5
	s_cmp_ge_u32 s3, s5
	s_cselect_b32 s2, s6, s2
	s_cselect_b32 s3, s7, s3
	s_add_i32 s6, s2, 1
	s_cmp_ge_u32 s3, s5
	s_cselect_b32 s2, s6, s2
	s_mul_hi_u32 s3, s4, s2
	s_mul_i32 s2, s4, s2
	s_lshl_b64 s[12:13], s[2:3], 2
	v_cmp_gt_u64_e32 vcc, s[12:13], v[14:15]
	v_mov_b32_e32 v10, 0
	v_mov_b32_e32 v11, 0
	s_and_saveexec_b64 s[14:15], vcc
	s_cbranch_execz .LBB120_58
; %bb.55:                               ;   in Loop: Header=BB120_6 Depth=1
	v_mov_b32_e32 v27, v15
	s_mov_b64 s[20:21], 0
	v_mov_b32_e32 v42, v14
	s_mov_b64 s[34:35], 0
	s_mov_b64 s[40:41], 0
	;; [unrolled: 1-line block ×4, first 2 shown]
	v_mov_b32_e32 v26, v14
.LBB120_56:                             ;   Parent Loop BB120_6 Depth=1
                                        ; =>  This Inner Loop Header: Depth=2
	ds_read_b32 v4, v42
	v_add_u32_e32 v42, s5, v42
	s_waitcnt lgkmcnt(0)
	v_and_b32_e32 v6, 0xff, v4
	v_bfe_u32 v7, v4, 8, 8
	v_and_b32_e32 v8, v40, v6
	v_bfe_u32 v6, v6, s53, 2
	v_lshrrev_b32_e32 v5, 24, v4
	v_bfe_u32 v4, v4, 16, 8
	v_cmp_eq_u32_e32 vcc, v8, v36
	v_and_b32_e32 v8, v40, v7
	v_bfe_u32 v7, v7, s53, 2
	v_cmp_eq_u32_e64 s[24:25], 0, v6
	v_cmp_eq_u32_e64 s[6:7], v8, v36
	v_and_b32_e32 v8, v40, v4
	v_bfe_u32 v4, v4, s53, 2
	s_and_b64 s[8:9], vcc, s[24:25]
	v_cmp_eq_u32_e64 s[24:25], 0, v7
	v_cmp_eq_u32_e64 s[18:19], v8, v36
	v_and_b32_e32 v8, v40, v5
	v_bfe_u32 v5, v5, s53, 2
	s_and_b64 s[10:11], s[6:7], s[24:25]
	v_cmp_eq_u32_e64 s[24:25], 0, v4
	v_cmp_eq_u32_e64 s[22:23], v8, v36
	s_and_b64 s[16:17], s[18:19], s[24:25]
	v_cmp_eq_u32_e64 s[24:25], 0, v5
	v_cndmask_b32_e64 v8, 0, 1, s[8:9]
	s_and_b64 s[36:37], s[22:23], s[24:25]
	v_cmp_ne_u32_e64 s[24:25], 0, v8
	v_cndmask_b32_e64 v8, 0, 1, s[10:11]
	s_bcnt1_i32_b64 s3, s[24:25]
	v_cmp_ne_u32_e64 s[24:25], 0, v8
	v_cndmask_b32_e64 v8, 0, 1, s[16:17]
	s_bcnt1_i32_b64 s8, s[24:25]
	;; [unrolled: 3-line block ×3, first 2 shown]
	v_cmp_ne_u32_e64 s[24:25], 0, v8
	s_bcnt1_i32_b64 s10, s[24:25]
	s_add_u32 s3, s3, s44
	s_addc_u32 s11, 0, s45
	s_add_u32 s3, s3, s8
	s_addc_u32 s8, s11, 0
	;; [unrolled: 2-line block ×3, first 2 shown]
	s_add_u32 s44, s3, s10
	v_cmp_eq_u32_e64 s[24:25], 1, v6
	s_addc_u32 s45, s8, 0
	s_and_b64 s[8:9], vcc, s[24:25]
	v_cmp_eq_u32_e64 s[24:25], 1, v7
	s_and_b64 s[10:11], s[6:7], s[24:25]
	v_cmp_eq_u32_e64 s[24:25], 1, v4
	s_and_b64 s[16:17], s[18:19], s[24:25]
	v_cmp_eq_u32_e64 s[24:25], 1, v5
	v_cndmask_b32_e64 v8, 0, 1, s[8:9]
	s_and_b64 s[36:37], s[22:23], s[24:25]
	v_cmp_ne_u32_e64 s[24:25], 0, v8
	v_cndmask_b32_e64 v8, 0, 1, s[10:11]
	s_bcnt1_i32_b64 s3, s[24:25]
	v_cmp_ne_u32_e64 s[24:25], 0, v8
	v_cndmask_b32_e64 v8, 0, 1, s[16:17]
	s_bcnt1_i32_b64 s8, s[24:25]
	;; [unrolled: 3-line block ×3, first 2 shown]
	v_cmp_ne_u32_e64 s[24:25], 0, v8
	s_bcnt1_i32_b64 s10, s[24:25]
	s_add_u32 s3, s3, s42
	s_addc_u32 s11, 0, s43
	s_add_u32 s3, s3, s8
	s_addc_u32 s8, s11, 0
	;; [unrolled: 2-line block ×3, first 2 shown]
	s_add_u32 s42, s3, s10
	v_cmp_eq_u32_e64 s[24:25], 2, v6
	s_addc_u32 s43, s8, 0
	s_and_b64 s[8:9], vcc, s[24:25]
	v_cmp_eq_u32_e64 s[24:25], 2, v7
	s_and_b64 s[10:11], s[6:7], s[24:25]
	v_cmp_eq_u32_e64 s[24:25], 2, v4
	s_and_b64 s[16:17], s[18:19], s[24:25]
	v_cmp_eq_u32_e64 s[24:25], 2, v5
	v_cndmask_b32_e64 v8, 0, 1, s[8:9]
	s_and_b64 s[36:37], s[22:23], s[24:25]
	v_cmp_ne_u32_e64 s[24:25], 0, v8
	v_cndmask_b32_e64 v8, 0, 1, s[10:11]
	s_bcnt1_i32_b64 s3, s[24:25]
	v_cmp_ne_u32_e64 s[24:25], 0, v8
	v_cndmask_b32_e64 v8, 0, 1, s[16:17]
	s_bcnt1_i32_b64 s8, s[24:25]
	;; [unrolled: 3-line block ×3, first 2 shown]
	v_cmp_ne_u32_e64 s[24:25], 0, v8
	s_bcnt1_i32_b64 s10, s[24:25]
	s_add_u32 s3, s3, s40
	s_addc_u32 s11, 0, s41
	s_add_u32 s3, s3, s8
	s_addc_u32 s8, s11, 0
	;; [unrolled: 2-line block ×3, first 2 shown]
	s_add_u32 s40, s3, s10
	v_cmp_eq_u32_e64 s[24:25], 3, v6
	s_addc_u32 s41, s8, 0
	s_and_b64 s[8:9], vcc, s[24:25]
	v_cmp_eq_u32_e32 vcc, 3, v7
	s_and_b64 s[6:7], s[6:7], vcc
	v_cmp_eq_u32_e32 vcc, 3, v4
	s_and_b64 s[10:11], s[18:19], vcc
	v_cmp_eq_u32_e32 vcc, 3, v5
	v_cndmask_b32_e64 v4, 0, 1, s[8:9]
	s_and_b64 s[16:17], s[22:23], vcc
	v_cmp_ne_u32_e32 vcc, 0, v4
	v_cndmask_b32_e64 v4, 0, 1, s[6:7]
	s_bcnt1_i32_b64 s3, vcc
	v_cmp_ne_u32_e32 vcc, 0, v4
	v_cndmask_b32_e64 v4, 0, 1, s[10:11]
	s_bcnt1_i32_b64 s6, vcc
	;; [unrolled: 3-line block ×3, first 2 shown]
	v_cmp_ne_u32_e32 vcc, 0, v4
	s_bcnt1_i32_b64 s8, vcc
	s_add_u32 s3, s3, s34
	s_addc_u32 s9, 0, s35
	s_add_u32 s3, s3, s6
	s_addc_u32 s6, s9, 0
	s_add_u32 s3, s3, s7
	v_add_co_u32_e32 v26, vcc, s5, v26
	s_addc_u32 s6, s6, 0
	v_addc_co_u32_e32 v27, vcc, 0, v27, vcc
	s_add_u32 s34, s3, s8
	v_cmp_le_u64_e32 vcc, s[12:13], v[26:27]
	s_addc_u32 s35, s6, 0
	v_mov_b32_e32 v4, s44
	v_mov_b32_e32 v6, s42
	;; [unrolled: 1-line block ×4, first 2 shown]
	s_or_b64 s[20:21], vcc, s[20:21]
	v_mov_b32_e32 v5, s45
	v_mov_b32_e32 v7, s43
	;; [unrolled: 1-line block ×4, first 2 shown]
	s_andn2_b64 exec, exec, s[20:21]
	s_cbranch_execnz .LBB120_56
; %bb.57:                               ;   in Loop: Header=BB120_6 Depth=1
	s_or_b64 exec, exec, s[20:21]
.LBB120_58:                             ;   in Loop: Header=BB120_6 Depth=1
	s_or_b64 exec, exec, s[14:15]
	v_mov_b32_e32 v27, s13
	v_add_co_u32_e32 v26, vcc, s12, v0
	s_and_b32 s50, s38, 0x7fffffff
	v_addc_co_u32_e32 v27, vcc, 0, v27, vcc
	v_cmp_gt_u64_e32 vcc, s[50:51], v[26:27]
	s_and_saveexec_b64 s[8:9], vcc
	s_cbranch_execz .LBB120_62
; %bb.59:                               ;   in Loop: Header=BB120_6 Depth=1
	v_lshl_add_u32 v42, s2, 2, v0
	s_mov_b64 s[2:3], 0
.LBB120_60:                             ;   Parent Loop BB120_6 Depth=1
                                        ; =>  This Inner Loop Header: Depth=2
	ds_read_u8 v43, v42
	v_add_u32_e32 v42, s4, v42
	s_waitcnt lgkmcnt(0)
	v_and_b32_e32 v44, v40, v43
	v_bfe_u32 v43, v43, s53, 2
	v_cmp_eq_u32_e32 vcc, v44, v36
	v_cmp_eq_u32_e64 s[6:7], 0, v43
	s_and_b64 s[6:7], vcc, s[6:7]
	v_cndmask_b32_e64 v44, 0, 1, s[6:7]
	v_cmp_ne_u32_e64 s[6:7], 0, v44
	s_bcnt1_i32_b64 s5, s[6:7]
	v_add_co_u32_e64 v4, s[6:7], s5, v4
	v_addc_co_u32_e64 v5, s[6:7], 0, v5, s[6:7]
	v_cmp_eq_u32_e64 s[6:7], 1, v43
	s_and_b64 s[6:7], vcc, s[6:7]
	v_cndmask_b32_e64 v44, 0, 1, s[6:7]
	v_cmp_ne_u32_e64 s[6:7], 0, v44
	s_bcnt1_i32_b64 s5, s[6:7]
	v_add_co_u32_e64 v6, s[6:7], s5, v6
	v_addc_co_u32_e64 v7, s[6:7], 0, v7, s[6:7]
	;; [unrolled: 7-line block ×3, first 2 shown]
	v_cmp_eq_u32_e64 s[6:7], 3, v43
	s_and_b64 s[6:7], vcc, s[6:7]
	v_cndmask_b32_e64 v43, 0, 1, s[6:7]
	v_cmp_ne_u32_e32 vcc, 0, v43
	s_bcnt1_i32_b64 s5, vcc
	v_add_co_u32_e32 v10, vcc, s5, v10
	v_addc_co_u32_e32 v11, vcc, 0, v11, vcc
	v_add_co_u32_sdwa v26, vcc, v26, v2 dst_sel:DWORD dst_unused:UNUSED_PAD src0_sel:DWORD src1_sel:WORD_0
	v_addc_co_u32_e32 v27, vcc, 0, v27, vcc
	v_cmp_le_u64_e32 vcc, s[50:51], v[26:27]
	s_or_b64 s[2:3], vcc, s[2:3]
	s_andn2_b64 exec, exec, s[2:3]
	s_cbranch_execnz .LBB120_60
; %bb.61:                               ;   in Loop: Header=BB120_6 Depth=1
	s_or_b64 exec, exec, s[2:3]
.LBB120_62:                             ;   in Loop: Header=BB120_6 Depth=1
	s_or_b64 exec, exec, s[8:9]
	v_readlane_b32 s50, v54, 50
.LBB120_63:                             ;   in Loop: Header=BB120_6 Depth=1
	v_readlane_b32 s2, v54, 48
	s_lshl_b32 s4, s2, 6
	s_and_saveexec_b64 s[2:3], s[0:1]
	s_cbranch_execz .LBB120_65
; %bb.64:                               ;   in Loop: Header=BB120_6 Depth=1
	v_lshl_add_u32 v2, s4, 3, v35
	ds_write_b128 v2, v[4:7]
	ds_write_b128 v2, v[8:11] offset:16
.LBB120_65:                             ;   in Loop: Header=BB120_6 Depth=1
	s_or_b64 exec, exec, s[2:3]
	s_waitcnt lgkmcnt(0)
	s_barrier
	s_mov_b64 s[2:3], exec
	v_readlane_b32 s6, v54, 26
	v_readlane_b32 s7, v54, 27
	s_and_b64 s[6:7], s[2:3], s[6:7]
	s_mov_b64 exec, s[6:7]
	s_cbranch_execz .LBB120_77
; %bb.66:                               ;   in Loop: Header=BB120_6 Depth=1
	v_readlane_b32 s6, v54, 32
	v_mov_b32_e32 v4, 0
	v_readlane_b32 s7, v54, 33
	v_mov_b32_e32 v5, 0
	s_andn2_b64 vcc, exec, s[6:7]
	s_cbranch_vccnz .LBB120_76
; %bb.67:                               ;   in Loop: Header=BB120_6 Depth=1
	v_readlane_b32 s6, v54, 41
	v_readlane_b32 s7, v54, 42
	s_andn2_b64 vcc, exec, s[6:7]
	s_cbranch_vccnz .LBB120_72
; %bb.68:                               ;   in Loop: Header=BB120_6 Depth=1
	v_readlane_b32 s5, v54, 48
	v_mov_b32_e32 v4, 0
	v_lshl_add_u32 v2, s5, 9, v37
	v_mov_b32_e32 v5, 0
	s_mov_b32 s5, 0
.LBB120_69:                             ;   Parent Loop BB120_6 Depth=1
                                        ; =>  This Inner Loop Header: Depth=2
	ds_read2_b64 v[6:9], v2 offset1:4
	s_add_i32 s5, s5, 8
	s_cmp_eq_u32 s52, s5
	s_waitcnt lgkmcnt(0)
	v_add_co_u32_e32 v4, vcc, v6, v4
	v_addc_co_u32_e32 v5, vcc, v7, v5, vcc
	v_add_co_u32_e32 v8, vcc, v8, v4
	v_addc_co_u32_e32 v9, vcc, v9, v5, vcc
	ds_read2_b64 v[4:7], v2 offset0:8 offset1:12
	s_waitcnt lgkmcnt(0)
	v_add_co_u32_e32 v4, vcc, v4, v8
	v_addc_co_u32_e32 v5, vcc, v5, v9, vcc
	v_add_co_u32_e32 v8, vcc, v6, v4
	v_addc_co_u32_e32 v9, vcc, v7, v5, vcc
	ds_read2_b64 v[4:7], v2 offset0:16 offset1:20
	s_waitcnt lgkmcnt(0)
	v_add_co_u32_e32 v4, vcc, v4, v8
	v_addc_co_u32_e32 v5, vcc, v5, v9, vcc
	v_add_co_u32_e32 v8, vcc, v6, v4
	v_addc_co_u32_e32 v9, vcc, v7, v5, vcc
	ds_read2_b64 v[4:7], v2 offset0:24 offset1:28
	v_add_u32_e32 v2, 0x100, v2
	s_waitcnt lgkmcnt(0)
	v_add_co_u32_e32 v4, vcc, v4, v8
	v_addc_co_u32_e32 v5, vcc, v5, v9, vcc
	v_add_co_u32_e32 v4, vcc, v6, v4
	v_addc_co_u32_e32 v5, vcc, v7, v5, vcc
	s_cbranch_scc0 .LBB120_69
; %bb.70:                               ;   in Loop: Header=BB120_6 Depth=1
	s_mov_b32 s5, s52
	s_branch .LBB120_73
.LBB120_71:                             ;   in Loop: Header=BB120_6 Depth=1
                                        ; implicit-def: $sgpr2_sgpr3
	s_branch .LBB120_41
.LBB120_72:                             ;   in Loop: Header=BB120_6 Depth=1
	v_mov_b32_e32 v4, 0
	v_mov_b32_e32 v5, 0
	s_mov_b32 s5, 0
.LBB120_73:                             ;   in Loop: Header=BB120_6 Depth=1
	v_readlane_b32 s6, v54, 44
	v_readlane_b32 s7, v54, 45
	s_andn2_b64 vcc, exec, s[6:7]
	s_cbranch_vccnz .LBB120_76
; %bb.74:                               ;   in Loop: Header=BB120_6 Depth=1
	v_readlane_b32 s6, v54, 48
	s_lshl_b32 s6, s6, 9
	s_lshl_b32 s5, s5, 5
	s_add_i32 s6, s6, s5
	v_add_u32_e32 v2, s6, v37
	v_readlane_b32 s5, v54, 43
.LBB120_75:                             ;   Parent Loop BB120_6 Depth=1
                                        ; =>  This Inner Loop Header: Depth=2
	ds_read_b64 v[6:7], v2
	s_add_i32 s5, s5, -1
	v_add_u32_e32 v2, 32, v2
	s_cmp_lg_u32 s5, 0
	s_waitcnt lgkmcnt(0)
	v_add_co_u32_e32 v4, vcc, v6, v4
	v_addc_co_u32_e32 v5, vcc, v7, v5, vcc
	s_cbranch_scc1 .LBB120_75
.LBB120_76:                             ;   in Loop: Header=BB120_6 Depth=1
	v_add_lshl_u32 v2, s4, v31, 3
	ds_write_b64 v2, v[4:5] offset:3072
.LBB120_77:                             ;   in Loop: Header=BB120_6 Depth=1
	s_or_b64 exec, exec, s[2:3]
	s_lshl_b32 s2, s4, 3
	v_mov_b32_e32 v2, s2
	s_waitcnt lgkmcnt(0)
	s_barrier
	ds_read_b128 v[4:7], v2 offset:3072
	ds_read_b128 v[8:11], v2 offset:3088
	v_readlane_b32 s2, v54, 24
	s_lshl_b32 s59, 3, s53
	v_cmp_eq_u64_e64 s[18:19], 1, v[24:25]
	v_readlane_b32 s3, v54, 25
	s_waitcnt lgkmcnt(1)
	v_readfirstlane_b32 s23, v5
	v_readfirstlane_b32 s22, v4
	;; [unrolled: 1-line block ×4, first 2 shown]
	s_waitcnt lgkmcnt(0)
	v_readfirstlane_b32 s91, v9
	v_readfirstlane_b32 s90, v8
	;; [unrolled: 1-line block ×4, first 2 shown]
	s_not_b32 s58, s59
	s_mov_b64 s[44:45], -1
	s_mov_b64 s[24:25], 0
	s_andn2_b64 vcc, exec, s[2:3]
	s_mov_b64 s[38:39], 0
	s_mov_b64 s[94:95], 0
                                        ; implicit-def: $sgpr42_sgpr43
                                        ; implicit-def: $sgpr40_sgpr41
                                        ; implicit-def: $vgpr4_vgpr5
                                        ; implicit-def: $vgpr2
                                        ; implicit-def: $vgpr11
                                        ; implicit-def: $vgpr10
                                        ; implicit-def: $vgpr8
	s_cbranch_vccnz .LBB120_276
; %bb.78:                               ;   in Loop: Header=BB120_6 Depth=1
	s_cmp_eq_u64 s[22:23], 1
	s_cselect_b64 s[2:3], -1, 0
	s_and_b64 s[2:3], s[2:3], s[18:19]
	s_mov_b64 s[4:5], -1
	v_mov_b32_e32 v11, v36
	v_mov_b32_e32 v10, v40
	;; [unrolled: 1-line block ×3, first 2 shown]
                                        ; implicit-def: $sgpr40_sgpr41
                                        ; implicit-def: $sgpr42_sgpr43
	s_and_saveexec_b64 s[6:7], s[2:3]
	s_cbranch_execz .LBB120_116
; %bb.79:                               ;   in Loop: Header=BB120_6 Depth=1
	ds_read_b64 v[4:5], v3 offset:5120
	s_waitcnt lgkmcnt(0)
	s_barrier
	v_readfirstlane_b32 s10, v4
	v_readfirstlane_b32 s11, v5
	s_mov_b64 s[4:5], exec
	v_readlane_b32 s8, v54, 30
	v_readlane_b32 s9, v54, 31
	s_and_b64 s[8:9], s[4:5], s[8:9]
	s_mov_b64 exec, s[8:9]
; %bb.80:                               ;   in Loop: Header=BB120_6 Depth=1
	ds_write_b8 v0, v3 offset:3072
; %bb.81:                               ;   in Loop: Header=BB120_6 Depth=1
	s_or_b64 exec, exec, s[4:5]
	v_and_b32_e32 v11, s58, v36
	v_or_b32_e32 v10, s59, v40
	s_mov_b64 s[42:43], -1
	s_mov_b64 s[40:41], 0
	s_cmp_eq_u64 s[10:11], 0
	s_mov_b64 s[8:9], 0
	s_mov_b64 s[12:13], -1
	s_waitcnt lgkmcnt(0)
	s_barrier
                                        ; implicit-def: $vgpr8
	s_cbranch_scc1 .LBB120_98
; %bb.82:                               ;   in Loop: Header=BB120_6 Depth=1
	v_readlane_b32 s4, v54, 34
	s_add_u32 s14, s10, s4
	v_readlane_b32 s4, v54, 36
	s_addc_u32 s9, s11, s4
	s_mov_b32 s8, s51
	s_cmp_lg_u64 s[8:9], 0
	s_cbranch_scc0 .LBB120_101
; %bb.83:                               ;   in Loop: Header=BB120_6 Depth=1
	v_cvt_f32_u32_e32 v2, s33
	s_sub_u32 s8, 0, s33
	s_subb_u32 s12, 0, 0
	v_mac_f32_e32 v2, 0, v38
	v_rcp_f32_e32 v2, v2
	v_mul_f32_e32 v2, 0x5f7ffffc, v2
	v_mul_f32_e32 v4, 0x2f800000, v2
	v_trunc_f32_e32 v4, v4
	v_mac_f32_e32 v2, 0xcf800000, v4
	v_cvt_u32_f32_e32 v4, v4
	v_cvt_u32_f32_e32 v2, v2
	v_readfirstlane_b32 s13, v4
	v_readfirstlane_b32 s4, v2
	s_mul_i32 s5, s8, s13
	s_mul_hi_u32 s16, s8, s4
	s_mul_i32 s15, s12, s4
	s_add_i32 s5, s16, s5
	s_mul_i32 s17, s8, s4
	s_add_i32 s5, s5, s15
	s_mul_hi_u32 s16, s4, s17
	s_mul_i32 s20, s4, s5
	s_mul_hi_u32 s15, s4, s5
	s_add_u32 s16, s16, s20
	s_addc_u32 s15, 0, s15
	s_mul_hi_u32 s21, s13, s17
	s_mul_i32 s17, s13, s17
	s_add_u32 s16, s16, s17
	s_mul_hi_u32 s20, s13, s5
	s_addc_u32 s15, s15, s21
	s_addc_u32 s16, s20, 0
	s_mul_i32 s5, s13, s5
	s_add_u32 s5, s15, s5
	s_addc_u32 s15, 0, s16
	s_add_u32 s16, s4, s5
	s_cselect_b64 s[4:5], -1, 0
	s_cmp_lg_u64 s[4:5], 0
	s_addc_u32 s13, s13, s15
	s_mul_i32 s4, s8, s13
	s_mul_hi_u32 s5, s8, s16
	s_add_i32 s4, s5, s4
	s_mul_i32 s12, s12, s16
	s_add_i32 s4, s4, s12
	s_mul_i32 s8, s8, s16
	s_mul_hi_u32 s12, s13, s8
	s_mul_i32 s15, s13, s8
	s_mul_i32 s20, s16, s4
	s_mul_hi_u32 s8, s16, s8
	s_mul_hi_u32 s17, s16, s4
	s_add_u32 s8, s8, s20
	s_addc_u32 s17, 0, s17
	s_add_u32 s8, s8, s15
	s_mul_hi_u32 s5, s13, s4
	s_addc_u32 s8, s17, s12
	s_addc_u32 s5, s5, 0
	s_mul_i32 s4, s13, s4
	s_add_u32 s4, s8, s4
	s_addc_u32 s8, 0, s5
	s_add_u32 s12, s16, s4
	s_cselect_b64 s[4:5], -1, 0
	s_cmp_lg_u64 s[4:5], 0
	s_addc_u32 s4, s13, s8
	s_mul_i32 s8, s14, s4
	s_mul_hi_u32 s13, s14, s12
	s_mul_hi_u32 s5, s14, s4
	s_add_u32 s8, s13, s8
	s_addc_u32 s5, 0, s5
	s_mul_hi_u32 s15, s9, s12
	s_mul_i32 s12, s9, s12
	s_add_u32 s8, s8, s12
	s_mul_hi_u32 s13, s9, s4
	s_addc_u32 s5, s5, s15
	s_addc_u32 s8, s13, 0
	s_mul_i32 s4, s9, s4
	s_add_u32 s4, s5, s4
	s_addc_u32 s5, 0, s8
	s_mul_i32 s5, s33, s5
	s_mul_hi_u32 s8, s33, s4
	s_add_i32 s8, s8, s5
	s_mul_i32 s4, s33, s4
	s_sub_u32 s12, s14, s4
	s_cselect_b64 s[4:5], -1, 0
	s_cmp_lg_u64 s[4:5], 0
	s_subb_u32 s8, s9, s8
	s_sub_u32 s13, s12, s33
	s_cselect_b64 s[4:5], -1, 0
	s_cmp_lg_u64 s[4:5], 0
	s_subb_u32 s15, s8, 0
	;; [unrolled: 4-line block ×3, first 2 shown]
	s_cmp_ge_u32 s13, s33
	s_cselect_b32 s5, -1, 0
	s_cmp_eq_u32 s15, 0
	s_cselect_b32 s5, s5, -1
	s_cmp_lg_u32 s5, 0
	s_cselect_b32 s4, s4, s15
	s_cselect_b32 s13, s16, s13
	s_cmp_ge_u32 s12, s33
	s_cselect_b32 s5, -1, 0
	s_cmp_eq_u32 s8, 0
	s_cselect_b32 s5, s5, -1
	s_cmp_lg_u32 s5, 0
	s_cselect_b32 s5, s4, s8
	s_cselect_b32 s4, s13, s12
	s_cbranch_execnz .LBB120_85
.LBB120_84:                             ;   in Loop: Header=BB120_6 Depth=1
	v_cvt_f32_u32_e32 v2, s33
	s_sub_i32 s4, 0, s33
	v_rcp_iflag_f32_e32 v2, v2
	v_mul_f32_e32 v2, 0x4f7ffffe, v2
	v_cvt_u32_f32_e32 v2, v2
	v_readfirstlane_b32 s5, v2
	s_mul_i32 s4, s4, s5
	s_mul_hi_u32 s4, s5, s4
	s_add_i32 s5, s5, s4
	s_mul_hi_u32 s4, s14, s5
	s_mul_i32 s4, s4, s33
	s_sub_i32 s4, s14, s4
	s_sub_i32 s5, s4, s33
	s_cmp_ge_u32 s4, s33
	s_cselect_b32 s4, s5, s4
	s_sub_i32 s5, s4, s33
	s_cmp_ge_u32 s4, s33
	s_cselect_b32 s50, s5, s4
	s_mov_b64 s[4:5], s[50:51]
	v_readlane_b32 s50, v54, 50
.LBB120_85:                             ;   in Loop: Header=BB120_6 Depth=1
	s_sub_u32 s16, s14, s4
	s_subb_u32 s17, s9, s5
	v_cmp_gt_u64_e32 vcc, s[16:17], v[0:1]
	s_mov_b64 s[12:13], 0
	s_mov_b64 s[8:9], 0
                                        ; implicit-def: $vgpr8
	s_and_saveexec_b64 s[14:15], vcc
	s_cbranch_execz .LBB120_97
; %bb.86:                               ;   in Loop: Header=BB120_6 Depth=1
	v_mov_b32_e32 v5, v1
	v_mov_b32_e32 v2, v0
	;; [unrolled: 1-line block ×3, first 2 shown]
                                        ; implicit-def: $sgpr4_sgpr5
	s_branch .LBB120_89
.LBB120_87:                             ;   in Loop: Header=BB120_89 Depth=2
	s_or_b64 exec, exec, s[20:21]
	s_waitcnt lgkmcnt(0)
	s_barrier
	ds_read_u16 v6, v3 offset:3072
	s_mov_b64 s[20:21], -1
	s_waitcnt lgkmcnt(0)
	s_barrier
	v_cmp_ne_u32_sdwa s[34:35], v6, v3 src0_sel:BYTE_0 src1_sel:DWORD
	s_and_b64 vcc, exec, s[34:35]
	s_mov_b64 s[34:35], -1
	s_cbranch_vccz .LBB120_92
.LBB120_88:                             ;   in Loop: Header=BB120_89 Depth=2
	s_and_b64 s[20:21], exec, s[20:21]
	s_or_b64 s[8:9], s[20:21], s[8:9]
	s_andn2_b64 s[4:5], s[4:5], exec
	s_and_b64 s[20:21], s[34:35], exec
	s_or_b64 s[4:5], s[4:5], s[20:21]
	s_andn2_b64 exec, exec, s[8:9]
	s_cbranch_execz .LBB120_96
.LBB120_89:                             ;   Parent Loop BB120_6 Depth=1
                                        ; =>  This Inner Loop Header: Depth=2
	v_cmp_gt_u64_e32 vcc, s[10:11], v[4:5]
	s_and_saveexec_b64 s[20:21], vcc
	s_cbranch_execz .LBB120_87
; %bb.90:                               ;   in Loop: Header=BB120_89 Depth=2
	ds_read_u8 v6, v2
	s_waitcnt lgkmcnt(0)
	v_and_b32_e32 v7, v6, v10
	v_cmp_eq_u32_sdwa s[34:35], v7, v11 src0_sel:BYTE_0 src1_sel:DWORD
	s_and_b64 exec, exec, s[34:35]
	s_cbranch_execz .LBB120_87
; %bb.91:                               ;   in Loop: Header=BB120_89 Depth=2
	v_lshlrev_b16_e32 v6, 8, v6
	v_or_b32_e32 v6, 1, v6
	ds_write_b16 v3, v6 offset:3072
	s_branch .LBB120_87
.LBB120_92:                             ;   in Loop: Header=BB120_89 Depth=2
	v_add_co_u32_e32 v4, vcc, s33, v4
	v_addc_co_u32_e32 v5, vcc, 0, v5, vcc
	v_cmp_le_u64_e32 vcc, s[16:17], v[4:5]
	v_add_u32_e32 v2, s33, v2
	s_mov_b64 s[34:35], 0
	s_orn2_b64 s[20:21], vcc, exec
	s_branch .LBB120_88
.LBB120_93:                             ;   in Loop: Header=BB120_6 Depth=1
	s_or_b64 exec, exec, s[8:9]
	s_waitcnt lgkmcnt(0)
	s_barrier
	s_mov_b64 s[4:5], exec
	v_readlane_b32 s6, v54, 8
	v_readlane_b32 s7, v54, 9
	s_and_b64 s[6:7], s[4:5], s[6:7]
	s_mov_b64 exec, s[6:7]
	s_cbranch_execz .LBB120_95
; %bb.94:                               ;   in Loop: Header=BB120_6 Depth=1
	ds_read_b32 v4, v3 offset:5144
	s_waitcnt lgkmcnt(0)
	v_ashrrev_i32_e32 v5, 31, v4
	ds_write_b64 v3, v[4:5] offset:5120
.LBB120_95:                             ;   in Loop: Header=BB120_6 Depth=1
	s_or_b64 exec, exec, s[4:5]
	s_waitcnt lgkmcnt(0)
	s_barrier
	s_mov_b64 s[4:5], -1
	s_and_b64 vcc, exec, s[2:3]
	s_cbranch_vccnz .LBB120_21
	s_branch .LBB120_36
.LBB120_96:                             ;   in Loop: Header=BB120_6 Depth=1
	s_or_b64 exec, exec, s[8:9]
	v_lshrrev_b32_sdwa v8, v39, v6 dst_sel:DWORD dst_unused:UNUSED_PAD src0_sel:DWORD src1_sel:WORD_0
	s_and_b64 s[8:9], s[4:5], exec
.LBB120_97:                             ;   in Loop: Header=BB120_6 Depth=1
	s_or_b64 exec, exec, s[14:15]
.LBB120_98:                             ;   in Loop: Header=BB120_6 Depth=1
	s_and_b64 vcc, exec, s[12:13]
	s_cbranch_vccz .LBB120_115
; %bb.99:                               ;   in Loop: Header=BB120_6 Depth=1
	v_readlane_b32 s20, v54, 37
	v_readlane_b32 s21, v54, 38
	s_mov_b32 s20, s51
	s_cmp_lg_u64 s[20:21], 0
	v_writelane_b32 v54, s20, 37
	v_writelane_b32 v54, s21, 38
	s_cbranch_scc0 .LBB120_102
; %bb.100:                              ;   in Loop: Header=BB120_6 Depth=1
	v_cvt_f32_u32_e32 v2, s33
	s_sub_u32 s10, 0, s33
	s_subb_u32 s11, 0, 0
	v_mac_f32_e32 v2, 0, v38
	v_rcp_f32_e32 v2, v2
	v_mul_f32_e32 v2, 0x5f7ffffc, v2
	v_mul_f32_e32 v4, 0x2f800000, v2
	v_trunc_f32_e32 v4, v4
	v_mac_f32_e32 v2, 0xcf800000, v4
	v_cvt_u32_f32_e32 v4, v4
	v_cvt_u32_f32_e32 v2, v2
	v_readfirstlane_b32 s12, v4
	v_readfirstlane_b32 s4, v2
	s_mul_i32 s5, s10, s12
	s_mul_hi_u32 s14, s10, s4
	s_mul_i32 s13, s11, s4
	s_add_i32 s5, s14, s5
	s_mul_i32 s15, s10, s4
	s_add_i32 s5, s5, s13
	s_mul_hi_u32 s14, s4, s15
	s_mul_i32 s16, s4, s5
	s_mul_hi_u32 s13, s4, s5
	s_add_u32 s14, s14, s16
	s_addc_u32 s13, 0, s13
	s_mul_hi_u32 s17, s12, s15
	s_mul_i32 s15, s12, s15
	s_add_u32 s14, s14, s15
	s_mul_hi_u32 s16, s12, s5
	s_addc_u32 s13, s13, s17
	s_addc_u32 s14, s16, 0
	s_mul_i32 s5, s12, s5
	s_add_u32 s5, s13, s5
	s_addc_u32 s13, 0, s14
	s_add_u32 s14, s4, s5
	s_cselect_b64 s[4:5], -1, 0
	s_cmp_lg_u64 s[4:5], 0
	s_addc_u32 s12, s12, s13
	s_mul_i32 s4, s10, s12
	s_mul_hi_u32 s5, s10, s14
	s_add_i32 s4, s5, s4
	s_mul_i32 s11, s11, s14
	s_add_i32 s4, s4, s11
	s_mul_i32 s10, s10, s14
	s_mul_hi_u32 s11, s12, s10
	s_mul_i32 s13, s12, s10
	s_mul_i32 s16, s14, s4
	s_mul_hi_u32 s10, s14, s10
	s_mul_hi_u32 s15, s14, s4
	s_add_u32 s10, s10, s16
	s_addc_u32 s15, 0, s15
	s_add_u32 s10, s10, s13
	s_mul_hi_u32 s5, s12, s4
	s_addc_u32 s10, s15, s11
	s_addc_u32 s5, s5, 0
	s_mul_i32 s4, s12, s4
	s_add_u32 s4, s10, s4
	s_addc_u32 s10, 0, s5
	s_add_u32 s11, s14, s4
	s_cselect_b64 s[4:5], -1, 0
	s_cmp_lg_u64 s[4:5], 0
	s_addc_u32 s4, s12, s10
	v_readlane_b32 s15, v54, 35
	s_mul_i32 s10, s15, s4
	s_mul_hi_u32 s12, s15, s11
	s_mul_hi_u32 s5, s15, s4
	s_add_u32 s10, s12, s10
	s_addc_u32 s5, 0, s5
	s_mul_hi_u32 s13, s21, s11
	s_mul_i32 s11, s21, s11
	s_add_u32 s10, s10, s11
	s_mul_hi_u32 s12, s21, s4
	s_addc_u32 s5, s5, s13
	s_addc_u32 s10, s12, 0
	s_mul_i32 s4, s21, s4
	s_add_u32 s4, s5, s4
	s_addc_u32 s5, 0, s10
	s_mul_i32 s5, s33, s5
	s_mul_hi_u32 s10, s33, s4
	s_add_i32 s10, s10, s5
	s_mul_i32 s4, s33, s4
	s_sub_u32 s11, s15, s4
	s_cselect_b64 s[4:5], -1, 0
	s_cmp_lg_u64 s[4:5], 0
	s_subb_u32 s10, s21, s10
	s_sub_u32 s12, s11, s33
	s_cselect_b64 s[4:5], -1, 0
	s_cmp_lg_u64 s[4:5], 0
	s_subb_u32 s13, s10, 0
	s_sub_u32 s14, s12, s33
	s_cselect_b64 s[4:5], -1, 0
	s_cmp_lg_u64 s[4:5], 0
	s_subb_u32 s4, s13, 0
	s_cmp_ge_u32 s12, s33
	s_cselect_b32 s5, -1, 0
	s_cmp_eq_u32 s13, 0
	s_cselect_b32 s5, s5, -1
	s_cmp_lg_u32 s5, 0
	s_cselect_b32 s4, s4, s13
	s_cselect_b32 s12, s14, s12
	s_cmp_ge_u32 s11, s33
	s_cselect_b32 s5, -1, 0
	s_cmp_eq_u32 s10, 0
	s_cselect_b32 s5, s5, -1
	s_cmp_lg_u32 s5, 0
	s_cselect_b32 s5, s4, s10
	s_cselect_b32 s4, s12, s11
	s_mov_b64 s[10:11], 0
	s_branch .LBB120_103
.LBB120_101:                            ;   in Loop: Header=BB120_6 Depth=1
                                        ; implicit-def: $sgpr4_sgpr5
	s_andn2_b64 vcc, exec, s[12:13]
	s_cbranch_vccz .LBB120_84
	s_branch .LBB120_85
.LBB120_102:                            ;   in Loop: Header=BB120_6 Depth=1
	s_mov_b64 s[10:11], -1
	v_readlane_b32 s15, v54, 35
                                        ; implicit-def: $sgpr4_sgpr5
.LBB120_103:                            ;   in Loop: Header=BB120_6 Depth=1
	s_andn2_b64 vcc, exec, s[10:11]
	v_readlane_b32 s56, v54, 49
	s_cbranch_vccnz .LBB120_105
; %bb.104:                              ;   in Loop: Header=BB120_6 Depth=1
	v_cvt_f32_u32_e32 v2, s33
	s_sub_i32 s4, 0, s33
	v_rcp_iflag_f32_e32 v2, v2
	v_mul_f32_e32 v2, 0x4f7ffffe, v2
	v_cvt_u32_f32_e32 v2, v2
	v_readfirstlane_b32 s5, v2
	s_mul_i32 s4, s4, s5
	s_mul_hi_u32 s4, s5, s4
	s_add_i32 s5, s5, s4
	s_mul_hi_u32 s4, s15, s5
	s_mul_i32 s4, s4, s33
	s_sub_i32 s4, s15, s4
	s_sub_i32 s5, s4, s33
	s_cmp_ge_u32 s4, s33
	s_cselect_b32 s4, s5, s4
	s_sub_i32 s5, s4, s33
	s_cmp_ge_u32 s4, s33
	s_cselect_b32 s50, s5, s4
	s_mov_b64 s[4:5], s[50:51]
	v_readlane_b32 s50, v54, 50
.LBB120_105:                            ;   in Loop: Header=BB120_6 Depth=1
	v_readlane_b32 s10, v54, 37
	s_sub_u32 s12, s15, s4
	v_readlane_b32 s11, v54, 38
	s_subb_u32 s13, s11, s5
	v_cmp_gt_u64_e32 vcc, s[12:13], v[0:1]
                                        ; implicit-def: $vgpr8
	s_and_saveexec_b64 s[10:11], vcc
	s_cbranch_execz .LBB120_114
; %bb.106:                              ;   in Loop: Header=BB120_6 Depth=1
	v_mov_b32_e32 v4, v12
	v_mov_b32_e32 v7, v1
	s_mov_b64 s[14:15], 0
	v_mov_b32_e32 v5, v13
	v_mov_b32_e32 v6, v0
                                        ; implicit-def: $sgpr16_sgpr17
	s_branch .LBB120_109
.LBB120_107:                            ;   in Loop: Header=BB120_109 Depth=2
	s_or_b64 exec, exec, s[4:5]
	s_waitcnt lgkmcnt(0)
	s_barrier
	ds_read_u16 v2, v3 offset:3072
	s_mov_b64 s[4:5], -1
	s_waitcnt lgkmcnt(0)
	s_barrier
	v_cmp_ne_u32_sdwa s[20:21], v2, v3 src0_sel:BYTE_0 src1_sel:DWORD
	s_and_b64 vcc, exec, s[20:21]
	s_mov_b64 s[20:21], -1
	s_cbranch_vccz .LBB120_112
.LBB120_108:                            ;   in Loop: Header=BB120_109 Depth=2
	s_and_b64 s[4:5], exec, s[4:5]
	s_or_b64 s[14:15], s[4:5], s[14:15]
	s_andn2_b64 s[4:5], s[16:17], exec
	s_and_b64 s[16:17], s[20:21], exec
	s_or_b64 s[16:17], s[4:5], s[16:17]
	s_andn2_b64 exec, exec, s[14:15]
	s_cbranch_execz .LBB120_113
.LBB120_109:                            ;   Parent Loop BB120_6 Depth=1
                                        ; =>  This Inner Loop Header: Depth=2
	v_cmp_gt_u64_e32 vcc, s[28:29], v[6:7]
	s_and_saveexec_b64 s[4:5], vcc
	s_cbranch_execz .LBB120_107
; %bb.110:                              ;   in Loop: Header=BB120_109 Depth=2
	global_load_ubyte v2, v[4:5], off
	s_waitcnt vmcnt(0)
	v_and_b32_e32 v8, v2, v10
	v_cmp_eq_u32_sdwa s[20:21], v8, v11 src0_sel:BYTE_0 src1_sel:DWORD
	s_and_b64 exec, exec, s[20:21]
	s_cbranch_execz .LBB120_107
; %bb.111:                              ;   in Loop: Header=BB120_109 Depth=2
	v_lshlrev_b16_e32 v2, 8, v2
	v_or_b32_e32 v2, 1, v2
	ds_write_b16 v3, v2 offset:3072
	s_branch .LBB120_107
.LBB120_112:                            ;   in Loop: Header=BB120_109 Depth=2
	v_add_co_u32_e32 v6, vcc, s33, v6
	v_readlane_b32 s4, v54, 46
	v_addc_co_u32_e32 v7, vcc, 0, v7, vcc
	v_mov_b32_e32 v8, s4
	s_mul_i32 s4, s26, s33
	v_add_co_u32_e32 v4, vcc, s4, v4
	v_addc_co_u32_e32 v5, vcc, v5, v8, vcc
	v_cmp_le_u64_e32 vcc, s[12:13], v[6:7]
	s_mov_b64 s[20:21], 0
	s_orn2_b64 s[4:5], vcc, exec
	s_branch .LBB120_108
.LBB120_113:                            ;   in Loop: Header=BB120_6 Depth=1
	s_or_b64 exec, exec, s[14:15]
	s_andn2_b64 s[4:5], s[8:9], exec
	s_and_b64 s[8:9], s[16:17], exec
	v_lshrrev_b32_sdwa v8, v39, v2 dst_sel:DWORD dst_unused:UNUSED_PAD src0_sel:DWORD src1_sel:WORD_0
	s_or_b64 s[8:9], s[4:5], s[8:9]
.LBB120_114:                            ;   in Loop: Header=BB120_6 Depth=1
	s_or_b64 exec, exec, s[10:11]
	s_mov_b64 s[42:43], 0
	s_mov_b64 s[40:41], -1
.LBB120_115:                            ;   in Loop: Header=BB120_6 Depth=1
	s_orn2_b64 s[4:5], s[8:9], exec
.LBB120_116:                            ;   in Loop: Header=BB120_6 Depth=1
	s_or_b64 exec, exec, s[6:7]
	s_mov_b64 s[44:45], 0
	s_mov_b64 s[38:39], 0
	;; [unrolled: 1-line block ×3, first 2 shown]
                                        ; implicit-def: $vgpr4_vgpr5
                                        ; implicit-def: $vgpr2
	s_and_saveexec_b64 s[14:15], s[4:5]
	s_cbranch_execz .LBB120_275
; %bb.117:                              ;   in Loop: Header=BB120_6 Depth=1
	v_mov_b32_e32 v4, 1
	s_xor_b64 s[6:7], s[2:3], -1
	v_mov_b32_e32 v2, 1
	v_mov_b32_e32 v5, 0
	s_mov_b64 s[4:5], 0
	s_and_saveexec_b64 s[2:3], s[6:7]
	s_cbranch_execz .LBB120_126
; %bb.118:                              ;   in Loop: Header=BB120_6 Depth=1
	v_cmp_ge_u64_e32 vcc, s[22:23], v[24:25]
	s_and_saveexec_b64 s[4:5], vcc
	s_xor_b64 s[4:5], exec, s[4:5]
	s_cbranch_execz .LBB120_123
; %bb.119:                              ;   in Loop: Header=BB120_6 Depth=1
	ds_read_b64 v[4:5], v3 offset:5120
	v_and_b32_e32 v11, s58, v11
	v_or_b32_e32 v10, s59, v10
	s_waitcnt lgkmcnt(0)
	v_cmp_ne_u64_e32 vcc, 0, v[4:5]
	s_cbranch_vccnz .LBB120_123
; %bb.120:                              ;   in Loop: Header=BB120_6 Depth=1
	s_mov_b64 s[6:7], exec
	v_readlane_b32 s8, v54, 8
	v_readlane_b32 s9, v54, 9
	s_and_b64 s[8:9], s[6:7], s[8:9]
	s_mov_b64 exec, s[8:9]
; %bb.121:                              ;   in Loop: Header=BB120_6 Depth=1
	v_mov_b32_e32 v4, s22
	v_mov_b32_e32 v5, s23
	ds_write_b64 v3, v[4:5] offset:5128
; %bb.122:                              ;   in Loop: Header=BB120_6 Depth=1
	s_or_b64 exec, exec, s[6:7]
	s_waitcnt lgkmcnt(0)
	s_barrier
.LBB120_123:                            ;   in Loop: Header=BB120_6 Depth=1
	s_or_saveexec_b64 s[4:5], s[4:5]
	v_mov_b32_e32 v4, v24
	s_mov_b64 s[6:7], 0
	v_mov_b32_e32 v2, 8
	v_mov_b32_e32 v5, v25
	s_xor_b64 exec, exec, s[4:5]
; %bb.124:                              ;   in Loop: Header=BB120_6 Depth=1
	v_subrev_co_u32_e32 v4, vcc, s22, v24
	v_mov_b32_e32 v2, s23
	v_subb_co_u32_e32 v5, vcc, v25, v2, vcc
	v_mov_b32_e32 v2, 0
	s_mov_b64 s[6:7], exec
; %bb.125:                              ;   in Loop: Header=BB120_6 Depth=1
	s_or_b64 exec, exec, s[4:5]
	s_and_b64 s[4:5], s[6:7], exec
.LBB120_126:                            ;   in Loop: Header=BB120_6 Depth=1
	s_or_b64 exec, exec, s[2:3]
	s_mov_b64 s[2:3], -1
                                        ; implicit-def: $sgpr38_sgpr39
                                        ; implicit-def: $sgpr94_sgpr95
	s_and_saveexec_b64 s[6:7], s[4:5]
	s_xor_b64 s[6:7], exec, s[6:7]
	s_cbranch_execz .LBB120_272
; %bb.127:                              ;   in Loop: Header=BB120_6 Depth=1
	s_cmp_eq_u64 s[88:89], 1
	v_cmp_eq_u64_e32 vcc, 1, v[4:5]
	s_cselect_b64 s[2:3], -1, 0
	s_and_b64 s[2:3], s[2:3], vcc
	s_mov_b64 s[4:5], -1
                                        ; implicit-def: $sgpr94_sgpr95
                                        ; implicit-def: $sgpr38_sgpr39
	s_and_saveexec_b64 s[12:13], s[2:3]
	s_cbranch_execz .LBB120_162
; %bb.128:                              ;   in Loop: Header=BB120_6 Depth=1
	ds_read_b64 v[6:7], v3 offset:5120
	s_waitcnt lgkmcnt(0)
	s_barrier
	v_readfirstlane_b32 s10, v6
	v_readfirstlane_b32 s11, v7
	s_mov_b64 s[4:5], exec
	v_readlane_b32 s8, v54, 30
	v_readlane_b32 s9, v54, 31
	s_and_b64 s[8:9], s[4:5], s[8:9]
	s_mov_b64 exec, s[8:9]
; %bb.129:                              ;   in Loop: Header=BB120_6 Depth=1
	ds_write_b8 v0, v3 offset:3072
; %bb.130:                              ;   in Loop: Header=BB120_6 Depth=1
	s_or_b64 exec, exec, s[4:5]
	v_and_b32_e32 v6, s58, v11
	v_lshl_or_b32 v11, 1, s53, v6
	v_or_b32_e32 v10, s59, v10
	s_mov_b64 s[38:39], -1
	s_mov_b64 s[94:95], 0
	s_cmp_eq_u64 s[10:11], 0
	s_mov_b64 s[8:9], 0
	s_mov_b64 s[20:21], -1
	s_waitcnt lgkmcnt(0)
	s_barrier
                                        ; implicit-def: $vgpr8
	s_cbranch_scc1 .LBB120_144
; %bb.131:                              ;   in Loop: Header=BB120_6 Depth=1
	v_readlane_b32 s4, v54, 34
	s_add_u32 s20, s10, s4
	v_readlane_b32 s4, v54, 36
	s_addc_u32 s9, s11, s4
	s_mov_b32 s8, s51
	s_cmp_lg_u64 s[8:9], 0
	s_cbranch_scc0 .LBB120_147
; %bb.132:                              ;   in Loop: Header=BB120_6 Depth=1
	v_cvt_f32_u32_e32 v6, s33
	s_sub_u32 s8, 0, s33
	s_subb_u32 s16, 0, 0
	v_mac_f32_e32 v6, 0, v38
	v_rcp_f32_e32 v6, v6
	v_mul_f32_e32 v6, 0x5f7ffffc, v6
	v_mul_f32_e32 v7, 0x2f800000, v6
	v_trunc_f32_e32 v7, v7
	v_mac_f32_e32 v6, 0xcf800000, v7
	v_cvt_u32_f32_e32 v7, v7
	v_cvt_u32_f32_e32 v6, v6
	v_readfirstlane_b32 s17, v7
	v_readfirstlane_b32 s4, v6
	s_mul_i32 s5, s8, s17
	s_mul_hi_u32 s34, s8, s4
	s_mul_i32 s21, s16, s4
	s_add_i32 s5, s34, s5
	s_mul_i32 s35, s8, s4
	s_add_i32 s5, s5, s21
	s_mul_hi_u32 s34, s4, s35
	s_mul_i32 s36, s4, s5
	s_mul_hi_u32 s21, s4, s5
	s_add_u32 s34, s34, s36
	s_addc_u32 s21, 0, s21
	s_mul_hi_u32 s37, s17, s35
	s_mul_i32 s35, s17, s35
	s_add_u32 s34, s34, s35
	s_mul_hi_u32 s36, s17, s5
	s_addc_u32 s21, s21, s37
	s_addc_u32 s34, s36, 0
	s_mul_i32 s5, s17, s5
	s_add_u32 s5, s21, s5
	s_addc_u32 s21, 0, s34
	s_add_u32 s34, s4, s5
	s_cselect_b64 s[4:5], -1, 0
	s_cmp_lg_u64 s[4:5], 0
	s_addc_u32 s17, s17, s21
	s_mul_i32 s4, s8, s17
	s_mul_hi_u32 s5, s8, s34
	s_add_i32 s4, s5, s4
	s_mul_i32 s16, s16, s34
	s_add_i32 s4, s4, s16
	s_mul_i32 s8, s8, s34
	s_mul_hi_u32 s16, s17, s8
	s_mul_i32 s21, s17, s8
	s_mul_i32 s36, s34, s4
	s_mul_hi_u32 s8, s34, s8
	s_mul_hi_u32 s35, s34, s4
	s_add_u32 s8, s8, s36
	s_addc_u32 s35, 0, s35
	s_add_u32 s8, s8, s21
	s_mul_hi_u32 s5, s17, s4
	s_addc_u32 s8, s35, s16
	s_addc_u32 s5, s5, 0
	s_mul_i32 s4, s17, s4
	s_add_u32 s4, s8, s4
	s_addc_u32 s8, 0, s5
	s_add_u32 s16, s34, s4
	s_cselect_b64 s[4:5], -1, 0
	s_cmp_lg_u64 s[4:5], 0
	s_addc_u32 s4, s17, s8
	s_mul_i32 s8, s20, s4
	s_mul_hi_u32 s17, s20, s16
	s_mul_hi_u32 s5, s20, s4
	s_add_u32 s8, s17, s8
	s_addc_u32 s5, 0, s5
	s_mul_hi_u32 s21, s9, s16
	s_mul_i32 s16, s9, s16
	s_add_u32 s8, s8, s16
	s_mul_hi_u32 s17, s9, s4
	s_addc_u32 s5, s5, s21
	s_addc_u32 s8, s17, 0
	s_mul_i32 s4, s9, s4
	s_add_u32 s4, s5, s4
	s_addc_u32 s5, 0, s8
	s_mul_i32 s5, s33, s5
	s_mul_hi_u32 s8, s33, s4
	s_add_i32 s8, s8, s5
	s_mul_i32 s4, s33, s4
	s_sub_u32 s16, s20, s4
	s_cselect_b64 s[4:5], -1, 0
	s_cmp_lg_u64 s[4:5], 0
	s_subb_u32 s8, s9, s8
	s_sub_u32 s17, s16, s33
	s_cselect_b64 s[4:5], -1, 0
	s_cmp_lg_u64 s[4:5], 0
	s_subb_u32 s21, s8, 0
	;; [unrolled: 4-line block ×3, first 2 shown]
	s_cmp_ge_u32 s17, s33
	s_cselect_b32 s5, -1, 0
	s_cmp_eq_u32 s21, 0
	s_cselect_b32 s5, s5, -1
	s_cmp_lg_u32 s5, 0
	s_cselect_b32 s4, s4, s21
	s_cselect_b32 s17, s34, s17
	s_cmp_ge_u32 s16, s33
	s_cselect_b32 s5, -1, 0
	s_cmp_eq_u32 s8, 0
	s_cselect_b32 s5, s5, -1
	s_cmp_lg_u32 s5, 0
	s_cselect_b32 s5, s4, s8
	s_cselect_b32 s4, s17, s16
	s_cbranch_execnz .LBB120_134
.LBB120_133:                            ;   in Loop: Header=BB120_6 Depth=1
	v_cvt_f32_u32_e32 v6, s33
	s_sub_i32 s4, 0, s33
	v_rcp_iflag_f32_e32 v6, v6
	v_mul_f32_e32 v6, 0x4f7ffffe, v6
	v_cvt_u32_f32_e32 v6, v6
	v_readfirstlane_b32 s5, v6
	s_mul_i32 s4, s4, s5
	s_mul_hi_u32 s4, s5, s4
	s_add_i32 s5, s5, s4
	s_mul_hi_u32 s4, s20, s5
	s_mul_i32 s4, s4, s33
	s_sub_i32 s4, s20, s4
	s_sub_i32 s5, s4, s33
	s_cmp_ge_u32 s4, s33
	s_cselect_b32 s4, s5, s4
	s_sub_i32 s5, s4, s33
	s_cmp_ge_u32 s4, s33
	s_cselect_b32 s50, s5, s4
	s_mov_b64 s[4:5], s[50:51]
	v_readlane_b32 s50, v54, 50
.LBB120_134:                            ;   in Loop: Header=BB120_6 Depth=1
	s_sub_u32 s36, s20, s4
	s_subb_u32 s37, s9, s5
	v_cmp_gt_u64_e32 vcc, s[36:37], v[0:1]
	s_mov_b64 s[20:21], 0
	s_mov_b64 s[8:9], 0
                                        ; implicit-def: $vgpr8
	s_and_saveexec_b64 s[34:35], vcc
	s_cbranch_execz .LBB120_143
; %bb.135:                              ;   in Loop: Header=BB120_6 Depth=1
	v_mov_b32_e32 v7, v1
	v_mov_b32_e32 v8, v0
	;; [unrolled: 1-line block ×3, first 2 shown]
                                        ; implicit-def: $sgpr16_sgpr17
	s_branch .LBB120_138
.LBB120_136:                            ;   in Loop: Header=BB120_138 Depth=2
	s_or_b64 exec, exec, s[4:5]
	s_waitcnt lgkmcnt(0)
	s_barrier
	ds_read_u16 v9, v3 offset:3072
	s_mov_b64 s[4:5], -1
	s_waitcnt lgkmcnt(0)
	s_barrier
	v_cmp_ne_u32_sdwa s[54:55], v9, v3 src0_sel:BYTE_0 src1_sel:DWORD
	s_and_b64 vcc, exec, s[54:55]
	s_mov_b64 s[54:55], -1
	s_cbranch_vccz .LBB120_141
.LBB120_137:                            ;   in Loop: Header=BB120_138 Depth=2
	s_and_b64 s[4:5], exec, s[4:5]
	s_or_b64 s[8:9], s[4:5], s[8:9]
	s_andn2_b64 s[4:5], s[16:17], exec
	s_and_b64 s[16:17], s[54:55], exec
	s_or_b64 s[16:17], s[4:5], s[16:17]
	s_andn2_b64 exec, exec, s[8:9]
	s_cbranch_execz .LBB120_142
.LBB120_138:                            ;   Parent Loop BB120_6 Depth=1
                                        ; =>  This Inner Loop Header: Depth=2
	v_cmp_gt_u64_e32 vcc, s[10:11], v[6:7]
	s_and_saveexec_b64 s[4:5], vcc
	s_cbranch_execz .LBB120_136
; %bb.139:                              ;   in Loop: Header=BB120_138 Depth=2
	ds_read_u8 v9, v8
	s_waitcnt lgkmcnt(0)
	v_and_b32_e32 v26, v9, v10
	v_cmp_eq_u32_sdwa s[54:55], v26, v11 src0_sel:BYTE_0 src1_sel:DWORD
	s_and_b64 exec, exec, s[54:55]
	s_cbranch_execz .LBB120_136
; %bb.140:                              ;   in Loop: Header=BB120_138 Depth=2
	v_lshlrev_b16_e32 v9, 8, v9
	v_or_b32_e32 v9, 1, v9
	ds_write_b16 v3, v9 offset:3072
	s_branch .LBB120_136
.LBB120_141:                            ;   in Loop: Header=BB120_138 Depth=2
	v_add_co_u32_e32 v6, vcc, s33, v6
	v_addc_co_u32_e32 v7, vcc, 0, v7, vcc
	v_cmp_le_u64_e32 vcc, s[36:37], v[6:7]
	v_add_u32_e32 v8, s33, v8
	s_mov_b64 s[54:55], 0
	s_orn2_b64 s[4:5], vcc, exec
	s_branch .LBB120_137
.LBB120_142:                            ;   in Loop: Header=BB120_6 Depth=1
	s_or_b64 exec, exec, s[8:9]
	v_lshrrev_b32_sdwa v8, v39, v9 dst_sel:DWORD dst_unused:UNUSED_PAD src0_sel:DWORD src1_sel:WORD_0
	s_and_b64 s[8:9], s[16:17], exec
.LBB120_143:                            ;   in Loop: Header=BB120_6 Depth=1
	s_or_b64 exec, exec, s[34:35]
.LBB120_144:                            ;   in Loop: Header=BB120_6 Depth=1
	s_and_b64 vcc, exec, s[20:21]
	s_cbranch_vccz .LBB120_161
; %bb.145:                              ;   in Loop: Header=BB120_6 Depth=1
	v_readlane_b32 s36, v54, 37
	v_readlane_b32 s37, v54, 38
	s_mov_b32 s36, s51
	s_cmp_lg_u64 s[36:37], 0
	v_writelane_b32 v54, s36, 37
	v_writelane_b32 v54, s37, 38
	s_cbranch_scc0 .LBB120_148
; %bb.146:                              ;   in Loop: Header=BB120_6 Depth=1
	v_cvt_f32_u32_e32 v6, s33
	s_sub_u32 s10, 0, s33
	s_subb_u32 s11, 0, 0
	v_mac_f32_e32 v6, 0, v38
	v_rcp_f32_e32 v6, v6
	v_mul_f32_e32 v6, 0x5f7ffffc, v6
	v_mul_f32_e32 v7, 0x2f800000, v6
	v_trunc_f32_e32 v7, v7
	v_mac_f32_e32 v6, 0xcf800000, v7
	v_cvt_u32_f32_e32 v7, v7
	v_cvt_u32_f32_e32 v6, v6
	v_readfirstlane_b32 s16, v7
	v_readfirstlane_b32 s4, v6
	s_mul_i32 s5, s10, s16
	s_mul_hi_u32 s20, s10, s4
	s_mul_i32 s17, s11, s4
	s_add_i32 s5, s20, s5
	s_mul_i32 s21, s10, s4
	s_add_i32 s5, s5, s17
	s_mul_hi_u32 s20, s4, s21
	s_mul_i32 s34, s4, s5
	s_mul_hi_u32 s17, s4, s5
	s_add_u32 s20, s20, s34
	s_addc_u32 s17, 0, s17
	s_mul_hi_u32 s35, s16, s21
	s_mul_i32 s21, s16, s21
	s_add_u32 s20, s20, s21
	s_mul_hi_u32 s34, s16, s5
	s_addc_u32 s17, s17, s35
	s_addc_u32 s20, s34, 0
	s_mul_i32 s5, s16, s5
	s_add_u32 s5, s17, s5
	s_addc_u32 s17, 0, s20
	s_add_u32 s20, s4, s5
	s_cselect_b64 s[4:5], -1, 0
	s_cmp_lg_u64 s[4:5], 0
	s_addc_u32 s16, s16, s17
	s_mul_i32 s4, s10, s16
	s_mul_hi_u32 s5, s10, s20
	s_add_i32 s4, s5, s4
	s_mul_i32 s11, s11, s20
	s_add_i32 s4, s4, s11
	s_mul_i32 s10, s10, s20
	s_mul_hi_u32 s11, s16, s10
	s_mul_i32 s17, s16, s10
	s_mul_i32 s34, s20, s4
	s_mul_hi_u32 s10, s20, s10
	s_mul_hi_u32 s21, s20, s4
	s_add_u32 s10, s10, s34
	s_addc_u32 s21, 0, s21
	s_add_u32 s10, s10, s17
	s_mul_hi_u32 s5, s16, s4
	s_addc_u32 s10, s21, s11
	s_addc_u32 s5, s5, 0
	s_mul_i32 s4, s16, s4
	s_add_u32 s4, s10, s4
	s_addc_u32 s10, 0, s5
	s_add_u32 s11, s20, s4
	s_cselect_b64 s[4:5], -1, 0
	s_cmp_lg_u64 s[4:5], 0
	s_addc_u32 s4, s16, s10
	v_readlane_b32 s21, v54, 35
	s_mul_i32 s10, s21, s4
	s_mul_hi_u32 s16, s21, s11
	s_mul_hi_u32 s5, s21, s4
	s_add_u32 s10, s16, s10
	s_addc_u32 s5, 0, s5
	s_mul_hi_u32 s17, s37, s11
	s_mul_i32 s11, s37, s11
	s_add_u32 s10, s10, s11
	s_mul_hi_u32 s16, s37, s4
	s_addc_u32 s5, s5, s17
	s_addc_u32 s10, s16, 0
	s_mul_i32 s4, s37, s4
	s_add_u32 s4, s5, s4
	s_addc_u32 s5, 0, s10
	s_mul_i32 s5, s33, s5
	s_mul_hi_u32 s10, s33, s4
	s_add_i32 s10, s10, s5
	s_mul_i32 s4, s33, s4
	s_sub_u32 s11, s21, s4
	s_cselect_b64 s[4:5], -1, 0
	s_cmp_lg_u64 s[4:5], 0
	s_subb_u32 s10, s37, s10
	s_sub_u32 s16, s11, s33
	s_cselect_b64 s[4:5], -1, 0
	s_cmp_lg_u64 s[4:5], 0
	s_subb_u32 s17, s10, 0
	;; [unrolled: 4-line block ×3, first 2 shown]
	s_cmp_ge_u32 s16, s33
	s_cselect_b32 s5, -1, 0
	s_cmp_eq_u32 s17, 0
	s_cselect_b32 s5, s5, -1
	s_cmp_lg_u32 s5, 0
	s_cselect_b32 s4, s4, s17
	s_cselect_b32 s16, s20, s16
	s_cmp_ge_u32 s11, s33
	s_cselect_b32 s5, -1, 0
	s_cmp_eq_u32 s10, 0
	s_cselect_b32 s5, s5, -1
	s_cmp_lg_u32 s5, 0
	s_cselect_b32 s5, s4, s10
	s_cselect_b32 s4, s16, s11
	s_mov_b64 s[10:11], 0
	s_branch .LBB120_149
.LBB120_147:                            ;   in Loop: Header=BB120_6 Depth=1
                                        ; implicit-def: $sgpr4_sgpr5
	s_branch .LBB120_133
.LBB120_148:                            ;   in Loop: Header=BB120_6 Depth=1
	s_mov_b64 s[10:11], -1
	v_readlane_b32 s21, v54, 35
                                        ; implicit-def: $sgpr4_sgpr5
.LBB120_149:                            ;   in Loop: Header=BB120_6 Depth=1
	s_andn2_b64 vcc, exec, s[10:11]
	v_readlane_b32 s56, v54, 49
	s_cbranch_vccnz .LBB120_151
; %bb.150:                              ;   in Loop: Header=BB120_6 Depth=1
	v_cvt_f32_u32_e32 v6, s33
	s_sub_i32 s4, 0, s33
	v_rcp_iflag_f32_e32 v6, v6
	v_mul_f32_e32 v6, 0x4f7ffffe, v6
	v_cvt_u32_f32_e32 v6, v6
	v_readfirstlane_b32 s5, v6
	s_mul_i32 s4, s4, s5
	s_mul_hi_u32 s4, s5, s4
	s_add_i32 s5, s5, s4
	s_mul_hi_u32 s4, s21, s5
	s_mul_i32 s4, s4, s33
	s_sub_i32 s4, s21, s4
	s_sub_i32 s5, s4, s33
	s_cmp_ge_u32 s4, s33
	s_cselect_b32 s4, s5, s4
	s_sub_i32 s5, s4, s33
	s_cmp_ge_u32 s4, s33
	s_cselect_b32 s50, s5, s4
	s_mov_b64 s[4:5], s[50:51]
	v_readlane_b32 s50, v54, 50
.LBB120_151:                            ;   in Loop: Header=BB120_6 Depth=1
	v_readlane_b32 s10, v54, 37
	s_sub_u32 s20, s21, s4
	v_readlane_b32 s11, v54, 38
	s_subb_u32 s21, s11, s5
	v_cmp_gt_u64_e32 vcc, s[20:21], v[0:1]
                                        ; implicit-def: $vgpr8
	s_and_saveexec_b64 s[10:11], vcc
	s_cbranch_execz .LBB120_160
; %bb.152:                              ;   in Loop: Header=BB120_6 Depth=1
	v_mov_b32_e32 v6, v12
	v_mov_b32_e32 v9, v1
	s_mov_b64 s[16:17], 0
	v_mov_b32_e32 v7, v13
	v_mov_b32_e32 v8, v0
                                        ; implicit-def: $sgpr34_sgpr35
	s_branch .LBB120_155
.LBB120_153:                            ;   in Loop: Header=BB120_155 Depth=2
	s_or_b64 exec, exec, s[4:5]
	s_waitcnt lgkmcnt(0)
	s_barrier
	ds_read_u16 v26, v3 offset:3072
	s_mov_b64 s[4:5], -1
	s_waitcnt lgkmcnt(0)
	s_barrier
	v_cmp_eq_u32_sdwa s[36:37], v26, v3 src0_sel:BYTE_0 src1_sel:DWORD
	s_and_b64 vcc, exec, s[36:37]
	s_mov_b64 s[36:37], -1
	s_cbranch_vccnz .LBB120_158
.LBB120_154:                            ;   in Loop: Header=BB120_155 Depth=2
	s_and_b64 s[4:5], exec, s[4:5]
	s_or_b64 s[16:17], s[4:5], s[16:17]
	s_andn2_b64 s[4:5], s[34:35], exec
	s_and_b64 s[34:35], s[36:37], exec
	s_or_b64 s[34:35], s[4:5], s[34:35]
	s_andn2_b64 exec, exec, s[16:17]
	s_cbranch_execz .LBB120_159
.LBB120_155:                            ;   Parent Loop BB120_6 Depth=1
                                        ; =>  This Inner Loop Header: Depth=2
	v_cmp_gt_u64_e32 vcc, s[28:29], v[8:9]
	s_and_saveexec_b64 s[4:5], vcc
	s_cbranch_execz .LBB120_153
; %bb.156:                              ;   in Loop: Header=BB120_155 Depth=2
	global_load_ubyte v26, v[6:7], off
	s_waitcnt vmcnt(0)
	v_and_b32_e32 v27, v26, v10
	v_cmp_eq_u32_sdwa s[36:37], v27, v11 src0_sel:BYTE_0 src1_sel:DWORD
	s_and_b64 exec, exec, s[36:37]
	s_cbranch_execz .LBB120_153
; %bb.157:                              ;   in Loop: Header=BB120_155 Depth=2
	v_lshlrev_b16_e32 v26, 8, v26
	v_or_b32_e32 v26, 1, v26
	ds_write_b16 v3, v26 offset:3072
	s_branch .LBB120_153
.LBB120_158:                            ;   in Loop: Header=BB120_155 Depth=2
	v_add_co_u32_e32 v8, vcc, s33, v8
	v_readlane_b32 s4, v54, 46
	v_addc_co_u32_e32 v9, vcc, 0, v9, vcc
	v_mov_b32_e32 v27, s4
	s_mul_i32 s4, s26, s33
	v_add_co_u32_e32 v6, vcc, s4, v6
	v_addc_co_u32_e32 v7, vcc, v7, v27, vcc
	v_cmp_le_u64_e32 vcc, s[20:21], v[8:9]
	s_mov_b64 s[36:37], 0
	s_orn2_b64 s[4:5], vcc, exec
	s_branch .LBB120_154
.LBB120_159:                            ;   in Loop: Header=BB120_6 Depth=1
	s_or_b64 exec, exec, s[16:17]
	s_andn2_b64 s[4:5], s[8:9], exec
	s_and_b64 s[8:9], s[34:35], exec
	v_lshrrev_b32_sdwa v8, v39, v26 dst_sel:DWORD dst_unused:UNUSED_PAD src0_sel:DWORD src1_sel:WORD_0
	s_or_b64 s[8:9], s[4:5], s[8:9]
.LBB120_160:                            ;   in Loop: Header=BB120_6 Depth=1
	s_or_b64 exec, exec, s[10:11]
	s_mov_b64 s[38:39], 0
	s_mov_b64 s[94:95], -1
.LBB120_161:                            ;   in Loop: Header=BB120_6 Depth=1
	s_orn2_b64 s[4:5], s[8:9], exec
.LBB120_162:                            ;   in Loop: Header=BB120_6 Depth=1
	s_or_b64 exec, exec, s[12:13]
	s_mov_b64 s[8:9], 0
	s_and_saveexec_b64 s[12:13], s[4:5]
	s_cbranch_execz .LBB120_271
; %bb.163:                              ;   in Loop: Header=BB120_6 Depth=1
	v_mov_b32_e32 v6, 1
	s_xor_b64 s[4:5], s[2:3], -1
	v_mov_b32_e32 v2, 1
	v_mov_b32_e32 v7, 0
	s_and_saveexec_b64 s[2:3], s[4:5]
	s_cbranch_execz .LBB120_172
; %bb.164:                              ;   in Loop: Header=BB120_6 Depth=1
	v_cmp_ge_u64_e32 vcc, s[88:89], v[4:5]
	s_and_saveexec_b64 s[4:5], vcc
	s_xor_b64 s[4:5], exec, s[4:5]
	s_cbranch_execz .LBB120_169
; %bb.165:                              ;   in Loop: Header=BB120_6 Depth=1
	ds_read_b64 v[6:7], v3 offset:5120
	v_and_b32_e32 v2, s58, v11
	v_lshl_or_b32 v11, 1, s53, v2
	v_or_b32_e32 v10, s59, v10
	s_waitcnt lgkmcnt(0)
	v_cmp_ne_u64_e32 vcc, 0, v[6:7]
	s_cbranch_vccnz .LBB120_169
; %bb.166:                              ;   in Loop: Header=BB120_6 Depth=1
	s_mov_b64 s[8:9], exec
	v_readlane_b32 s10, v54, 8
	v_readlane_b32 s11, v54, 9
	s_and_b64 s[10:11], s[8:9], s[10:11]
	s_mov_b64 exec, s[10:11]
; %bb.167:                              ;   in Loop: Header=BB120_6 Depth=1
	v_mov_b32_e32 v6, s88
	v_mov_b32_e32 v7, s89
	ds_write_b64 v3, v[6:7] offset:5128
; %bb.168:                              ;   in Loop: Header=BB120_6 Depth=1
	s_or_b64 exec, exec, s[8:9]
	s_waitcnt lgkmcnt(0)
	s_barrier
.LBB120_169:                            ;   in Loop: Header=BB120_6 Depth=1
	s_or_saveexec_b64 s[4:5], s[4:5]
	s_mov_b64 s[8:9], 0
	v_mov_b32_e32 v2, 8
	s_xor_b64 exec, exec, s[4:5]
; %bb.170:                              ;   in Loop: Header=BB120_6 Depth=1
	v_subrev_co_u32_e32 v4, vcc, s88, v4
	v_mov_b32_e32 v2, s89
	v_subb_co_u32_e32 v5, vcc, v5, v2, vcc
	v_mov_b32_e32 v2, 0
	s_mov_b64 s[8:9], exec
; %bb.171:                              ;   in Loop: Header=BB120_6 Depth=1
	s_or_b64 exec, exec, s[4:5]
	v_mov_b32_e32 v7, v5
	s_and_b64 s[8:9], s[8:9], exec
	v_mov_b32_e32 v6, v4
.LBB120_172:                            ;   in Loop: Header=BB120_6 Depth=1
	s_or_b64 exec, exec, s[2:3]
	s_mov_b64 s[4:5], -1
                                        ; implicit-def: $sgpr2_sgpr3
                                        ; kill: killed $sgpr2_sgpr3
                                        ; implicit-def: $sgpr2_sgpr3
                                        ; kill: killed $sgpr2_sgpr3
	s_and_saveexec_b64 s[20:21], s[8:9]
	s_cbranch_execz .LBB120_270
; %bb.173:                              ;   in Loop: Header=BB120_6 Depth=1
	s_cmp_eq_u64 s[90:91], 1
	v_cmp_eq_u64_e32 vcc, 1, v[6:7]
	s_cselect_b64 s[2:3], -1, 0
	s_and_b64 s[62:63], s[2:3], vcc
                                        ; implicit-def: $sgpr2_sgpr3
                                        ; kill: killed $sgpr2_sgpr3
                                        ; implicit-def: $sgpr2_sgpr3
                                        ; kill: killed $sgpr2_sgpr3
	s_and_saveexec_b64 s[60:61], s[62:63]
	s_cbranch_execz .LBB120_208
; %bb.174:                              ;   in Loop: Header=BB120_6 Depth=1
	ds_read_b64 v[4:5], v3 offset:5120
	s_waitcnt lgkmcnt(0)
	s_barrier
	v_readfirstlane_b32 s10, v4
	v_readfirstlane_b32 s11, v5
	s_mov_b64 s[2:3], exec
	v_readlane_b32 s4, v54, 30
	v_readlane_b32 s5, v54, 31
	s_and_b64 s[4:5], s[2:3], s[4:5]
	s_mov_b64 exec, s[4:5]
; %bb.175:                              ;   in Loop: Header=BB120_6 Depth=1
	ds_write_b8 v0, v3 offset:3072
; %bb.176:                              ;   in Loop: Header=BB120_6 Depth=1
	s_or_b64 exec, exec, s[2:3]
	s_mov_b64 s[2:3], -1
	v_writelane_b32 v54, s2, 52
	v_and_b32_e32 v4, s58, v11
	v_writelane_b32 v54, s3, 53
	s_mov_b64 s[2:3], 0
	v_lshl_or_b32 v11, 2, s53, v4
	v_or_b32_e32 v10, s59, v10
	v_writelane_b32 v54, s2, 54
	s_cmp_eq_u64 s[10:11], 0
	s_mov_b64 s[8:9], 0
	s_mov_b64 s[36:37], -1
	s_waitcnt lgkmcnt(0)
	s_barrier
	v_writelane_b32 v54, s3, 55
                                        ; implicit-def: $vgpr8
	s_cbranch_scc1 .LBB120_190
; %bb.177:                              ;   in Loop: Header=BB120_6 Depth=1
	v_readlane_b32 s2, v54, 34
	s_add_u32 s16, s10, s2
	v_readlane_b32 s2, v54, 36
	s_addc_u32 s9, s11, s2
	s_mov_b32 s8, s51
	s_cmp_lg_u64 s[8:9], 0
	s_cbranch_scc0 .LBB120_193
; %bb.178:                              ;   in Loop: Header=BB120_6 Depth=1
	v_cvt_f32_u32_e32 v4, s33
	s_sub_u32 s4, 0, s33
	s_subb_u32 s5, 0, 0
	v_mac_f32_e32 v4, 0, v38
	v_rcp_f32_e32 v4, v4
	v_mul_f32_e32 v4, 0x5f7ffffc, v4
	v_mul_f32_e32 v5, 0x2f800000, v4
	v_trunc_f32_e32 v5, v5
	v_mac_f32_e32 v4, 0xcf800000, v5
	v_cvt_u32_f32_e32 v5, v5
	v_cvt_u32_f32_e32 v4, v4
	v_readfirstlane_b32 s8, v5
	v_readfirstlane_b32 s2, v4
	s_mul_i32 s3, s4, s8
	s_mul_hi_u32 s34, s4, s2
	s_mul_i32 s17, s5, s2
	s_add_i32 s3, s34, s3
	s_mul_i32 s35, s4, s2
	s_add_i32 s3, s3, s17
	s_mul_hi_u32 s34, s2, s35
	s_mul_i32 s36, s2, s3
	s_mul_hi_u32 s17, s2, s3
	s_add_u32 s34, s34, s36
	s_addc_u32 s17, 0, s17
	s_mul_hi_u32 s37, s8, s35
	s_mul_i32 s35, s8, s35
	s_add_u32 s34, s34, s35
	s_mul_hi_u32 s36, s8, s3
	s_addc_u32 s17, s17, s37
	s_addc_u32 s34, s36, 0
	s_mul_i32 s3, s8, s3
	s_add_u32 s3, s17, s3
	s_addc_u32 s17, 0, s34
	s_add_u32 s34, s2, s3
	s_cselect_b64 s[2:3], -1, 0
	s_cmp_lg_u64 s[2:3], 0
	s_addc_u32 s8, s8, s17
	s_mul_i32 s2, s4, s8
	s_mul_hi_u32 s3, s4, s34
	s_add_i32 s2, s3, s2
	s_mul_i32 s5, s5, s34
	s_add_i32 s2, s2, s5
	s_mul_i32 s4, s4, s34
	s_mul_hi_u32 s5, s8, s4
	s_mul_i32 s17, s8, s4
	s_mul_i32 s36, s34, s2
	s_mul_hi_u32 s4, s34, s4
	s_mul_hi_u32 s35, s34, s2
	s_add_u32 s4, s4, s36
	s_addc_u32 s35, 0, s35
	s_add_u32 s4, s4, s17
	s_mul_hi_u32 s3, s8, s2
	s_addc_u32 s4, s35, s5
	s_addc_u32 s3, s3, 0
	s_mul_i32 s2, s8, s2
	s_add_u32 s2, s4, s2
	s_addc_u32 s4, 0, s3
	s_add_u32 s5, s34, s2
	s_cselect_b64 s[2:3], -1, 0
	s_cmp_lg_u64 s[2:3], 0
	s_addc_u32 s2, s8, s4
	s_mul_i32 s4, s16, s2
	s_mul_hi_u32 s8, s16, s5
	s_mul_hi_u32 s3, s16, s2
	s_add_u32 s4, s8, s4
	s_addc_u32 s3, 0, s3
	s_mul_hi_u32 s17, s9, s5
	s_mul_i32 s5, s9, s5
	s_add_u32 s4, s4, s5
	s_mul_hi_u32 s8, s9, s2
	s_addc_u32 s3, s3, s17
	s_addc_u32 s4, s8, 0
	s_mul_i32 s2, s9, s2
	s_add_u32 s2, s3, s2
	s_addc_u32 s3, 0, s4
	s_mul_i32 s3, s33, s3
	s_mul_hi_u32 s4, s33, s2
	s_add_i32 s4, s4, s3
	s_mul_i32 s2, s33, s2
	s_sub_u32 s8, s16, s2
	s_cselect_b64 s[2:3], -1, 0
	s_cmp_lg_u64 s[2:3], 0
	s_subb_u32 s4, s9, s4
	s_sub_u32 s5, s8, s33
	s_cselect_b64 s[2:3], -1, 0
	s_cmp_lg_u64 s[2:3], 0
	s_subb_u32 s17, s4, 0
	;; [unrolled: 4-line block ×3, first 2 shown]
	s_cmp_ge_u32 s5, s33
	s_cselect_b32 s3, -1, 0
	s_cmp_eq_u32 s17, 0
	s_cselect_b32 s3, s3, -1
	s_cmp_lg_u32 s3, 0
	s_cselect_b32 s2, s2, s17
	s_cselect_b32 s3, s34, s5
	s_cmp_ge_u32 s8, s33
	s_cselect_b32 s5, -1, 0
	s_cmp_eq_u32 s4, 0
	s_cselect_b32 s5, s5, -1
	s_cmp_lg_u32 s5, 0
	s_cselect_b32 s5, s2, s4
	s_cselect_b32 s4, s3, s8
	s_cbranch_execnz .LBB120_180
.LBB120_179:                            ;   in Loop: Header=BB120_6 Depth=1
	v_cvt_f32_u32_e32 v4, s33
	s_sub_i32 s2, 0, s33
	v_rcp_iflag_f32_e32 v4, v4
	v_mul_f32_e32 v4, 0x4f7ffffe, v4
	v_cvt_u32_f32_e32 v4, v4
	v_readfirstlane_b32 s3, v4
	s_mul_i32 s2, s2, s3
	s_mul_hi_u32 s2, s3, s2
	s_add_i32 s3, s3, s2
	s_mul_hi_u32 s2, s16, s3
	s_mul_i32 s2, s2, s33
	s_sub_i32 s2, s16, s2
	s_sub_i32 s3, s2, s33
	s_cmp_ge_u32 s2, s33
	s_cselect_b32 s2, s3, s2
	s_sub_i32 s3, s2, s33
	s_cmp_ge_u32 s2, s33
	s_cselect_b32 s50, s3, s2
	s_mov_b64 s[4:5], s[50:51]
	v_readlane_b32 s50, v54, 50
.LBB120_180:                            ;   in Loop: Header=BB120_6 Depth=1
	s_sub_u32 s16, s16, s4
	s_subb_u32 s17, s9, s5
	v_cmp_gt_u64_e32 vcc, s[16:17], v[0:1]
	s_mov_b64 s[36:37], 0
	s_mov_b64 s[8:9], 0
                                        ; implicit-def: $vgpr8
	s_and_saveexec_b64 s[54:55], vcc
	s_cbranch_execz .LBB120_189
; %bb.181:                              ;   in Loop: Header=BB120_6 Depth=1
	v_mov_b32_e32 v5, v1
	v_mov_b32_e32 v8, v0
	;; [unrolled: 1-line block ×3, first 2 shown]
                                        ; implicit-def: $sgpr4_sgpr5
	s_branch .LBB120_184
.LBB120_182:                            ;   in Loop: Header=BB120_184 Depth=2
	s_or_b64 exec, exec, s[34:35]
	s_waitcnt lgkmcnt(0)
	s_barrier
	ds_read_u16 v9, v3 offset:3072
	s_mov_b64 s[34:35], -1
	s_waitcnt lgkmcnt(0)
	s_barrier
	v_cmp_ne_u32_sdwa s[2:3], v9, v3 src0_sel:BYTE_0 src1_sel:DWORD
	s_and_b64 vcc, exec, s[2:3]
	s_mov_b64 s[2:3], -1
	s_cbranch_vccz .LBB120_187
.LBB120_183:                            ;   in Loop: Header=BB120_184 Depth=2
	s_and_b64 s[34:35], exec, s[34:35]
	s_or_b64 s[8:9], s[34:35], s[8:9]
	s_andn2_b64 s[4:5], s[4:5], exec
	s_and_b64 s[2:3], s[2:3], exec
	s_or_b64 s[4:5], s[4:5], s[2:3]
	s_andn2_b64 exec, exec, s[8:9]
	s_cbranch_execz .LBB120_188
.LBB120_184:                            ;   Parent Loop BB120_6 Depth=1
                                        ; =>  This Inner Loop Header: Depth=2
	v_cmp_gt_u64_e32 vcc, s[10:11], v[4:5]
	s_and_saveexec_b64 s[34:35], vcc
	s_cbranch_execz .LBB120_182
; %bb.185:                              ;   in Loop: Header=BB120_184 Depth=2
	ds_read_u8 v9, v8
	s_waitcnt lgkmcnt(0)
	v_and_b32_e32 v26, v9, v10
	v_cmp_eq_u32_sdwa s[2:3], v26, v11 src0_sel:BYTE_0 src1_sel:DWORD
	s_and_b64 exec, exec, s[2:3]
	s_cbranch_execz .LBB120_182
; %bb.186:                              ;   in Loop: Header=BB120_184 Depth=2
	v_lshlrev_b16_e32 v9, 8, v9
	v_or_b32_e32 v9, 1, v9
	ds_write_b16 v3, v9 offset:3072
	s_branch .LBB120_182
.LBB120_187:                            ;   in Loop: Header=BB120_184 Depth=2
	v_add_co_u32_e32 v4, vcc, s33, v4
	v_addc_co_u32_e32 v5, vcc, 0, v5, vcc
	v_cmp_le_u64_e32 vcc, s[16:17], v[4:5]
	v_add_u32_e32 v8, s33, v8
	s_mov_b64 s[2:3], 0
	s_orn2_b64 s[34:35], vcc, exec
	s_branch .LBB120_183
.LBB120_188:                            ;   in Loop: Header=BB120_6 Depth=1
	s_or_b64 exec, exec, s[8:9]
	v_lshrrev_b32_sdwa v8, v39, v9 dst_sel:DWORD dst_unused:UNUSED_PAD src0_sel:DWORD src1_sel:WORD_0
	s_and_b64 s[8:9], s[4:5], exec
.LBB120_189:                            ;   in Loop: Header=BB120_6 Depth=1
	s_or_b64 exec, exec, s[54:55]
.LBB120_190:                            ;   in Loop: Header=BB120_6 Depth=1
	s_and_b64 vcc, exec, s[36:37]
	s_cbranch_vccz .LBB120_207
; %bb.191:                              ;   in Loop: Header=BB120_6 Depth=1
	v_readlane_b32 s36, v54, 37
	v_readlane_b32 s37, v54, 38
	s_mov_b32 s36, s51
	s_cmp_lg_u64 s[36:37], 0
	v_writelane_b32 v54, s36, 37
	v_writelane_b32 v54, s37, 38
	s_cbranch_scc0 .LBB120_194
; %bb.192:                              ;   in Loop: Header=BB120_6 Depth=1
	v_cvt_f32_u32_e32 v4, s33
	s_sub_u32 s4, 0, s33
	s_subb_u32 s5, 0, 0
	v_mac_f32_e32 v4, 0, v38
	v_rcp_f32_e32 v4, v4
	v_mul_f32_e32 v4, 0x5f7ffffc, v4
	v_mul_f32_e32 v5, 0x2f800000, v4
	v_trunc_f32_e32 v5, v5
	v_mac_f32_e32 v4, 0xcf800000, v5
	v_cvt_u32_f32_e32 v5, v5
	v_cvt_u32_f32_e32 v4, v4
	v_readfirstlane_b32 s10, v5
	v_readfirstlane_b32 s2, v4
	s_mul_i32 s3, s4, s10
	s_mul_hi_u32 s16, s4, s2
	s_mul_i32 s11, s5, s2
	s_add_i32 s3, s16, s3
	s_mul_i32 s17, s4, s2
	s_add_i32 s3, s3, s11
	s_mul_hi_u32 s16, s2, s17
	s_mul_i32 s34, s2, s3
	s_mul_hi_u32 s11, s2, s3
	s_add_u32 s16, s16, s34
	s_addc_u32 s11, 0, s11
	s_mul_hi_u32 s35, s10, s17
	s_mul_i32 s17, s10, s17
	s_add_u32 s16, s16, s17
	s_mul_hi_u32 s34, s10, s3
	s_addc_u32 s11, s11, s35
	s_addc_u32 s16, s34, 0
	s_mul_i32 s3, s10, s3
	s_add_u32 s3, s11, s3
	s_addc_u32 s11, 0, s16
	s_add_u32 s16, s2, s3
	s_cselect_b64 s[2:3], -1, 0
	s_cmp_lg_u64 s[2:3], 0
	s_addc_u32 s10, s10, s11
	s_mul_i32 s2, s4, s10
	s_mul_hi_u32 s3, s4, s16
	s_add_i32 s2, s3, s2
	s_mul_i32 s5, s5, s16
	s_add_i32 s2, s2, s5
	s_mul_i32 s4, s4, s16
	s_mul_hi_u32 s5, s10, s4
	s_mul_i32 s11, s10, s4
	s_mul_i32 s34, s16, s2
	s_mul_hi_u32 s4, s16, s4
	s_mul_hi_u32 s17, s16, s2
	s_add_u32 s4, s4, s34
	s_addc_u32 s17, 0, s17
	s_add_u32 s4, s4, s11
	s_mul_hi_u32 s3, s10, s2
	s_addc_u32 s4, s17, s5
	s_addc_u32 s3, s3, 0
	s_mul_i32 s2, s10, s2
	s_add_u32 s2, s4, s2
	s_addc_u32 s4, 0, s3
	s_add_u32 s5, s16, s2
	s_cselect_b64 s[2:3], -1, 0
	s_cmp_lg_u64 s[2:3], 0
	s_addc_u32 s2, s10, s4
	v_readlane_b32 s17, v54, 35
	s_mul_i32 s4, s17, s2
	s_mul_hi_u32 s10, s17, s5
	s_mul_hi_u32 s3, s17, s2
	s_add_u32 s4, s10, s4
	s_addc_u32 s3, 0, s3
	s_mul_hi_u32 s11, s37, s5
	s_mul_i32 s5, s37, s5
	s_add_u32 s4, s4, s5
	s_mul_hi_u32 s10, s37, s2
	s_addc_u32 s3, s3, s11
	s_addc_u32 s4, s10, 0
	s_mul_i32 s2, s37, s2
	s_add_u32 s2, s3, s2
	s_addc_u32 s3, 0, s4
	s_mul_i32 s3, s33, s3
	s_mul_hi_u32 s4, s33, s2
	s_add_i32 s4, s4, s3
	s_mul_i32 s2, s33, s2
	s_sub_u32 s5, s17, s2
	s_cselect_b64 s[2:3], -1, 0
	s_cmp_lg_u64 s[2:3], 0
	s_subb_u32 s4, s37, s4
	s_sub_u32 s10, s5, s33
	s_cselect_b64 s[2:3], -1, 0
	s_cmp_lg_u64 s[2:3], 0
	s_subb_u32 s11, s4, 0
	;; [unrolled: 4-line block ×3, first 2 shown]
	s_cmp_ge_u32 s10, s33
	s_cselect_b32 s3, -1, 0
	s_cmp_eq_u32 s11, 0
	s_cselect_b32 s3, s3, -1
	s_cmp_lg_u32 s3, 0
	s_cselect_b32 s2, s2, s11
	s_cselect_b32 s10, s16, s10
	s_cmp_ge_u32 s5, s33
	s_cselect_b32 s3, -1, 0
	s_cmp_eq_u32 s4, 0
	s_cselect_b32 s3, s3, -1
	s_cmp_lg_u32 s3, 0
	s_cselect_b32 s3, s2, s4
	s_cselect_b32 s2, s10, s5
	s_mov_b64 s[4:5], 0
	s_branch .LBB120_195
.LBB120_193:                            ;   in Loop: Header=BB120_6 Depth=1
                                        ; implicit-def: $sgpr4_sgpr5
	s_branch .LBB120_179
.LBB120_194:                            ;   in Loop: Header=BB120_6 Depth=1
	s_mov_b64 s[4:5], -1
	v_readlane_b32 s17, v54, 35
                                        ; implicit-def: $sgpr2_sgpr3
.LBB120_195:                            ;   in Loop: Header=BB120_6 Depth=1
	s_andn2_b64 vcc, exec, s[4:5]
	v_readlane_b32 s56, v54, 49
	s_cbranch_vccnz .LBB120_197
; %bb.196:                              ;   in Loop: Header=BB120_6 Depth=1
	v_cvt_f32_u32_e32 v4, s33
	s_sub_i32 s2, 0, s33
	v_rcp_iflag_f32_e32 v4, v4
	v_mul_f32_e32 v4, 0x4f7ffffe, v4
	v_cvt_u32_f32_e32 v4, v4
	v_readfirstlane_b32 s3, v4
	s_mul_i32 s2, s2, s3
	s_mul_hi_u32 s2, s3, s2
	s_add_i32 s3, s3, s2
	s_mul_hi_u32 s2, s17, s3
	s_mul_i32 s2, s2, s33
	s_sub_i32 s2, s17, s2
	s_sub_i32 s3, s2, s33
	s_cmp_ge_u32 s2, s33
	s_cselect_b32 s2, s3, s2
	s_sub_i32 s3, s2, s33
	s_cmp_ge_u32 s2, s33
	s_cselect_b32 s50, s3, s2
	s_mov_b64 s[2:3], s[50:51]
	v_readlane_b32 s50, v54, 50
.LBB120_197:                            ;   in Loop: Header=BB120_6 Depth=1
	v_readlane_b32 s4, v54, 37
	s_sub_u32 s10, s17, s2
	v_readlane_b32 s5, v54, 38
	s_subb_u32 s11, s5, s3
	v_cmp_gt_u64_e32 vcc, s[10:11], v[0:1]
                                        ; implicit-def: $vgpr8
	s_and_saveexec_b64 s[2:3], vcc
	s_cbranch_execz .LBB120_206
; %bb.198:                              ;   in Loop: Header=BB120_6 Depth=1
	v_mov_b32_e32 v4, v12
	v_mov_b32_e32 v9, v1
	s_mov_b64 s[16:17], 0
	v_mov_b32_e32 v5, v13
	v_mov_b32_e32 v8, v0
                                        ; implicit-def: $sgpr34_sgpr35
	s_branch .LBB120_201
.LBB120_199:                            ;   in Loop: Header=BB120_201 Depth=2
	s_or_b64 exec, exec, s[4:5]
	s_waitcnt lgkmcnt(0)
	s_barrier
	ds_read_u16 v26, v3 offset:3072
	s_mov_b64 s[4:5], -1
	s_waitcnt lgkmcnt(0)
	s_barrier
	v_cmp_eq_u32_sdwa s[36:37], v26, v3 src0_sel:BYTE_0 src1_sel:DWORD
	s_and_b64 vcc, exec, s[36:37]
	s_mov_b64 s[36:37], -1
	s_cbranch_vccnz .LBB120_204
.LBB120_200:                            ;   in Loop: Header=BB120_201 Depth=2
	s_and_b64 s[4:5], exec, s[4:5]
	s_or_b64 s[16:17], s[4:5], s[16:17]
	s_andn2_b64 s[4:5], s[34:35], exec
	s_and_b64 s[34:35], s[36:37], exec
	s_or_b64 s[34:35], s[4:5], s[34:35]
	s_andn2_b64 exec, exec, s[16:17]
	s_cbranch_execz .LBB120_205
.LBB120_201:                            ;   Parent Loop BB120_6 Depth=1
                                        ; =>  This Inner Loop Header: Depth=2
	v_cmp_gt_u64_e32 vcc, s[28:29], v[8:9]
	s_and_saveexec_b64 s[4:5], vcc
	s_cbranch_execz .LBB120_199
; %bb.202:                              ;   in Loop: Header=BB120_201 Depth=2
	global_load_ubyte v26, v[4:5], off
	s_waitcnt vmcnt(0)
	v_and_b32_e32 v27, v26, v10
	v_cmp_eq_u32_sdwa s[36:37], v27, v11 src0_sel:BYTE_0 src1_sel:DWORD
	s_and_b64 exec, exec, s[36:37]
	s_cbranch_execz .LBB120_199
; %bb.203:                              ;   in Loop: Header=BB120_201 Depth=2
	v_lshlrev_b16_e32 v26, 8, v26
	v_or_b32_e32 v26, 1, v26
	ds_write_b16 v3, v26 offset:3072
	s_branch .LBB120_199
.LBB120_204:                            ;   in Loop: Header=BB120_201 Depth=2
	v_add_co_u32_e32 v8, vcc, s33, v8
	v_readlane_b32 s4, v54, 46
	v_addc_co_u32_e32 v9, vcc, 0, v9, vcc
	v_mov_b32_e32 v27, s4
	s_mul_i32 s4, s26, s33
	v_add_co_u32_e32 v4, vcc, s4, v4
	v_addc_co_u32_e32 v5, vcc, v5, v27, vcc
	v_cmp_le_u64_e32 vcc, s[10:11], v[8:9]
	s_mov_b64 s[36:37], 0
	s_orn2_b64 s[4:5], vcc, exec
	s_branch .LBB120_200
.LBB120_205:                            ;   in Loop: Header=BB120_6 Depth=1
	s_or_b64 exec, exec, s[16:17]
	s_andn2_b64 s[4:5], s[8:9], exec
	s_and_b64 s[8:9], s[34:35], exec
	v_lshrrev_b32_sdwa v8, v39, v26 dst_sel:DWORD dst_unused:UNUSED_PAD src0_sel:DWORD src1_sel:WORD_0
	s_or_b64 s[8:9], s[4:5], s[8:9]
.LBB120_206:                            ;   in Loop: Header=BB120_6 Depth=1
	s_or_b64 exec, exec, s[2:3]
	s_mov_b64 s[2:3], 0
	v_writelane_b32 v54, s2, 52
	v_writelane_b32 v54, s3, 53
	s_mov_b64 s[2:3], -1
	v_writelane_b32 v54, s2, 54
	v_writelane_b32 v54, s3, 55
.LBB120_207:                            ;   in Loop: Header=BB120_6 Depth=1
	s_orn2_b64 s[4:5], s[8:9], exec
.LBB120_208:                            ;   in Loop: Header=BB120_6 Depth=1
	s_or_b64 exec, exec, s[60:61]
	s_mov_b64 s[8:9], 0
	s_and_saveexec_b64 s[60:61], s[4:5]
	s_cbranch_execz .LBB120_269
; %bb.209:                              ;   in Loop: Header=BB120_6 Depth=1
	v_mov_b32_e32 v4, 1
	s_xor_b64 s[2:3], s[62:63], -1
	v_mov_b32_e32 v2, 1
	v_mov_b32_e32 v5, 0
	s_mov_b64 s[10:11], 0
	s_and_saveexec_b64 s[8:9], s[2:3]
	s_cbranch_execz .LBB120_218
; %bb.210:                              ;   in Loop: Header=BB120_6 Depth=1
	v_cmp_ge_u64_e32 vcc, s[90:91], v[6:7]
	s_and_saveexec_b64 s[2:3], vcc
	s_xor_b64 s[4:5], exec, s[2:3]
	s_cbranch_execz .LBB120_215
; %bb.211:                              ;   in Loop: Header=BB120_6 Depth=1
	ds_read_b64 v[4:5], v3 offset:5120
	v_and_b32_e32 v2, s58, v11
	v_lshl_or_b32 v11, 2, s53, v2
	v_or_b32_e32 v10, s59, v10
	s_waitcnt lgkmcnt(0)
	v_cmp_ne_u64_e32 vcc, 0, v[4:5]
	s_cbranch_vccnz .LBB120_215
; %bb.212:                              ;   in Loop: Header=BB120_6 Depth=1
	s_mov_b64 s[2:3], exec
	v_readlane_b32 s10, v54, 8
	v_readlane_b32 s11, v54, 9
	s_and_b64 s[10:11], s[2:3], s[10:11]
	s_mov_b64 exec, s[10:11]
; %bb.213:                              ;   in Loop: Header=BB120_6 Depth=1
	v_mov_b32_e32 v4, s90
	v_mov_b32_e32 v5, s91
	ds_write_b64 v3, v[4:5] offset:5128
; %bb.214:                              ;   in Loop: Header=BB120_6 Depth=1
	s_or_b64 exec, exec, s[2:3]
	s_waitcnt lgkmcnt(0)
	s_barrier
.LBB120_215:                            ;   in Loop: Header=BB120_6 Depth=1
	s_or_saveexec_b64 s[4:5], s[4:5]
	s_mov_b64 s[10:11], 0
	v_mov_b32_e32 v2, 8
	s_xor_b64 exec, exec, s[4:5]
; %bb.216:                              ;   in Loop: Header=BB120_6 Depth=1
	v_subrev_co_u32_e32 v6, vcc, s90, v6
	v_mov_b32_e32 v2, s91
	v_subb_co_u32_e32 v7, vcc, v7, v2, vcc
	v_mov_b32_e32 v2, 0
	s_mov_b64 s[10:11], exec
; %bb.217:                              ;   in Loop: Header=BB120_6 Depth=1
	s_or_b64 exec, exec, s[4:5]
	v_mov_b32_e32 v4, v6
	s_and_b64 s[10:11], s[10:11], exec
	v_mov_b32_e32 v5, v7
.LBB120_218:                            ;   in Loop: Header=BB120_6 Depth=1
	s_or_b64 exec, exec, s[8:9]
	s_mov_b64 s[4:5], -1
                                        ; implicit-def: $sgpr36_sgpr37
                                        ; implicit-def: $sgpr34_sgpr35
	s_and_saveexec_b64 s[62:63], s[10:11]
	s_cbranch_execz .LBB120_268
; %bb.219:                              ;   in Loop: Header=BB120_6 Depth=1
	s_cmp_eq_u64 s[92:93], 1
	v_cmp_eq_u64_e32 vcc, 1, v[4:5]
	s_cselect_b64 s[2:3], -1, 0
	s_and_b64 s[2:3], s[2:3], vcc
                                        ; implicit-def: $sgpr36_sgpr37
                                        ; implicit-def: $sgpr34_sgpr35
	s_mov_b64 s[8:9], exec
	v_writelane_b32 v54, s2, 56
	v_writelane_b32 v54, s3, 57
	;; [unrolled: 1-line block ×3, first 2 shown]
	s_and_b64 s[2:3], s[8:9], s[2:3]
	v_writelane_b32 v54, s9, 59
	s_mov_b64 exec, s[2:3]
	s_cbranch_execz .LBB120_256
; %bb.220:                              ;   in Loop: Header=BB120_6 Depth=1
	ds_read_b64 v[6:7], v3 offset:5120
	s_waitcnt lgkmcnt(0)
	s_barrier
	v_readfirstlane_b32 s36, v6
	v_readfirstlane_b32 s37, v7
	s_mov_b64 s[2:3], exec
	v_readlane_b32 s4, v54, 30
	v_readlane_b32 s5, v54, 31
	s_and_b64 s[4:5], s[2:3], s[4:5]
	s_mov_b64 exec, s[4:5]
; %bb.221:                              ;   in Loop: Header=BB120_6 Depth=1
	ds_write_b8 v0, v3 offset:3072
; %bb.222:                              ;   in Loop: Header=BB120_6 Depth=1
	s_or_b64 exec, exec, s[2:3]
	v_or_b32_e32 v11, s59, v11
	v_or_b32_e32 v10, s59, v10
	s_mov_b64 s[34:35], -1
	s_cmp_eq_u64 s[36:37], 0
	s_mov_b64 s[4:5], 0
	s_mov_b64 s[8:9], -1
	s_waitcnt lgkmcnt(0)
	s_barrier
                                        ; implicit-def: $vgpr8
	s_cbranch_scc1 .LBB120_238
; %bb.223:                              ;   in Loop: Header=BB120_6 Depth=1
	v_readlane_b32 s2, v54, 34
	s_add_u32 s10, s36, s2
	v_readlane_b32 s2, v54, 36
	s_addc_u32 s9, s37, s2
	s_mov_b32 s8, s51
	s_cmp_lg_u64 s[8:9], 0
	s_cbranch_scc0 .LBB120_225
; %bb.224:                              ;   in Loop: Header=BB120_6 Depth=1
	v_cvt_f32_u32_e32 v6, s33
	s_sub_u32 s4, 0, s33
	s_subb_u32 s5, 0, 0
	v_mac_f32_e32 v6, 0, v38
	v_rcp_f32_e32 v6, v6
	v_mul_f32_e32 v6, 0x5f7ffffc, v6
	v_mul_f32_e32 v7, 0x2f800000, v6
	v_trunc_f32_e32 v7, v7
	v_mac_f32_e32 v6, 0xcf800000, v7
	v_cvt_u32_f32_e32 v7, v7
	v_cvt_u32_f32_e32 v6, v6
	v_readfirstlane_b32 s8, v7
	v_readfirstlane_b32 s2, v6
	s_mul_i32 s3, s4, s8
	s_mul_hi_u32 s16, s4, s2
	s_mul_i32 s11, s5, s2
	s_add_i32 s3, s16, s3
	s_mul_i32 s17, s4, s2
	s_add_i32 s3, s3, s11
	s_mul_hi_u32 s16, s2, s17
	s_mul_i32 s34, s2, s3
	s_mul_hi_u32 s11, s2, s3
	s_add_u32 s16, s16, s34
	s_addc_u32 s11, 0, s11
	s_mul_hi_u32 s35, s8, s17
	s_mul_i32 s17, s8, s17
	s_add_u32 s16, s16, s17
	s_mul_hi_u32 s34, s8, s3
	s_addc_u32 s11, s11, s35
	s_addc_u32 s16, s34, 0
	s_mul_i32 s3, s8, s3
	s_add_u32 s3, s11, s3
	s_addc_u32 s11, 0, s16
	s_add_u32 s16, s2, s3
	s_cselect_b64 s[2:3], -1, 0
	s_cmp_lg_u64 s[2:3], 0
	s_addc_u32 s8, s8, s11
	s_mul_i32 s2, s4, s8
	s_mul_hi_u32 s3, s4, s16
	s_add_i32 s2, s3, s2
	s_mul_i32 s5, s5, s16
	s_add_i32 s2, s2, s5
	s_mul_i32 s4, s4, s16
	s_mul_hi_u32 s5, s8, s4
	s_mul_i32 s11, s8, s4
	s_mul_i32 s34, s16, s2
	s_mul_hi_u32 s4, s16, s4
	s_mul_hi_u32 s17, s16, s2
	s_add_u32 s4, s4, s34
	s_addc_u32 s17, 0, s17
	s_add_u32 s4, s4, s11
	s_mul_hi_u32 s3, s8, s2
	s_addc_u32 s4, s17, s5
	s_addc_u32 s3, s3, 0
	s_mul_i32 s2, s8, s2
	s_add_u32 s2, s4, s2
	s_addc_u32 s4, 0, s3
	s_add_u32 s5, s16, s2
	s_cselect_b64 s[2:3], -1, 0
	s_cmp_lg_u64 s[2:3], 0
	s_addc_u32 s2, s8, s4
	s_mul_i32 s4, s10, s2
	s_mul_hi_u32 s8, s10, s5
	s_mul_hi_u32 s3, s10, s2
	s_add_u32 s4, s8, s4
	s_addc_u32 s3, 0, s3
	s_mul_hi_u32 s11, s9, s5
	s_mul_i32 s5, s9, s5
	s_add_u32 s4, s4, s5
	s_mul_hi_u32 s8, s9, s2
	s_addc_u32 s3, s3, s11
	s_addc_u32 s4, s8, 0
	s_mul_i32 s2, s9, s2
	s_add_u32 s2, s3, s2
	s_addc_u32 s3, 0, s4
	s_mul_i32 s3, s33, s3
	s_mul_hi_u32 s4, s33, s2
	s_add_i32 s4, s4, s3
	s_mul_i32 s2, s33, s2
	s_sub_u32 s8, s10, s2
	s_cselect_b64 s[2:3], -1, 0
	s_cmp_lg_u64 s[2:3], 0
	s_subb_u32 s4, s9, s4
	s_sub_u32 s5, s8, s33
	s_cselect_b64 s[2:3], -1, 0
	s_cmp_lg_u64 s[2:3], 0
	s_subb_u32 s11, s4, 0
	;; [unrolled: 4-line block ×3, first 2 shown]
	s_cmp_ge_u32 s5, s33
	s_cselect_b32 s3, -1, 0
	s_cmp_eq_u32 s11, 0
	s_cselect_b32 s3, s3, -1
	s_cmp_lg_u32 s3, 0
	s_cselect_b32 s2, s2, s11
	s_cselect_b32 s3, s16, s5
	s_cmp_ge_u32 s8, s33
	s_cselect_b32 s5, -1, 0
	s_cmp_eq_u32 s4, 0
	s_cselect_b32 s5, s5, -1
	s_cmp_lg_u32 s5, 0
	s_cselect_b32 s5, s2, s4
	s_cselect_b32 s4, s3, s8
	s_mov_b64 s[2:3], 0
	s_branch .LBB120_226
.LBB120_225:                            ;   in Loop: Header=BB120_6 Depth=1
	s_mov_b64 s[2:3], -1
                                        ; implicit-def: $sgpr4_sgpr5
.LBB120_226:                            ;   in Loop: Header=BB120_6 Depth=1
	s_andn2_b64 vcc, exec, s[2:3]
	s_cbranch_vccnz .LBB120_228
; %bb.227:                              ;   in Loop: Header=BB120_6 Depth=1
	v_cvt_f32_u32_e32 v6, s33
	s_sub_i32 s2, 0, s33
	v_rcp_iflag_f32_e32 v6, v6
	v_mul_f32_e32 v6, 0x4f7ffffe, v6
	v_cvt_u32_f32_e32 v6, v6
	v_readfirstlane_b32 s3, v6
	s_mul_i32 s2, s2, s3
	s_mul_hi_u32 s2, s3, s2
	s_add_i32 s3, s3, s2
	s_mul_hi_u32 s2, s10, s3
	s_mul_i32 s2, s2, s33
	s_sub_i32 s2, s10, s2
	s_sub_i32 s3, s2, s33
	s_cmp_ge_u32 s2, s33
	s_cselect_b32 s2, s3, s2
	s_sub_i32 s3, s2, s33
	s_cmp_ge_u32 s2, s33
	s_cselect_b32 s50, s3, s2
	s_mov_b64 s[4:5], s[50:51]
	v_readlane_b32 s50, v54, 50
.LBB120_228:                            ;   in Loop: Header=BB120_6 Depth=1
	s_sub_u32 s16, s10, s4
	s_subb_u32 s17, s9, s5
	v_cmp_gt_u64_e32 vcc, s[16:17], v[0:1]
	s_mov_b64 s[8:9], 0
	s_mov_b64 s[4:5], 0
                                        ; implicit-def: $vgpr8
	s_and_saveexec_b64 s[54:55], vcc
	s_cbranch_execz .LBB120_237
; %bb.229:                              ;   in Loop: Header=BB120_6 Depth=1
	v_mov_b32_e32 v7, v1
	s_mov_b64 s[10:11], 0
	v_mov_b32_e32 v8, v0
	v_mov_b32_e32 v6, v0
                                        ; implicit-def: $sgpr4_sgpr5
	s_branch .LBB120_232
.LBB120_230:                            ;   in Loop: Header=BB120_232 Depth=2
	s_or_b64 exec, exec, s[34:35]
	s_waitcnt lgkmcnt(0)
	s_barrier
	ds_read_u16 v9, v3 offset:3072
	s_mov_b64 s[34:35], -1
	s_waitcnt lgkmcnt(0)
	s_barrier
	v_cmp_ne_u32_sdwa s[2:3], v9, v3 src0_sel:BYTE_0 src1_sel:DWORD
	s_and_b64 vcc, exec, s[2:3]
	s_mov_b64 s[2:3], -1
	s_cbranch_vccz .LBB120_235
.LBB120_231:                            ;   in Loop: Header=BB120_232 Depth=2
	s_and_b64 s[34:35], exec, s[34:35]
	s_or_b64 s[10:11], s[34:35], s[10:11]
	s_andn2_b64 s[4:5], s[4:5], exec
	s_and_b64 s[2:3], s[2:3], exec
	s_or_b64 s[4:5], s[4:5], s[2:3]
	s_andn2_b64 exec, exec, s[10:11]
	s_cbranch_execz .LBB120_236
.LBB120_232:                            ;   Parent Loop BB120_6 Depth=1
                                        ; =>  This Inner Loop Header: Depth=2
	v_cmp_gt_u64_e32 vcc, s[36:37], v[6:7]
	s_and_saveexec_b64 s[34:35], vcc
	s_cbranch_execz .LBB120_230
; %bb.233:                              ;   in Loop: Header=BB120_232 Depth=2
	ds_read_u8 v9, v8
	s_waitcnt lgkmcnt(0)
	v_and_b32_e32 v26, v9, v10
	v_cmp_eq_u32_sdwa s[2:3], v26, v11 src0_sel:BYTE_0 src1_sel:DWORD
	s_and_b64 exec, exec, s[2:3]
	s_cbranch_execz .LBB120_230
; %bb.234:                              ;   in Loop: Header=BB120_232 Depth=2
	v_lshlrev_b16_e32 v9, 8, v9
	v_or_b32_e32 v9, 1, v9
	ds_write_b16 v3, v9 offset:3072
	s_branch .LBB120_230
.LBB120_235:                            ;   in Loop: Header=BB120_232 Depth=2
	v_add_co_u32_e32 v6, vcc, s33, v6
	v_addc_co_u32_e32 v7, vcc, 0, v7, vcc
	v_cmp_le_u64_e32 vcc, s[16:17], v[6:7]
	v_add_u32_e32 v8, s33, v8
	s_mov_b64 s[2:3], 0
	s_orn2_b64 s[34:35], vcc, exec
	s_branch .LBB120_231
.LBB120_236:                            ;   in Loop: Header=BB120_6 Depth=1
	s_or_b64 exec, exec, s[10:11]
	v_lshrrev_b32_sdwa v8, v39, v9 dst_sel:DWORD dst_unused:UNUSED_PAD src0_sel:DWORD src1_sel:WORD_0
	s_and_b64 s[4:5], s[4:5], exec
.LBB120_237:                            ;   in Loop: Header=BB120_6 Depth=1
	s_or_b64 exec, exec, s[54:55]
	s_mov_b64 s[34:35], -1
.LBB120_238:                            ;   in Loop: Header=BB120_6 Depth=1
	s_and_b64 vcc, exec, s[8:9]
	s_cbranch_vccz .LBB120_241
; %bb.239:                              ;   in Loop: Header=BB120_6 Depth=1
	v_readlane_b32 s34, v54, 37
	v_readlane_b32 s35, v54, 38
	s_mov_b32 s34, s51
	s_mov_b64 s[54:55], s[4:5]
	s_cmp_lg_u64 s[34:35], 0
	v_writelane_b32 v54, s34, 37
	v_writelane_b32 v54, s35, 38
	s_cbranch_scc0 .LBB120_242
; %bb.240:                              ;   in Loop: Header=BB120_6 Depth=1
	v_cvt_f32_u32_e32 v6, s33
	s_sub_u32 s4, 0, s33
	s_subb_u32 s5, 0, 0
	v_mac_f32_e32 v6, 0, v38
	v_rcp_f32_e32 v6, v6
	v_mul_f32_e32 v6, 0x5f7ffffc, v6
	v_mul_f32_e32 v7, 0x2f800000, v6
	v_trunc_f32_e32 v7, v7
	v_mac_f32_e32 v6, 0xcf800000, v7
	v_cvt_u32_f32_e32 v7, v7
	v_cvt_u32_f32_e32 v6, v6
	v_readfirstlane_b32 s8, v7
	v_readfirstlane_b32 s2, v6
	s_mul_i32 s3, s4, s8
	s_mul_hi_u32 s10, s4, s2
	s_mul_i32 s9, s5, s2
	s_add_i32 s3, s10, s3
	s_mul_i32 s11, s4, s2
	s_add_i32 s3, s3, s9
	s_mul_hi_u32 s10, s2, s11
	s_mul_i32 s16, s2, s3
	s_mul_hi_u32 s9, s2, s3
	s_add_u32 s10, s10, s16
	s_addc_u32 s9, 0, s9
	s_mul_hi_u32 s17, s8, s11
	s_mul_i32 s11, s8, s11
	s_add_u32 s10, s10, s11
	s_mul_hi_u32 s16, s8, s3
	s_addc_u32 s9, s9, s17
	s_addc_u32 s10, s16, 0
	s_mul_i32 s3, s8, s3
	s_add_u32 s3, s9, s3
	s_addc_u32 s9, 0, s10
	s_add_u32 s10, s2, s3
	s_cselect_b64 s[2:3], -1, 0
	s_cmp_lg_u64 s[2:3], 0
	s_addc_u32 s8, s8, s9
	s_mul_i32 s2, s4, s8
	s_mul_hi_u32 s3, s4, s10
	s_add_i32 s2, s3, s2
	s_mul_i32 s5, s5, s10
	s_add_i32 s2, s2, s5
	s_mul_i32 s4, s4, s10
	s_mul_hi_u32 s5, s8, s4
	s_mul_i32 s9, s8, s4
	s_mul_i32 s16, s10, s2
	s_mul_hi_u32 s4, s10, s4
	s_mul_hi_u32 s11, s10, s2
	s_add_u32 s4, s4, s16
	s_addc_u32 s11, 0, s11
	s_add_u32 s4, s4, s9
	s_mul_hi_u32 s3, s8, s2
	s_addc_u32 s4, s11, s5
	s_addc_u32 s3, s3, 0
	s_mul_i32 s2, s8, s2
	s_add_u32 s2, s4, s2
	s_addc_u32 s4, 0, s3
	s_add_u32 s5, s10, s2
	s_cselect_b64 s[2:3], -1, 0
	s_cmp_lg_u64 s[2:3], 0
	s_addc_u32 s2, s8, s4
	v_readlane_b32 s11, v54, 35
	s_mul_i32 s4, s11, s2
	s_mul_hi_u32 s8, s11, s5
	s_mul_hi_u32 s3, s11, s2
	s_add_u32 s4, s8, s4
	s_addc_u32 s3, 0, s3
	s_mul_hi_u32 s9, s35, s5
	s_mul_i32 s5, s35, s5
	s_add_u32 s4, s4, s5
	s_mul_hi_u32 s8, s35, s2
	s_addc_u32 s3, s3, s9
	s_addc_u32 s4, s8, 0
	s_mul_i32 s2, s35, s2
	s_add_u32 s2, s3, s2
	s_addc_u32 s3, 0, s4
	s_mul_i32 s3, s33, s3
	s_mul_hi_u32 s4, s33, s2
	s_add_i32 s4, s4, s3
	s_mul_i32 s2, s33, s2
	s_sub_u32 s8, s11, s2
	s_cselect_b64 s[2:3], -1, 0
	s_cmp_lg_u64 s[2:3], 0
	s_subb_u32 s4, s35, s4
	s_sub_u32 s5, s8, s33
	s_cselect_b64 s[2:3], -1, 0
	s_cmp_lg_u64 s[2:3], 0
	s_subb_u32 s9, s4, 0
	;; [unrolled: 4-line block ×3, first 2 shown]
	s_cmp_ge_u32 s5, s33
	s_cselect_b32 s3, -1, 0
	s_cmp_eq_u32 s9, 0
	s_cselect_b32 s3, s3, -1
	s_cmp_lg_u32 s3, 0
	s_cselect_b32 s2, s2, s9
	s_cselect_b32 s3, s10, s5
	s_cmp_ge_u32 s8, s33
	s_cselect_b32 s5, -1, 0
	s_cmp_eq_u32 s4, 0
	s_cselect_b32 s5, s5, -1
	s_cmp_lg_u32 s5, 0
	s_cselect_b32 s5, s2, s4
	s_cselect_b32 s4, s3, s8
	s_mov_b64 s[2:3], 0
	s_branch .LBB120_243
.LBB120_241:                            ;   in Loop: Header=BB120_6 Depth=1
	s_mov_b64 s[36:37], 0
	s_branch .LBB120_255
.LBB120_242:                            ;   in Loop: Header=BB120_6 Depth=1
	s_mov_b64 s[2:3], -1
	v_readlane_b32 s11, v54, 35
                                        ; implicit-def: $sgpr4_sgpr5
.LBB120_243:                            ;   in Loop: Header=BB120_6 Depth=1
	s_andn2_b64 vcc, exec, s[2:3]
	v_readlane_b32 s56, v54, 49
	s_cbranch_vccnz .LBB120_245
; %bb.244:                              ;   in Loop: Header=BB120_6 Depth=1
	v_cvt_f32_u32_e32 v6, s33
	s_sub_i32 s2, 0, s33
	v_rcp_iflag_f32_e32 v6, v6
	v_mul_f32_e32 v6, 0x4f7ffffe, v6
	v_cvt_u32_f32_e32 v6, v6
	v_readfirstlane_b32 s3, v6
	s_mul_i32 s2, s2, s3
	s_mul_hi_u32 s2, s3, s2
	s_add_i32 s3, s3, s2
	s_mul_hi_u32 s2, s11, s3
	s_mul_i32 s2, s2, s33
	s_sub_i32 s2, s11, s2
	s_sub_i32 s3, s2, s33
	s_cmp_ge_u32 s2, s33
	s_cselect_b32 s2, s3, s2
	s_sub_i32 s3, s2, s33
	s_cmp_ge_u32 s2, s33
	s_cselect_b32 s50, s3, s2
	s_mov_b64 s[4:5], s[50:51]
	v_readlane_b32 s50, v54, 50
.LBB120_245:                            ;   in Loop: Header=BB120_6 Depth=1
	v_readlane_b32 s2, v54, 37
	s_sub_u32 s10, s11, s4
	v_readlane_b32 s3, v54, 38
	s_subb_u32 s11, s3, s5
	v_cmp_gt_u64_e32 vcc, s[10:11], v[0:1]
                                        ; implicit-def: $vgpr8
	s_and_saveexec_b64 s[8:9], vcc
	s_cbranch_execz .LBB120_254
; %bb.246:                              ;   in Loop: Header=BB120_6 Depth=1
	v_mov_b32_e32 v6, v12
	v_mov_b32_e32 v9, v1
	s_mov_b64 s[16:17], 0
	v_mov_b32_e32 v7, v13
	v_mov_b32_e32 v8, v0
                                        ; implicit-def: $sgpr36_sgpr37
	s_branch .LBB120_249
.LBB120_247:                            ;   in Loop: Header=BB120_249 Depth=2
	s_or_b64 exec, exec, s[4:5]
	s_waitcnt lgkmcnt(0)
	s_barrier
	ds_read_u16 v26, v3 offset:3072
	s_mov_b64 s[4:5], -1
	s_waitcnt lgkmcnt(0)
	s_barrier
	v_cmp_eq_u32_sdwa s[2:3], v26, v3 src0_sel:BYTE_0 src1_sel:DWORD
	s_and_b64 vcc, exec, s[2:3]
	s_mov_b64 s[2:3], -1
	s_cbranch_vccnz .LBB120_252
.LBB120_248:                            ;   in Loop: Header=BB120_249 Depth=2
	s_and_b64 s[4:5], exec, s[4:5]
	s_or_b64 s[16:17], s[4:5], s[16:17]
	s_andn2_b64 s[4:5], s[36:37], exec
	s_and_b64 s[2:3], s[2:3], exec
	s_or_b64 s[36:37], s[4:5], s[2:3]
	s_andn2_b64 exec, exec, s[16:17]
	s_cbranch_execz .LBB120_253
.LBB120_249:                            ;   Parent Loop BB120_6 Depth=1
                                        ; =>  This Inner Loop Header: Depth=2
	v_cmp_gt_u64_e32 vcc, s[28:29], v[8:9]
	s_and_saveexec_b64 s[4:5], vcc
	s_cbranch_execz .LBB120_247
; %bb.250:                              ;   in Loop: Header=BB120_249 Depth=2
	global_load_ubyte v26, v[6:7], off
	s_waitcnt vmcnt(0)
	v_and_b32_e32 v27, v26, v10
	v_cmp_eq_u32_sdwa s[2:3], v27, v11 src0_sel:BYTE_0 src1_sel:DWORD
	s_and_b64 exec, exec, s[2:3]
	s_cbranch_execz .LBB120_247
; %bb.251:                              ;   in Loop: Header=BB120_249 Depth=2
	v_lshlrev_b16_e32 v26, 8, v26
	v_or_b32_e32 v26, 1, v26
	ds_write_b16 v3, v26 offset:3072
	s_branch .LBB120_247
.LBB120_252:                            ;   in Loop: Header=BB120_249 Depth=2
	v_add_co_u32_e32 v8, vcc, s33, v8
	v_readlane_b32 s2, v54, 46
	v_addc_co_u32_e32 v9, vcc, 0, v9, vcc
	v_mov_b32_e32 v27, s2
	s_mul_i32 s2, s26, s33
	v_add_co_u32_e32 v6, vcc, s2, v6
	v_addc_co_u32_e32 v7, vcc, v7, v27, vcc
	v_cmp_le_u64_e32 vcc, s[10:11], v[8:9]
	s_mov_b64 s[2:3], 0
	s_orn2_b64 s[4:5], vcc, exec
	s_branch .LBB120_248
.LBB120_253:                            ;   in Loop: Header=BB120_6 Depth=1
	s_or_b64 exec, exec, s[16:17]
	s_andn2_b64 s[2:3], s[54:55], exec
	s_and_b64 s[4:5], s[36:37], exec
	v_lshrrev_b32_sdwa v8, v39, v26 dst_sel:DWORD dst_unused:UNUSED_PAD src0_sel:DWORD src1_sel:WORD_0
	s_or_b64 s[54:55], s[2:3], s[4:5]
.LBB120_254:                            ;   in Loop: Header=BB120_6 Depth=1
	s_or_b64 exec, exec, s[8:9]
	s_mov_b64 s[34:35], 0
	s_mov_b64 s[36:37], -1
	s_mov_b64 s[4:5], s[54:55]
.LBB120_255:                            ;   in Loop: Header=BB120_6 Depth=1
	s_orn2_b64 s[4:5], s[4:5], exec
.LBB120_256:                            ;   in Loop: Header=BB120_6 Depth=1
	v_readlane_b32 s2, v54, 58
	v_readlane_b32 s3, v54, 59
	s_or_b64 exec, exec, s[2:3]
	s_mov_b64 s[10:11], 0
	s_and_saveexec_b64 s[8:9], s[4:5]
	s_cbranch_execz .LBB120_267
; %bb.257:                              ;   in Loop: Header=BB120_6 Depth=1
	v_readlane_b32 s2, v54, 56
	v_readlane_b32 s3, v54, 57
	v_mov_b32_e32 v6, 1
	s_xor_b64 s[2:3], s[2:3], -1
	v_mov_b32_e32 v7, 0
	v_mov_b32_e32 v2, 1
	s_and_saveexec_b64 s[16:17], s[2:3]
	s_cbranch_execz .LBB120_266
; %bb.258:                              ;   in Loop: Header=BB120_6 Depth=1
	v_cmp_ge_u64_e32 vcc, s[92:93], v[4:5]
	s_and_saveexec_b64 s[2:3], vcc
	s_xor_b64 s[4:5], exec, s[2:3]
	s_cbranch_execz .LBB120_263
; %bb.259:                              ;   in Loop: Header=BB120_6 Depth=1
	ds_read_b64 v[6:7], v3 offset:5120
	v_or_b32_e32 v11, s59, v11
	v_or_b32_e32 v10, s59, v10
	s_waitcnt lgkmcnt(0)
	v_cmp_ne_u64_e32 vcc, 0, v[6:7]
	s_cbranch_vccnz .LBB120_263
; %bb.260:                              ;   in Loop: Header=BB120_6 Depth=1
	s_mov_b64 s[2:3], exec
	v_readlane_b32 s10, v54, 8
	v_readlane_b32 s11, v54, 9
	s_and_b64 s[10:11], s[2:3], s[10:11]
	s_mov_b64 exec, s[10:11]
; %bb.261:                              ;   in Loop: Header=BB120_6 Depth=1
	v_mov_b32_e32 v6, s92
	v_mov_b32_e32 v7, s93
	ds_write_b64 v3, v[6:7] offset:5128
; %bb.262:                              ;   in Loop: Header=BB120_6 Depth=1
	s_or_b64 exec, exec, s[2:3]
	s_waitcnt lgkmcnt(0)
	s_barrier
.LBB120_263:                            ;   in Loop: Header=BB120_6 Depth=1
	s_andn2_saveexec_b64 s[4:5], s[4:5]
; %bb.264:                              ;   in Loop: Header=BB120_6 Depth=1
	v_mov_b32_e32 v2, s93
	v_subrev_co_u32_e32 v4, vcc, s92, v4
	v_subb_co_u32_e32 v5, vcc, v5, v2, vcc
; %bb.265:                              ;   in Loop: Header=BB120_6 Depth=1
	s_or_b64 exec, exec, s[4:5]
	v_mov_b32_e32 v7, v5
	v_mov_b32_e32 v2, 8
	;; [unrolled: 1-line block ×3, first 2 shown]
.LBB120_266:                            ;   in Loop: Header=BB120_6 Depth=1
	s_or_b64 exec, exec, s[16:17]
	v_mov_b32_e32 v4, v6
	s_mov_b64 s[10:11], exec
	v_mov_b32_e32 v5, v7
.LBB120_267:                            ;   in Loop: Header=BB120_6 Depth=1
	s_or_b64 exec, exec, s[8:9]
	s_orn2_b64 s[4:5], s[10:11], exec
.LBB120_268:                            ;   in Loop: Header=BB120_6 Depth=1
	s_or_b64 exec, exec, s[62:63]
	v_readlane_b32 s2, v54, 54
	v_readlane_b32 s3, v54, 55
	s_andn2_b64 s[2:3], s[2:3], exec
	s_and_b64 s[8:9], s[36:37], exec
	s_or_b64 s[2:3], s[2:3], s[8:9]
	v_writelane_b32 v54, s2, 54
	v_writelane_b32 v54, s3, 55
	v_readlane_b32 s2, v54, 52
	v_readlane_b32 s3, v54, 53
	s_andn2_b64 s[2:3], s[2:3], exec
	s_and_b64 s[8:9], s[34:35], exec
	s_or_b64 s[2:3], s[2:3], s[8:9]
	v_mov_b32_e32 v7, v5
	v_writelane_b32 v54, s2, 52
	s_and_b64 s[8:9], s[4:5], exec
	v_mov_b32_e32 v6, v4
	v_writelane_b32 v54, s3, 53
.LBB120_269:                            ;   in Loop: Header=BB120_6 Depth=1
	s_or_b64 exec, exec, s[60:61]
	s_orn2_b64 s[4:5], s[8:9], exec
.LBB120_270:                            ;   in Loop: Header=BB120_6 Depth=1
	s_or_b64 exec, exec, s[20:21]
	v_readlane_b32 s8, v54, 54
	v_readlane_b32 s9, v54, 55
	s_andn2_b64 s[2:3], s[94:95], exec
	s_and_b64 s[8:9], s[8:9], exec
	s_or_b64 s[94:95], s[2:3], s[8:9]
	v_readlane_b32 s8, v54, 52
	v_readlane_b32 s9, v54, 53
	s_andn2_b64 s[2:3], s[38:39], exec
	s_and_b64 s[8:9], s[8:9], exec
	v_mov_b32_e32 v4, v6
	s_or_b64 s[38:39], s[2:3], s[8:9]
	s_and_b64 s[8:9], s[4:5], exec
	v_mov_b32_e32 v5, v7
.LBB120_271:                            ;   in Loop: Header=BB120_6 Depth=1
	s_or_b64 exec, exec, s[12:13]
	s_orn2_b64 s[2:3], s[8:9], exec
.LBB120_272:                            ;   in Loop: Header=BB120_6 Depth=1
	s_or_b64 exec, exec, s[6:7]
	s_mov_b64 s[4:5], 0
	s_mov_b64 s[6:7], 0
	s_and_saveexec_b64 s[8:9], s[2:3]
	s_xor_b64 s[2:3], exec, s[8:9]
; %bb.273:                              ;   in Loop: Header=BB120_6 Depth=1
	v_cmp_eq_u32_e32 vcc, 8, v2
	v_cmp_ne_u32_e64 s[6:7], 8, v2
	s_and_b64 s[6:7], s[6:7], exec
	s_and_b64 s[4:5], vcc, exec
; %bb.274:                              ;   in Loop: Header=BB120_6 Depth=1
	s_or_b64 exec, exec, s[2:3]
	s_andn2_b64 s[2:3], s[40:41], exec
	s_and_b64 s[8:9], s[94:95], exec
	s_or_b64 s[40:41], s[2:3], s[8:9]
	s_andn2_b64 s[2:3], s[42:43], exec
	s_and_b64 s[8:9], s[38:39], exec
	s_or_b64 s[42:43], s[2:3], s[8:9]
	s_and_b64 s[94:95], s[6:7], exec
	s_and_b64 s[38:39], s[4:5], exec
.LBB120_275:                            ;   in Loop: Header=BB120_6 Depth=1
	s_or_b64 exec, exec, s[14:15]
.LBB120_276:                            ;   in Loop: Header=BB120_6 Depth=1
	s_and_b64 vcc, exec, s[44:45]
	s_cbranch_vccz .LBB120_292
; %bb.277:                              ;   in Loop: Header=BB120_6 Depth=1
	s_cmp_eq_u64 s[92:93], 1
	s_cselect_b64 s[2:3], -1, 0
	s_and_b64 s[2:3], s[2:3], s[18:19]
	s_mov_b64 s[4:5], -1
                                        ; implicit-def: $sgpr18_sgpr19
                                        ; implicit-def: $sgpr24_sgpr25
	s_and_saveexec_b64 s[6:7], s[2:3]
	s_cbranch_execz .LBB120_313
; %bb.278:                              ;   in Loop: Header=BB120_6 Depth=1
	ds_read_b64 v[4:5], v3 offset:5120
	s_waitcnt lgkmcnt(0)
	s_barrier
	v_readfirstlane_b32 s10, v4
	v_readfirstlane_b32 s11, v5
	s_mov_b64 s[4:5], exec
	v_readlane_b32 s8, v54, 30
	v_readlane_b32 s9, v54, 31
	s_and_b64 s[8:9], s[4:5], s[8:9]
	s_mov_b64 exec, s[8:9]
; %bb.279:                              ;   in Loop: Header=BB120_6 Depth=1
	ds_write_b8 v0, v3 offset:3072
; %bb.280:                              ;   in Loop: Header=BB120_6 Depth=1
	s_or_b64 exec, exec, s[4:5]
	v_or_b32_e32 v36, s59, v36
	v_or_b32_e32 v40, s59, v40
	s_mov_b64 s[24:25], -1
	s_mov_b64 s[18:19], 0
	s_cmp_eq_u64 s[10:11], 0
	s_mov_b64 s[8:9], 0
	s_mov_b64 s[12:13], -1
	s_waitcnt lgkmcnt(0)
	s_barrier
                                        ; implicit-def: $vgpr41
	s_cbranch_scc1 .LBB120_295
; %bb.281:                              ;   in Loop: Header=BB120_6 Depth=1
	v_readlane_b32 s4, v54, 34
	s_add_u32 s14, s10, s4
	v_readlane_b32 s4, v54, 36
	s_addc_u32 s9, s11, s4
	s_mov_b32 s8, s51
	s_cmp_lg_u64 s[8:9], 0
	s_cbranch_scc0 .LBB120_298
; %bb.282:                              ;   in Loop: Header=BB120_6 Depth=1
	v_cvt_f32_u32_e32 v2, s33
	s_sub_u32 s8, 0, s33
	s_subb_u32 s12, 0, 0
	v_mac_f32_e32 v2, 0, v38
	v_rcp_f32_e32 v2, v2
	v_mul_f32_e32 v2, 0x5f7ffffc, v2
	v_mul_f32_e32 v4, 0x2f800000, v2
	v_trunc_f32_e32 v4, v4
	v_mac_f32_e32 v2, 0xcf800000, v4
	v_cvt_u32_f32_e32 v4, v4
	v_cvt_u32_f32_e32 v2, v2
	v_readfirstlane_b32 s13, v4
	v_readfirstlane_b32 s4, v2
	s_mul_i32 s5, s8, s13
	s_mul_hi_u32 s16, s8, s4
	s_mul_i32 s15, s12, s4
	s_add_i32 s5, s16, s5
	s_mul_i32 s17, s8, s4
	s_add_i32 s5, s5, s15
	s_mul_hi_u32 s16, s4, s17
	s_mul_i32 s20, s4, s5
	s_mul_hi_u32 s15, s4, s5
	s_add_u32 s16, s16, s20
	s_addc_u32 s15, 0, s15
	s_mul_hi_u32 s21, s13, s17
	s_mul_i32 s17, s13, s17
	s_add_u32 s16, s16, s17
	s_mul_hi_u32 s20, s13, s5
	s_addc_u32 s15, s15, s21
	s_addc_u32 s16, s20, 0
	s_mul_i32 s5, s13, s5
	s_add_u32 s5, s15, s5
	s_addc_u32 s15, 0, s16
	s_add_u32 s16, s4, s5
	s_cselect_b64 s[4:5], -1, 0
	s_cmp_lg_u64 s[4:5], 0
	s_addc_u32 s13, s13, s15
	s_mul_i32 s4, s8, s13
	s_mul_hi_u32 s5, s8, s16
	s_add_i32 s4, s5, s4
	s_mul_i32 s12, s12, s16
	s_add_i32 s4, s4, s12
	s_mul_i32 s8, s8, s16
	s_mul_hi_u32 s12, s13, s8
	s_mul_i32 s15, s13, s8
	s_mul_i32 s20, s16, s4
	s_mul_hi_u32 s8, s16, s8
	s_mul_hi_u32 s17, s16, s4
	s_add_u32 s8, s8, s20
	s_addc_u32 s17, 0, s17
	s_add_u32 s8, s8, s15
	s_mul_hi_u32 s5, s13, s4
	s_addc_u32 s8, s17, s12
	s_addc_u32 s5, s5, 0
	s_mul_i32 s4, s13, s4
	s_add_u32 s4, s8, s4
	s_addc_u32 s8, 0, s5
	s_add_u32 s12, s16, s4
	s_cselect_b64 s[4:5], -1, 0
	s_cmp_lg_u64 s[4:5], 0
	s_addc_u32 s4, s13, s8
	s_mul_i32 s8, s14, s4
	s_mul_hi_u32 s13, s14, s12
	s_mul_hi_u32 s5, s14, s4
	s_add_u32 s8, s13, s8
	s_addc_u32 s5, 0, s5
	s_mul_hi_u32 s15, s9, s12
	s_mul_i32 s12, s9, s12
	s_add_u32 s8, s8, s12
	s_mul_hi_u32 s13, s9, s4
	s_addc_u32 s5, s5, s15
	s_addc_u32 s8, s13, 0
	s_mul_i32 s4, s9, s4
	s_add_u32 s4, s5, s4
	s_addc_u32 s5, 0, s8
	s_mul_i32 s5, s33, s5
	s_mul_hi_u32 s8, s33, s4
	s_add_i32 s8, s8, s5
	s_mul_i32 s4, s33, s4
	s_sub_u32 s12, s14, s4
	s_cselect_b64 s[4:5], -1, 0
	s_cmp_lg_u64 s[4:5], 0
	s_subb_u32 s8, s9, s8
	s_sub_u32 s13, s12, s33
	s_cselect_b64 s[4:5], -1, 0
	s_cmp_lg_u64 s[4:5], 0
	s_subb_u32 s15, s8, 0
	;; [unrolled: 4-line block ×3, first 2 shown]
	s_cmp_ge_u32 s13, s33
	s_cselect_b32 s5, -1, 0
	s_cmp_eq_u32 s15, 0
	s_cselect_b32 s5, s5, -1
	s_cmp_lg_u32 s5, 0
	s_cselect_b32 s4, s4, s15
	s_cselect_b32 s13, s16, s13
	s_cmp_ge_u32 s12, s33
	s_cselect_b32 s5, -1, 0
	s_cmp_eq_u32 s8, 0
	s_cselect_b32 s5, s5, -1
	s_cmp_lg_u32 s5, 0
	s_cselect_b32 s5, s4, s8
	s_cselect_b32 s4, s13, s12
	s_cbranch_execnz .LBB120_284
.LBB120_283:                            ;   in Loop: Header=BB120_6 Depth=1
	v_cvt_f32_u32_e32 v2, s33
	s_sub_i32 s4, 0, s33
	v_rcp_iflag_f32_e32 v2, v2
	v_mul_f32_e32 v2, 0x4f7ffffe, v2
	v_cvt_u32_f32_e32 v2, v2
	v_readfirstlane_b32 s5, v2
	s_mul_i32 s4, s4, s5
	s_mul_hi_u32 s4, s5, s4
	s_add_i32 s5, s5, s4
	s_mul_hi_u32 s4, s14, s5
	s_mul_i32 s4, s4, s33
	s_sub_i32 s4, s14, s4
	s_sub_i32 s5, s4, s33
	s_cmp_ge_u32 s4, s33
	s_cselect_b32 s4, s5, s4
	s_sub_i32 s5, s4, s33
	s_cmp_ge_u32 s4, s33
	s_cselect_b32 s50, s5, s4
	s_mov_b64 s[4:5], s[50:51]
	v_readlane_b32 s50, v54, 50
.LBB120_284:                            ;   in Loop: Header=BB120_6 Depth=1
	s_sub_u32 s20, s14, s4
	s_subb_u32 s21, s9, s5
	v_cmp_gt_u64_e32 vcc, s[20:21], v[0:1]
	s_mov_b64 s[12:13], 0
	s_mov_b64 s[8:9], 0
                                        ; implicit-def: $vgpr41
	s_and_saveexec_b64 s[14:15], vcc
	s_cbranch_execz .LBB120_294
; %bb.285:                              ;   in Loop: Header=BB120_6 Depth=1
	v_mov_b32_e32 v5, v1
	v_mov_b32_e32 v2, v0
	;; [unrolled: 1-line block ×3, first 2 shown]
                                        ; implicit-def: $sgpr16_sgpr17
	s_branch .LBB120_288
.LBB120_286:                            ;   in Loop: Header=BB120_288 Depth=2
	s_or_b64 exec, exec, s[4:5]
	s_waitcnt lgkmcnt(0)
	s_barrier
	ds_read_u16 v6, v3 offset:3072
	s_mov_b64 s[4:5], -1
	s_waitcnt lgkmcnt(0)
	s_barrier
	v_cmp_ne_u32_sdwa s[34:35], v6, v3 src0_sel:BYTE_0 src1_sel:DWORD
	s_and_b64 vcc, exec, s[34:35]
	s_mov_b64 s[34:35], -1
	s_cbranch_vccz .LBB120_291
.LBB120_287:                            ;   in Loop: Header=BB120_288 Depth=2
	s_and_b64 s[4:5], exec, s[4:5]
	s_or_b64 s[8:9], s[4:5], s[8:9]
	s_andn2_b64 s[4:5], s[16:17], exec
	s_and_b64 s[16:17], s[34:35], exec
	s_or_b64 s[16:17], s[4:5], s[16:17]
	s_andn2_b64 exec, exec, s[8:9]
	s_cbranch_execz .LBB120_293
.LBB120_288:                            ;   Parent Loop BB120_6 Depth=1
                                        ; =>  This Inner Loop Header: Depth=2
	v_cmp_gt_u64_e32 vcc, s[10:11], v[4:5]
	s_and_saveexec_b64 s[4:5], vcc
	s_cbranch_execz .LBB120_286
; %bb.289:                              ;   in Loop: Header=BB120_288 Depth=2
	ds_read_u8 v6, v2
	s_waitcnt lgkmcnt(0)
	v_and_b32_e32 v7, v6, v40
	v_cmp_eq_u32_sdwa s[34:35], v7, v36 src0_sel:BYTE_0 src1_sel:DWORD
	s_and_b64 exec, exec, s[34:35]
	s_cbranch_execz .LBB120_286
; %bb.290:                              ;   in Loop: Header=BB120_288 Depth=2
	v_lshlrev_b16_e32 v6, 8, v6
	v_or_b32_e32 v6, 1, v6
	ds_write_b16 v3, v6 offset:3072
	s_branch .LBB120_286
.LBB120_291:                            ;   in Loop: Header=BB120_288 Depth=2
	v_add_co_u32_e32 v4, vcc, s33, v4
	v_addc_co_u32_e32 v5, vcc, 0, v5, vcc
	v_cmp_le_u64_e32 vcc, s[20:21], v[4:5]
	v_add_u32_e32 v2, s33, v2
	s_mov_b64 s[34:35], 0
	s_orn2_b64 s[4:5], vcc, exec
	s_branch .LBB120_287
.LBB120_292:                            ;   in Loop: Header=BB120_6 Depth=1
	s_mov_b64 s[18:19], 0
	v_mov_b32_e32 v36, v11
	v_mov_b32_e32 v40, v10
	;; [unrolled: 1-line block ×3, first 2 shown]
	s_and_saveexec_b64 s[2:3], s[38:39]
	s_cbranch_execnz .LBB120_472
	s_branch .LBB120_473
.LBB120_293:                            ;   in Loop: Header=BB120_6 Depth=1
	s_or_b64 exec, exec, s[8:9]
	v_lshrrev_b32_sdwa v41, v39, v6 dst_sel:DWORD dst_unused:UNUSED_PAD src0_sel:DWORD src1_sel:WORD_0
	s_and_b64 s[8:9], s[16:17], exec
.LBB120_294:                            ;   in Loop: Header=BB120_6 Depth=1
	s_or_b64 exec, exec, s[14:15]
.LBB120_295:                            ;   in Loop: Header=BB120_6 Depth=1
	s_and_b64 vcc, exec, s[12:13]
	s_cbranch_vccz .LBB120_312
; %bb.296:                              ;   in Loop: Header=BB120_6 Depth=1
	v_readlane_b32 s18, v54, 37
	v_readlane_b32 s19, v54, 38
	s_mov_b32 s18, s51
	s_cmp_lg_u64 s[18:19], 0
	v_writelane_b32 v54, s18, 37
	v_writelane_b32 v54, s19, 38
	s_cbranch_scc0 .LBB120_299
; %bb.297:                              ;   in Loop: Header=BB120_6 Depth=1
	v_cvt_f32_u32_e32 v2, s33
	s_sub_u32 s10, 0, s33
	s_subb_u32 s11, 0, 0
	v_mac_f32_e32 v2, 0, v38
	v_rcp_f32_e32 v2, v2
	v_mul_f32_e32 v2, 0x5f7ffffc, v2
	v_mul_f32_e32 v4, 0x2f800000, v2
	v_trunc_f32_e32 v4, v4
	v_mac_f32_e32 v2, 0xcf800000, v4
	v_cvt_u32_f32_e32 v4, v4
	v_cvt_u32_f32_e32 v2, v2
	v_readfirstlane_b32 s12, v4
	v_readfirstlane_b32 s4, v2
	s_mul_i32 s5, s10, s12
	s_mul_hi_u32 s14, s10, s4
	s_mul_i32 s13, s11, s4
	s_add_i32 s5, s14, s5
	s_mul_i32 s15, s10, s4
	s_add_i32 s5, s5, s13
	s_mul_hi_u32 s14, s4, s15
	s_mul_i32 s16, s4, s5
	s_mul_hi_u32 s13, s4, s5
	s_add_u32 s14, s14, s16
	s_addc_u32 s13, 0, s13
	s_mul_hi_u32 s17, s12, s15
	s_mul_i32 s15, s12, s15
	s_add_u32 s14, s14, s15
	s_mul_hi_u32 s16, s12, s5
	s_addc_u32 s13, s13, s17
	s_addc_u32 s14, s16, 0
	s_mul_i32 s5, s12, s5
	s_add_u32 s5, s13, s5
	s_addc_u32 s13, 0, s14
	s_add_u32 s14, s4, s5
	s_cselect_b64 s[4:5], -1, 0
	s_cmp_lg_u64 s[4:5], 0
	s_addc_u32 s12, s12, s13
	s_mul_i32 s4, s10, s12
	s_mul_hi_u32 s5, s10, s14
	s_add_i32 s4, s5, s4
	s_mul_i32 s11, s11, s14
	s_add_i32 s4, s4, s11
	s_mul_i32 s10, s10, s14
	s_mul_hi_u32 s11, s12, s10
	s_mul_i32 s13, s12, s10
	s_mul_i32 s16, s14, s4
	s_mul_hi_u32 s10, s14, s10
	s_mul_hi_u32 s15, s14, s4
	s_add_u32 s10, s10, s16
	s_addc_u32 s15, 0, s15
	s_add_u32 s10, s10, s13
	s_mul_hi_u32 s5, s12, s4
	s_addc_u32 s10, s15, s11
	s_addc_u32 s5, s5, 0
	s_mul_i32 s4, s12, s4
	s_add_u32 s4, s10, s4
	s_addc_u32 s10, 0, s5
	s_add_u32 s11, s14, s4
	s_cselect_b64 s[4:5], -1, 0
	s_cmp_lg_u64 s[4:5], 0
	s_addc_u32 s4, s12, s10
	v_readlane_b32 s15, v54, 35
	s_mul_i32 s10, s15, s4
	s_mul_hi_u32 s12, s15, s11
	s_mul_hi_u32 s5, s15, s4
	s_add_u32 s10, s12, s10
	s_addc_u32 s5, 0, s5
	s_mul_hi_u32 s13, s19, s11
	s_mul_i32 s11, s19, s11
	s_add_u32 s10, s10, s11
	s_mul_hi_u32 s12, s19, s4
	s_addc_u32 s5, s5, s13
	s_addc_u32 s10, s12, 0
	s_mul_i32 s4, s19, s4
	s_add_u32 s4, s5, s4
	s_addc_u32 s5, 0, s10
	s_mul_i32 s5, s33, s5
	s_mul_hi_u32 s10, s33, s4
	s_add_i32 s10, s10, s5
	s_mul_i32 s4, s33, s4
	s_sub_u32 s11, s15, s4
	s_cselect_b64 s[4:5], -1, 0
	s_cmp_lg_u64 s[4:5], 0
	s_subb_u32 s10, s19, s10
	s_sub_u32 s12, s11, s33
	s_cselect_b64 s[4:5], -1, 0
	s_cmp_lg_u64 s[4:5], 0
	s_subb_u32 s13, s10, 0
	;; [unrolled: 4-line block ×3, first 2 shown]
	s_cmp_ge_u32 s12, s33
	s_cselect_b32 s5, -1, 0
	s_cmp_eq_u32 s13, 0
	s_cselect_b32 s5, s5, -1
	s_cmp_lg_u32 s5, 0
	s_cselect_b32 s4, s4, s13
	s_cselect_b32 s12, s14, s12
	s_cmp_ge_u32 s11, s33
	s_cselect_b32 s5, -1, 0
	s_cmp_eq_u32 s10, 0
	s_cselect_b32 s5, s5, -1
	s_cmp_lg_u32 s5, 0
	s_cselect_b32 s5, s4, s10
	s_cselect_b32 s4, s12, s11
	s_mov_b64 s[10:11], 0
	s_branch .LBB120_300
.LBB120_298:                            ;   in Loop: Header=BB120_6 Depth=1
                                        ; implicit-def: $sgpr4_sgpr5
	s_andn2_b64 vcc, exec, s[12:13]
	s_cbranch_vccz .LBB120_283
	s_branch .LBB120_284
.LBB120_299:                            ;   in Loop: Header=BB120_6 Depth=1
	s_mov_b64 s[10:11], -1
	v_readlane_b32 s15, v54, 35
                                        ; implicit-def: $sgpr4_sgpr5
.LBB120_300:                            ;   in Loop: Header=BB120_6 Depth=1
	s_andn2_b64 vcc, exec, s[10:11]
	v_readlane_b32 s56, v54, 49
	s_cbranch_vccnz .LBB120_302
; %bb.301:                              ;   in Loop: Header=BB120_6 Depth=1
	v_cvt_f32_u32_e32 v2, s33
	s_sub_i32 s4, 0, s33
	v_rcp_iflag_f32_e32 v2, v2
	v_mul_f32_e32 v2, 0x4f7ffffe, v2
	v_cvt_u32_f32_e32 v2, v2
	v_readfirstlane_b32 s5, v2
	s_mul_i32 s4, s4, s5
	s_mul_hi_u32 s4, s5, s4
	s_add_i32 s5, s5, s4
	s_mul_hi_u32 s4, s15, s5
	s_mul_i32 s4, s4, s33
	s_sub_i32 s4, s15, s4
	s_sub_i32 s5, s4, s33
	s_cmp_ge_u32 s4, s33
	s_cselect_b32 s4, s5, s4
	s_sub_i32 s5, s4, s33
	s_cmp_ge_u32 s4, s33
	s_cselect_b32 s50, s5, s4
	s_mov_b64 s[4:5], s[50:51]
	v_readlane_b32 s50, v54, 50
.LBB120_302:                            ;   in Loop: Header=BB120_6 Depth=1
	v_readlane_b32 s10, v54, 37
	s_sub_u32 s12, s15, s4
	v_readlane_b32 s11, v54, 38
	s_subb_u32 s13, s11, s5
	v_cmp_gt_u64_e32 vcc, s[12:13], v[0:1]
                                        ; implicit-def: $vgpr41
	s_and_saveexec_b64 s[10:11], vcc
	s_cbranch_execz .LBB120_311
; %bb.303:                              ;   in Loop: Header=BB120_6 Depth=1
	v_mov_b32_e32 v4, v12
	v_mov_b32_e32 v7, v1
	s_mov_b64 s[14:15], 0
	v_mov_b32_e32 v5, v13
	v_mov_b32_e32 v6, v0
                                        ; implicit-def: $sgpr16_sgpr17
	s_branch .LBB120_306
.LBB120_304:                            ;   in Loop: Header=BB120_306 Depth=2
	s_or_b64 exec, exec, s[4:5]
	s_waitcnt lgkmcnt(0)
	s_barrier
	ds_read_u16 v2, v3 offset:3072
	s_mov_b64 s[4:5], -1
	s_waitcnt lgkmcnt(0)
	s_barrier
	v_cmp_ne_u32_sdwa s[18:19], v2, v3 src0_sel:BYTE_0 src1_sel:DWORD
	s_and_b64 vcc, exec, s[18:19]
	s_mov_b64 s[18:19], -1
	s_cbranch_vccz .LBB120_309
.LBB120_305:                            ;   in Loop: Header=BB120_306 Depth=2
	s_and_b64 s[4:5], exec, s[4:5]
	s_or_b64 s[14:15], s[4:5], s[14:15]
	s_andn2_b64 s[4:5], s[16:17], exec
	s_and_b64 s[16:17], s[18:19], exec
	s_or_b64 s[16:17], s[4:5], s[16:17]
	s_andn2_b64 exec, exec, s[14:15]
	s_cbranch_execz .LBB120_310
.LBB120_306:                            ;   Parent Loop BB120_6 Depth=1
                                        ; =>  This Inner Loop Header: Depth=2
	v_cmp_gt_u64_e32 vcc, s[28:29], v[6:7]
	s_and_saveexec_b64 s[4:5], vcc
	s_cbranch_execz .LBB120_304
; %bb.307:                              ;   in Loop: Header=BB120_306 Depth=2
	global_load_ubyte v2, v[4:5], off
	s_waitcnt vmcnt(0)
	v_and_b32_e32 v8, v2, v40
	v_cmp_eq_u32_sdwa s[18:19], v8, v36 src0_sel:BYTE_0 src1_sel:DWORD
	s_and_b64 exec, exec, s[18:19]
	s_cbranch_execz .LBB120_304
; %bb.308:                              ;   in Loop: Header=BB120_306 Depth=2
	v_lshlrev_b16_e32 v2, 8, v2
	v_or_b32_e32 v2, 1, v2
	ds_write_b16 v3, v2 offset:3072
	s_branch .LBB120_304
.LBB120_309:                            ;   in Loop: Header=BB120_306 Depth=2
	v_add_co_u32_e32 v6, vcc, s33, v6
	v_readlane_b32 s4, v54, 46
	v_addc_co_u32_e32 v7, vcc, 0, v7, vcc
	v_mov_b32_e32 v8, s4
	s_mul_i32 s4, s26, s33
	v_add_co_u32_e32 v4, vcc, s4, v4
	v_addc_co_u32_e32 v5, vcc, v5, v8, vcc
	v_cmp_le_u64_e32 vcc, s[12:13], v[6:7]
	s_mov_b64 s[18:19], 0
	s_orn2_b64 s[4:5], vcc, exec
	s_branch .LBB120_305
.LBB120_310:                            ;   in Loop: Header=BB120_6 Depth=1
	s_or_b64 exec, exec, s[14:15]
	s_andn2_b64 s[4:5], s[8:9], exec
	s_and_b64 s[8:9], s[16:17], exec
	v_lshrrev_b32_sdwa v41, v39, v2 dst_sel:DWORD dst_unused:UNUSED_PAD src0_sel:DWORD src1_sel:WORD_0
	s_or_b64 s[8:9], s[4:5], s[8:9]
.LBB120_311:                            ;   in Loop: Header=BB120_6 Depth=1
	s_or_b64 exec, exec, s[10:11]
	s_mov_b64 s[24:25], 0
	s_mov_b64 s[18:19], -1
.LBB120_312:                            ;   in Loop: Header=BB120_6 Depth=1
	s_orn2_b64 s[4:5], s[8:9], exec
.LBB120_313:                            ;   in Loop: Header=BB120_6 Depth=1
	s_or_b64 exec, exec, s[6:7]
                                        ; implicit-def: $vgpr4_vgpr5
                                        ; implicit-def: $vgpr2
	s_and_saveexec_b64 s[40:41], s[4:5]
	s_cbranch_execz .LBB120_471
; %bb.314:                              ;   in Loop: Header=BB120_6 Depth=1
	v_mov_b32_e32 v4, 1
	s_xor_b64 s[6:7], s[2:3], -1
	v_mov_b32_e32 v2, 1
	v_mov_b32_e32 v5, 0
	s_mov_b64 s[4:5], 0
	s_and_saveexec_b64 s[2:3], s[6:7]
	s_cbranch_execz .LBB120_323
; %bb.315:                              ;   in Loop: Header=BB120_6 Depth=1
	v_cmp_ge_u64_e32 vcc, s[92:93], v[24:25]
	s_and_saveexec_b64 s[4:5], vcc
	s_xor_b64 s[4:5], exec, s[4:5]
	s_cbranch_execz .LBB120_320
; %bb.316:                              ;   in Loop: Header=BB120_6 Depth=1
	ds_read_b64 v[4:5], v3 offset:5120
	v_or_b32_e32 v36, s59, v36
	v_or_b32_e32 v40, s59, v40
	s_waitcnt lgkmcnt(0)
	v_cmp_ne_u64_e32 vcc, 0, v[4:5]
	s_cbranch_vccnz .LBB120_320
; %bb.317:                              ;   in Loop: Header=BB120_6 Depth=1
	s_mov_b64 s[6:7], exec
	v_readlane_b32 s8, v54, 8
	v_readlane_b32 s9, v54, 9
	s_and_b64 s[8:9], s[6:7], s[8:9]
	s_mov_b64 exec, s[8:9]
; %bb.318:                              ;   in Loop: Header=BB120_6 Depth=1
	v_mov_b32_e32 v4, s92
	v_mov_b32_e32 v5, s93
	ds_write_b64 v3, v[4:5] offset:5128
; %bb.319:                              ;   in Loop: Header=BB120_6 Depth=1
	s_or_b64 exec, exec, s[6:7]
	s_waitcnt lgkmcnt(0)
	s_barrier
.LBB120_320:                            ;   in Loop: Header=BB120_6 Depth=1
	s_or_saveexec_b64 s[4:5], s[4:5]
	s_mov_b64 s[6:7], 0
	v_mov_b32_e32 v2, 5
	s_xor_b64 exec, exec, s[4:5]
; %bb.321:                              ;   in Loop: Header=BB120_6 Depth=1
	v_subrev_co_u32_e32 v24, vcc, s92, v24
	v_mov_b32_e32 v2, s93
	v_subb_co_u32_e32 v25, vcc, v25, v2, vcc
	v_mov_b32_e32 v2, 0
	s_mov_b64 s[6:7], exec
; %bb.322:                              ;   in Loop: Header=BB120_6 Depth=1
	s_or_b64 exec, exec, s[4:5]
	v_mov_b32_e32 v4, v24
	s_and_b64 s[4:5], s[6:7], exec
	v_mov_b32_e32 v5, v25
.LBB120_323:                            ;   in Loop: Header=BB120_6 Depth=1
	s_or_b64 exec, exec, s[2:3]
	s_mov_b64 s[2:3], -1
                                        ; implicit-def: $sgpr14_sgpr15
                                        ; implicit-def: $sgpr42_sgpr43
	s_and_saveexec_b64 s[6:7], s[4:5]
	s_xor_b64 s[6:7], exec, s[6:7]
	s_cbranch_execz .LBB120_468
; %bb.324:                              ;   in Loop: Header=BB120_6 Depth=1
	s_cmp_eq_u64 s[90:91], 1
	v_cmp_eq_u64_e32 vcc, 1, v[4:5]
	s_cselect_b64 s[2:3], -1, 0
	s_and_b64 s[2:3], s[2:3], vcc
	s_mov_b64 s[4:5], -1
                                        ; implicit-def: $sgpr42_sgpr43
                                        ; implicit-def: $sgpr14_sgpr15
	s_and_saveexec_b64 s[12:13], s[2:3]
	s_cbranch_execz .LBB120_359
; %bb.325:                              ;   in Loop: Header=BB120_6 Depth=1
	ds_read_b64 v[6:7], v3 offset:5120
	s_waitcnt lgkmcnt(0)
	s_barrier
	v_readfirstlane_b32 s10, v6
	v_readfirstlane_b32 s11, v7
	s_mov_b64 s[4:5], exec
	v_readlane_b32 s8, v54, 30
	v_readlane_b32 s9, v54, 31
	s_and_b64 s[8:9], s[4:5], s[8:9]
	s_mov_b64 exec, s[8:9]
; %bb.326:                              ;   in Loop: Header=BB120_6 Depth=1
	ds_write_b8 v0, v3 offset:3072
; %bb.327:                              ;   in Loop: Header=BB120_6 Depth=1
	s_or_b64 exec, exec, s[4:5]
	v_and_b32_e32 v6, s58, v36
	v_lshl_or_b32 v36, 2, s53, v6
	v_or_b32_e32 v40, s59, v40
	s_mov_b64 s[14:15], -1
	s_mov_b64 s[42:43], 0
	s_cmp_eq_u64 s[10:11], 0
	s_mov_b64 s[8:9], 0
	s_mov_b64 s[20:21], -1
	s_waitcnt lgkmcnt(0)
	s_barrier
                                        ; implicit-def: $vgpr41
	s_cbranch_scc1 .LBB120_341
; %bb.328:                              ;   in Loop: Header=BB120_6 Depth=1
	v_readlane_b32 s4, v54, 34
	s_add_u32 s20, s10, s4
	v_readlane_b32 s4, v54, 36
	s_addc_u32 s9, s11, s4
	s_mov_b32 s8, s51
	s_cmp_lg_u64 s[8:9], 0
	s_cbranch_scc0 .LBB120_344
; %bb.329:                              ;   in Loop: Header=BB120_6 Depth=1
	v_cvt_f32_u32_e32 v6, s33
	s_sub_u32 s8, 0, s33
	s_subb_u32 s16, 0, 0
	v_mac_f32_e32 v6, 0, v38
	v_rcp_f32_e32 v6, v6
	v_mul_f32_e32 v6, 0x5f7ffffc, v6
	v_mul_f32_e32 v7, 0x2f800000, v6
	v_trunc_f32_e32 v7, v7
	v_mac_f32_e32 v6, 0xcf800000, v7
	v_cvt_u32_f32_e32 v7, v7
	v_cvt_u32_f32_e32 v6, v6
	v_readfirstlane_b32 s17, v7
	v_readfirstlane_b32 s4, v6
	s_mul_i32 s5, s8, s17
	s_mul_hi_u32 s34, s8, s4
	s_mul_i32 s21, s16, s4
	s_add_i32 s5, s34, s5
	s_mul_i32 s35, s8, s4
	s_add_i32 s5, s5, s21
	s_mul_hi_u32 s34, s4, s35
	s_mul_i32 s36, s4, s5
	s_mul_hi_u32 s21, s4, s5
	s_add_u32 s34, s34, s36
	s_addc_u32 s21, 0, s21
	s_mul_hi_u32 s37, s17, s35
	s_mul_i32 s35, s17, s35
	s_add_u32 s34, s34, s35
	s_mul_hi_u32 s36, s17, s5
	s_addc_u32 s21, s21, s37
	s_addc_u32 s34, s36, 0
	s_mul_i32 s5, s17, s5
	s_add_u32 s5, s21, s5
	s_addc_u32 s21, 0, s34
	s_add_u32 s34, s4, s5
	s_cselect_b64 s[4:5], -1, 0
	s_cmp_lg_u64 s[4:5], 0
	s_addc_u32 s17, s17, s21
	s_mul_i32 s4, s8, s17
	s_mul_hi_u32 s5, s8, s34
	s_add_i32 s4, s5, s4
	s_mul_i32 s16, s16, s34
	s_add_i32 s4, s4, s16
	s_mul_i32 s8, s8, s34
	s_mul_hi_u32 s16, s17, s8
	s_mul_i32 s21, s17, s8
	s_mul_i32 s36, s34, s4
	s_mul_hi_u32 s8, s34, s8
	s_mul_hi_u32 s35, s34, s4
	s_add_u32 s8, s8, s36
	s_addc_u32 s35, 0, s35
	s_add_u32 s8, s8, s21
	s_mul_hi_u32 s5, s17, s4
	s_addc_u32 s8, s35, s16
	s_addc_u32 s5, s5, 0
	s_mul_i32 s4, s17, s4
	s_add_u32 s4, s8, s4
	s_addc_u32 s8, 0, s5
	s_add_u32 s16, s34, s4
	s_cselect_b64 s[4:5], -1, 0
	s_cmp_lg_u64 s[4:5], 0
	s_addc_u32 s4, s17, s8
	s_mul_i32 s8, s20, s4
	s_mul_hi_u32 s17, s20, s16
	s_mul_hi_u32 s5, s20, s4
	s_add_u32 s8, s17, s8
	s_addc_u32 s5, 0, s5
	s_mul_hi_u32 s21, s9, s16
	s_mul_i32 s16, s9, s16
	s_add_u32 s8, s8, s16
	s_mul_hi_u32 s17, s9, s4
	s_addc_u32 s5, s5, s21
	s_addc_u32 s8, s17, 0
	s_mul_i32 s4, s9, s4
	s_add_u32 s4, s5, s4
	s_addc_u32 s5, 0, s8
	s_mul_i32 s5, s33, s5
	s_mul_hi_u32 s8, s33, s4
	s_add_i32 s8, s8, s5
	s_mul_i32 s4, s33, s4
	s_sub_u32 s16, s20, s4
	s_cselect_b64 s[4:5], -1, 0
	s_cmp_lg_u64 s[4:5], 0
	s_subb_u32 s8, s9, s8
	s_sub_u32 s17, s16, s33
	s_cselect_b64 s[4:5], -1, 0
	s_cmp_lg_u64 s[4:5], 0
	s_subb_u32 s21, s8, 0
	;; [unrolled: 4-line block ×3, first 2 shown]
	s_cmp_ge_u32 s17, s33
	s_cselect_b32 s5, -1, 0
	s_cmp_eq_u32 s21, 0
	s_cselect_b32 s5, s5, -1
	s_cmp_lg_u32 s5, 0
	s_cselect_b32 s4, s4, s21
	s_cselect_b32 s17, s34, s17
	s_cmp_ge_u32 s16, s33
	s_cselect_b32 s5, -1, 0
	s_cmp_eq_u32 s8, 0
	s_cselect_b32 s5, s5, -1
	s_cmp_lg_u32 s5, 0
	s_cselect_b32 s5, s4, s8
	s_cselect_b32 s4, s17, s16
	s_cbranch_execnz .LBB120_331
.LBB120_330:                            ;   in Loop: Header=BB120_6 Depth=1
	v_cvt_f32_u32_e32 v6, s33
	s_sub_i32 s4, 0, s33
	v_rcp_iflag_f32_e32 v6, v6
	v_mul_f32_e32 v6, 0x4f7ffffe, v6
	v_cvt_u32_f32_e32 v6, v6
	v_readfirstlane_b32 s5, v6
	s_mul_i32 s4, s4, s5
	s_mul_hi_u32 s4, s5, s4
	s_add_i32 s5, s5, s4
	s_mul_hi_u32 s4, s20, s5
	s_mul_i32 s4, s4, s33
	s_sub_i32 s4, s20, s4
	s_sub_i32 s5, s4, s33
	s_cmp_ge_u32 s4, s33
	s_cselect_b32 s4, s5, s4
	s_sub_i32 s5, s4, s33
	s_cmp_ge_u32 s4, s33
	s_cselect_b32 s50, s5, s4
	s_mov_b64 s[4:5], s[50:51]
	v_readlane_b32 s50, v54, 50
.LBB120_331:                            ;   in Loop: Header=BB120_6 Depth=1
	s_sub_u32 s36, s20, s4
	s_subb_u32 s37, s9, s5
	v_cmp_gt_u64_e32 vcc, s[36:37], v[0:1]
	s_mov_b64 s[20:21], 0
	s_mov_b64 s[8:9], 0
                                        ; implicit-def: $vgpr41
	s_and_saveexec_b64 s[34:35], vcc
	s_cbranch_execz .LBB120_340
; %bb.332:                              ;   in Loop: Header=BB120_6 Depth=1
	v_mov_b32_e32 v7, v1
	v_mov_b32_e32 v8, v0
	;; [unrolled: 1-line block ×3, first 2 shown]
                                        ; implicit-def: $sgpr16_sgpr17
	s_branch .LBB120_335
.LBB120_333:                            ;   in Loop: Header=BB120_335 Depth=2
	s_or_b64 exec, exec, s[4:5]
	s_waitcnt lgkmcnt(0)
	s_barrier
	ds_read_u16 v9, v3 offset:3072
	s_mov_b64 s[4:5], -1
	s_waitcnt lgkmcnt(0)
	s_barrier
	v_cmp_ne_u32_sdwa s[44:45], v9, v3 src0_sel:BYTE_0 src1_sel:DWORD
	s_and_b64 vcc, exec, s[44:45]
	s_mov_b64 s[44:45], -1
	s_cbranch_vccz .LBB120_338
.LBB120_334:                            ;   in Loop: Header=BB120_335 Depth=2
	s_and_b64 s[4:5], exec, s[4:5]
	s_or_b64 s[8:9], s[4:5], s[8:9]
	s_andn2_b64 s[4:5], s[16:17], exec
	s_and_b64 s[16:17], s[44:45], exec
	s_or_b64 s[16:17], s[4:5], s[16:17]
	s_andn2_b64 exec, exec, s[8:9]
	s_cbranch_execz .LBB120_339
.LBB120_335:                            ;   Parent Loop BB120_6 Depth=1
                                        ; =>  This Inner Loop Header: Depth=2
	v_cmp_gt_u64_e32 vcc, s[10:11], v[6:7]
	s_and_saveexec_b64 s[4:5], vcc
	s_cbranch_execz .LBB120_333
; %bb.336:                              ;   in Loop: Header=BB120_335 Depth=2
	ds_read_u8 v9, v8
	s_waitcnt lgkmcnt(0)
	v_and_b32_e32 v10, v9, v40
	v_cmp_eq_u32_sdwa s[44:45], v10, v36 src0_sel:BYTE_0 src1_sel:DWORD
	s_and_b64 exec, exec, s[44:45]
	s_cbranch_execz .LBB120_333
; %bb.337:                              ;   in Loop: Header=BB120_335 Depth=2
	v_lshlrev_b16_e32 v9, 8, v9
	v_or_b32_e32 v9, 1, v9
	ds_write_b16 v3, v9 offset:3072
	s_branch .LBB120_333
.LBB120_338:                            ;   in Loop: Header=BB120_335 Depth=2
	v_add_co_u32_e32 v6, vcc, s33, v6
	v_addc_co_u32_e32 v7, vcc, 0, v7, vcc
	v_cmp_le_u64_e32 vcc, s[36:37], v[6:7]
	v_add_u32_e32 v8, s33, v8
	s_mov_b64 s[44:45], 0
	s_orn2_b64 s[4:5], vcc, exec
	s_branch .LBB120_334
.LBB120_339:                            ;   in Loop: Header=BB120_6 Depth=1
	s_or_b64 exec, exec, s[8:9]
	v_lshrrev_b32_sdwa v41, v39, v9 dst_sel:DWORD dst_unused:UNUSED_PAD src0_sel:DWORD src1_sel:WORD_0
	s_and_b64 s[8:9], s[16:17], exec
.LBB120_340:                            ;   in Loop: Header=BB120_6 Depth=1
	s_or_b64 exec, exec, s[34:35]
.LBB120_341:                            ;   in Loop: Header=BB120_6 Depth=1
	s_and_b64 vcc, exec, s[20:21]
	s_cbranch_vccz .LBB120_358
; %bb.342:                              ;   in Loop: Header=BB120_6 Depth=1
	v_readlane_b32 s34, v54, 37
	v_readlane_b32 s35, v54, 38
	s_mov_b32 s34, s51
	s_cmp_lg_u64 s[34:35], 0
	v_writelane_b32 v54, s34, 37
	v_writelane_b32 v54, s35, 38
	s_cbranch_scc0 .LBB120_345
; %bb.343:                              ;   in Loop: Header=BB120_6 Depth=1
	v_cvt_f32_u32_e32 v6, s33
	s_sub_u32 s10, 0, s33
	s_subb_u32 s11, 0, 0
	v_mac_f32_e32 v6, 0, v38
	v_rcp_f32_e32 v6, v6
	v_mul_f32_e32 v6, 0x5f7ffffc, v6
	v_mul_f32_e32 v7, 0x2f800000, v6
	v_trunc_f32_e32 v7, v7
	v_mac_f32_e32 v6, 0xcf800000, v7
	v_cvt_u32_f32_e32 v7, v7
	v_cvt_u32_f32_e32 v6, v6
	v_readfirstlane_b32 s14, v7
	v_readfirstlane_b32 s4, v6
	s_mul_i32 s5, s10, s14
	s_mul_hi_u32 s16, s10, s4
	s_mul_i32 s15, s11, s4
	s_add_i32 s5, s16, s5
	s_mul_i32 s17, s10, s4
	s_add_i32 s5, s5, s15
	s_mul_hi_u32 s16, s4, s17
	s_mul_i32 s20, s4, s5
	s_mul_hi_u32 s15, s4, s5
	s_add_u32 s16, s16, s20
	s_addc_u32 s15, 0, s15
	s_mul_hi_u32 s21, s14, s17
	s_mul_i32 s17, s14, s17
	s_add_u32 s16, s16, s17
	s_mul_hi_u32 s20, s14, s5
	s_addc_u32 s15, s15, s21
	s_addc_u32 s16, s20, 0
	s_mul_i32 s5, s14, s5
	s_add_u32 s5, s15, s5
	s_addc_u32 s15, 0, s16
	s_add_u32 s16, s4, s5
	s_cselect_b64 s[4:5], -1, 0
	s_cmp_lg_u64 s[4:5], 0
	s_addc_u32 s14, s14, s15
	s_mul_i32 s4, s10, s14
	s_mul_hi_u32 s5, s10, s16
	s_add_i32 s4, s5, s4
	s_mul_i32 s11, s11, s16
	s_add_i32 s4, s4, s11
	s_mul_i32 s10, s10, s16
	s_mul_hi_u32 s11, s14, s10
	s_mul_i32 s15, s14, s10
	s_mul_i32 s20, s16, s4
	s_mul_hi_u32 s10, s16, s10
	s_mul_hi_u32 s17, s16, s4
	s_add_u32 s10, s10, s20
	s_addc_u32 s17, 0, s17
	s_add_u32 s10, s10, s15
	s_mul_hi_u32 s5, s14, s4
	s_addc_u32 s10, s17, s11
	s_addc_u32 s5, s5, 0
	s_mul_i32 s4, s14, s4
	s_add_u32 s4, s10, s4
	s_addc_u32 s10, 0, s5
	s_add_u32 s11, s16, s4
	s_cselect_b64 s[4:5], -1, 0
	s_cmp_lg_u64 s[4:5], 0
	s_addc_u32 s4, s14, s10
	v_readlane_b32 s17, v54, 35
	s_mul_i32 s10, s17, s4
	s_mul_hi_u32 s14, s17, s11
	s_mul_hi_u32 s5, s17, s4
	s_add_u32 s10, s14, s10
	s_addc_u32 s5, 0, s5
	s_mul_hi_u32 s15, s35, s11
	s_mul_i32 s11, s35, s11
	s_add_u32 s10, s10, s11
	s_mul_hi_u32 s14, s35, s4
	s_addc_u32 s5, s5, s15
	s_addc_u32 s10, s14, 0
	s_mul_i32 s4, s35, s4
	s_add_u32 s4, s5, s4
	s_addc_u32 s5, 0, s10
	s_mul_i32 s5, s33, s5
	s_mul_hi_u32 s10, s33, s4
	s_add_i32 s10, s10, s5
	s_mul_i32 s4, s33, s4
	s_sub_u32 s11, s17, s4
	s_cselect_b64 s[4:5], -1, 0
	s_cmp_lg_u64 s[4:5], 0
	s_subb_u32 s10, s35, s10
	s_sub_u32 s14, s11, s33
	s_cselect_b64 s[4:5], -1, 0
	s_cmp_lg_u64 s[4:5], 0
	s_subb_u32 s15, s10, 0
	;; [unrolled: 4-line block ×3, first 2 shown]
	s_cmp_ge_u32 s14, s33
	s_cselect_b32 s5, -1, 0
	s_cmp_eq_u32 s15, 0
	s_cselect_b32 s5, s5, -1
	s_cmp_lg_u32 s5, 0
	s_cselect_b32 s4, s4, s15
	s_cselect_b32 s14, s16, s14
	s_cmp_ge_u32 s11, s33
	s_cselect_b32 s5, -1, 0
	s_cmp_eq_u32 s10, 0
	s_cselect_b32 s5, s5, -1
	s_cmp_lg_u32 s5, 0
	s_cselect_b32 s5, s4, s10
	s_cselect_b32 s4, s14, s11
	s_mov_b64 s[10:11], 0
	s_branch .LBB120_346
.LBB120_344:                            ;   in Loop: Header=BB120_6 Depth=1
                                        ; implicit-def: $sgpr4_sgpr5
	s_branch .LBB120_330
.LBB120_345:                            ;   in Loop: Header=BB120_6 Depth=1
	s_mov_b64 s[10:11], -1
	v_readlane_b32 s17, v54, 35
                                        ; implicit-def: $sgpr4_sgpr5
.LBB120_346:                            ;   in Loop: Header=BB120_6 Depth=1
	s_andn2_b64 vcc, exec, s[10:11]
	v_readlane_b32 s56, v54, 49
	s_cbranch_vccnz .LBB120_348
; %bb.347:                              ;   in Loop: Header=BB120_6 Depth=1
	v_cvt_f32_u32_e32 v6, s33
	s_sub_i32 s4, 0, s33
	v_rcp_iflag_f32_e32 v6, v6
	v_mul_f32_e32 v6, 0x4f7ffffe, v6
	v_cvt_u32_f32_e32 v6, v6
	v_readfirstlane_b32 s5, v6
	s_mul_i32 s4, s4, s5
	s_mul_hi_u32 s4, s5, s4
	s_add_i32 s5, s5, s4
	s_mul_hi_u32 s4, s17, s5
	s_mul_i32 s4, s4, s33
	s_sub_i32 s4, s17, s4
	s_sub_i32 s5, s4, s33
	s_cmp_ge_u32 s4, s33
	s_cselect_b32 s4, s5, s4
	s_sub_i32 s5, s4, s33
	s_cmp_ge_u32 s4, s33
	s_cselect_b32 s50, s5, s4
	s_mov_b64 s[4:5], s[50:51]
	v_readlane_b32 s50, v54, 50
.LBB120_348:                            ;   in Loop: Header=BB120_6 Depth=1
	v_readlane_b32 s10, v54, 37
	s_sub_u32 s14, s17, s4
	v_readlane_b32 s11, v54, 38
	s_subb_u32 s15, s11, s5
	v_cmp_gt_u64_e32 vcc, s[14:15], v[0:1]
                                        ; implicit-def: $vgpr41
	s_and_saveexec_b64 s[10:11], vcc
	s_cbranch_execz .LBB120_357
; %bb.349:                              ;   in Loop: Header=BB120_6 Depth=1
	v_mov_b32_e32 v6, v12
	v_mov_b32_e32 v9, v1
	s_mov_b64 s[16:17], 0
	v_mov_b32_e32 v7, v13
	v_mov_b32_e32 v8, v0
                                        ; implicit-def: $sgpr20_sgpr21
	s_branch .LBB120_352
.LBB120_350:                            ;   in Loop: Header=BB120_352 Depth=2
	s_or_b64 exec, exec, s[4:5]
	s_waitcnt lgkmcnt(0)
	s_barrier
	ds_read_u16 v10, v3 offset:3072
	s_mov_b64 s[4:5], -1
	s_waitcnt lgkmcnt(0)
	s_barrier
	v_cmp_eq_u32_sdwa s[34:35], v10, v3 src0_sel:BYTE_0 src1_sel:DWORD
	s_and_b64 vcc, exec, s[34:35]
	s_mov_b64 s[34:35], -1
	s_cbranch_vccnz .LBB120_355
.LBB120_351:                            ;   in Loop: Header=BB120_352 Depth=2
	s_and_b64 s[4:5], exec, s[4:5]
	s_or_b64 s[16:17], s[4:5], s[16:17]
	s_andn2_b64 s[4:5], s[20:21], exec
	s_and_b64 s[20:21], s[34:35], exec
	s_or_b64 s[20:21], s[4:5], s[20:21]
	s_andn2_b64 exec, exec, s[16:17]
	s_cbranch_execz .LBB120_356
.LBB120_352:                            ;   Parent Loop BB120_6 Depth=1
                                        ; =>  This Inner Loop Header: Depth=2
	v_cmp_gt_u64_e32 vcc, s[28:29], v[8:9]
	s_and_saveexec_b64 s[4:5], vcc
	s_cbranch_execz .LBB120_350
; %bb.353:                              ;   in Loop: Header=BB120_352 Depth=2
	global_load_ubyte v10, v[6:7], off
	s_waitcnt vmcnt(0)
	v_and_b32_e32 v11, v10, v40
	v_cmp_eq_u32_sdwa s[34:35], v11, v36 src0_sel:BYTE_0 src1_sel:DWORD
	s_and_b64 exec, exec, s[34:35]
	s_cbranch_execz .LBB120_350
; %bb.354:                              ;   in Loop: Header=BB120_352 Depth=2
	v_lshlrev_b16_e32 v10, 8, v10
	v_or_b32_e32 v10, 1, v10
	ds_write_b16 v3, v10 offset:3072
	s_branch .LBB120_350
.LBB120_355:                            ;   in Loop: Header=BB120_352 Depth=2
	v_add_co_u32_e32 v8, vcc, s33, v8
	v_readlane_b32 s4, v54, 46
	v_addc_co_u32_e32 v9, vcc, 0, v9, vcc
	v_mov_b32_e32 v11, s4
	s_mul_i32 s4, s26, s33
	v_add_co_u32_e32 v6, vcc, s4, v6
	v_addc_co_u32_e32 v7, vcc, v7, v11, vcc
	v_cmp_le_u64_e32 vcc, s[14:15], v[8:9]
	s_mov_b64 s[34:35], 0
	s_orn2_b64 s[4:5], vcc, exec
	s_branch .LBB120_351
.LBB120_356:                            ;   in Loop: Header=BB120_6 Depth=1
	s_or_b64 exec, exec, s[16:17]
	s_andn2_b64 s[4:5], s[8:9], exec
	s_and_b64 s[8:9], s[20:21], exec
	v_lshrrev_b32_sdwa v41, v39, v10 dst_sel:DWORD dst_unused:UNUSED_PAD src0_sel:DWORD src1_sel:WORD_0
	s_or_b64 s[8:9], s[4:5], s[8:9]
.LBB120_357:                            ;   in Loop: Header=BB120_6 Depth=1
	s_or_b64 exec, exec, s[10:11]
	s_mov_b64 s[14:15], 0
	s_mov_b64 s[42:43], -1
.LBB120_358:                            ;   in Loop: Header=BB120_6 Depth=1
	s_orn2_b64 s[4:5], s[8:9], exec
.LBB120_359:                            ;   in Loop: Header=BB120_6 Depth=1
	s_or_b64 exec, exec, s[12:13]
	s_mov_b64 s[8:9], 0
	s_and_saveexec_b64 s[44:45], s[4:5]
	s_cbranch_execz .LBB120_467
; %bb.360:                              ;   in Loop: Header=BB120_6 Depth=1
	v_mov_b32_e32 v6, 1
	s_xor_b64 s[8:9], s[2:3], -1
	v_mov_b32_e32 v2, 1
	v_mov_b32_e32 v7, 0
	s_mov_b64 s[4:5], 0
	s_and_saveexec_b64 s[2:3], s[8:9]
	s_cbranch_execz .LBB120_369
; %bb.361:                              ;   in Loop: Header=BB120_6 Depth=1
	v_cmp_ge_u64_e32 vcc, s[90:91], v[4:5]
	s_and_saveexec_b64 s[4:5], vcc
	s_xor_b64 s[4:5], exec, s[4:5]
	s_cbranch_execz .LBB120_366
; %bb.362:                              ;   in Loop: Header=BB120_6 Depth=1
	ds_read_b64 v[6:7], v3 offset:5120
	v_and_b32_e32 v2, s58, v36
	v_lshl_or_b32 v36, 2, s53, v2
	v_or_b32_e32 v40, s59, v40
	s_waitcnt lgkmcnt(0)
	v_cmp_ne_u64_e32 vcc, 0, v[6:7]
	s_cbranch_vccnz .LBB120_366
; %bb.363:                              ;   in Loop: Header=BB120_6 Depth=1
	s_mov_b64 s[8:9], exec
	v_readlane_b32 s10, v54, 8
	v_readlane_b32 s11, v54, 9
	s_and_b64 s[10:11], s[8:9], s[10:11]
	s_mov_b64 exec, s[10:11]
; %bb.364:                              ;   in Loop: Header=BB120_6 Depth=1
	v_mov_b32_e32 v6, s90
	v_mov_b32_e32 v7, s91
	ds_write_b64 v3, v[6:7] offset:5128
; %bb.365:                              ;   in Loop: Header=BB120_6 Depth=1
	s_or_b64 exec, exec, s[8:9]
	s_waitcnt lgkmcnt(0)
	s_barrier
.LBB120_366:                            ;   in Loop: Header=BB120_6 Depth=1
	s_or_saveexec_b64 s[4:5], s[4:5]
	s_mov_b64 s[8:9], 0
	v_mov_b32_e32 v2, 5
	s_xor_b64 exec, exec, s[4:5]
; %bb.367:                              ;   in Loop: Header=BB120_6 Depth=1
	v_subrev_co_u32_e32 v4, vcc, s90, v4
	v_mov_b32_e32 v2, s91
	v_subb_co_u32_e32 v5, vcc, v5, v2, vcc
	v_mov_b32_e32 v2, 0
	s_mov_b64 s[8:9], exec
; %bb.368:                              ;   in Loop: Header=BB120_6 Depth=1
	s_or_b64 exec, exec, s[4:5]
	v_mov_b32_e32 v7, v5
	s_and_b64 s[4:5], s[8:9], exec
	v_mov_b32_e32 v6, v4
.LBB120_369:                            ;   in Loop: Header=BB120_6 Depth=1
	s_or_b64 exec, exec, s[2:3]
	s_mov_b64 s[2:3], -1
                                        ; implicit-def: $sgpr20_sgpr21
                                        ; implicit-def: $sgpr90_sgpr91
	s_and_saveexec_b64 s[12:13], s[4:5]
	s_cbranch_execz .LBB120_466
; %bb.370:                              ;   in Loop: Header=BB120_6 Depth=1
	s_cmp_eq_u64 s[88:89], 1
	v_cmp_eq_u64_e32 vcc, 1, v[6:7]
	s_cselect_b64 s[2:3], -1, 0
	s_and_b64 s[34:35], s[2:3], vcc
	s_mov_b64 s[4:5], -1
                                        ; implicit-def: $sgpr90_sgpr91
                                        ; implicit-def: $sgpr20_sgpr21
	s_and_saveexec_b64 s[2:3], s[34:35]
	s_cbranch_execz .LBB120_405
; %bb.371:                              ;   in Loop: Header=BB120_6 Depth=1
	ds_read_b64 v[4:5], v3 offset:5120
	s_waitcnt lgkmcnt(0)
	s_barrier
	v_readfirstlane_b32 s10, v4
	v_readfirstlane_b32 s11, v5
	s_mov_b64 s[4:5], exec
	v_readlane_b32 s8, v54, 30
	v_readlane_b32 s9, v54, 31
	s_and_b64 s[8:9], s[4:5], s[8:9]
	s_mov_b64 exec, s[8:9]
; %bb.372:                              ;   in Loop: Header=BB120_6 Depth=1
	ds_write_b8 v0, v3 offset:3072
; %bb.373:                              ;   in Loop: Header=BB120_6 Depth=1
	s_or_b64 exec, exec, s[4:5]
	v_and_b32_e32 v4, s58, v36
	v_lshl_or_b32 v36, 1, s53, v4
	v_or_b32_e32 v40, s59, v40
	s_mov_b64 s[20:21], -1
	s_mov_b64 s[90:91], 0
	s_cmp_eq_u64 s[10:11], 0
	s_mov_b64 s[8:9], 0
	s_mov_b64 s[36:37], -1
	s_waitcnt lgkmcnt(0)
	s_barrier
                                        ; implicit-def: $vgpr41
	s_cbranch_scc1 .LBB120_387
; %bb.374:                              ;   in Loop: Header=BB120_6 Depth=1
	v_readlane_b32 s4, v54, 34
	s_add_u32 s36, s10, s4
	v_readlane_b32 s4, v54, 36
	s_addc_u32 s9, s11, s4
	s_mov_b32 s8, s51
	s_cmp_lg_u64 s[8:9], 0
	s_cbranch_scc0 .LBB120_390
; %bb.375:                              ;   in Loop: Header=BB120_6 Depth=1
	v_cvt_f32_u32_e32 v4, s33
	s_sub_u32 s8, 0, s33
	s_subb_u32 s16, 0, 0
	v_mac_f32_e32 v4, 0, v38
	v_rcp_f32_e32 v4, v4
	v_mul_f32_e32 v4, 0x5f7ffffc, v4
	v_mul_f32_e32 v5, 0x2f800000, v4
	v_trunc_f32_e32 v5, v5
	v_mac_f32_e32 v4, 0xcf800000, v5
	v_cvt_u32_f32_e32 v5, v5
	v_cvt_u32_f32_e32 v4, v4
	v_readfirstlane_b32 s17, v5
	v_readfirstlane_b32 s4, v4
	s_mul_i32 s5, s8, s17
	s_mul_hi_u32 s50, s8, s4
	s_mul_i32 s37, s16, s4
	s_add_i32 s5, s50, s5
	s_mul_i32 s54, s8, s4
	s_add_i32 s5, s5, s37
	s_mul_hi_u32 s50, s4, s54
	s_mul_i32 s55, s4, s5
	s_mul_hi_u32 s37, s4, s5
	s_add_u32 s50, s50, s55
	s_addc_u32 s37, 0, s37
	s_mul_hi_u32 s56, s17, s54
	s_mul_i32 s54, s17, s54
	s_add_u32 s50, s50, s54
	s_mul_hi_u32 s55, s17, s5
	s_addc_u32 s37, s37, s56
	s_addc_u32 s50, s55, 0
	s_mul_i32 s5, s17, s5
	s_add_u32 s5, s37, s5
	s_addc_u32 s37, 0, s50
	s_add_u32 s50, s4, s5
	s_cselect_b64 s[4:5], -1, 0
	s_cmp_lg_u64 s[4:5], 0
	s_addc_u32 s17, s17, s37
	s_mul_i32 s4, s8, s17
	s_mul_hi_u32 s5, s8, s50
	s_add_i32 s4, s5, s4
	s_mul_i32 s16, s16, s50
	s_add_i32 s4, s4, s16
	s_mul_i32 s8, s8, s50
	s_mul_hi_u32 s16, s17, s8
	s_mul_i32 s37, s17, s8
	s_mul_i32 s55, s50, s4
	s_mul_hi_u32 s8, s50, s8
	s_mul_hi_u32 s54, s50, s4
	s_add_u32 s8, s8, s55
	s_addc_u32 s54, 0, s54
	s_add_u32 s8, s8, s37
	s_mul_hi_u32 s5, s17, s4
	s_addc_u32 s8, s54, s16
	s_addc_u32 s5, s5, 0
	s_mul_i32 s4, s17, s4
	s_add_u32 s4, s8, s4
	s_addc_u32 s8, 0, s5
	s_add_u32 s16, s50, s4
	s_cselect_b64 s[4:5], -1, 0
	s_cmp_lg_u64 s[4:5], 0
	s_addc_u32 s4, s17, s8
	s_mul_i32 s8, s36, s4
	s_mul_hi_u32 s17, s36, s16
	s_mul_hi_u32 s5, s36, s4
	s_add_u32 s8, s17, s8
	s_addc_u32 s5, 0, s5
	s_mul_hi_u32 s37, s9, s16
	s_mul_i32 s16, s9, s16
	s_add_u32 s8, s8, s16
	s_mul_hi_u32 s17, s9, s4
	s_addc_u32 s5, s5, s37
	s_addc_u32 s8, s17, 0
	s_mul_i32 s4, s9, s4
	s_add_u32 s4, s5, s4
	s_addc_u32 s5, 0, s8
	s_mul_i32 s5, s33, s5
	s_mul_hi_u32 s8, s33, s4
	s_add_i32 s8, s8, s5
	s_mul_i32 s4, s33, s4
	s_sub_u32 s16, s36, s4
	s_cselect_b64 s[4:5], -1, 0
	s_cmp_lg_u64 s[4:5], 0
	s_subb_u32 s8, s9, s8
	s_sub_u32 s17, s16, s33
	s_cselect_b64 s[4:5], -1, 0
	s_cmp_lg_u64 s[4:5], 0
	s_subb_u32 s37, s8, 0
	;; [unrolled: 4-line block ×3, first 2 shown]
	s_cmp_ge_u32 s17, s33
	s_cselect_b32 s5, -1, 0
	s_cmp_eq_u32 s37, 0
	s_cselect_b32 s5, s5, -1
	s_cmp_lg_u32 s5, 0
	s_cselect_b32 s4, s4, s37
	s_cselect_b32 s17, s50, s17
	s_cmp_ge_u32 s16, s33
	s_cselect_b32 s5, -1, 0
	s_cmp_eq_u32 s8, 0
	s_cselect_b32 s5, s5, -1
	s_cmp_lg_u32 s5, 0
	s_cselect_b32 s5, s4, s8
	s_cselect_b32 s4, s17, s16
	s_cbranch_execnz .LBB120_377
.LBB120_376:                            ;   in Loop: Header=BB120_6 Depth=1
	v_cvt_f32_u32_e32 v4, s33
	s_sub_i32 s4, 0, s33
	v_rcp_iflag_f32_e32 v4, v4
	v_mul_f32_e32 v4, 0x4f7ffffe, v4
	v_cvt_u32_f32_e32 v4, v4
	v_readfirstlane_b32 s5, v4
	s_mul_i32 s4, s4, s5
	s_mul_hi_u32 s4, s5, s4
	s_add_i32 s5, s5, s4
	s_mul_hi_u32 s4, s36, s5
	s_mul_i32 s4, s4, s33
	s_sub_i32 s4, s36, s4
	s_sub_i32 s5, s4, s33
	s_cmp_ge_u32 s4, s33
	s_cselect_b32 s4, s5, s4
	s_sub_i32 s5, s4, s33
	s_cmp_ge_u32 s4, s33
	s_cselect_b32 s50, s5, s4
	s_mov_b64 s[4:5], s[50:51]
.LBB120_377:                            ;   in Loop: Header=BB120_6 Depth=1
	s_sub_u32 s54, s36, s4
	s_subb_u32 s55, s9, s5
	v_cmp_gt_u64_e32 vcc, s[54:55], v[0:1]
	s_mov_b64 s[36:37], 0
	s_mov_b64 s[8:9], 0
                                        ; implicit-def: $vgpr41
	s_and_saveexec_b64 s[60:61], vcc
	v_readlane_b32 s56, v54, 49
	v_readlane_b32 s50, v54, 50
	s_cbranch_execz .LBB120_386
; %bb.378:                              ;   in Loop: Header=BB120_6 Depth=1
	v_mov_b32_e32 v5, v1
	v_mov_b32_e32 v8, v0
	v_mov_b32_e32 v4, v0
                                        ; implicit-def: $sgpr16_sgpr17
	s_branch .LBB120_381
.LBB120_379:                            ;   in Loop: Header=BB120_381 Depth=2
	s_or_b64 exec, exec, s[4:5]
	s_waitcnt lgkmcnt(0)
	s_barrier
	ds_read_u16 v9, v3 offset:3072
	s_mov_b64 s[4:5], -1
	s_waitcnt lgkmcnt(0)
	s_barrier
	v_cmp_ne_u32_sdwa s[62:63], v9, v3 src0_sel:BYTE_0 src1_sel:DWORD
	s_and_b64 vcc, exec, s[62:63]
	s_mov_b64 s[62:63], -1
	s_cbranch_vccz .LBB120_384
.LBB120_380:                            ;   in Loop: Header=BB120_381 Depth=2
	s_and_b64 s[4:5], exec, s[4:5]
	s_or_b64 s[8:9], s[4:5], s[8:9]
	s_andn2_b64 s[4:5], s[16:17], exec
	s_and_b64 s[16:17], s[62:63], exec
	s_or_b64 s[16:17], s[4:5], s[16:17]
	s_andn2_b64 exec, exec, s[8:9]
	s_cbranch_execz .LBB120_385
.LBB120_381:                            ;   Parent Loop BB120_6 Depth=1
                                        ; =>  This Inner Loop Header: Depth=2
	v_cmp_gt_u64_e32 vcc, s[10:11], v[4:5]
	s_and_saveexec_b64 s[4:5], vcc
	s_cbranch_execz .LBB120_379
; %bb.382:                              ;   in Loop: Header=BB120_381 Depth=2
	ds_read_u8 v9, v8
	s_waitcnt lgkmcnt(0)
	v_and_b32_e32 v10, v9, v40
	v_cmp_eq_u32_sdwa s[62:63], v10, v36 src0_sel:BYTE_0 src1_sel:DWORD
	s_and_b64 exec, exec, s[62:63]
	s_cbranch_execz .LBB120_379
; %bb.383:                              ;   in Loop: Header=BB120_381 Depth=2
	v_lshlrev_b16_e32 v9, 8, v9
	v_or_b32_e32 v9, 1, v9
	ds_write_b16 v3, v9 offset:3072
	s_branch .LBB120_379
.LBB120_384:                            ;   in Loop: Header=BB120_381 Depth=2
	v_add_co_u32_e32 v4, vcc, s33, v4
	v_addc_co_u32_e32 v5, vcc, 0, v5, vcc
	v_cmp_le_u64_e32 vcc, s[54:55], v[4:5]
	v_add_u32_e32 v8, s33, v8
	s_mov_b64 s[62:63], 0
	s_orn2_b64 s[4:5], vcc, exec
	s_branch .LBB120_380
.LBB120_385:                            ;   in Loop: Header=BB120_6 Depth=1
	s_or_b64 exec, exec, s[8:9]
	v_lshrrev_b32_sdwa v41, v39, v9 dst_sel:DWORD dst_unused:UNUSED_PAD src0_sel:DWORD src1_sel:WORD_0
	s_and_b64 s[8:9], s[16:17], exec
.LBB120_386:                            ;   in Loop: Header=BB120_6 Depth=1
	s_or_b64 exec, exec, s[60:61]
.LBB120_387:                            ;   in Loop: Header=BB120_6 Depth=1
	s_and_b64 vcc, exec, s[36:37]
	s_cbranch_vccz .LBB120_404
; %bb.388:                              ;   in Loop: Header=BB120_6 Depth=1
	v_readlane_b32 s54, v54, 37
	v_readlane_b32 s55, v54, 38
	s_mov_b32 s54, s51
	s_cmp_lg_u64 s[54:55], 0
	v_writelane_b32 v54, s54, 37
	v_writelane_b32 v54, s55, 38
	s_cbranch_scc0 .LBB120_391
; %bb.389:                              ;   in Loop: Header=BB120_6 Depth=1
	v_cvt_f32_u32_e32 v4, s33
	s_sub_u32 s10, 0, s33
	s_subb_u32 s11, 0, 0
	v_mac_f32_e32 v4, 0, v38
	v_rcp_f32_e32 v4, v4
	v_mul_f32_e32 v4, 0x5f7ffffc, v4
	v_mul_f32_e32 v5, 0x2f800000, v4
	v_trunc_f32_e32 v5, v5
	v_mac_f32_e32 v4, 0xcf800000, v5
	v_cvt_u32_f32_e32 v5, v5
	v_cvt_u32_f32_e32 v4, v4
	v_readfirstlane_b32 s16, v5
	v_readfirstlane_b32 s4, v4
	s_mul_i32 s5, s10, s16
	s_mul_hi_u32 s20, s10, s4
	s_mul_i32 s17, s11, s4
	s_add_i32 s5, s20, s5
	s_mul_i32 s21, s10, s4
	s_add_i32 s5, s5, s17
	s_mul_hi_u32 s20, s4, s21
	s_mul_i32 s36, s4, s5
	s_mul_hi_u32 s17, s4, s5
	s_add_u32 s20, s20, s36
	s_addc_u32 s17, 0, s17
	s_mul_hi_u32 s37, s16, s21
	s_mul_i32 s21, s16, s21
	s_add_u32 s20, s20, s21
	s_mul_hi_u32 s36, s16, s5
	s_addc_u32 s17, s17, s37
	s_addc_u32 s20, s36, 0
	s_mul_i32 s5, s16, s5
	s_add_u32 s5, s17, s5
	s_addc_u32 s17, 0, s20
	s_add_u32 s20, s4, s5
	s_cselect_b64 s[4:5], -1, 0
	s_cmp_lg_u64 s[4:5], 0
	s_addc_u32 s16, s16, s17
	s_mul_i32 s4, s10, s16
	s_mul_hi_u32 s5, s10, s20
	s_add_i32 s4, s5, s4
	s_mul_i32 s11, s11, s20
	s_add_i32 s4, s4, s11
	s_mul_i32 s10, s10, s20
	s_mul_hi_u32 s11, s16, s10
	s_mul_i32 s17, s16, s10
	s_mul_i32 s36, s20, s4
	s_mul_hi_u32 s10, s20, s10
	s_mul_hi_u32 s21, s20, s4
	s_add_u32 s10, s10, s36
	s_addc_u32 s21, 0, s21
	s_add_u32 s10, s10, s17
	s_mul_hi_u32 s5, s16, s4
	s_addc_u32 s10, s21, s11
	s_addc_u32 s5, s5, 0
	s_mul_i32 s4, s16, s4
	s_add_u32 s4, s10, s4
	s_addc_u32 s10, 0, s5
	s_add_u32 s11, s20, s4
	s_cselect_b64 s[4:5], -1, 0
	s_cmp_lg_u64 s[4:5], 0
	s_addc_u32 s4, s16, s10
	v_readlane_b32 s21, v54, 35
	s_mul_i32 s10, s21, s4
	s_mul_hi_u32 s16, s21, s11
	s_mul_hi_u32 s5, s21, s4
	s_add_u32 s10, s16, s10
	s_addc_u32 s5, 0, s5
	s_mul_hi_u32 s17, s55, s11
	s_mul_i32 s11, s55, s11
	s_add_u32 s10, s10, s11
	s_mul_hi_u32 s16, s55, s4
	s_addc_u32 s5, s5, s17
	s_addc_u32 s10, s16, 0
	s_mul_i32 s4, s55, s4
	s_add_u32 s4, s5, s4
	s_addc_u32 s5, 0, s10
	s_mul_i32 s5, s33, s5
	s_mul_hi_u32 s10, s33, s4
	s_add_i32 s10, s10, s5
	s_mul_i32 s4, s33, s4
	s_sub_u32 s11, s21, s4
	s_cselect_b64 s[4:5], -1, 0
	s_cmp_lg_u64 s[4:5], 0
	s_subb_u32 s10, s55, s10
	s_sub_u32 s16, s11, s33
	s_cselect_b64 s[4:5], -1, 0
	s_cmp_lg_u64 s[4:5], 0
	s_subb_u32 s17, s10, 0
	;; [unrolled: 4-line block ×3, first 2 shown]
	s_cmp_ge_u32 s16, s33
	s_cselect_b32 s5, -1, 0
	s_cmp_eq_u32 s17, 0
	s_cselect_b32 s5, s5, -1
	s_cmp_lg_u32 s5, 0
	s_cselect_b32 s4, s4, s17
	s_cselect_b32 s16, s20, s16
	s_cmp_ge_u32 s11, s33
	s_cselect_b32 s5, -1, 0
	s_cmp_eq_u32 s10, 0
	s_cselect_b32 s5, s5, -1
	s_cmp_lg_u32 s5, 0
	s_cselect_b32 s5, s4, s10
	s_cselect_b32 s4, s16, s11
	s_mov_b64 s[10:11], 0
	s_branch .LBB120_392
.LBB120_390:                            ;   in Loop: Header=BB120_6 Depth=1
                                        ; implicit-def: $sgpr4_sgpr5
	s_branch .LBB120_376
.LBB120_391:                            ;   in Loop: Header=BB120_6 Depth=1
	s_mov_b64 s[10:11], -1
	v_readlane_b32 s21, v54, 35
                                        ; implicit-def: $sgpr4_sgpr5
.LBB120_392:                            ;   in Loop: Header=BB120_6 Depth=1
	s_andn2_b64 vcc, exec, s[10:11]
	v_readlane_b32 s56, v54, 49
	s_cbranch_vccnz .LBB120_394
; %bb.393:                              ;   in Loop: Header=BB120_6 Depth=1
	v_cvt_f32_u32_e32 v4, s33
	s_sub_i32 s4, 0, s33
	v_rcp_iflag_f32_e32 v4, v4
	v_mul_f32_e32 v4, 0x4f7ffffe, v4
	v_cvt_u32_f32_e32 v4, v4
	v_readfirstlane_b32 s5, v4
	s_mul_i32 s4, s4, s5
	s_mul_hi_u32 s4, s5, s4
	s_add_i32 s5, s5, s4
	s_mul_hi_u32 s4, s21, s5
	s_mul_i32 s4, s4, s33
	s_sub_i32 s4, s21, s4
	s_sub_i32 s5, s4, s33
	s_cmp_ge_u32 s4, s33
	s_cselect_b32 s4, s5, s4
	s_sub_i32 s5, s4, s33
	s_cmp_ge_u32 s4, s33
	s_cselect_b32 s50, s5, s4
	s_mov_b64 s[4:5], s[50:51]
	v_readlane_b32 s50, v54, 50
.LBB120_394:                            ;   in Loop: Header=BB120_6 Depth=1
	v_readlane_b32 s10, v54, 37
	s_sub_u32 s20, s21, s4
	v_readlane_b32 s11, v54, 38
	s_subb_u32 s21, s11, s5
	v_cmp_gt_u64_e32 vcc, s[20:21], v[0:1]
                                        ; implicit-def: $vgpr41
	s_and_saveexec_b64 s[10:11], vcc
	s_cbranch_execz .LBB120_403
; %bb.395:                              ;   in Loop: Header=BB120_6 Depth=1
	v_mov_b32_e32 v4, v12
	v_mov_b32_e32 v9, v1
	s_mov_b64 s[16:17], 0
	v_mov_b32_e32 v5, v13
	v_mov_b32_e32 v8, v0
                                        ; implicit-def: $sgpr36_sgpr37
	s_branch .LBB120_398
.LBB120_396:                            ;   in Loop: Header=BB120_398 Depth=2
	s_or_b64 exec, exec, s[4:5]
	s_waitcnt lgkmcnt(0)
	s_barrier
	ds_read_u16 v10, v3 offset:3072
	s_mov_b64 s[4:5], -1
	s_waitcnt lgkmcnt(0)
	s_barrier
	v_cmp_eq_u32_sdwa s[54:55], v10, v3 src0_sel:BYTE_0 src1_sel:DWORD
	s_and_b64 vcc, exec, s[54:55]
	s_mov_b64 s[54:55], -1
	s_cbranch_vccnz .LBB120_401
.LBB120_397:                            ;   in Loop: Header=BB120_398 Depth=2
	s_and_b64 s[4:5], exec, s[4:5]
	s_or_b64 s[16:17], s[4:5], s[16:17]
	s_andn2_b64 s[4:5], s[36:37], exec
	s_and_b64 s[36:37], s[54:55], exec
	s_or_b64 s[36:37], s[4:5], s[36:37]
	s_andn2_b64 exec, exec, s[16:17]
	s_cbranch_execz .LBB120_402
.LBB120_398:                            ;   Parent Loop BB120_6 Depth=1
                                        ; =>  This Inner Loop Header: Depth=2
	v_cmp_gt_u64_e32 vcc, s[28:29], v[8:9]
	s_and_saveexec_b64 s[4:5], vcc
	s_cbranch_execz .LBB120_396
; %bb.399:                              ;   in Loop: Header=BB120_398 Depth=2
	global_load_ubyte v10, v[4:5], off
	s_waitcnt vmcnt(0)
	v_and_b32_e32 v11, v10, v40
	v_cmp_eq_u32_sdwa s[54:55], v11, v36 src0_sel:BYTE_0 src1_sel:DWORD
	s_and_b64 exec, exec, s[54:55]
	s_cbranch_execz .LBB120_396
; %bb.400:                              ;   in Loop: Header=BB120_398 Depth=2
	v_lshlrev_b16_e32 v10, 8, v10
	v_or_b32_e32 v10, 1, v10
	ds_write_b16 v3, v10 offset:3072
	s_branch .LBB120_396
.LBB120_401:                            ;   in Loop: Header=BB120_398 Depth=2
	v_add_co_u32_e32 v8, vcc, s33, v8
	v_readlane_b32 s4, v54, 46
	v_addc_co_u32_e32 v9, vcc, 0, v9, vcc
	v_mov_b32_e32 v11, s4
	s_mul_i32 s4, s26, s33
	v_add_co_u32_e32 v4, vcc, s4, v4
	v_addc_co_u32_e32 v5, vcc, v5, v11, vcc
	v_cmp_le_u64_e32 vcc, s[20:21], v[8:9]
	s_mov_b64 s[54:55], 0
	s_orn2_b64 s[4:5], vcc, exec
	s_branch .LBB120_397
.LBB120_402:                            ;   in Loop: Header=BB120_6 Depth=1
	s_or_b64 exec, exec, s[16:17]
	s_andn2_b64 s[4:5], s[8:9], exec
	s_and_b64 s[8:9], s[36:37], exec
	v_lshrrev_b32_sdwa v41, v39, v10 dst_sel:DWORD dst_unused:UNUSED_PAD src0_sel:DWORD src1_sel:WORD_0
	s_or_b64 s[8:9], s[4:5], s[8:9]
.LBB120_403:                            ;   in Loop: Header=BB120_6 Depth=1
	s_or_b64 exec, exec, s[10:11]
	s_mov_b64 s[20:21], 0
	s_mov_b64 s[90:91], -1
.LBB120_404:                            ;   in Loop: Header=BB120_6 Depth=1
	s_orn2_b64 s[4:5], s[8:9], exec
.LBB120_405:                            ;   in Loop: Header=BB120_6 Depth=1
	s_or_b64 exec, exec, s[2:3]
	s_mov_b64 s[8:9], 0
	s_and_saveexec_b64 s[2:3], s[4:5]
	s_cbranch_execz .LBB120_465
; %bb.406:                              ;   in Loop: Header=BB120_6 Depth=1
	v_mov_b32_e32 v4, 1
	s_xor_b64 s[4:5], s[34:35], -1
	v_mov_b32_e32 v2, 1
	v_mov_b32_e32 v5, 0
	s_mov_b64 s[10:11], 0
	s_and_saveexec_b64 s[8:9], s[4:5]
	s_cbranch_execz .LBB120_415
; %bb.407:                              ;   in Loop: Header=BB120_6 Depth=1
	v_cmp_ge_u64_e32 vcc, s[88:89], v[6:7]
	s_and_saveexec_b64 s[4:5], vcc
	s_xor_b64 s[4:5], exec, s[4:5]
	s_cbranch_execz .LBB120_412
; %bb.408:                              ;   in Loop: Header=BB120_6 Depth=1
	ds_read_b64 v[4:5], v3 offset:5120
	v_and_b32_e32 v2, s58, v36
	v_lshl_or_b32 v36, 1, s53, v2
	v_or_b32_e32 v40, s59, v40
	s_waitcnt lgkmcnt(0)
	v_cmp_ne_u64_e32 vcc, 0, v[4:5]
	s_cbranch_vccnz .LBB120_412
; %bb.409:                              ;   in Loop: Header=BB120_6 Depth=1
	s_mov_b64 s[10:11], exec
	v_readlane_b32 s16, v54, 8
	v_readlane_b32 s17, v54, 9
	s_and_b64 s[16:17], s[10:11], s[16:17]
	s_mov_b64 exec, s[16:17]
; %bb.410:                              ;   in Loop: Header=BB120_6 Depth=1
	v_mov_b32_e32 v4, s88
	v_mov_b32_e32 v5, s89
	ds_write_b64 v3, v[4:5] offset:5128
; %bb.411:                              ;   in Loop: Header=BB120_6 Depth=1
	s_or_b64 exec, exec, s[10:11]
	s_waitcnt lgkmcnt(0)
	s_barrier
.LBB120_412:                            ;   in Loop: Header=BB120_6 Depth=1
	s_or_saveexec_b64 s[4:5], s[4:5]
	s_mov_b64 s[10:11], 0
	v_mov_b32_e32 v2, 5
	s_xor_b64 exec, exec, s[4:5]
; %bb.413:                              ;   in Loop: Header=BB120_6 Depth=1
	v_subrev_co_u32_e32 v6, vcc, s88, v6
	v_mov_b32_e32 v2, s89
	v_subb_co_u32_e32 v7, vcc, v7, v2, vcc
	v_mov_b32_e32 v2, 0
	s_mov_b64 s[10:11], exec
; %bb.414:                              ;   in Loop: Header=BB120_6 Depth=1
	s_or_b64 exec, exec, s[4:5]
	v_mov_b32_e32 v4, v6
	s_and_b64 s[10:11], s[10:11], exec
	v_mov_b32_e32 v5, v7
.LBB120_415:                            ;   in Loop: Header=BB120_6 Depth=1
	s_or_b64 exec, exec, s[8:9]
	s_mov_b64 s[4:5], -1
                                        ; implicit-def: $sgpr88_sgpr89
                                        ; implicit-def: $sgpr36_sgpr37
	s_and_saveexec_b64 s[34:35], s[10:11]
	s_cbranch_execz .LBB120_464
; %bb.416:                              ;   in Loop: Header=BB120_6 Depth=1
	s_cmp_eq_u64 s[22:23], 1
	v_cmp_eq_u64_e32 vcc, 1, v[4:5]
	s_cselect_b64 s[4:5], -1, 0
	s_and_b64 s[62:63], s[4:5], vcc
	s_mov_b64 s[4:5], -1
                                        ; implicit-def: $sgpr88_sgpr89
                                        ; implicit-def: $sgpr36_sgpr37
	s_mov_b64 s[8:9], exec
	v_writelane_b32 v54, s8, 52
	v_writelane_b32 v54, s9, 53
	s_and_b64 s[8:9], s[8:9], s[62:63]
	s_mov_b64 exec, s[8:9]
	s_cbranch_execz .LBB120_452
; %bb.417:                              ;   in Loop: Header=BB120_6 Depth=1
	ds_read_b64 v[6:7], v3 offset:5120
	s_waitcnt lgkmcnt(0)
	s_barrier
	v_readfirstlane_b32 s10, v6
	v_readfirstlane_b32 s11, v7
	s_mov_b64 s[4:5], exec
	v_readlane_b32 s8, v54, 30
	v_readlane_b32 s9, v54, 31
	s_and_b64 s[8:9], s[4:5], s[8:9]
	s_mov_b64 exec, s[8:9]
; %bb.418:                              ;   in Loop: Header=BB120_6 Depth=1
	ds_write_b8 v0, v3 offset:3072
; %bb.419:                              ;   in Loop: Header=BB120_6 Depth=1
	s_or_b64 exec, exec, s[4:5]
	v_and_b32_e32 v36, s58, v36
	v_or_b32_e32 v40, s59, v40
	s_mov_b64 s[36:37], -1
	s_mov_b64 s[88:89], 0
	s_cmp_eq_u64 s[10:11], 0
	s_mov_b64 s[8:9], 0
	s_mov_b64 s[92:93], -1
	s_waitcnt lgkmcnt(0)
	s_barrier
                                        ; implicit-def: $vgpr41
	s_cbranch_scc1 .LBB120_435
; %bb.420:                              ;   in Loop: Header=BB120_6 Depth=1
	v_readlane_b32 s4, v54, 34
	s_add_u32 s54, s10, s4
	v_readlane_b32 s4, v54, 36
	s_addc_u32 s9, s11, s4
	s_mov_b32 s8, s51
	s_cmp_lg_u64 s[8:9], 0
	s_cbranch_scc0 .LBB120_422
; %bb.421:                              ;   in Loop: Header=BB120_6 Depth=1
	v_cvt_f32_u32_e32 v6, s33
	s_sub_u32 s8, 0, s33
	s_subb_u32 s16, 0, 0
	v_mac_f32_e32 v6, 0, v38
	v_rcp_f32_e32 v6, v6
	v_mul_f32_e32 v6, 0x5f7ffffc, v6
	v_mul_f32_e32 v7, 0x2f800000, v6
	v_trunc_f32_e32 v7, v7
	v_mac_f32_e32 v6, 0xcf800000, v7
	v_cvt_u32_f32_e32 v7, v7
	v_cvt_u32_f32_e32 v6, v6
	v_readfirstlane_b32 s17, v7
	v_readfirstlane_b32 s4, v6
	s_mul_i32 s5, s8, s17
	s_mul_hi_u32 s55, s8, s4
	s_mul_i32 s50, s16, s4
	s_add_i32 s5, s55, s5
	s_mul_i32 s56, s8, s4
	s_add_i32 s5, s5, s50
	s_mul_hi_u32 s55, s4, s56
	s_mul_i32 s60, s4, s5
	s_mul_hi_u32 s50, s4, s5
	s_add_u32 s55, s55, s60
	s_addc_u32 s50, 0, s50
	s_mul_hi_u32 s61, s17, s56
	s_mul_i32 s56, s17, s56
	s_add_u32 s55, s55, s56
	s_mul_hi_u32 s60, s17, s5
	s_addc_u32 s50, s50, s61
	s_addc_u32 s55, s60, 0
	s_mul_i32 s5, s17, s5
	s_add_u32 s5, s50, s5
	s_addc_u32 s50, 0, s55
	s_add_u32 s55, s4, s5
	s_cselect_b64 s[4:5], -1, 0
	s_cmp_lg_u64 s[4:5], 0
	s_addc_u32 s17, s17, s50
	s_mul_i32 s4, s8, s17
	s_mul_hi_u32 s5, s8, s55
	s_add_i32 s4, s5, s4
	s_mul_i32 s16, s16, s55
	s_add_i32 s4, s4, s16
	s_mul_i32 s8, s8, s55
	s_mul_hi_u32 s16, s17, s8
	s_mul_i32 s50, s17, s8
	s_mul_i32 s60, s55, s4
	s_mul_hi_u32 s8, s55, s8
	s_mul_hi_u32 s56, s55, s4
	s_add_u32 s8, s8, s60
	s_addc_u32 s56, 0, s56
	s_add_u32 s8, s8, s50
	s_mul_hi_u32 s5, s17, s4
	s_addc_u32 s8, s56, s16
	s_addc_u32 s5, s5, 0
	s_mul_i32 s4, s17, s4
	s_add_u32 s4, s8, s4
	s_addc_u32 s8, 0, s5
	s_add_u32 s16, s55, s4
	s_cselect_b64 s[4:5], -1, 0
	s_cmp_lg_u64 s[4:5], 0
	s_addc_u32 s4, s17, s8
	s_mul_i32 s8, s54, s4
	s_mul_hi_u32 s17, s54, s16
	s_mul_hi_u32 s5, s54, s4
	s_add_u32 s8, s17, s8
	s_addc_u32 s5, 0, s5
	s_mul_hi_u32 s50, s9, s16
	s_mul_i32 s16, s9, s16
	s_add_u32 s8, s8, s16
	s_mul_hi_u32 s17, s9, s4
	s_addc_u32 s5, s5, s50
	s_addc_u32 s8, s17, 0
	s_mul_i32 s4, s9, s4
	s_add_u32 s4, s5, s4
	s_addc_u32 s5, 0, s8
	s_mul_i32 s5, s33, s5
	s_mul_hi_u32 s8, s33, s4
	s_add_i32 s8, s8, s5
	s_mul_i32 s4, s33, s4
	s_sub_u32 s16, s54, s4
	s_cselect_b64 s[4:5], -1, 0
	s_cmp_lg_u64 s[4:5], 0
	s_subb_u32 s8, s9, s8
	s_sub_u32 s17, s16, s33
	s_cselect_b64 s[4:5], -1, 0
	s_cmp_lg_u64 s[4:5], 0
	s_subb_u32 s50, s8, 0
	;; [unrolled: 4-line block ×3, first 2 shown]
	s_cmp_ge_u32 s17, s33
	s_cselect_b32 s5, -1, 0
	s_cmp_eq_u32 s50, 0
	s_cselect_b32 s5, s5, -1
	s_cmp_lg_u32 s5, 0
	s_cselect_b32 s4, s4, s50
	s_cselect_b32 s17, s55, s17
	s_cmp_ge_u32 s16, s33
	s_cselect_b32 s5, -1, 0
	s_cmp_eq_u32 s8, 0
	s_cselect_b32 s5, s5, -1
	s_cmp_lg_u32 s5, 0
	s_cselect_b32 s5, s4, s8
	s_cselect_b32 s4, s17, s16
	s_mov_b64 s[16:17], 0
	s_branch .LBB120_423
.LBB120_422:                            ;   in Loop: Header=BB120_6 Depth=1
	s_mov_b64 s[16:17], -1
                                        ; implicit-def: $sgpr4_sgpr5
.LBB120_423:                            ;   in Loop: Header=BB120_6 Depth=1
	s_andn2_b64 vcc, exec, s[16:17]
	s_cbranch_vccnz .LBB120_425
; %bb.424:                              ;   in Loop: Header=BB120_6 Depth=1
	v_cvt_f32_u32_e32 v6, s33
	s_sub_i32 s4, 0, s33
	v_rcp_iflag_f32_e32 v6, v6
	v_mul_f32_e32 v6, 0x4f7ffffe, v6
	v_cvt_u32_f32_e32 v6, v6
	v_readfirstlane_b32 s5, v6
	s_mul_i32 s4, s4, s5
	s_mul_hi_u32 s4, s5, s4
	s_add_i32 s5, s5, s4
	s_mul_hi_u32 s4, s54, s5
	s_mul_i32 s4, s4, s33
	s_sub_i32 s4, s54, s4
	s_sub_i32 s5, s4, s33
	s_cmp_ge_u32 s4, s33
	s_cselect_b32 s4, s5, s4
	s_sub_i32 s5, s4, s33
	s_cmp_ge_u32 s4, s33
	s_cselect_b32 s50, s5, s4
	s_mov_b64 s[4:5], s[50:51]
.LBB120_425:                            ;   in Loop: Header=BB120_6 Depth=1
	s_sub_u32 s54, s54, s4
	s_subb_u32 s55, s9, s5
	v_cmp_gt_u64_e32 vcc, s[54:55], v[0:1]
	s_mov_b64 s[92:93], 0
	s_mov_b64 s[8:9], 0
                                        ; implicit-def: $vgpr41
	s_and_saveexec_b64 s[60:61], vcc
	v_readlane_b32 s56, v54, 49
	v_readlane_b32 s50, v54, 50
	s_cbranch_execz .LBB120_434
; %bb.426:                              ;   in Loop: Header=BB120_6 Depth=1
	v_mov_b32_e32 v7, v1
	v_writelane_b32 v54, s62, 54
	v_mov_b32_e32 v8, v0
	v_mov_b32_e32 v6, v0
	v_writelane_b32 v54, s63, 55
                                        ; implicit-def: $sgpr16_sgpr17
	s_branch .LBB120_429
.LBB120_427:                            ;   in Loop: Header=BB120_429 Depth=2
	s_or_b64 exec, exec, s[4:5]
	s_waitcnt lgkmcnt(0)
	s_barrier
	ds_read_u16 v9, v3 offset:3072
	s_mov_b64 s[4:5], -1
	s_waitcnt lgkmcnt(0)
	s_barrier
	v_cmp_ne_u32_sdwa s[62:63], v9, v3 src0_sel:BYTE_0 src1_sel:DWORD
	s_and_b64 vcc, exec, s[62:63]
	s_mov_b64 s[62:63], -1
	s_cbranch_vccz .LBB120_432
.LBB120_428:                            ;   in Loop: Header=BB120_429 Depth=2
	s_and_b64 s[4:5], exec, s[4:5]
	s_or_b64 s[8:9], s[4:5], s[8:9]
	s_andn2_b64 s[4:5], s[16:17], exec
	s_and_b64 s[16:17], s[62:63], exec
	s_or_b64 s[16:17], s[4:5], s[16:17]
	s_andn2_b64 exec, exec, s[8:9]
	s_cbranch_execz .LBB120_433
.LBB120_429:                            ;   Parent Loop BB120_6 Depth=1
                                        ; =>  This Inner Loop Header: Depth=2
	v_cmp_gt_u64_e32 vcc, s[10:11], v[6:7]
	s_and_saveexec_b64 s[4:5], vcc
	s_cbranch_execz .LBB120_427
; %bb.430:                              ;   in Loop: Header=BB120_429 Depth=2
	ds_read_u8 v9, v8
	s_waitcnt lgkmcnt(0)
	v_and_b32_e32 v10, v9, v40
	v_cmp_eq_u32_sdwa s[62:63], v10, v36 src0_sel:BYTE_0 src1_sel:DWORD
	s_and_b64 exec, exec, s[62:63]
	s_cbranch_execz .LBB120_427
; %bb.431:                              ;   in Loop: Header=BB120_429 Depth=2
	v_lshlrev_b16_e32 v9, 8, v9
	v_or_b32_e32 v9, 1, v9
	ds_write_b16 v3, v9 offset:3072
	s_branch .LBB120_427
.LBB120_432:                            ;   in Loop: Header=BB120_429 Depth=2
	v_add_co_u32_e32 v6, vcc, s33, v6
	v_addc_co_u32_e32 v7, vcc, 0, v7, vcc
	v_cmp_le_u64_e32 vcc, s[54:55], v[6:7]
	v_add_u32_e32 v8, s33, v8
	s_mov_b64 s[62:63], 0
	s_orn2_b64 s[4:5], vcc, exec
	s_branch .LBB120_428
.LBB120_433:                            ;   in Loop: Header=BB120_6 Depth=1
	s_or_b64 exec, exec, s[8:9]
	v_readlane_b32 s62, v54, 54
	v_lshrrev_b32_sdwa v41, v39, v9 dst_sel:DWORD dst_unused:UNUSED_PAD src0_sel:DWORD src1_sel:WORD_0
	s_and_b64 s[8:9], s[16:17], exec
	v_readlane_b32 s63, v54, 55
.LBB120_434:                            ;   in Loop: Header=BB120_6 Depth=1
	s_or_b64 exec, exec, s[60:61]
.LBB120_435:                            ;   in Loop: Header=BB120_6 Depth=1
	s_and_b64 vcc, exec, s[92:93]
	s_cbranch_vccz .LBB120_451
; %bb.436:                              ;   in Loop: Header=BB120_6 Depth=1
	v_readlane_b32 s54, v54, 37
	v_readlane_b32 s55, v54, 38
	s_mov_b32 s54, s51
	s_cmp_lg_u64 s[54:55], 0
	v_writelane_b32 v54, s54, 37
	v_writelane_b32 v54, s55, 38
	s_cbranch_scc0 .LBB120_438
; %bb.437:                              ;   in Loop: Header=BB120_6 Depth=1
	v_cvt_f32_u32_e32 v6, s33
	s_sub_u32 s10, 0, s33
	s_subb_u32 s11, 0, 0
	v_mac_f32_e32 v6, 0, v38
	v_rcp_f32_e32 v6, v6
	v_mul_f32_e32 v6, 0x5f7ffffc, v6
	v_mul_f32_e32 v7, 0x2f800000, v6
	v_trunc_f32_e32 v7, v7
	v_mac_f32_e32 v6, 0xcf800000, v7
	v_cvt_u32_f32_e32 v7, v7
	v_cvt_u32_f32_e32 v6, v6
	v_readfirstlane_b32 s16, v7
	v_readfirstlane_b32 s4, v6
	s_mul_i32 s5, s10, s16
	s_mul_hi_u32 s36, s10, s4
	s_mul_i32 s17, s11, s4
	s_add_i32 s5, s36, s5
	s_mul_i32 s37, s10, s4
	s_add_i32 s5, s5, s17
	s_mul_hi_u32 s36, s4, s37
	s_mul_i32 s50, s4, s5
	s_mul_hi_u32 s17, s4, s5
	s_add_u32 s36, s36, s50
	s_addc_u32 s17, 0, s17
	s_mul_hi_u32 s54, s16, s37
	s_mul_i32 s37, s16, s37
	s_add_u32 s36, s36, s37
	s_mul_hi_u32 s50, s16, s5
	s_addc_u32 s17, s17, s54
	s_addc_u32 s36, s50, 0
	s_mul_i32 s5, s16, s5
	s_add_u32 s5, s17, s5
	s_addc_u32 s17, 0, s36
	s_add_u32 s36, s4, s5
	s_cselect_b64 s[4:5], -1, 0
	s_cmp_lg_u64 s[4:5], 0
	s_addc_u32 s16, s16, s17
	s_mul_i32 s4, s10, s16
	s_mul_hi_u32 s5, s10, s36
	s_add_i32 s4, s5, s4
	s_mul_i32 s11, s11, s36
	s_add_i32 s4, s4, s11
	s_mul_i32 s10, s10, s36
	s_mul_hi_u32 s11, s16, s10
	s_mul_i32 s17, s16, s10
	s_mul_i32 s50, s36, s4
	s_mul_hi_u32 s10, s36, s10
	s_mul_hi_u32 s37, s36, s4
	s_add_u32 s10, s10, s50
	s_addc_u32 s37, 0, s37
	s_add_u32 s10, s10, s17
	s_mul_hi_u32 s5, s16, s4
	s_addc_u32 s10, s37, s11
	s_addc_u32 s5, s5, 0
	s_mul_i32 s4, s16, s4
	s_add_u32 s4, s10, s4
	s_addc_u32 s10, 0, s5
	s_add_u32 s11, s36, s4
	s_cselect_b64 s[4:5], -1, 0
	s_cmp_lg_u64 s[4:5], 0
	s_addc_u32 s4, s16, s10
	v_readlane_b32 s37, v54, 35
	s_mul_i32 s10, s37, s4
	s_mul_hi_u32 s16, s37, s11
	s_mul_hi_u32 s5, s37, s4
	s_add_u32 s10, s16, s10
	s_addc_u32 s5, 0, s5
	s_mul_hi_u32 s17, s55, s11
	s_mul_i32 s11, s55, s11
	s_add_u32 s10, s10, s11
	s_mul_hi_u32 s16, s55, s4
	s_addc_u32 s5, s5, s17
	s_addc_u32 s10, s16, 0
	s_mul_i32 s4, s55, s4
	s_add_u32 s4, s5, s4
	s_addc_u32 s5, 0, s10
	s_mul_i32 s5, s33, s5
	s_mul_hi_u32 s10, s33, s4
	s_add_i32 s10, s10, s5
	s_mul_i32 s4, s33, s4
	s_sub_u32 s11, s37, s4
	s_cselect_b64 s[4:5], -1, 0
	s_cmp_lg_u64 s[4:5], 0
	s_subb_u32 s10, s55, s10
	s_sub_u32 s16, s11, s33
	s_cselect_b64 s[4:5], -1, 0
	s_cmp_lg_u64 s[4:5], 0
	s_subb_u32 s17, s10, 0
	;; [unrolled: 4-line block ×3, first 2 shown]
	s_cmp_ge_u32 s16, s33
	s_cselect_b32 s5, -1, 0
	s_cmp_eq_u32 s17, 0
	s_cselect_b32 s5, s5, -1
	s_cmp_lg_u32 s5, 0
	s_cselect_b32 s4, s4, s17
	s_cselect_b32 s16, s36, s16
	s_cmp_ge_u32 s11, s33
	s_cselect_b32 s5, -1, 0
	s_cmp_eq_u32 s10, 0
	s_cselect_b32 s5, s5, -1
	s_cmp_lg_u32 s5, 0
	s_cselect_b32 s5, s4, s10
	s_cselect_b32 s4, s16, s11
	s_mov_b64 s[10:11], 0
	s_branch .LBB120_439
.LBB120_438:                            ;   in Loop: Header=BB120_6 Depth=1
	s_mov_b64 s[10:11], -1
	v_readlane_b32 s37, v54, 35
                                        ; implicit-def: $sgpr4_sgpr5
.LBB120_439:                            ;   in Loop: Header=BB120_6 Depth=1
	s_andn2_b64 vcc, exec, s[10:11]
	v_readlane_b32 s56, v54, 49
	s_cbranch_vccnz .LBB120_441
; %bb.440:                              ;   in Loop: Header=BB120_6 Depth=1
	v_cvt_f32_u32_e32 v6, s33
	s_sub_i32 s4, 0, s33
	v_rcp_iflag_f32_e32 v6, v6
	v_mul_f32_e32 v6, 0x4f7ffffe, v6
	v_cvt_u32_f32_e32 v6, v6
	v_readfirstlane_b32 s5, v6
	s_mul_i32 s4, s4, s5
	s_mul_hi_u32 s4, s5, s4
	s_add_i32 s5, s5, s4
	s_mul_hi_u32 s4, s37, s5
	s_mul_i32 s4, s4, s33
	s_sub_i32 s4, s37, s4
	s_sub_i32 s5, s4, s33
	s_cmp_ge_u32 s4, s33
	s_cselect_b32 s4, s5, s4
	s_sub_i32 s5, s4, s33
	s_cmp_ge_u32 s4, s33
	s_cselect_b32 s50, s5, s4
	s_mov_b64 s[4:5], s[50:51]
.LBB120_441:                            ;   in Loop: Header=BB120_6 Depth=1
	v_readlane_b32 s10, v54, 37
	s_sub_u32 s36, s37, s4
	v_readlane_b32 s11, v54, 38
	s_subb_u32 s37, s11, s5
	v_cmp_gt_u64_e32 vcc, s[36:37], v[0:1]
                                        ; implicit-def: $vgpr41
	s_and_saveexec_b64 s[10:11], vcc
	v_readlane_b32 s50, v54, 50
	s_cbranch_execz .LBB120_450
; %bb.442:                              ;   in Loop: Header=BB120_6 Depth=1
	v_mov_b32_e32 v6, v12
	v_mov_b32_e32 v9, v1
	s_mov_b64 s[16:17], 0
	v_mov_b32_e32 v7, v13
	v_mov_b32_e32 v8, v0
                                        ; implicit-def: $sgpr54_sgpr55
	s_branch .LBB120_445
.LBB120_443:                            ;   in Loop: Header=BB120_445 Depth=2
	s_or_b64 exec, exec, s[4:5]
	s_waitcnt lgkmcnt(0)
	s_barrier
	ds_read_u16 v10, v3 offset:3072
	s_mov_b64 s[4:5], -1
	s_waitcnt lgkmcnt(0)
	s_barrier
	v_cmp_eq_u32_sdwa s[60:61], v10, v3 src0_sel:BYTE_0 src1_sel:DWORD
	s_and_b64 vcc, exec, s[60:61]
	s_mov_b64 s[60:61], -1
	s_cbranch_vccnz .LBB120_448
.LBB120_444:                            ;   in Loop: Header=BB120_445 Depth=2
	s_and_b64 s[4:5], exec, s[4:5]
	s_or_b64 s[16:17], s[4:5], s[16:17]
	s_andn2_b64 s[4:5], s[54:55], exec
	s_and_b64 s[54:55], s[60:61], exec
	s_or_b64 s[54:55], s[4:5], s[54:55]
	s_andn2_b64 exec, exec, s[16:17]
	s_cbranch_execz .LBB120_449
.LBB120_445:                            ;   Parent Loop BB120_6 Depth=1
                                        ; =>  This Inner Loop Header: Depth=2
	v_cmp_gt_u64_e32 vcc, s[28:29], v[8:9]
	s_and_saveexec_b64 s[4:5], vcc
	s_cbranch_execz .LBB120_443
; %bb.446:                              ;   in Loop: Header=BB120_445 Depth=2
	global_load_ubyte v10, v[6:7], off
	s_waitcnt vmcnt(0)
	v_and_b32_e32 v11, v10, v40
	v_cmp_eq_u32_sdwa s[60:61], v11, v36 src0_sel:BYTE_0 src1_sel:DWORD
	s_and_b64 exec, exec, s[60:61]
	s_cbranch_execz .LBB120_443
; %bb.447:                              ;   in Loop: Header=BB120_445 Depth=2
	v_lshlrev_b16_e32 v10, 8, v10
	v_or_b32_e32 v10, 1, v10
	ds_write_b16 v3, v10 offset:3072
	s_branch .LBB120_443
.LBB120_448:                            ;   in Loop: Header=BB120_445 Depth=2
	v_add_co_u32_e32 v8, vcc, s33, v8
	v_readlane_b32 s4, v54, 46
	v_addc_co_u32_e32 v9, vcc, 0, v9, vcc
	v_mov_b32_e32 v11, s4
	s_mul_i32 s4, s26, s33
	v_add_co_u32_e32 v6, vcc, s4, v6
	v_addc_co_u32_e32 v7, vcc, v7, v11, vcc
	v_cmp_le_u64_e32 vcc, s[36:37], v[8:9]
	s_mov_b64 s[60:61], 0
	s_orn2_b64 s[4:5], vcc, exec
	s_branch .LBB120_444
.LBB120_449:                            ;   in Loop: Header=BB120_6 Depth=1
	s_or_b64 exec, exec, s[16:17]
	s_andn2_b64 s[4:5], s[8:9], exec
	s_and_b64 s[8:9], s[54:55], exec
	v_lshrrev_b32_sdwa v41, v39, v10 dst_sel:DWORD dst_unused:UNUSED_PAD src0_sel:DWORD src1_sel:WORD_0
	s_or_b64 s[8:9], s[4:5], s[8:9]
.LBB120_450:                            ;   in Loop: Header=BB120_6 Depth=1
	s_or_b64 exec, exec, s[10:11]
	s_mov_b64 s[36:37], 0
	s_mov_b64 s[88:89], -1
.LBB120_451:                            ;   in Loop: Header=BB120_6 Depth=1
	s_orn2_b64 s[4:5], s[8:9], exec
.LBB120_452:                            ;   in Loop: Header=BB120_6 Depth=1
	v_readlane_b32 s8, v54, 52
	v_readlane_b32 s9, v54, 53
	s_or_b64 exec, exec, s[8:9]
	s_mov_b64 s[10:11], 0
	s_and_saveexec_b64 s[8:9], s[4:5]
	s_cbranch_execz .LBB120_463
; %bb.453:                              ;   in Loop: Header=BB120_6 Depth=1
	v_mov_b32_e32 v6, 1
	s_xor_b64 s[4:5], s[62:63], -1
	v_mov_b32_e32 v7, 0
	v_mov_b32_e32 v2, 1
	s_and_saveexec_b64 s[10:11], s[4:5]
	s_cbranch_execz .LBB120_462
; %bb.454:                              ;   in Loop: Header=BB120_6 Depth=1
	v_cmp_ge_u64_e32 vcc, s[22:23], v[4:5]
	s_and_saveexec_b64 s[4:5], vcc
	s_xor_b64 s[4:5], exec, s[4:5]
	s_cbranch_execz .LBB120_459
; %bb.455:                              ;   in Loop: Header=BB120_6 Depth=1
	ds_read_b64 v[6:7], v3 offset:5120
	v_and_b32_e32 v36, s58, v36
	v_or_b32_e32 v40, s59, v40
	s_waitcnt lgkmcnt(0)
	v_cmp_ne_u64_e32 vcc, 0, v[6:7]
	s_cbranch_vccnz .LBB120_459
; %bb.456:                              ;   in Loop: Header=BB120_6 Depth=1
	s_mov_b64 s[16:17], exec
	v_readlane_b32 s54, v54, 8
	v_readlane_b32 s55, v54, 9
	s_and_b64 s[54:55], s[16:17], s[54:55]
	s_mov_b64 exec, s[54:55]
; %bb.457:                              ;   in Loop: Header=BB120_6 Depth=1
	v_mov_b32_e32 v6, s22
	v_mov_b32_e32 v7, s23
	ds_write_b64 v3, v[6:7] offset:5128
; %bb.458:                              ;   in Loop: Header=BB120_6 Depth=1
	s_or_b64 exec, exec, s[16:17]
	s_waitcnt lgkmcnt(0)
	s_barrier
.LBB120_459:                            ;   in Loop: Header=BB120_6 Depth=1
	s_andn2_saveexec_b64 s[4:5], s[4:5]
; %bb.460:                              ;   in Loop: Header=BB120_6 Depth=1
	v_mov_b32_e32 v2, s23
	v_subrev_co_u32_e32 v4, vcc, s22, v4
	v_subb_co_u32_e32 v5, vcc, v5, v2, vcc
; %bb.461:                              ;   in Loop: Header=BB120_6 Depth=1
	s_or_b64 exec, exec, s[4:5]
	v_mov_b32_e32 v7, v5
	v_mov_b32_e32 v2, 5
	;; [unrolled: 1-line block ×3, first 2 shown]
.LBB120_462:                            ;   in Loop: Header=BB120_6 Depth=1
	s_or_b64 exec, exec, s[10:11]
	v_mov_b32_e32 v4, v6
	s_mov_b64 s[10:11], exec
	v_mov_b32_e32 v5, v7
.LBB120_463:                            ;   in Loop: Header=BB120_6 Depth=1
	s_or_b64 exec, exec, s[8:9]
	s_orn2_b64 s[4:5], s[10:11], exec
.LBB120_464:                            ;   in Loop: Header=BB120_6 Depth=1
	s_or_b64 exec, exec, s[34:35]
	s_andn2_b64 s[8:9], s[90:91], exec
	s_and_b64 s[10:11], s[88:89], exec
	s_or_b64 s[90:91], s[8:9], s[10:11]
	s_andn2_b64 s[8:9], s[20:21], exec
	s_and_b64 s[10:11], s[36:37], exec
	v_mov_b32_e32 v7, v5
	s_or_b64 s[20:21], s[8:9], s[10:11]
	s_and_b64 s[8:9], s[4:5], exec
	v_mov_b32_e32 v6, v4
.LBB120_465:                            ;   in Loop: Header=BB120_6 Depth=1
	s_or_b64 exec, exec, s[2:3]
	s_orn2_b64 s[2:3], s[8:9], exec
.LBB120_466:                            ;   in Loop: Header=BB120_6 Depth=1
	s_or_b64 exec, exec, s[12:13]
	s_andn2_b64 s[4:5], s[42:43], exec
	s_and_b64 s[8:9], s[90:91], exec
	s_or_b64 s[42:43], s[4:5], s[8:9]
	s_andn2_b64 s[4:5], s[14:15], exec
	s_and_b64 s[8:9], s[20:21], exec
	v_mov_b32_e32 v4, v6
	s_or_b64 s[14:15], s[4:5], s[8:9]
	s_and_b64 s[8:9], s[2:3], exec
	v_mov_b32_e32 v5, v7
.LBB120_467:                            ;   in Loop: Header=BB120_6 Depth=1
	s_or_b64 exec, exec, s[44:45]
	s_orn2_b64 s[2:3], s[8:9], exec
.LBB120_468:                            ;   in Loop: Header=BB120_6 Depth=1
	s_or_b64 exec, exec, s[6:7]
	s_mov_b64 s[4:5], s[38:39]
	s_mov_b64 s[6:7], s[94:95]
	s_and_saveexec_b64 s[8:9], s[2:3]
; %bb.469:                              ;   in Loop: Header=BB120_6 Depth=1
	v_cmp_ne_u32_e64 s[6:7], 5, v2
	v_cmp_eq_u32_e32 vcc, 5, v2
	s_andn2_b64 s[2:3], s[94:95], exec
	s_and_b64 s[4:5], s[6:7], exec
	s_or_b64 s[6:7], s[2:3], s[4:5]
	s_andn2_b64 s[2:3], s[38:39], exec
	s_and_b64 s[4:5], vcc, exec
	s_or_b64 s[4:5], s[2:3], s[4:5]
; %bb.470:                              ;   in Loop: Header=BB120_6 Depth=1
	s_or_b64 exec, exec, s[8:9]
	s_andn2_b64 s[2:3], s[18:19], exec
	s_and_b64 s[8:9], s[42:43], exec
	s_or_b64 s[18:19], s[2:3], s[8:9]
	s_andn2_b64 s[2:3], s[24:25], exec
	s_and_b64 s[8:9], s[14:15], exec
	s_or_b64 s[24:25], s[2:3], s[8:9]
	;; [unrolled: 3-line block ×4, first 2 shown]
.LBB120_471:                            ;   in Loop: Header=BB120_6 Depth=1
	s_or_b64 exec, exec, s[40:41]
	s_mov_b64 s[42:43], 0
	s_mov_b64 s[40:41], 0
	s_and_saveexec_b64 s[2:3], s[38:39]
.LBB120_472:                            ;   in Loop: Header=BB120_6 Depth=1
	v_mov_b32_e32 v2, 0
	s_or_b64 s[94:95], s[94:95], exec
.LBB120_473:                            ;   in Loop: Header=BB120_6 Depth=1
	s_or_b64 exec, exec, s[2:3]
	s_andn2_b64 s[2:3], s[84:85], exec
	s_and_b64 s[6:7], s[18:19], exec
	s_or_b64 s[84:85], s[2:3], s[6:7]
	s_andn2_b64 s[2:3], s[82:83], exec
	s_and_b64 s[6:7], s[24:25], exec
	s_or_b64 s[82:83], s[2:3], s[6:7]
	;; [unrolled: 3-line block ×3, first 2 shown]
	s_andn2_b64 s[2:3], s[78:79], exec
	s_and_b64 s[6:7], s[42:43], exec
	v_mov_b32_e32 v25, v5
	s_mov_b64 s[4:5], -1
	s_andn2_b64 s[86:87], s[86:87], exec
	s_or_b64 s[78:79], s[2:3], s[6:7]
	v_mov_b32_e32 v24, v4
	s_and_saveexec_b64 s[2:3], s[94:95]
	s_xor_b64 s[2:3], exec, s[2:3]
	v_readlane_b32 s12, v54, 51
	s_cbranch_execz .LBB120_5
; %bb.474:                              ;   in Loop: Header=BB120_6 Depth=1
	v_cmp_eq_u32_e32 vcc, 0, v2
	s_mov_b64 s[6:7], -1
	s_and_saveexec_b64 s[8:9], vcc
	s_cbranch_execz .LBB120_4
; %bb.475:                              ;   in Loop: Header=BB120_6 Depth=1
	v_readlane_b32 s4, v54, 48
	s_xor_b32 s4, s4, 1
	s_add_i32 s10, s53, -2
	s_cmp_eq_u32 s53, 0
	v_writelane_b32 v54, s4, 48
	s_cselect_b64 s[4:5], -1, 0
	s_xor_b64 s[6:7], exec, -1
	s_orn2_b64 s[4:5], s[4:5], exec
	s_mov_b32 s53, s10
	s_branch .LBB120_4
.LBB120_476:
	s_or_b64 exec, exec, s[66:67]
	s_xor_b64 s[4:5], s[76:77], -1
	s_xor_b64 s[8:9], s[74:75], -1
	;; [unrolled: 1-line block ×5, first 2 shown]
	s_mov_b64 s[6:7], 0
	s_and_saveexec_b64 s[14:15], s[10:11]
	s_xor_b64 s[10:11], exec, s[14:15]
	s_cbranch_execnz .LBB120_481
; %bb.477:
	s_andn2_saveexec_b64 s[0:1], s[10:11]
	s_cbranch_execnz .LBB120_500
.LBB120_478:
	s_or_b64 exec, exec, s[0:1]
	s_and_saveexec_b64 s[0:1], s[6:7]
.LBB120_479:
	; divergent unreachable
.LBB120_480:
	s_endpgm
.LBB120_481:
	s_and_saveexec_b64 s[14:15], s[12:13]
	s_xor_b64 s[12:13], exec, s[14:15]
	s_cbranch_execz .LBB120_498
; %bb.482:
	s_and_saveexec_b64 s[14:15], s[8:9]
	s_xor_b64 s[14:15], exec, s[14:15]
	s_cbranch_execz .LBB120_496
; %bb.483:
	;; [unrolled: 4-line block ×3, first 2 shown]
	s_and_saveexec_b64 s[4:5], s[2:3]
	s_xor_b64 s[2:3], exec, s[4:5]
; %bb.485:
	v_mov_b32_e32 v41, v36
; %bb.486:
	s_or_b64 exec, exec, s[2:3]
	s_mov_b64 s[2:3], exec
	v_readlane_b32 s6, v54, 20
	v_readlane_b32 s7, v54, 21
	s_load_dwordx2 s[52:53], s[6:7], 0x0
	v_readlane_b32 s4, v54, 8
	v_readlane_b32 s5, v54, 9
	;; [unrolled: 1-line block ×3, first 2 shown]
	s_and_b64 s[4:5], s[2:3], s[4:5]
	v_readlane_b32 s55, v54, 23
	v_readlane_b32 s18, v54, 10
	;; [unrolled: 1-line block ×3, first 2 shown]
	s_mov_b64 exec, s[4:5]
; %bb.487:
	v_mov_b32_e32 v2, 0
	v_mov_b32_e32 v3, v2
	ds_write_b64 v2, v[2:3] offset:5136
; %bb.488:
	s_or_b64 exec, exec, s[2:3]
	v_mov_b32_e32 v16, 0
	s_waitcnt lgkmcnt(0)
	s_barrier
	s_mov_b64 s[2:3], exec
	v_readlane_b32 s4, v54, 28
	v_readlane_b32 s5, v54, 29
	s_and_b64 s[4:5], s[2:3], s[4:5]
	s_mov_b64 exec, s[4:5]
	s_cbranch_execz .LBB120_490
; %bb.489:
	global_load_ubyte v16, v[12:13], off
.LBB120_490:
	s_or_b64 exec, exec, s[2:3]
	v_readlane_b32 s20, v54, 4
	s_add_u32 s2, s28, 63
	v_readlane_b32 s21, v54, 5
	s_addc_u32 s9, s29, 0
	s_and_b32 s8, s2, 0xffffffc0
	s_mul_i32 s2, s21, s18
	s_mul_hi_u32 s3, s20, s18
	s_mul_i32 s5, s20, s18
	v_readlane_b32 s20, v54, 0
	v_readlane_b32 s21, v54, 1
	s_add_i32 s4, s3, s2
	s_mul_i32 s2, s21, s18
	s_mul_hi_u32 s3, s20, s18
	s_add_i32 s3, s3, s2
	s_mul_i32 s2, s20, s18
	v_readlane_b32 s18, v54, 6
	s_load_dwordx2 s[20:21], s[6:7], 0x368
	s_load_dwordx2 s[22:23], s[6:7], 0x510
	v_readlane_b32 s19, v54, 7
	s_add_u32 s18, s18, s5
	s_addc_u32 s19, s19, s4
	s_lshl_b64 s[2:3], s[2:3], 3
	v_readlane_b32 s4, v54, 2
	v_readlane_b32 s5, v54, 3
	s_add_u32 s46, s4, s2
	v_cmp_gt_u64_e32 vcc, s[8:9], v[0:1]
	s_addc_u32 s47, s5, s3
	s_mov_b64 s[34:35], -1
	s_mov_b64 s[2:3], 0
	s_mov_b64 s[4:5], 0
	s_and_saveexec_b64 s[24:25], vcc
	s_cbranch_execnz .LBB120_501
; %bb.491:
	s_or_b64 exec, exec, s[24:25]
	s_and_saveexec_b64 s[6:7], s[34:35]
	s_cbranch_execnz .LBB120_516
.LBB120_492:
	s_or_b64 exec, exec, s[6:7]
	s_and_saveexec_b64 s[0:1], s[4:5]
	s_xor_b64 s[0:1], exec, s[0:1]
	s_cbranch_execnz .LBB120_539
.LBB120_493:
	s_or_b64 exec, exec, s[0:1]
	s_and_b64 s[6:7], s[2:3], exec
.LBB120_494:
	s_andn2_saveexec_b64 s[0:1], s[16:17]
	s_cbranch_execnz .LBB120_541
.LBB120_495:
	s_or_b64 exec, exec, s[0:1]
	s_and_b64 s[6:7], s[6:7], exec
.LBB120_496:
	s_andn2_saveexec_b64 s[0:1], s[14:15]
	s_cbranch_execnz .LBB120_540
.LBB120_497:
	s_or_b64 exec, exec, s[0:1]
	s_and_b64 s[6:7], s[6:7], exec
.LBB120_498:
	s_andn2_saveexec_b64 s[0:1], s[12:13]
	s_cbranch_execnz .LBB120_535
.LBB120_499:
	s_or_b64 exec, exec, s[0:1]
	s_and_b64 s[6:7], s[6:7], exec
	s_andn2_saveexec_b64 s[0:1], s[10:11]
	s_cbranch_execz .LBB120_478
.LBB120_500:
	s_or_b64 s[6:7], s[6:7], exec
	s_trap 2
	s_or_b64 exec, exec, s[0:1]
	s_and_saveexec_b64 s[0:1], s[6:7]
	s_cbranch_execnz .LBB120_479
	s_branch .LBB120_480
.LBB120_501:
	v_add_co_u32_e64 v4, s[4:5], s33, v0
	v_addc_co_u32_e64 v5, s[4:5], 0, 0, s[4:5]
	v_readlane_b32 s4, v54, 12
	s_add_u32 s4, s52, s4
	v_readlane_b32 s5, v54, 13
	s_addc_u32 s5, s53, s5
	v_mov_b32_e32 v2, s4
	v_mov_b32_e32 v3, s5
	v_mad_u64_u32 v[2:3], s[4:5], s26, v4, v[2:3]
	v_mul_lo_u32 v5, s26, v5
	v_mul_lo_u32 v4, s27, v4
	v_mov_b32_e32 v11, v1
	s_mov_b64 s[34:35], 0
	v_mov_b32_e32 v10, v0
	v_add3_u32 v3, v4, v3, v5
	v_mov_b32_e32 v5, 0
                                        ; implicit-def: $sgpr36_sgpr37
                                        ; implicit-def: $vgpr8_vgpr9
	s_branch .LBB120_503
.LBB120_502:                            ;   in Loop: Header=BB120_503 Depth=1
	s_or_b64 exec, exec, s[38:39]
	s_xor_b64 s[4:5], s[40:41], -1
	s_and_b64 s[6:7], exec, s[6:7]
	s_or_b64 s[34:35], s[6:7], s[34:35]
	s_andn2_b64 s[6:7], s[36:37], exec
	s_and_b64 s[4:5], s[4:5], exec
	v_mov_b32_e32 v11, v7
	s_or_b64 s[36:37], s[6:7], s[4:5]
	v_mov_b32_e32 v16, v17
	v_mov_b32_e32 v10, v6
	s_andn2_b64 exec, exec, s[34:35]
	s_cbranch_execz .LBB120_515
.LBB120_503:                            ; =>This Inner Loop Header: Depth=1
	v_add_co_u32_e64 v6, s[4:5], s33, v10
	v_addc_co_u32_e64 v7, s[4:5], 0, v11, s[4:5]
	v_cmp_gt_u64_e64 s[4:5], s[28:29], v[6:7]
	v_mov_b32_e32 v17, 0
	s_and_saveexec_b64 s[6:7], s[4:5]
	s_cbranch_execz .LBB120_505
; %bb.504:                              ;   in Loop: Header=BB120_503 Depth=1
	global_load_ubyte v17, v[2:3], off
.LBB120_505:                            ;   in Loop: Header=BB120_503 Depth=1
	s_or_b64 exec, exec, s[6:7]
	s_waitcnt vmcnt(0)
	v_cmp_gt_u16_sdwa s[6:7], v16, v41 src0_sel:BYTE_0 src1_sel:BYTE_0
	v_cndmask_b32_e64 v4, 0, 1, s[6:7]
	v_cmp_lt_u16_sdwa s[6:7], v16, v41 src0_sel:BYTE_0 src1_sel:BYTE_0
	v_cndmask_b32_e64 v14, 0, 1, s[6:7]
	v_cndmask_b32_e64 v4, v14, v4, s[54:55]
	v_cmp_gt_u64_e64 s[4:5], s[28:29], v[10:11]
	v_and_b32_e32 v4, 1, v4
	v_cmp_eq_u32_e64 s[6:7], 1, v4
	s_and_b64 s[38:39], s[4:5], s[6:7]
	v_cndmask_b32_e64 v4, 0, 1, s[38:39]
	v_cmp_ne_u32_e64 s[4:5], 0, v4
	s_cmp_lg_u64 s[4:5], 0
	s_cselect_b64 s[6:7], -1, 0
	s_and_b64 s[6:7], s[0:1], s[6:7]
	s_and_saveexec_b64 s[40:41], s[6:7]
	s_cbranch_execz .LBB120_509
; %bb.506:                              ;   in Loop: Header=BB120_503 Depth=1
	s_mov_b64 s[44:45], exec
	v_mbcnt_lo_u32_b32 v4, s44, 0
	v_mbcnt_hi_u32_b32 v14, s45, v4
	s_bcnt1_i32_b64 s50, s[4:5]
	v_cmp_eq_u32_e64 s[6:7], 0, v14
                                        ; implicit-def: $vgpr8_vgpr9
	s_and_saveexec_b64 s[42:43], s[6:7]
	s_cbranch_execz .LBB120_508
; %bb.507:                              ;   in Loop: Header=BB120_503 Depth=1
	s_bcnt1_i32_b64 s6, s[44:45]
	s_mul_i32 s6, s50, s6
	v_mov_b32_e32 v4, s6
	s_waitcnt lgkmcnt(0)
	ds_add_rtn_u64 v[8:9], v5, v[4:5] offset:5136
.LBB120_508:                            ;   in Loop: Header=BB120_503 Depth=1
	s_or_b64 exec, exec, s[42:43]
	s_waitcnt lgkmcnt(0)
	v_readfirstlane_b32 s6, v9
	v_readfirstlane_b32 s7, v8
	v_mov_b32_e32 v8, s7
	v_mov_b32_e32 v9, s6
	v_mad_u64_u32 v[8:9], s[6:7], s50, v14, v[8:9]
.LBB120_509:                            ;   in Loop: Header=BB120_503 Depth=1
	s_or_b64 exec, exec, s[40:41]
	s_waitcnt lgkmcnt(0)
	ds_bpermute_b32 v8, v30, v8
	ds_bpermute_b32 v9, v30, v9
	s_mov_b64 s[6:7], -1
	s_mov_b64 s[42:43], -1
	s_and_saveexec_b64 s[40:41], s[38:39]
	s_cbranch_execz .LBB120_513
; %bb.510:                              ;   in Loop: Header=BB120_503 Depth=1
	v_and_b32_e32 v14, s4, v29
	v_and_b32_e32 v4, s5, v28
	v_bcnt_u32_b32 v14, v14, 0
	v_bcnt_u32_b32 v4, v4, v14
	s_waitcnt lgkmcnt(0)
	v_add_co_u32_e64 v14, s[4:5], v8, v4
	v_addc_co_u32_e64 v15, s[4:5], 0, v9, s[4:5]
	v_cmp_gt_u64_e64 s[4:5], s[30:31], v[14:15]
	s_mov_b64 s[38:39], 0
	s_and_saveexec_b64 s[42:43], s[4:5]
; %bb.511:                              ;   in Loop: Header=BB120_503 Depth=1
	v_mov_b32_e32 v21, s19
	v_mul_lo_u32 v4, v15, s22
	v_mul_lo_u32 v22, v14, s23
	v_mad_u64_u32 v[18:19], s[4:5], v14, s22, 0
	v_mov_b32_e32 v20, s18
	v_mad_u64_u32 v[20:21], s[4:5], v14, s20, v[20:21]
	v_mul_lo_u32 v14, v14, s21
	v_mul_lo_u32 v15, v15, s20
	v_add3_u32 v19, v19, v22, v4
	v_mov_b32_e32 v4, s47
	s_mov_b64 s[38:39], exec
	v_add3_u32 v21, v15, v21, v14
	v_lshlrev_b64 v[14:15], 3, v[18:19]
	global_store_byte v[20:21], v16, off
	v_add_co_u32_e64 v14, s[4:5], s46, v14
	v_addc_co_u32_e64 v15, s[4:5], v4, v15, s[4:5]
	global_store_dwordx2 v[14:15], v[10:11], off
; %bb.512:                              ;   in Loop: Header=BB120_503 Depth=1
	s_or_b64 exec, exec, s[42:43]
	s_orn2_b64 s[42:43], s[38:39], exec
.LBB120_513:                            ;   in Loop: Header=BB120_503 Depth=1
	s_or_b64 exec, exec, s[40:41]
	s_mov_b64 s[40:41], -1
	s_and_saveexec_b64 s[38:39], s[42:43]
	s_cbranch_execz .LBB120_502
; %bb.514:                              ;   in Loop: Header=BB120_503 Depth=1
	v_readlane_b32 s4, v54, 46
	v_mov_b32_e32 v4, s4
	s_mul_i32 s4, s26, s33
	v_add_co_u32_e64 v2, s[4:5], s4, v2
	v_addc_co_u32_e64 v3, s[4:5], v3, v4, s[4:5]
	v_cmp_le_u64_e64 s[4:5], s[8:9], v[6:7]
	s_xor_b64 s[40:41], exec, -1
	s_orn2_b64 s[6:7], s[4:5], exec
	s_branch .LBB120_502
.LBB120_515:
	s_or_b64 exec, exec, s[34:35]
	s_mov_b64 s[4:5], exec
	s_orn2_b64 s[34:35], s[36:37], exec
	s_or_b64 exec, exec, s[24:25]
	s_and_saveexec_b64 s[6:7], s[34:35]
	s_cbranch_execz .LBB120_492
.LBB120_516:
	v_mov_b32_e32 v4, 0
	s_waitcnt vmcnt(0) lgkmcnt(0)
	s_barrier
	s_mov_b64 s[2:3], exec
	v_readlane_b32 s24, v54, 28
	v_readlane_b32 s25, v54, 29
	s_and_b64 s[24:25], s[2:3], s[24:25]
	s_mov_b64 exec, s[24:25]
	s_cbranch_execz .LBB120_518
; %bb.517:
	global_load_ubyte v4, v[12:13], off
.LBB120_518:
	s_or_b64 exec, exec, s[2:3]
	s_mov_b64 s[2:3], 0
	s_and_saveexec_b64 s[24:25], vcc
	s_cbranch_execz .LBB120_538
; %bb.519:
	v_add_co_u32_e32 v5, vcc, s33, v0
	v_addc_co_u32_e64 v6, s[2:3], 0, 0, vcc
	v_readlane_b32 s2, v54, 12
	s_add_u32 s2, s52, s2
	v_readlane_b32 s3, v54, 13
	s_addc_u32 s3, s53, s3
	v_mov_b32_e32 v2, s2
	v_mov_b32_e32 v3, s3
	v_mad_u64_u32 v[2:3], s[2:3], s26, v5, v[2:3]
	v_mul_lo_u32 v6, s26, v6
	v_mul_lo_u32 v5, s27, v5
	s_mov_b64 s[26:27], 0
                                        ; implicit-def: $sgpr34_sgpr35
                                        ; implicit-def: $vgpr8_vgpr9
	v_add3_u32 v3, v5, v3, v6
	v_mov_b32_e32 v5, 0
	s_branch .LBB120_522
.LBB120_520:                            ;   in Loop: Header=BB120_522 Depth=1
	s_or_b64 exec, exec, s[38:39]
	s_orn2_b64 s[40:41], s[40:41], exec
	s_orn2_b64 s[38:39], s[36:37], exec
.LBB120_521:                            ;   in Loop: Header=BB120_522 Depth=1
	s_or_b64 exec, exec, s[2:3]
	s_xor_b64 s[2:3], s[40:41], -1
	s_and_b64 s[36:37], exec, s[38:39]
	s_or_b64 s[26:27], s[36:37], s[26:27]
	s_andn2_b64 s[34:35], s[34:35], exec
	s_and_b64 s[2:3], s[2:3], exec
	v_mov_b32_e32 v0, v6
	s_or_b64 s[34:35], s[34:35], s[2:3]
	v_mov_b32_e32 v1, v7
	v_mov_b32_e32 v4, v12
	s_andn2_b64 exec, exec, s[26:27]
	s_cbranch_execz .LBB120_536
.LBB120_522:                            ; =>This Inner Loop Header: Depth=1
	v_add_co_u32_e32 v6, vcc, s33, v0
	v_addc_co_u32_e32 v7, vcc, 0, v1, vcc
	v_cmp_gt_u64_e32 vcc, s[28:29], v[6:7]
	v_mov_b32_e32 v12, 0
	s_and_saveexec_b64 s[2:3], vcc
	s_cbranch_execz .LBB120_524
; %bb.523:                              ;   in Loop: Header=BB120_522 Depth=1
	global_load_ubyte v12, v[2:3], off
.LBB120_524:                            ;   in Loop: Header=BB120_522 Depth=1
	s_or_b64 exec, exec, s[2:3]
	v_cmp_gt_u64_e32 vcc, s[28:29], v[0:1]
	s_waitcnt vmcnt(0)
	v_cmp_eq_u16_sdwa s[2:3], v4, v41 src0_sel:BYTE_0 src1_sel:BYTE_0
	s_and_b64 s[36:37], vcc, s[2:3]
	v_cndmask_b32_e64 v4, 0, 1, s[36:37]
	v_cmp_ne_u32_e32 vcc, 0, v4
	s_cmp_lg_u64 vcc, 0
	s_cselect_b64 s[2:3], -1, 0
	s_and_b64 s[2:3], s[0:1], s[2:3]
	s_and_saveexec_b64 s[38:39], s[2:3]
	s_cbranch_execz .LBB120_528
; %bb.525:                              ;   in Loop: Header=BB120_522 Depth=1
	s_mov_b64 s[42:43], exec
	v_mbcnt_lo_u32_b32 v4, s42, 0
	v_mbcnt_hi_u32_b32 v10, s43, v4
	s_bcnt1_i32_b64 s44, vcc
	v_cmp_eq_u32_e64 s[2:3], 0, v10
                                        ; implicit-def: $vgpr8_vgpr9
	s_and_saveexec_b64 s[40:41], s[2:3]
; %bb.526:                              ;   in Loop: Header=BB120_522 Depth=1
	s_bcnt1_i32_b64 s2, s[42:43]
	s_mul_i32 s2, s44, s2
	v_mov_b32_e32 v4, s2
	ds_add_rtn_u64 v[8:9], v5, v[4:5] offset:5136
; %bb.527:                              ;   in Loop: Header=BB120_522 Depth=1
	s_or_b64 exec, exec, s[40:41]
	s_waitcnt lgkmcnt(0)
	v_readfirstlane_b32 s2, v9
	v_readfirstlane_b32 s3, v8
	v_mov_b32_e32 v8, s3
	v_mov_b32_e32 v9, s2
	v_mad_u64_u32 v[8:9], s[2:3], s44, v10, v[8:9]
.LBB120_528:                            ;   in Loop: Header=BB120_522 Depth=1
	s_or_b64 exec, exec, s[38:39]
	ds_bpermute_b32 v8, v30, v8
	ds_bpermute_b32 v9, v30, v9
	s_cmp_eq_u64 vcc, 0
	s_cselect_b64 s[40:41], -1, 0
	s_mov_b64 s[38:39], -1
	s_waitcnt lgkmcnt(0)
	v_cmp_gt_u64_e64 s[2:3], s[30:31], v[8:9]
	s_or_b64 s[42:43], s[40:41], s[2:3]
	s_mov_b64 s[40:41], -1
	s_and_saveexec_b64 s[2:3], s[42:43]
	s_cbranch_execz .LBB120_521
; %bb.529:                              ;   in Loop: Header=BB120_522 Depth=1
	v_and_b32_e32 v10, vcc_lo, v29
	v_and_b32_e32 v4, vcc_hi, v28
	v_bcnt_u32_b32 v10, v10, 0
	v_bcnt_u32_b32 v4, v4, v10
	v_mov_b32_e32 v11, s31
	v_sub_co_u32_e32 v10, vcc, s30, v8
	v_subb_co_u32_e32 v11, vcc, v11, v9, vcc
	v_cmp_gt_u64_e32 vcc, v[10:11], v[4:5]
	s_mov_b64 s[42:43], -1
	s_and_b64 s[44:45], s[36:37], vcc
	s_mov_b64 s[36:37], -1
	s_and_saveexec_b64 s[38:39], s[44:45]
	s_cbranch_execz .LBB120_533
; %bb.530:                              ;   in Loop: Header=BB120_522 Depth=1
	v_add_co_u32_e32 v10, vcc, v8, v4
	v_addc_co_u32_e32 v11, vcc, 0, v9, vcc
	v_cmp_gt_u64_e32 vcc, s[30:31], v[10:11]
	s_mov_b64 s[42:43], 0
	s_and_saveexec_b64 s[40:41], vcc
; %bb.531:                              ;   in Loop: Header=BB120_522 Depth=1
	v_mov_b32_e32 v15, s18
	v_mul_lo_u32 v4, v11, s22
	v_mul_lo_u32 v17, v10, s23
	v_mad_u64_u32 v[13:14], s[44:45], v10, s22, 0
	v_mov_b32_e32 v16, s19
	v_mad_u64_u32 v[15:16], s[44:45], v10, s20, v[15:16]
	v_mul_lo_u32 v10, v10, s21
	v_mul_lo_u32 v11, v11, s20
	v_add3_u32 v14, v14, v17, v4
	v_mov_b32_e32 v4, s47
	s_mov_b64 s[42:43], exec
	v_add3_u32 v16, v11, v16, v10
	v_lshlrev_b64 v[10:11], 3, v[13:14]
	global_store_byte v[15:16], v41, off
	v_add_co_u32_e32 v10, vcc, s46, v10
	v_addc_co_u32_e32 v11, vcc, v4, v11, vcc
	global_store_dwordx2 v[10:11], v[0:1], off
; %bb.532:                              ;   in Loop: Header=BB120_522 Depth=1
	s_or_b64 exec, exec, s[40:41]
	s_xor_b64 s[40:41], exec, -1
	s_orn2_b64 s[42:43], s[42:43], exec
.LBB120_533:                            ;   in Loop: Header=BB120_522 Depth=1
	s_or_b64 exec, exec, s[38:39]
	s_and_saveexec_b64 s[38:39], s[42:43]
	s_cbranch_execz .LBB120_520
; %bb.534:                              ;   in Loop: Header=BB120_522 Depth=1
	v_readlane_b32 s36, v54, 46
	v_mov_b32_e32 v0, s36
	v_readlane_b32 s36, v54, 47
	v_add_co_u32_e32 v2, vcc, s36, v2
	v_addc_co_u32_e32 v3, vcc, v3, v0, vcc
	v_cmp_le_u64_e32 vcc, s[8:9], v[6:7]
	s_or_b64 s[40:41], s[40:41], exec
	s_orn2_b64 s[36:37], vcc, exec
	s_branch .LBB120_520
.LBB120_535:
	s_or_b64 s[6:7], s[6:7], exec
	s_trap 2
	s_branch .LBB120_499
.LBB120_536:
	s_or_b64 exec, exec, s[26:27]
	s_mov_b64 s[0:1], 0
	s_and_saveexec_b64 s[2:3], s[34:35]
	s_xor_b64 s[2:3], exec, s[2:3]
	s_cbranch_execnz .LBB120_542
.LBB120_537:
	s_or_b64 exec, exec, s[2:3]
	s_and_b64 s[2:3], s[0:1], exec
.LBB120_538:
	s_or_b64 exec, exec, s[24:25]
	s_and_b64 s[2:3], s[2:3], exec
	s_andn2_b64 s[4:5], s[4:5], exec
	s_or_b64 exec, exec, s[6:7]
	s_and_saveexec_b64 s[0:1], s[4:5]
	s_xor_b64 s[0:1], exec, s[0:1]
	s_cbranch_execz .LBB120_493
.LBB120_539:
	s_trap 2
	s_or_b64 s[2:3], s[2:3], exec
	s_branch .LBB120_493
.LBB120_540:
	s_or_b64 s[6:7], s[6:7], exec
	s_trap 2
	s_branch .LBB120_497
.LBB120_541:
	s_trap 2
	s_or_b64 s[6:7], s[6:7], exec
	s_branch .LBB120_495
.LBB120_542:
	s_mov_b64 s[0:1], exec
	s_trap 2
	s_branch .LBB120_537
	.section	.rodata,"a",@progbits
	.p2align	6, 0x0
	.amdhsa_kernel _ZN2at6native6sbtopk10gatherTopKIhmLi1ELb0EEEvNS_4cuda6detail10TensorInfoIKT_T0_EES8_S8_bS8_S8_NS5_IS6_S8_EES8_NS5_IlS8_EES8_PS6_
		.amdhsa_group_segment_fixed_size 5152
		.amdhsa_private_segment_fixed_size 0
		.amdhsa_kernarg_size 1568
		.amdhsa_user_sgpr_count 6
		.amdhsa_user_sgpr_private_segment_buffer 1
		.amdhsa_user_sgpr_dispatch_ptr 0
		.amdhsa_user_sgpr_queue_ptr 0
		.amdhsa_user_sgpr_kernarg_segment_ptr 1
		.amdhsa_user_sgpr_dispatch_id 0
		.amdhsa_user_sgpr_flat_scratch_init 0
		.amdhsa_user_sgpr_private_segment_size 0
		.amdhsa_uses_dynamic_stack 0
		.amdhsa_system_sgpr_private_segment_wavefront_offset 0
		.amdhsa_system_sgpr_workgroup_id_x 1
		.amdhsa_system_sgpr_workgroup_id_y 1
		.amdhsa_system_sgpr_workgroup_id_z 1
		.amdhsa_system_sgpr_workgroup_info 0
		.amdhsa_system_vgpr_workitem_id 0
		.amdhsa_next_free_vgpr 55
		.amdhsa_next_free_sgpr 96
		.amdhsa_reserve_vcc 1
		.amdhsa_reserve_flat_scratch 0
		.amdhsa_float_round_mode_32 0
		.amdhsa_float_round_mode_16_64 0
		.amdhsa_float_denorm_mode_32 3
		.amdhsa_float_denorm_mode_16_64 3
		.amdhsa_dx10_clamp 1
		.amdhsa_ieee_mode 1
		.amdhsa_fp16_overflow 0
		.amdhsa_exception_fp_ieee_invalid_op 0
		.amdhsa_exception_fp_denorm_src 0
		.amdhsa_exception_fp_ieee_div_zero 0
		.amdhsa_exception_fp_ieee_overflow 0
		.amdhsa_exception_fp_ieee_underflow 0
		.amdhsa_exception_fp_ieee_inexact 0
		.amdhsa_exception_int_div_zero 0
	.end_amdhsa_kernel
	.section	.text._ZN2at6native6sbtopk10gatherTopKIhmLi1ELb0EEEvNS_4cuda6detail10TensorInfoIKT_T0_EES8_S8_bS8_S8_NS5_IS6_S8_EES8_NS5_IlS8_EES8_PS6_,"axG",@progbits,_ZN2at6native6sbtopk10gatherTopKIhmLi1ELb0EEEvNS_4cuda6detail10TensorInfoIKT_T0_EES8_S8_bS8_S8_NS5_IS6_S8_EES8_NS5_IlS8_EES8_PS6_,comdat
.Lfunc_end120:
	.size	_ZN2at6native6sbtopk10gatherTopKIhmLi1ELb0EEEvNS_4cuda6detail10TensorInfoIKT_T0_EES8_S8_bS8_S8_NS5_IS6_S8_EES8_NS5_IlS8_EES8_PS6_, .Lfunc_end120-_ZN2at6native6sbtopk10gatherTopKIhmLi1ELb0EEEvNS_4cuda6detail10TensorInfoIKT_T0_EES8_S8_bS8_S8_NS5_IS6_S8_EES8_NS5_IlS8_EES8_PS6_
                                        ; -- End function
	.set _ZN2at6native6sbtopk10gatherTopKIhmLi1ELb0EEEvNS_4cuda6detail10TensorInfoIKT_T0_EES8_S8_bS8_S8_NS5_IS6_S8_EES8_NS5_IlS8_EES8_PS6_.num_vgpr, 55
	.set _ZN2at6native6sbtopk10gatherTopKIhmLi1ELb0EEEvNS_4cuda6detail10TensorInfoIKT_T0_EES8_S8_bS8_S8_NS5_IS6_S8_EES8_NS5_IlS8_EES8_PS6_.num_agpr, 0
	.set _ZN2at6native6sbtopk10gatherTopKIhmLi1ELb0EEEvNS_4cuda6detail10TensorInfoIKT_T0_EES8_S8_bS8_S8_NS5_IS6_S8_EES8_NS5_IlS8_EES8_PS6_.numbered_sgpr, 96
	.set _ZN2at6native6sbtopk10gatherTopKIhmLi1ELb0EEEvNS_4cuda6detail10TensorInfoIKT_T0_EES8_S8_bS8_S8_NS5_IS6_S8_EES8_NS5_IlS8_EES8_PS6_.num_named_barrier, 0
	.set _ZN2at6native6sbtopk10gatherTopKIhmLi1ELb0EEEvNS_4cuda6detail10TensorInfoIKT_T0_EES8_S8_bS8_S8_NS5_IS6_S8_EES8_NS5_IlS8_EES8_PS6_.private_seg_size, 0
	.set _ZN2at6native6sbtopk10gatherTopKIhmLi1ELb0EEEvNS_4cuda6detail10TensorInfoIKT_T0_EES8_S8_bS8_S8_NS5_IS6_S8_EES8_NS5_IlS8_EES8_PS6_.uses_vcc, 1
	.set _ZN2at6native6sbtopk10gatherTopKIhmLi1ELb0EEEvNS_4cuda6detail10TensorInfoIKT_T0_EES8_S8_bS8_S8_NS5_IS6_S8_EES8_NS5_IlS8_EES8_PS6_.uses_flat_scratch, 0
	.set _ZN2at6native6sbtopk10gatherTopKIhmLi1ELb0EEEvNS_4cuda6detail10TensorInfoIKT_T0_EES8_S8_bS8_S8_NS5_IS6_S8_EES8_NS5_IlS8_EES8_PS6_.has_dyn_sized_stack, 0
	.set _ZN2at6native6sbtopk10gatherTopKIhmLi1ELb0EEEvNS_4cuda6detail10TensorInfoIKT_T0_EES8_S8_bS8_S8_NS5_IS6_S8_EES8_NS5_IlS8_EES8_PS6_.has_recursion, 0
	.set _ZN2at6native6sbtopk10gatherTopKIhmLi1ELb0EEEvNS_4cuda6detail10TensorInfoIKT_T0_EES8_S8_bS8_S8_NS5_IS6_S8_EES8_NS5_IlS8_EES8_PS6_.has_indirect_call, 0
	.section	.AMDGPU.csdata,"",@progbits
; Kernel info:
; codeLenInByte = 26312
; TotalNumSgprs: 100
; NumVgprs: 55
; ScratchSize: 0
; MemoryBound: 0
; FloatMode: 240
; IeeeMode: 1
; LDSByteSize: 5152 bytes/workgroup (compile time only)
; SGPRBlocks: 12
; VGPRBlocks: 13
; NumSGPRsForWavesPerEU: 100
; NumVGPRsForWavesPerEU: 55
; Occupancy: 4
; WaveLimiterHint : 1
; COMPUTE_PGM_RSRC2:SCRATCH_EN: 0
; COMPUTE_PGM_RSRC2:USER_SGPR: 6
; COMPUTE_PGM_RSRC2:TRAP_HANDLER: 0
; COMPUTE_PGM_RSRC2:TGID_X_EN: 1
; COMPUTE_PGM_RSRC2:TGID_Y_EN: 1
; COMPUTE_PGM_RSRC2:TGID_Z_EN: 1
; COMPUTE_PGM_RSRC2:TIDIG_COMP_CNT: 0
	.section	.text._ZN2at6native6mbtopk23computeBlockDigitCountsIhmjLi2EEEvNS_4cuda6detail10TensorInfoIKT_T0_EEjPjjS8_iijT1_PSB_Ps,"axG",@progbits,_ZN2at6native6mbtopk23computeBlockDigitCountsIhmjLi2EEEvNS_4cuda6detail10TensorInfoIKT_T0_EEjPjjS8_iijT1_PSB_Ps,comdat
	.protected	_ZN2at6native6mbtopk23computeBlockDigitCountsIhmjLi2EEEvNS_4cuda6detail10TensorInfoIKT_T0_EEjPjjS8_iijT1_PSB_Ps ; -- Begin function _ZN2at6native6mbtopk23computeBlockDigitCountsIhmjLi2EEEvNS_4cuda6detail10TensorInfoIKT_T0_EEjPjjS8_iijT1_PSB_Ps
	.globl	_ZN2at6native6mbtopk23computeBlockDigitCountsIhmjLi2EEEvNS_4cuda6detail10TensorInfoIKT_T0_EEjPjjS8_iijT1_PSB_Ps
	.p2align	8
	.type	_ZN2at6native6mbtopk23computeBlockDigitCountsIhmjLi2EEEvNS_4cuda6detail10TensorInfoIKT_T0_EEjPjjS8_iijT1_PSB_Ps,@function
_ZN2at6native6mbtopk23computeBlockDigitCountsIhmjLi2EEEvNS_4cuda6detail10TensorInfoIKT_T0_EEjPjjS8_iijT1_PSB_Ps: ; @_ZN2at6native6mbtopk23computeBlockDigitCountsIhmjLi2EEEvNS_4cuda6detail10TensorInfoIKT_T0_EEjPjjS8_iijT1_PSB_Ps
; %bb.0:
	s_load_dwordx4 s[0:3], s[4:5], 0x1c0
	s_load_dword s9, s[4:5], 0x1b0
	s_load_dwordx2 s[10:11], s[4:5], 0x1e0
	s_waitcnt lgkmcnt(0)
	v_cvt_f32_u32_e32 v1, s2
	s_mul_i32 s8, s11, s8
	s_add_i32 s7, s8, s7
	v_rcp_iflag_f32_e32 v1, v1
	s_mul_i32 s18, s7, s10
	s_sub_i32 s11, 0, s2
	s_add_i32 s18, s18, s6
	v_mul_f32_e32 v1, 0x4f7ffffe, v1
	v_cvt_u32_f32_e32 v1, v1
	v_readfirstlane_b32 s6, v1
	s_mul_i32 s11, s11, s6
	s_mul_hi_u32 s7, s6, s11
	s_add_i32 s6, s6, s7
	s_mul_hi_u32 s6, s18, s6
	s_mul_i32 s7, s6, s2
	s_sub_i32 s7, s18, s7
	s_add_i32 s8, s6, 1
	s_sub_i32 s10, s7, s2
	s_cmp_ge_u32 s7, s2
	s_cselect_b32 s6, s8, s6
	s_cselect_b32 s7, s10, s7
	s_add_i32 s8, s6, 1
	s_cmp_ge_u32 s7, s2
	s_cselect_b32 s6, s8, s6
	s_cmp_ge_u32 s6, s9
	s_mov_b32 s7, 0
	s_cbranch_scc1 .LBB121_29
; %bb.1:
	s_load_dwordx4 s[8:11], s[4:5], 0x1d0
	s_load_dwordx2 s[12:13], s[4:5], 0x10
	s_lshl_b64 s[14:15], s[6:7], 2
	s_waitcnt lgkmcnt(0)
	s_add_u32 s8, s8, s14
	v_mov_b32_e32 v1, s12
	v_mov_b32_e32 v2, s13
	v_cmp_lt_u64_e32 vcc, s[6:7], v[1:2]
	s_addc_u32 s9, s9, s15
	s_mov_b64 s[14:15], 0
	s_cbranch_vccnz .LBB121_3
; %bb.2:
	v_cvt_f32_u32_e32 v1, s12
	s_sub_i32 s7, 0, s12
	v_rcp_iflag_f32_e32 v1, v1
	v_mul_f32_e32 v1, 0x4f7ffffe, v1
	v_cvt_u32_f32_e32 v1, v1
	v_readfirstlane_b32 s14, v1
	s_mul_i32 s7, s7, s14
	s_mul_hi_u32 s7, s14, s7
	s_add_i32 s14, s14, s7
	s_mul_hi_u32 s7, s6, s14
	s_mul_i32 s15, s7, s12
	s_sub_i32 s15, s6, s15
	s_add_i32 s14, s7, 1
	s_sub_i32 s16, s15, s12
	s_cmp_ge_u32 s15, s12
	s_cselect_b32 s7, s14, s7
	s_cselect_b32 s15, s16, s15
	s_add_i32 s14, s7, 1
	s_cmp_ge_u32 s15, s12
	s_cselect_b32 s14, s14, s7
.LBB121_3:
	s_movk_i32 s7, 0x100
	v_cmp_gt_u32_e32 vcc, s7, v0
	v_lshlrev_b32_e32 v1, 2, v0
	s_and_saveexec_b64 s[16:17], vcc
; %bb.4:
	v_mov_b32_e32 v2, 0
	ds_write_b32 v1, v2
; %bb.5:
	s_or_b64 exec, exec, s[16:17]
	s_load_dword s15, s[4:5], 0x1a0
	s_mul_i32 s7, s6, s2
	s_sub_i32 s7, s18, s7
	s_add_i32 s17, s7, 1
	s_mul_i32 s7, s1, s7
	s_lshl_b32 s16, s7, 8
	s_waitcnt lgkmcnt(0)
	s_sub_i32 s7, s15, s16
	s_add_u32 s20, s7, 0xff
	s_addc_u32 s21, 0, 0
	s_lshr_b64 s[20:21], s[20:21], 8
	s_cmp_lt_u32 s17, s2
	s_cselect_b32 s19, s1, s20
	s_cmp_lt_i32 s19, 1
	s_mov_b32 s17, 0
	s_barrier
	s_cbranch_scc1 .LBB121_27
; %bb.6:
	s_load_dwordx2 s[24:25], s[4:5], 0x0
	s_load_dwordx4 s[20:23], s[4:5], 0xd0
	s_load_dword s2, s[8:9], 0x0
	s_mul_i32 s1, s14, s13
	s_mul_hi_u32 s7, s14, s12
	s_add_i32 s7, s7, s1
	s_mul_i32 s1, s14, s12
	s_sub_u32 s1, s6, s1
	s_subb_u32 s6, 0, s7
	s_waitcnt lgkmcnt(0)
	s_mul_i32 s7, s1, s23
	s_mul_hi_u32 s8, s1, s22
	s_add_i32 s7, s8, s7
	s_mul_i32 s6, s6, s22
	s_add_i32 s7, s7, s6
	s_mul_i32 s6, s14, s21
	s_mul_hi_u32 s8, s14, s20
	s_add_i32 s8, s8, s6
	s_mul_i32 s6, s14, s20
	s_add_u32 s6, s24, s6
	s_load_dwordx2 s[4:5], s[4:5], 0x1b8
	s_mul_i32 s1, s1, s22
	s_addc_u32 s8, s25, s8
	s_add_u32 s6, s6, s1
	s_addc_u32 s7, s8, s7
	s_and_b32 s12, s0, 0xff
	s_cmp_lt_u32 s19, 4
	s_cbranch_scc1 .LBB121_21
; %bb.7:
	s_and_b32 s17, s19, 0x7ffffffc
	v_add_u32_e32 v2, s16, v0
	s_mov_b32 s13, 0
	v_mov_b32_e32 v3, 1
	s_branch .LBB121_9
.LBB121_8:                              ;   in Loop: Header=BB121_9 Depth=1
	s_or_b64 exec, exec, s[8:9]
	s_add_i32 s13, s13, 4
	s_cmp_eq_u32 s17, s13
	v_add_u32_e32 v2, 0x400, v2
	s_cbranch_scc1 .LBB121_21
.LBB121_9:                              ; =>This Inner Loop Header: Depth=1
	v_cmp_gt_u32_e64 s[0:1], s15, v2
	s_and_saveexec_b64 s[8:9], s[0:1]
	s_cbranch_execz .LBB121_12
; %bb.10:                               ;   in Loop: Header=BB121_9 Depth=1
	v_mov_b32_e32 v4, s6
	v_mov_b32_e32 v5, s7
	s_waitcnt lgkmcnt(0)
	v_mad_u64_u32 v[4:5], s[0:1], s4, v2, v[4:5]
	v_mad_u64_u32 v[5:6], s[0:1], s5, v2, v[5:6]
	global_load_ubyte v4, v[4:5], off
	s_waitcnt vmcnt(0)
	v_xor_b32_e32 v5, s2, v4
	v_and_b32_e32 v5, s3, v5
	v_cmp_eq_u32_e64 s[0:1], 0, v5
	s_and_b64 exec, exec, s[0:1]
; %bb.11:                               ;   in Loop: Header=BB121_9 Depth=1
	v_lshrrev_b32_e32 v4, s12, v4
	v_lshlrev_b32_e32 v4, 2, v4
	ds_add_u32 v4, v3
.LBB121_12:                             ;   in Loop: Header=BB121_9 Depth=1
	s_or_b64 exec, exec, s[8:9]
	v_add_u32_e32 v4, 0x100, v2
	v_cmp_gt_u32_e64 s[0:1], s15, v4
	s_and_saveexec_b64 s[8:9], s[0:1]
	s_cbranch_execz .LBB121_15
; %bb.13:                               ;   in Loop: Header=BB121_9 Depth=1
	v_mov_b32_e32 v5, s6
	v_mov_b32_e32 v6, s7
	s_waitcnt lgkmcnt(0)
	v_mad_u64_u32 v[5:6], s[0:1], s4, v4, v[5:6]
	v_mad_u64_u32 v[6:7], s[0:1], s5, v4, v[6:7]
	global_load_ubyte v4, v[5:6], off
	s_waitcnt vmcnt(0)
	v_xor_b32_e32 v5, s2, v4
	v_and_b32_e32 v5, s3, v5
	v_cmp_eq_u32_e64 s[0:1], 0, v5
	s_and_b64 exec, exec, s[0:1]
; %bb.14:                               ;   in Loop: Header=BB121_9 Depth=1
	v_lshrrev_b32_e32 v4, s12, v4
	v_lshlrev_b32_e32 v4, 2, v4
	ds_add_u32 v4, v3
.LBB121_15:                             ;   in Loop: Header=BB121_9 Depth=1
	s_or_b64 exec, exec, s[8:9]
	v_add_u32_e32 v4, 0x200, v2
	v_cmp_gt_u32_e64 s[0:1], s15, v4
	s_and_saveexec_b64 s[8:9], s[0:1]
	s_cbranch_execz .LBB121_18
; %bb.16:                               ;   in Loop: Header=BB121_9 Depth=1
	v_mov_b32_e32 v5, s6
	v_mov_b32_e32 v6, s7
	s_waitcnt lgkmcnt(0)
	v_mad_u64_u32 v[5:6], s[0:1], s4, v4, v[5:6]
	v_mad_u64_u32 v[6:7], s[0:1], s5, v4, v[6:7]
	global_load_ubyte v4, v[5:6], off
	s_waitcnt vmcnt(0)
	v_xor_b32_e32 v5, s2, v4
	v_and_b32_e32 v5, s3, v5
	v_cmp_eq_u32_e64 s[0:1], 0, v5
	s_and_b64 exec, exec, s[0:1]
; %bb.17:                               ;   in Loop: Header=BB121_9 Depth=1
	v_lshrrev_b32_e32 v4, s12, v4
	v_lshlrev_b32_e32 v4, 2, v4
	ds_add_u32 v4, v3
.LBB121_18:                             ;   in Loop: Header=BB121_9 Depth=1
	s_or_b64 exec, exec, s[8:9]
	v_add_u32_e32 v4, 0x300, v2
	v_cmp_gt_u32_e64 s[0:1], s15, v4
	s_and_saveexec_b64 s[8:9], s[0:1]
	s_cbranch_execz .LBB121_8
; %bb.19:                               ;   in Loop: Header=BB121_9 Depth=1
	v_mov_b32_e32 v5, s6
	v_mov_b32_e32 v6, s7
	s_waitcnt lgkmcnt(0)
	v_mad_u64_u32 v[5:6], s[0:1], s4, v4, v[5:6]
	v_mad_u64_u32 v[6:7], s[0:1], s5, v4, v[6:7]
	global_load_ubyte v4, v[5:6], off
	s_waitcnt vmcnt(0)
	v_xor_b32_e32 v5, s2, v4
	v_and_b32_e32 v5, s3, v5
	v_cmp_eq_u32_e64 s[0:1], 0, v5
	s_and_b64 exec, exec, s[0:1]
	s_cbranch_execz .LBB121_8
; %bb.20:                               ;   in Loop: Header=BB121_9 Depth=1
	v_lshrrev_b32_e32 v4, s12, v4
	v_lshlrev_b32_e32 v4, 2, v4
	ds_add_u32 v4, v3
	s_branch .LBB121_8
.LBB121_21:
	s_and_b32 s13, s19, 3
	s_cmp_eq_u32 s13, 0
	s_cbranch_scc1 .LBB121_27
; %bb.22:
	s_lshl_b32 s0, s17, 8
	s_add_i32 s0, s0, s16
	v_add_u32_e32 v2, s0, v0
	v_mov_b32_e32 v3, 1
	s_branch .LBB121_24
.LBB121_23:                             ;   in Loop: Header=BB121_24 Depth=1
	s_or_b64 exec, exec, s[8:9]
	s_add_i32 s13, s13, -1
	s_cmp_lg_u32 s13, 0
	v_add_u32_e32 v2, 0x100, v2
	s_cbranch_scc0 .LBB121_27
.LBB121_24:                             ; =>This Inner Loop Header: Depth=1
	v_cmp_gt_u32_e64 s[0:1], s15, v2
	s_and_saveexec_b64 s[8:9], s[0:1]
	s_cbranch_execz .LBB121_23
; %bb.25:                               ;   in Loop: Header=BB121_24 Depth=1
	v_mov_b32_e32 v4, s6
	v_mov_b32_e32 v5, s7
	s_waitcnt lgkmcnt(0)
	v_mad_u64_u32 v[4:5], s[0:1], s4, v2, v[4:5]
	v_mad_u64_u32 v[5:6], s[0:1], s5, v2, v[5:6]
	global_load_ubyte v4, v[4:5], off
	s_waitcnt vmcnt(0)
	v_xor_b32_e32 v5, s2, v4
	v_and_b32_e32 v5, s3, v5
	v_cmp_eq_u32_e64 s[0:1], 0, v5
	s_and_b64 exec, exec, s[0:1]
	s_cbranch_execz .LBB121_23
; %bb.26:                               ;   in Loop: Header=BB121_24 Depth=1
	v_lshrrev_b32_e32 v4, s12, v4
	v_lshlrev_b32_e32 v4, 2, v4
	ds_add_u32 v4, v3
	s_branch .LBB121_23
.LBB121_27:
	s_waitcnt lgkmcnt(0)
	s_barrier
	s_and_saveexec_b64 s[0:1], vcc
	s_cbranch_execz .LBB121_29
; %bb.28:
	v_lshl_or_b32 v2, s18, 8, v0
	v_mov_b32_e32 v3, 0
	ds_read_b32 v5, v1
	v_lshlrev_b64 v[2:3], 1, v[2:3]
	v_mov_b32_e32 v4, s11
	v_add_co_u32_e32 v0, vcc, s10, v2
	v_addc_co_u32_e32 v1, vcc, v4, v3, vcc
	s_waitcnt lgkmcnt(0)
	global_store_short v[0:1], v5, off
.LBB121_29:
	s_endpgm
	.section	.rodata,"a",@progbits
	.p2align	6, 0x0
	.amdhsa_kernel _ZN2at6native6mbtopk23computeBlockDigitCountsIhmjLi2EEEvNS_4cuda6detail10TensorInfoIKT_T0_EEjPjjS8_iijT1_PSB_Ps
		.amdhsa_group_segment_fixed_size 1024
		.amdhsa_private_segment_fixed_size 0
		.amdhsa_kernarg_size 736
		.amdhsa_user_sgpr_count 6
		.amdhsa_user_sgpr_private_segment_buffer 1
		.amdhsa_user_sgpr_dispatch_ptr 0
		.amdhsa_user_sgpr_queue_ptr 0
		.amdhsa_user_sgpr_kernarg_segment_ptr 1
		.amdhsa_user_sgpr_dispatch_id 0
		.amdhsa_user_sgpr_flat_scratch_init 0
		.amdhsa_user_sgpr_private_segment_size 0
		.amdhsa_uses_dynamic_stack 0
		.amdhsa_system_sgpr_private_segment_wavefront_offset 0
		.amdhsa_system_sgpr_workgroup_id_x 1
		.amdhsa_system_sgpr_workgroup_id_y 1
		.amdhsa_system_sgpr_workgroup_id_z 1
		.amdhsa_system_sgpr_workgroup_info 0
		.amdhsa_system_vgpr_workitem_id 0
		.amdhsa_next_free_vgpr 8
		.amdhsa_next_free_sgpr 26
		.amdhsa_reserve_vcc 1
		.amdhsa_reserve_flat_scratch 0
		.amdhsa_float_round_mode_32 0
		.amdhsa_float_round_mode_16_64 0
		.amdhsa_float_denorm_mode_32 3
		.amdhsa_float_denorm_mode_16_64 3
		.amdhsa_dx10_clamp 1
		.amdhsa_ieee_mode 1
		.amdhsa_fp16_overflow 0
		.amdhsa_exception_fp_ieee_invalid_op 0
		.amdhsa_exception_fp_denorm_src 0
		.amdhsa_exception_fp_ieee_div_zero 0
		.amdhsa_exception_fp_ieee_overflow 0
		.amdhsa_exception_fp_ieee_underflow 0
		.amdhsa_exception_fp_ieee_inexact 0
		.amdhsa_exception_int_div_zero 0
	.end_amdhsa_kernel
	.section	.text._ZN2at6native6mbtopk23computeBlockDigitCountsIhmjLi2EEEvNS_4cuda6detail10TensorInfoIKT_T0_EEjPjjS8_iijT1_PSB_Ps,"axG",@progbits,_ZN2at6native6mbtopk23computeBlockDigitCountsIhmjLi2EEEvNS_4cuda6detail10TensorInfoIKT_T0_EEjPjjS8_iijT1_PSB_Ps,comdat
.Lfunc_end121:
	.size	_ZN2at6native6mbtopk23computeBlockDigitCountsIhmjLi2EEEvNS_4cuda6detail10TensorInfoIKT_T0_EEjPjjS8_iijT1_PSB_Ps, .Lfunc_end121-_ZN2at6native6mbtopk23computeBlockDigitCountsIhmjLi2EEEvNS_4cuda6detail10TensorInfoIKT_T0_EEjPjjS8_iijT1_PSB_Ps
                                        ; -- End function
	.set _ZN2at6native6mbtopk23computeBlockDigitCountsIhmjLi2EEEvNS_4cuda6detail10TensorInfoIKT_T0_EEjPjjS8_iijT1_PSB_Ps.num_vgpr, 8
	.set _ZN2at6native6mbtopk23computeBlockDigitCountsIhmjLi2EEEvNS_4cuda6detail10TensorInfoIKT_T0_EEjPjjS8_iijT1_PSB_Ps.num_agpr, 0
	.set _ZN2at6native6mbtopk23computeBlockDigitCountsIhmjLi2EEEvNS_4cuda6detail10TensorInfoIKT_T0_EEjPjjS8_iijT1_PSB_Ps.numbered_sgpr, 26
	.set _ZN2at6native6mbtopk23computeBlockDigitCountsIhmjLi2EEEvNS_4cuda6detail10TensorInfoIKT_T0_EEjPjjS8_iijT1_PSB_Ps.num_named_barrier, 0
	.set _ZN2at6native6mbtopk23computeBlockDigitCountsIhmjLi2EEEvNS_4cuda6detail10TensorInfoIKT_T0_EEjPjjS8_iijT1_PSB_Ps.private_seg_size, 0
	.set _ZN2at6native6mbtopk23computeBlockDigitCountsIhmjLi2EEEvNS_4cuda6detail10TensorInfoIKT_T0_EEjPjjS8_iijT1_PSB_Ps.uses_vcc, 1
	.set _ZN2at6native6mbtopk23computeBlockDigitCountsIhmjLi2EEEvNS_4cuda6detail10TensorInfoIKT_T0_EEjPjjS8_iijT1_PSB_Ps.uses_flat_scratch, 0
	.set _ZN2at6native6mbtopk23computeBlockDigitCountsIhmjLi2EEEvNS_4cuda6detail10TensorInfoIKT_T0_EEjPjjS8_iijT1_PSB_Ps.has_dyn_sized_stack, 0
	.set _ZN2at6native6mbtopk23computeBlockDigitCountsIhmjLi2EEEvNS_4cuda6detail10TensorInfoIKT_T0_EEjPjjS8_iijT1_PSB_Ps.has_recursion, 0
	.set _ZN2at6native6mbtopk23computeBlockDigitCountsIhmjLi2EEEvNS_4cuda6detail10TensorInfoIKT_T0_EEjPjjS8_iijT1_PSB_Ps.has_indirect_call, 0
	.section	.AMDGPU.csdata,"",@progbits
; Kernel info:
; codeLenInByte = 1204
; TotalNumSgprs: 30
; NumVgprs: 8
; ScratchSize: 0
; MemoryBound: 0
; FloatMode: 240
; IeeeMode: 1
; LDSByteSize: 1024 bytes/workgroup (compile time only)
; SGPRBlocks: 3
; VGPRBlocks: 1
; NumSGPRsForWavesPerEU: 30
; NumVGPRsForWavesPerEU: 8
; Occupancy: 10
; WaveLimiterHint : 1
; COMPUTE_PGM_RSRC2:SCRATCH_EN: 0
; COMPUTE_PGM_RSRC2:USER_SGPR: 6
; COMPUTE_PGM_RSRC2:TRAP_HANDLER: 0
; COMPUTE_PGM_RSRC2:TGID_X_EN: 1
; COMPUTE_PGM_RSRC2:TGID_Y_EN: 1
; COMPUTE_PGM_RSRC2:TGID_Z_EN: 1
; COMPUTE_PGM_RSRC2:TIDIG_COMP_CNT: 0
	.section	.text._ZN2at6native6mbtopk10gatherTopKIhmLi2EEEvNS_4cuda6detail10TensorInfoIKT_T0_EES8_S8_bjS8_NS5_IS6_S8_EES8_NS5_IlS8_EES8_jjPS6_PjSD_j,"axG",@progbits,_ZN2at6native6mbtopk10gatherTopKIhmLi2EEEvNS_4cuda6detail10TensorInfoIKT_T0_EES8_S8_bjS8_NS5_IS6_S8_EES8_NS5_IlS8_EES8_jjPS6_PjSD_j,comdat
	.protected	_ZN2at6native6mbtopk10gatherTopKIhmLi2EEEvNS_4cuda6detail10TensorInfoIKT_T0_EES8_S8_bjS8_NS5_IS6_S8_EES8_NS5_IlS8_EES8_jjPS6_PjSD_j ; -- Begin function _ZN2at6native6mbtopk10gatherTopKIhmLi2EEEvNS_4cuda6detail10TensorInfoIKT_T0_EES8_S8_bjS8_NS5_IS6_S8_EES8_NS5_IlS8_EES8_jjPS6_PjSD_j
	.globl	_ZN2at6native6mbtopk10gatherTopKIhmLi2EEEvNS_4cuda6detail10TensorInfoIKT_T0_EES8_S8_bjS8_NS5_IS6_S8_EES8_NS5_IlS8_EES8_jjPS6_PjSD_j
	.p2align	8
	.type	_ZN2at6native6mbtopk10gatherTopKIhmLi2EEEvNS_4cuda6detail10TensorInfoIKT_T0_EES8_S8_bjS8_NS5_IS6_S8_EES8_NS5_IlS8_EES8_jjPS6_PjSD_j,@function
_ZN2at6native6mbtopk10gatherTopKIhmLi2EEEvNS_4cuda6detail10TensorInfoIKT_T0_EES8_S8_bjS8_NS5_IS6_S8_EES8_NS5_IlS8_EES8_jjPS6_PjSD_j: ; @_ZN2at6native6mbtopk10gatherTopKIhmLi2EEEvNS_4cuda6detail10TensorInfoIKT_T0_EES8_S8_bjS8_NS5_IS6_S8_EES8_NS5_IlS8_EES8_jjPS6_PjSD_j
; %bb.0:
	s_load_dwordx2 s[0:1], s[4:5], 0x538
	s_load_dword s2, s[4:5], 0x530
	s_waitcnt lgkmcnt(0)
	s_mul_i32 s1, s1, s8
	s_add_i32 s1, s1, s7
	s_mul_i32 s0, s1, s0
	s_add_i32 s0, s0, s6
	s_cmp_ge_u32 s0, s2
	s_cbranch_scc1 .LBB122_48
; %bb.1:
	s_load_dwordx2 s[34:35], s[4:5], 0x510
	s_load_dwordx2 s[38:39], s[4:5], 0x1d0
	s_load_dwordx4 s[8:11], s[4:5], 0x1a0
	s_load_dwordx2 s[36:37], s[4:5], 0x10
	s_mov_b32 s7, 0
	s_waitcnt lgkmcnt(0)
	v_cvt_f32_u32_e32 v1, s35
	s_sub_i32 s2, 0, s35
	s_lshl_b32 s1, s34, 8
	v_rcp_iflag_f32_e32 v1, v1
	v_mul_f32_e32 v1, 0x4f7ffffe, v1
	v_cvt_u32_f32_e32 v1, v1
	v_readfirstlane_b32 s3, v1
	s_mul_i32 s2, s2, s3
	s_mul_hi_u32 s2, s3, s2
	s_add_i32 s3, s3, s2
	s_mul_hi_u32 s2, s0, s3
	s_mul_i32 s3, s2, s35
	s_sub_i32 s3, s0, s3
	s_add_i32 s6, s2, 1
	s_sub_i32 s12, s3, s35
	s_cmp_ge_u32 s3, s35
	s_cselect_b32 s2, s6, s2
	s_cselect_b32 s3, s12, s3
	s_add_i32 s6, s2, 1
	s_cmp_ge_u32 s3, s35
	s_cselect_b32 s6, s6, s2
	s_mul_i32 s20, s6, s35
	s_sub_i32 s28, s0, s20
	s_add_i32 s0, s28, 1
	s_cmp_lt_u32 s0, s35
	s_mul_i32 s33, s28, s1
	s_cbranch_scc1 .LBB122_3
; %bb.2:
	s_sub_u32 s0, s8, s33
	s_subb_u32 s1, s9, 0
	s_add_u32 s0, s0, 0xff
	s_addc_u32 s1, s1, 0
	s_ashr_i32 s2, s1, 31
	s_lshr_b32 s2, s2, 24
	s_add_u32 s0, s0, s2
	s_addc_u32 s1, s1, 0
	s_lshr_b64 s[0:1], s[0:1], 8
	s_mov_b32 s34, s0
.LBB122_3:
	s_load_dwordx2 s[40:41], s[4:5], 0x378
	v_mov_b32_e32 v1, s36
	v_mov_b32_e32 v2, s37
	v_cmp_lt_u64_e32 vcc, s[6:7], v[1:2]
	s_mov_b64 s[44:45], 0
	s_mov_b64 s[42:43], 0
	s_cbranch_vccnz .LBB122_5
; %bb.4:
	v_cvt_f32_u32_e32 v1, s36
	s_sub_i32 s0, 0, s36
	v_rcp_iflag_f32_e32 v1, v1
	v_mul_f32_e32 v1, 0x4f7ffffe, v1
	v_cvt_u32_f32_e32 v1, v1
	v_readfirstlane_b32 s1, v1
	s_mul_i32 s0, s0, s1
	s_mul_hi_u32 s0, s1, s0
	s_add_i32 s1, s1, s0
	s_mul_hi_u32 s0, s6, s1
	s_mul_i32 s2, s0, s36
	s_sub_i32 s2, s6, s2
	s_add_i32 s1, s0, 1
	s_sub_i32 s3, s2, s36
	s_cmp_ge_u32 s2, s36
	s_cselect_b32 s0, s1, s0
	s_cselect_b32 s2, s3, s2
	s_add_i32 s1, s0, 1
	s_cmp_ge_u32 s2, s36
	s_cselect_b32 s42, s1, s0
.LBB122_5:
	v_mov_b32_e32 v1, s38
	v_mov_b32_e32 v2, s39
	v_cmp_lt_u64_e32 vcc, s[6:7], v[1:2]
	s_cbranch_vccnz .LBB122_7
; %bb.6:
	v_cvt_f32_u32_e32 v1, s38
	s_sub_i32 s0, 0, s38
	v_rcp_iflag_f32_e32 v1, v1
	v_mul_f32_e32 v1, 0x4f7ffffe, v1
	v_cvt_u32_f32_e32 v1, v1
	v_readfirstlane_b32 s1, v1
	s_mul_i32 s0, s0, s1
	s_mul_hi_u32 s0, s1, s0
	s_add_i32 s1, s1, s0
	s_mul_hi_u32 s0, s6, s1
	s_mul_i32 s2, s0, s38
	s_sub_i32 s2, s6, s2
	s_add_i32 s1, s0, 1
	s_sub_i32 s3, s2, s38
	s_cmp_ge_u32 s2, s38
	s_cselect_b32 s0, s1, s0
	s_cselect_b32 s2, s3, s2
	s_add_i32 s1, s0, 1
	s_cmp_ge_u32 s2, s38
	s_cselect_b32 s44, s1, s0
.LBB122_7:
	s_waitcnt lgkmcnt(0)
	v_mov_b32_e32 v1, s40
	v_mov_b32_e32 v2, s41
	v_cmp_lt_u64_e32 vcc, s[6:7], v[1:2]
	s_mov_b64 s[46:47], 0
	s_cbranch_vccnz .LBB122_9
; %bb.8:
	v_cvt_f32_u32_e32 v1, s40
	s_sub_i32 s0, 0, s40
	v_rcp_iflag_f32_e32 v1, v1
	v_mul_f32_e32 v1, 0x4f7ffffe, v1
	v_cvt_u32_f32_e32 v1, v1
	v_readfirstlane_b32 s1, v1
	s_mul_i32 s0, s0, s1
	s_mul_hi_u32 s0, s1, s0
	s_add_i32 s1, s1, s0
	s_mul_hi_u32 s0, s6, s1
	s_mul_i32 s2, s0, s40
	s_sub_i32 s2, s6, s2
	s_add_i32 s1, s0, 1
	s_sub_i32 s3, s2, s40
	s_cmp_ge_u32 s2, s40
	s_cselect_b32 s0, s1, s0
	s_cselect_b32 s2, s3, s2
	s_add_i32 s1, s0, 1
	s_cmp_ge_u32 s2, s40
	s_cselect_b32 s46, s1, s0
.LBB122_9:
	s_load_dwordx4 s[12:15], s[4:5], 0x518
	s_load_dwordx2 s[48:49], s[4:5], 0x0
	v_mov_b32_e32 v1, 0
	s_mov_b32 s21, 0
	v_cmp_eq_u32_e64 s[2:3], 0, v0
	s_waitcnt lgkmcnt(0)
	s_add_u32 s0, s12, s6
	s_addc_u32 s1, s13, 0
	global_load_ubyte v8, v1, s[0:1]
	v_cmp_ne_u32_e64 s[0:1], 0, v0
	s_and_saveexec_b64 s[12:13], s[2:3]
	s_cbranch_execz .LBB122_25
; %bb.10:
	s_load_dwordx2 s[22:23], s[4:5], 0x528
	s_lshl_b64 s[24:25], s[20:21], 2
	s_add_u32 s16, s14, s24
	s_addc_u32 s17, s15, s25
	s_mov_b32 s20, 0
	s_waitcnt lgkmcnt(0)
	s_add_u32 s18, s22, s24
	s_addc_u32 s19, s23, s25
	s_cmp_lt_u32 s35, 4
	s_cbranch_scc1 .LBB122_22
; %bb.11:
	s_mov_b32 s29, 0
.LBB122_12:                             ; =>This Inner Loop Header: Depth=1
	s_add_u32 s26, s14, s24
	s_addc_u32 s27, s15, s25
	s_load_dwordx4 s[16:19], s[26:27], 0x0
	s_add_u32 s26, s22, s24
	s_addc_u32 s27, s23, s25
	s_cmp_ge_u32 s29, s28
	s_cbranch_scc0 .LBB122_19
; %bb.13:                               ;   in Loop: Header=BB122_12 Depth=1
	s_add_i32 s30, s29, 1
	s_cmp_ge_u32 s30, s28
	s_cbranch_scc0 .LBB122_20
.LBB122_14:                             ;   in Loop: Header=BB122_12 Depth=1
	s_add_i32 s30, s30, 1
	s_cmp_ge_u32 s30, s28
	s_cbranch_scc0 .LBB122_21
.LBB122_15:                             ;   in Loop: Header=BB122_12 Depth=1
	s_add_i32 s30, s30, 1
	s_cmp_ge_u32 s30, s28
	s_cbranch_scc1 .LBB122_17
.LBB122_16:                             ;   in Loop: Header=BB122_12 Depth=1
	s_load_dword s26, s[26:27], 0xc
	s_waitcnt lgkmcnt(0)
	s_add_i32 s21, s21, s19
	s_add_i32 s7, s26, s7
.LBB122_17:                             ;   in Loop: Header=BB122_12 Depth=1
	s_waitcnt lgkmcnt(0)
	s_add_i32 s16, s16, s20
	s_add_i32 s16, s16, s17
	;; [unrolled: 1-line block ×4, first 2 shown]
	s_add_u32 s14, s14, 16
	s_addc_u32 s15, s15, 0
	s_add_u32 s22, s22, 16
	s_addc_u32 s23, s23, 0
	s_add_i32 s27, s30, 4
	s_add_u32 s18, s22, s24
	s_addc_u32 s19, s23, s25
	s_add_u32 s16, s14, s24
	s_addc_u32 s17, s15, s25
	s_add_i32 s26, s30, 1
	s_cmp_ge_u32 s27, s35
	s_cbranch_scc1 .LBB122_23
; %bb.18:                               ;   in Loop: Header=BB122_12 Depth=1
	s_mov_b32 s29, s26
	s_branch .LBB122_12
.LBB122_19:                             ;   in Loop: Header=BB122_12 Depth=1
	s_load_dword s30, s[26:27], 0x0
	s_waitcnt lgkmcnt(0)
	s_add_i32 s21, s16, s21
	s_add_i32 s7, s30, s7
	;; [unrolled: 1-line block ×3, first 2 shown]
	s_cmp_ge_u32 s30, s28
	s_cbranch_scc1 .LBB122_14
.LBB122_20:                             ;   in Loop: Header=BB122_12 Depth=1
	s_load_dword s31, s[26:27], 0x4
	s_waitcnt lgkmcnt(0)
	s_add_i32 s21, s21, s17
	s_add_i32 s7, s31, s7
	s_add_i32 s30, s30, 1
	s_cmp_ge_u32 s30, s28
	s_cbranch_scc1 .LBB122_15
.LBB122_21:                             ;   in Loop: Header=BB122_12 Depth=1
	s_load_dword s31, s[26:27], 0x8
	s_waitcnt lgkmcnt(0)
	s_add_i32 s21, s21, s18
	s_add_i32 s7, s31, s7
	s_add_i32 s30, s30, 1
	s_cmp_ge_u32 s30, s28
	s_cbranch_scc0 .LBB122_16
	s_branch .LBB122_17
.LBB122_22:
	s_mov_b32 s14, 0
	s_cmp_ge_u32 s14, s35
	s_cbranch_scc0 .LBB122_46
	s_branch .LBB122_24
.LBB122_23:
	s_add_i32 s14, s29, 4
	s_cmp_ge_u32 s14, s35
	s_cbranch_scc0 .LBB122_46
.LBB122_24:
	v_mov_b32_e32 v1, s7
	v_mov_b32_e32 v2, s20
	;; [unrolled: 1-line block ×4, first 2 shown]
	ds_write_b96 v4, v[1:3] offset:1056
.LBB122_25:
	s_or_b64 exec, exec, s[12:13]
	s_load_dwordx4 s[12:15], s[4:5], 0x1b8
	s_load_dwordx4 s[24:27], s[4:5], 0xd0
	;; [unrolled: 1-line block ×5, first 2 shown]
	s_cmp_eq_u32 s34, 0
	s_waitcnt vmcnt(0) lgkmcnt(0)
	s_barrier
	s_cbranch_scc1 .LBB122_48
; %bb.26:
	s_mul_i32 s7, s44, s39
	s_mul_hi_u32 s35, s44, s38
	s_add_i32 s35, s35, s7
	s_mul_i32 s7, s44, s38
	s_sub_u32 s7, s6, s7
	s_subb_u32 s35, 0, s35
	s_mul_i32 s31, s7, s31
	s_mul_hi_u32 s38, s7, s30
	s_add_i32 s31, s38, s31
	s_mul_i32 s35, s35, s30
	s_mul_i32 s30, s7, s30
	;; [unrolled: 1-line block ×3, first 2 shown]
	s_mul_hi_u32 s29, s44, s28
	s_add_i32 s31, s31, s35
	s_add_i32 s29, s29, s7
	s_mul_i32 s7, s42, s37
	s_mul_hi_u32 s35, s42, s36
	s_add_i32 s35, s35, s7
	s_mul_i32 s7, s42, s36
	s_sub_u32 s7, s6, s7
	s_subb_u32 s35, 0, s35
	s_mul_i32 s27, s7, s27
	s_mul_hi_u32 s36, s7, s26
	s_add_i32 s27, s36, s27
	s_mul_i32 s35, s35, s26
	s_mul_i32 s26, s7, s26
	;; [unrolled: 1-line block ×3, first 2 shown]
	s_mul_hi_u32 s25, s42, s24
	s_add_i32 s27, s27, s35
	s_add_i32 s25, s25, s7
	s_mul_i32 s7, s46, s41
	s_mul_hi_u32 s35, s46, s40
	s_add_i32 s35, s35, s7
	s_mul_i32 s7, s46, s40
	s_sub_u32 s6, s6, s7
	s_subb_u32 s7, 0, s35
	s_mul_i32 s23, s6, s23
	s_mul_hi_u32 s35, s6, s22
	s_add_i32 s23, s35, s23
	s_mul_i32 s7, s7, s22
	s_mul_i32 s6, s6, s22
	;; [unrolled: 1-line block ×3, first 2 shown]
	s_mul_hi_u32 s22, s46, s20
	s_mul_i32 s24, s42, s24
	s_add_i32 s7, s23, s7
	s_add_i32 s23, s22, s21
	s_mul_i32 s22, s46, s20
	s_add_u32 s20, s48, s24
	s_addc_u32 s21, s49, s25
	s_add_u32 s20, s20, s26
	s_mul_i32 s28, s44, s28
	s_addc_u32 s21, s21, s27
	v_mov_b32_e32 v5, 0
	s_add_u32 s14, s14, s28
	ds_read_b96 v[1:3], v5 offset:1056
	s_addc_u32 s15, s15, s29
	s_add_u32 s14, s14, s30
	s_addc_u32 s15, s15, s31
	s_lshl_b64 s[22:23], s[22:23], 3
	s_add_u32 s18, s18, s22
	s_addc_u32 s19, s19, s23
	s_lshl_b64 s[6:7], s[6:7], 3
	s_waitcnt lgkmcnt(0)
	v_add_u32_e32 v1, v1, v2
	v_lshrrev_b32_e32 v2, 3, v0
	s_add_u32 s24, s18, s6
	s_load_dword s6, s[4:5], 0x1b0
	v_and_b32_e32 v2, 28, v2
	v_lshl_add_u32 v9, v0, 2, v2
	v_lshrrev_b32_e32 v2, 1, v0
	s_addc_u32 s25, s19, s7
	s_load_dwordx2 s[18:19], s[4:5], 0x508
	v_and_b32_e32 v10, 0x7c, v2
	v_add_u32_e32 v2, -1, v0
	v_lshrrev_b32_e32 v4, 3, v2
	v_and_b32_e32 v4, 0x1ffffffc, v4
	s_waitcnt lgkmcnt(0)
	s_bitcmp1_b32 s6, 0
	v_cmp_gt_u32_e64 s[6:7], 64, v0
	v_lshlrev_b32_e32 v11, 4, v0
	v_lshl_add_u32 v12, v2, 2, v4
	v_add_u32_e32 v4, s33, v0
	v_mbcnt_lo_u32_b32 v0, -1, 0
	s_cselect_b64 s[4:5], -1, 0
	v_mbcnt_hi_u32_b32 v0, -1, v0
                                        ; implicit-def: $vgpr13
	s_branch .LBB122_29
.LBB122_27:                             ;   in Loop: Header=BB122_29 Depth=1
	s_or_b64 exec, exec, s[22:23]
	v_add_u32_e32 v1, v2, v1
.LBB122_28:                             ;   in Loop: Header=BB122_29 Depth=1
	s_add_i32 s34, s34, -1
	v_add_u32_e32 v3, v14, v3
	s_cmp_lg_u32 s34, 0
	v_add_u32_e32 v4, 0x100, v4
	s_cbranch_scc0 .LBB122_48
.LBB122_29:                             ; =>This Inner Loop Header: Depth=1
	v_cmp_gt_u64_e32 vcc, s[8:9], v[4:5]
	v_mov_b32_e32 v2, v5
	v_mov_b32_e32 v6, v5
	s_and_saveexec_b64 s[22:23], vcc
	s_cbranch_execz .LBB122_31
; %bb.30:                               ;   in Loop: Header=BB122_29 Depth=1
	v_mov_b32_e32 v6, s20
	v_mov_b32_e32 v7, s21
	v_mad_u64_u32 v[6:7], s[26:27], s12, v4, v[6:7]
	v_mov_b32_e32 v2, v7
	v_mad_u64_u32 v[13:14], s[26:27], s13, v4, v[2:3]
	v_mov_b32_e32 v7, v13
	global_load_ubyte v13, v[6:7], off
	s_waitcnt vmcnt(0)
	v_cmp_gt_u16_sdwa s[26:27], v13, v8 src0_sel:DWORD src1_sel:BYTE_0
	v_cndmask_b32_e64 v2, 0, 1, s[26:27]
	v_cmp_lt_u16_sdwa s[26:27], v13, v8 src0_sel:DWORD src1_sel:BYTE_0
	v_cndmask_b32_e64 v6, 0, 1, s[26:27]
	v_cndmask_b32_e64 v2, v6, v2, s[4:5]
	v_cmp_eq_u16_sdwa s[26:27], v13, v8 src0_sel:DWORD src1_sel:BYTE_0
	v_and_b32_e32 v2, 1, v2
	v_cndmask_b32_e64 v6, 0, 1, s[26:27]
.LBB122_31:                             ;   in Loop: Header=BB122_29 Depth=1
	s_or_b64 exec, exec, s[22:23]
	ds_write_b32 v9, v2
	s_waitcnt vmcnt(0) lgkmcnt(0)
	s_barrier
	s_and_saveexec_b64 s[22:23], s[6:7]
	s_cbranch_execz .LBB122_33
; %bb.32:                               ;   in Loop: Header=BB122_29 Depth=1
	v_add_u32_e32 v7, v10, v11
	ds_read2_b32 v[14:15], v7 offset1:1
	ds_read2_b32 v[16:17], v7 offset0:2 offset1:3
	v_and_b32_e32 v18, 15, v0
	v_cmp_ne_u32_e32 vcc, 0, v18
	s_waitcnt lgkmcnt(1)
	v_add_u32_e32 v15, v15, v14
	s_waitcnt lgkmcnt(0)
	v_add3_u32 v15, v15, v16, v17
	v_bfe_i32 v17, v0, 4, 1
	; wave barrier
	s_nop 0
	v_mov_b32_dpp v16, v15 row_shr:1 row_mask:0xf bank_mask:0xf
	v_cndmask_b32_e32 v16, 0, v16, vcc
	v_add_u32_e32 v15, v16, v15
	v_cmp_lt_u32_e32 vcc, 1, v18
	s_nop 0
	v_mov_b32_dpp v16, v15 row_shr:2 row_mask:0xf bank_mask:0xf
	v_cndmask_b32_e32 v16, 0, v16, vcc
	v_add_u32_e32 v15, v15, v16
	v_cmp_lt_u32_e32 vcc, 3, v18
	;; [unrolled: 5-line block ×4, first 2 shown]
	s_nop 0
	v_mov_b32_dpp v16, v15 row_bcast:15 row_mask:0xf bank_mask:0xf
	v_and_b32_e32 v16, v17, v16
	v_add_u32_e32 v15, v15, v16
	v_and_b32_e32 v17, 64, v0
	s_nop 0
	v_mov_b32_dpp v16, v15 row_bcast:31 row_mask:0xf bank_mask:0xf
	v_cndmask_b32_e32 v16, 0, v16, vcc
	v_add_u32_e32 v15, v15, v16
	v_add_u32_e32 v16, -1, v0
	v_cmp_lt_i32_e32 vcc, v16, v17
	v_cndmask_b32_e32 v16, v16, v0, vcc
	v_lshlrev_b32_e32 v16, 2, v16
	ds_bpermute_b32 v15, v16, v15
	s_waitcnt lgkmcnt(0)
	v_add_u32_e32 v14, v15, v14
	v_cndmask_b32_e64 v16, v14, v2, s[2:3]
	ds_write_b32 v7, v16
	; wave barrier
	ds_read2_b32 v[14:15], v7 offset0:1 offset1:2
	ds_read_b32 v17, v7 offset:12
	s_waitcnt lgkmcnt(1)
	v_add_u32_e32 v14, v14, v16
	v_add_u32_e32 v15, v15, v14
	ds_write2_b32 v7, v14, v15 offset0:1 offset1:2
	s_waitcnt lgkmcnt(1)
	v_add_u32_e32 v14, v17, v15
	ds_write_b32 v7, v14 offset:12
.LBB122_33:                             ;   in Loop: Header=BB122_29 Depth=1
	s_or_b64 exec, exec, s[22:23]
	v_mov_b32_e32 v7, 0
	s_waitcnt lgkmcnt(0)
	s_barrier
	s_and_saveexec_b64 s[22:23], s[0:1]
; %bb.34:                               ;   in Loop: Header=BB122_29 Depth=1
	ds_read_b32 v7, v12
; %bb.35:                               ;   in Loop: Header=BB122_29 Depth=1
	s_or_b64 exec, exec, s[22:23]
	ds_read_b32 v14, v5 offset:1048
	v_cmp_ne_u32_e32 vcc, 0, v2
	s_waitcnt lgkmcnt(0)
	s_barrier
	s_and_saveexec_b64 s[22:23], vcc
	s_cbranch_execz .LBB122_37
; %bb.36:                               ;   in Loop: Header=BB122_29 Depth=1
	v_mov_b32_e32 v16, s15
	v_add_u32_e32 v7, v7, v3
	v_mov_b32_e32 v15, s14
	v_mad_u64_u32 v[15:16], s[26:27], s16, v7, v[15:16]
	v_mad_u64_u32 v[17:18], s[26:27], s18, v7, 0
	v_mov_b32_e32 v2, v16
	v_mad_u64_u32 v[19:20], s[26:27], s17, v7, v[2:3]
	v_mov_b32_e32 v2, v18
	;; [unrolled: 2-line block ×3, first 2 shown]
	global_store_byte v[15:16], v13, off
	v_mov_b32_e32 v18, v20
	v_lshlrev_b64 v[15:16], 3, v[17:18]
	v_mov_b32_e32 v2, s25
	v_add_co_u32_e32 v15, vcc, s24, v15
	v_addc_co_u32_e32 v16, vcc, v2, v16, vcc
	global_store_dwordx2 v[15:16], v[4:5], off
.LBB122_37:                             ;   in Loop: Header=BB122_29 Depth=1
	s_or_b64 exec, exec, s[22:23]
	v_mov_b32_e32 v2, v5
	v_cmp_le_u64_e32 vcc, s[10:11], v[1:2]
	s_cbranch_vccnz .LBB122_28
; %bb.38:                               ;   in Loop: Header=BB122_29 Depth=1
	ds_write_b32 v9, v6
	s_waitcnt vmcnt(0) lgkmcnt(0)
	s_barrier
	s_and_saveexec_b64 s[22:23], s[6:7]
	s_cbranch_execz .LBB122_40
; %bb.39:                               ;   in Loop: Header=BB122_29 Depth=1
	v_add_u32_e32 v2, v10, v11
	ds_read2_b32 v[15:16], v2 offset1:1
	ds_read2_b32 v[17:18], v2 offset0:2 offset1:3
	v_and_b32_e32 v7, 15, v0
	v_cmp_ne_u32_e32 vcc, 0, v7
	s_waitcnt lgkmcnt(1)
	v_add_u32_e32 v16, v16, v15
	s_waitcnt lgkmcnt(0)
	v_add3_u32 v16, v16, v17, v18
	; wave barrier
	s_nop 1
	v_mov_b32_dpp v17, v16 row_shr:1 row_mask:0xf bank_mask:0xf
	v_cndmask_b32_e32 v17, 0, v17, vcc
	v_add_u32_e32 v16, v17, v16
	v_cmp_lt_u32_e32 vcc, 1, v7
	s_nop 0
	v_mov_b32_dpp v17, v16 row_shr:2 row_mask:0xf bank_mask:0xf
	v_cndmask_b32_e32 v17, 0, v17, vcc
	v_add_u32_e32 v16, v16, v17
	v_cmp_lt_u32_e32 vcc, 3, v7
	;; [unrolled: 5-line block ×3, first 2 shown]
	s_nop 0
	v_mov_b32_dpp v17, v16 row_shr:8 row_mask:0xf bank_mask:0xf
	v_cndmask_b32_e32 v7, 0, v17, vcc
	v_add_u32_e32 v7, v16, v7
	v_bfe_i32 v17, v0, 4, 1
	v_cmp_lt_u32_e32 vcc, 31, v0
	v_mov_b32_dpp v16, v7 row_bcast:15 row_mask:0xf bank_mask:0xf
	v_and_b32_e32 v16, v17, v16
	v_add_u32_e32 v7, v7, v16
	v_and_b32_e32 v17, 64, v0
	s_nop 0
	v_mov_b32_dpp v16, v7 row_bcast:31 row_mask:0xf bank_mask:0xf
	v_cndmask_b32_e32 v16, 0, v16, vcc
	v_add_u32_e32 v7, v7, v16
	v_add_u32_e32 v16, -1, v0
	v_cmp_lt_i32_e32 vcc, v16, v17
	v_cndmask_b32_e32 v16, v16, v0, vcc
	v_lshlrev_b32_e32 v16, 2, v16
	ds_bpermute_b32 v7, v16, v7
	s_waitcnt lgkmcnt(0)
	v_add_u32_e32 v7, v7, v15
	v_cndmask_b32_e64 v7, v7, v6, s[2:3]
	ds_write_b32 v2, v7
	; wave barrier
	ds_read2_b32 v[15:16], v2 offset0:1 offset1:2
	ds_read_b32 v17, v2 offset:12
	s_waitcnt lgkmcnt(1)
	v_add_u32_e32 v7, v15, v7
	v_add_u32_e32 v15, v16, v7
	ds_write2_b32 v2, v7, v15 offset0:1 offset1:2
	s_waitcnt lgkmcnt(1)
	v_add_u32_e32 v7, v17, v15
	ds_write_b32 v2, v7 offset:12
.LBB122_40:                             ;   in Loop: Header=BB122_29 Depth=1
	s_or_b64 exec, exec, s[22:23]
	v_mov_b32_e32 v7, 0
	s_waitcnt lgkmcnt(0)
	s_barrier
	s_and_saveexec_b64 s[22:23], s[0:1]
; %bb.41:                               ;   in Loop: Header=BB122_29 Depth=1
	ds_read_b32 v7, v12
; %bb.42:                               ;   in Loop: Header=BB122_29 Depth=1
	s_or_b64 exec, exec, s[22:23]
	ds_read_b32 v2, v5 offset:1048
	v_cmp_ne_u32_e32 vcc, 0, v6
	s_waitcnt lgkmcnt(0)
	s_barrier
	s_and_saveexec_b64 s[22:23], vcc
	s_cbranch_execz .LBB122_27
; %bb.43:                               ;   in Loop: Header=BB122_29 Depth=1
	v_add_u32_e32 v6, v7, v1
	v_mov_b32_e32 v7, v5
	v_cmp_gt_u64_e32 vcc, s[10:11], v[6:7]
	s_and_b64 exec, exec, vcc
	s_cbranch_execz .LBB122_27
; %bb.44:                               ;   in Loop: Header=BB122_29 Depth=1
	v_mov_b32_e32 v16, s15
	v_mov_b32_e32 v15, s14
	v_mad_u64_u32 v[15:16], s[26:27], s16, v6, v[15:16]
	v_mad_u64_u32 v[17:18], s[26:27], s18, v6, 0
	v_mov_b32_e32 v7, v16
	v_mad_u64_u32 v[19:20], s[26:27], s17, v6, v[7:8]
	v_mov_b32_e32 v7, v18
	;; [unrolled: 2-line block ×3, first 2 shown]
	global_store_byte v[15:16], v13, off
	v_mov_b32_e32 v18, v6
	v_lshlrev_b64 v[6:7], 3, v[17:18]
	v_mov_b32_e32 v15, s25
	v_add_co_u32_e32 v6, vcc, s24, v6
	v_addc_co_u32_e32 v7, vcc, v15, v7, vcc
	global_store_dwordx2 v[6:7], v[4:5], off
	s_branch .LBB122_27
.LBB122_45:                             ;   in Loop: Header=BB122_46 Depth=1
	s_add_u32 s16, s16, 4
	s_addc_u32 s17, s17, 0
	s_waitcnt lgkmcnt(0)
	s_add_i32 s20, s15, s20
	s_add_u32 s18, s18, 4
	s_addc_u32 s19, s19, 0
	s_add_i32 s14, s14, 1
	s_cmp_lt_u32 s14, s35
	s_cbranch_scc0 .LBB122_24
.LBB122_46:                             ; =>This Inner Loop Header: Depth=1
	s_load_dword s15, s[16:17], 0x0
	s_cmp_ge_u32 s14, s28
	s_cbranch_scc1 .LBB122_45
; %bb.47:                               ;   in Loop: Header=BB122_46 Depth=1
	s_load_dword s22, s[18:19], 0x0
	s_waitcnt lgkmcnt(0)
	s_add_i32 s21, s15, s21
	s_add_i32 s7, s22, s7
	s_branch .LBB122_45
.LBB122_48:
	s_endpgm
	.section	.rodata,"a",@progbits
	.p2align	6, 0x0
	.amdhsa_kernel _ZN2at6native6mbtopk10gatherTopKIhmLi2EEEvNS_4cuda6detail10TensorInfoIKT_T0_EES8_S8_bjS8_NS5_IS6_S8_EES8_NS5_IlS8_EES8_jjPS6_PjSD_j
		.amdhsa_group_segment_fixed_size 1068
		.amdhsa_private_segment_fixed_size 0
		.amdhsa_kernarg_size 1592
		.amdhsa_user_sgpr_count 6
		.amdhsa_user_sgpr_private_segment_buffer 1
		.amdhsa_user_sgpr_dispatch_ptr 0
		.amdhsa_user_sgpr_queue_ptr 0
		.amdhsa_user_sgpr_kernarg_segment_ptr 1
		.amdhsa_user_sgpr_dispatch_id 0
		.amdhsa_user_sgpr_flat_scratch_init 0
		.amdhsa_user_sgpr_private_segment_size 0
		.amdhsa_uses_dynamic_stack 0
		.amdhsa_system_sgpr_private_segment_wavefront_offset 0
		.amdhsa_system_sgpr_workgroup_id_x 1
		.amdhsa_system_sgpr_workgroup_id_y 1
		.amdhsa_system_sgpr_workgroup_id_z 1
		.amdhsa_system_sgpr_workgroup_info 0
		.amdhsa_system_vgpr_workitem_id 0
		.amdhsa_next_free_vgpr 22
		.amdhsa_next_free_sgpr 50
		.amdhsa_reserve_vcc 1
		.amdhsa_reserve_flat_scratch 0
		.amdhsa_float_round_mode_32 0
		.amdhsa_float_round_mode_16_64 0
		.amdhsa_float_denorm_mode_32 3
		.amdhsa_float_denorm_mode_16_64 3
		.amdhsa_dx10_clamp 1
		.amdhsa_ieee_mode 1
		.amdhsa_fp16_overflow 0
		.amdhsa_exception_fp_ieee_invalid_op 0
		.amdhsa_exception_fp_denorm_src 0
		.amdhsa_exception_fp_ieee_div_zero 0
		.amdhsa_exception_fp_ieee_overflow 0
		.amdhsa_exception_fp_ieee_underflow 0
		.amdhsa_exception_fp_ieee_inexact 0
		.amdhsa_exception_int_div_zero 0
	.end_amdhsa_kernel
	.section	.text._ZN2at6native6mbtopk10gatherTopKIhmLi2EEEvNS_4cuda6detail10TensorInfoIKT_T0_EES8_S8_bjS8_NS5_IS6_S8_EES8_NS5_IlS8_EES8_jjPS6_PjSD_j,"axG",@progbits,_ZN2at6native6mbtopk10gatherTopKIhmLi2EEEvNS_4cuda6detail10TensorInfoIKT_T0_EES8_S8_bjS8_NS5_IS6_S8_EES8_NS5_IlS8_EES8_jjPS6_PjSD_j,comdat
.Lfunc_end122:
	.size	_ZN2at6native6mbtopk10gatherTopKIhmLi2EEEvNS_4cuda6detail10TensorInfoIKT_T0_EES8_S8_bjS8_NS5_IS6_S8_EES8_NS5_IlS8_EES8_jjPS6_PjSD_j, .Lfunc_end122-_ZN2at6native6mbtopk10gatherTopKIhmLi2EEEvNS_4cuda6detail10TensorInfoIKT_T0_EES8_S8_bjS8_NS5_IS6_S8_EES8_NS5_IlS8_EES8_jjPS6_PjSD_j
                                        ; -- End function
	.set _ZN2at6native6mbtopk10gatherTopKIhmLi2EEEvNS_4cuda6detail10TensorInfoIKT_T0_EES8_S8_bjS8_NS5_IS6_S8_EES8_NS5_IlS8_EES8_jjPS6_PjSD_j.num_vgpr, 22
	.set _ZN2at6native6mbtopk10gatherTopKIhmLi2EEEvNS_4cuda6detail10TensorInfoIKT_T0_EES8_S8_bjS8_NS5_IS6_S8_EES8_NS5_IlS8_EES8_jjPS6_PjSD_j.num_agpr, 0
	.set _ZN2at6native6mbtopk10gatherTopKIhmLi2EEEvNS_4cuda6detail10TensorInfoIKT_T0_EES8_S8_bjS8_NS5_IS6_S8_EES8_NS5_IlS8_EES8_jjPS6_PjSD_j.numbered_sgpr, 50
	.set _ZN2at6native6mbtopk10gatherTopKIhmLi2EEEvNS_4cuda6detail10TensorInfoIKT_T0_EES8_S8_bjS8_NS5_IS6_S8_EES8_NS5_IlS8_EES8_jjPS6_PjSD_j.num_named_barrier, 0
	.set _ZN2at6native6mbtopk10gatherTopKIhmLi2EEEvNS_4cuda6detail10TensorInfoIKT_T0_EES8_S8_bjS8_NS5_IS6_S8_EES8_NS5_IlS8_EES8_jjPS6_PjSD_j.private_seg_size, 0
	.set _ZN2at6native6mbtopk10gatherTopKIhmLi2EEEvNS_4cuda6detail10TensorInfoIKT_T0_EES8_S8_bjS8_NS5_IS6_S8_EES8_NS5_IlS8_EES8_jjPS6_PjSD_j.uses_vcc, 1
	.set _ZN2at6native6mbtopk10gatherTopKIhmLi2EEEvNS_4cuda6detail10TensorInfoIKT_T0_EES8_S8_bjS8_NS5_IS6_S8_EES8_NS5_IlS8_EES8_jjPS6_PjSD_j.uses_flat_scratch, 0
	.set _ZN2at6native6mbtopk10gatherTopKIhmLi2EEEvNS_4cuda6detail10TensorInfoIKT_T0_EES8_S8_bjS8_NS5_IS6_S8_EES8_NS5_IlS8_EES8_jjPS6_PjSD_j.has_dyn_sized_stack, 0
	.set _ZN2at6native6mbtopk10gatherTopKIhmLi2EEEvNS_4cuda6detail10TensorInfoIKT_T0_EES8_S8_bjS8_NS5_IS6_S8_EES8_NS5_IlS8_EES8_jjPS6_PjSD_j.has_recursion, 0
	.set _ZN2at6native6mbtopk10gatherTopKIhmLi2EEEvNS_4cuda6detail10TensorInfoIKT_T0_EES8_S8_bjS8_NS5_IS6_S8_EES8_NS5_IlS8_EES8_jjPS6_PjSD_j.has_indirect_call, 0
	.section	.AMDGPU.csdata,"",@progbits
; Kernel info:
; codeLenInByte = 2664
; TotalNumSgprs: 54
; NumVgprs: 22
; ScratchSize: 0
; MemoryBound: 0
; FloatMode: 240
; IeeeMode: 1
; LDSByteSize: 1068 bytes/workgroup (compile time only)
; SGPRBlocks: 6
; VGPRBlocks: 5
; NumSGPRsForWavesPerEU: 54
; NumVGPRsForWavesPerEU: 22
; Occupancy: 10
; WaveLimiterHint : 1
; COMPUTE_PGM_RSRC2:SCRATCH_EN: 0
; COMPUTE_PGM_RSRC2:USER_SGPR: 6
; COMPUTE_PGM_RSRC2:TRAP_HANDLER: 0
; COMPUTE_PGM_RSRC2:TGID_X_EN: 1
; COMPUTE_PGM_RSRC2:TGID_Y_EN: 1
; COMPUTE_PGM_RSRC2:TGID_Z_EN: 1
; COMPUTE_PGM_RSRC2:TIDIG_COMP_CNT: 0
	.section	.text._ZN2at6native6sbtopk10gatherTopKIhmLi2ELb0EEEvNS_4cuda6detail10TensorInfoIKT_T0_EES8_S8_bS8_S8_NS5_IS6_S8_EES8_NS5_IlS8_EES8_PS6_,"axG",@progbits,_ZN2at6native6sbtopk10gatherTopKIhmLi2ELb0EEEvNS_4cuda6detail10TensorInfoIKT_T0_EES8_S8_bS8_S8_NS5_IS6_S8_EES8_NS5_IlS8_EES8_PS6_,comdat
	.protected	_ZN2at6native6sbtopk10gatherTopKIhmLi2ELb0EEEvNS_4cuda6detail10TensorInfoIKT_T0_EES8_S8_bS8_S8_NS5_IS6_S8_EES8_NS5_IlS8_EES8_PS6_ ; -- Begin function _ZN2at6native6sbtopk10gatherTopKIhmLi2ELb0EEEvNS_4cuda6detail10TensorInfoIKT_T0_EES8_S8_bS8_S8_NS5_IS6_S8_EES8_NS5_IlS8_EES8_PS6_
	.globl	_ZN2at6native6sbtopk10gatherTopKIhmLi2ELb0EEEvNS_4cuda6detail10TensorInfoIKT_T0_EES8_S8_bS8_S8_NS5_IS6_S8_EES8_NS5_IlS8_EES8_PS6_
	.p2align	8
	.type	_ZN2at6native6sbtopk10gatherTopKIhmLi2ELb0EEEvNS_4cuda6detail10TensorInfoIKT_T0_EES8_S8_bS8_S8_NS5_IS6_S8_EES8_NS5_IlS8_EES8_PS6_,@function
_ZN2at6native6sbtopk10gatherTopKIhmLi2ELb0EEEvNS_4cuda6detail10TensorInfoIKT_T0_EES8_S8_bS8_S8_NS5_IS6_S8_EES8_NS5_IlS8_EES8_PS6_: ; @_ZN2at6native6sbtopk10gatherTopKIhmLi2ELb0EEEvNS_4cuda6detail10TensorInfoIKT_T0_EES8_S8_bS8_S8_NS5_IS6_S8_EES8_NS5_IlS8_EES8_PS6_
; %bb.0:
	s_load_dwordx2 s[14:15], s[4:5], 0x520
	s_load_dwordx4 s[24:27], s[4:5], 0x1b8
	s_mov_b64 s[20:21], s[4:5]
	s_add_u32 s10, s20, 0x520
	s_addc_u32 s11, s21, 0
	s_waitcnt lgkmcnt(0)
	s_mul_i32 s0, s15, s8
	s_add_i32 s0, s0, s7
	s_mul_i32 s0, s0, s14
	s_add_i32 s22, s0, s6
	s_mov_b32 s23, 0
	v_mov_b32_e32 v1, s22
	v_mov_b32_e32 v2, s23
	v_cmp_le_u64_e32 vcc, s[24:25], v[1:2]
	s_cbranch_vccnz .LBB123_485
; %bb.1:
	s_load_dwordx2 s[8:9], s[20:21], 0x10
	s_load_dwordx2 s[4:5], s[20:21], 0x380
	;; [unrolled: 1-line block ×3, first 2 shown]
	s_mov_b64 s[0:1], 0
                                        ; implicit-def: $vgpr47 : SGPR spill to VGPR lane
	s_mov_b64 s[12:13], 0
	s_waitcnt lgkmcnt(0)
	v_mov_b32_e32 v1, s8
	v_mov_b32_e32 v2, s9
	v_cmp_lt_u64_e32 vcc, s[22:23], v[1:2]
	v_writelane_b32 v47, s0, 0
	v_writelane_b32 v47, s1, 1
	s_cbranch_vccnz .LBB123_3
; %bb.2:
	v_cvt_f32_u32_e32 v1, s8
	s_sub_i32 s0, 0, s8
	v_rcp_iflag_f32_e32 v1, v1
	v_mul_f32_e32 v1, 0x4f7ffffe, v1
	v_cvt_u32_f32_e32 v1, v1
	v_readfirstlane_b32 s1, v1
	s_mul_i32 s0, s0, s1
	s_mul_hi_u32 s0, s1, s0
	s_add_i32 s1, s1, s0
	s_mul_hi_u32 s0, s22, s1
	s_mul_i32 s2, s0, s8
	s_sub_i32 s2, s22, s2
	s_add_i32 s1, s0, 1
	s_sub_i32 s3, s2, s8
	s_cmp_ge_u32 s2, s8
	s_cselect_b32 s0, s1, s0
	s_cselect_b32 s2, s3, s2
	s_add_i32 s1, s0, 1
	s_cmp_ge_u32 s2, s8
	s_cselect_b32 s12, s1, s0
.LBB123_3:
	v_mov_b32_e32 v1, s16
	v_mov_b32_e32 v2, s17
	v_cmp_lt_u64_e32 vcc, s[22:23], v[1:2]
	s_cbranch_vccnz .LBB123_5
; %bb.4:
	v_cvt_f32_u32_e32 v1, s16
	s_sub_i32 s0, 0, s16
	v_rcp_iflag_f32_e32 v1, v1
	v_mul_f32_e32 v1, 0x4f7ffffe, v1
	v_cvt_u32_f32_e32 v1, v1
	v_readfirstlane_b32 s1, v1
	s_mul_i32 s0, s0, s1
	s_mul_hi_u32 s0, s1, s0
	s_add_i32 s1, s1, s0
	s_mul_hi_u32 s0, s22, s1
	s_mul_i32 s2, s0, s16
	s_sub_i32 s2, s22, s2
	s_add_i32 s1, s0, 1
	s_sub_i32 s3, s2, s16
	s_cmp_ge_u32 s2, s16
	s_cselect_b32 s0, s1, s0
	s_cselect_b32 s2, s3, s2
	s_add_i32 s1, s0, 1
	s_cmp_ge_u32 s2, s16
	s_cselect_b32 s0, s1, s0
	v_writelane_b32 v47, s0, 0
	v_writelane_b32 v47, s1, 1
.LBB123_5:
	v_writelane_b32 v47, s16, 2
	v_writelane_b32 v47, s17, 3
	s_load_dwordx2 s[16:17], s[20:21], 0x0
	v_mov_b32_e32 v1, s4
	v_mov_b32_e32 v2, s5
	v_cmp_lt_u64_e32 vcc, s[22:23], v[1:2]
	s_mov_b64 s[0:1], 0
	v_writelane_b32 v47, s0, 4
	v_writelane_b32 v47, s1, 5
	s_cbranch_vccnz .LBB123_7
; %bb.6:
	v_cvt_f32_u32_e32 v1, s4
	s_sub_i32 s0, 0, s4
	v_rcp_iflag_f32_e32 v1, v1
	v_mul_f32_e32 v1, 0x4f7ffffe, v1
	v_cvt_u32_f32_e32 v1, v1
	v_readfirstlane_b32 s1, v1
	s_mul_i32 s0, s0, s1
	s_mul_hi_u32 s0, s1, s0
	s_add_i32 s1, s1, s0
	s_mul_hi_u32 s0, s22, s1
	s_mul_i32 s2, s0, s4
	s_sub_i32 s2, s22, s2
	s_add_i32 s1, s0, 1
	s_sub_i32 s3, s2, s4
	s_cmp_ge_u32 s2, s4
	s_cselect_b32 s0, s1, s0
	s_cselect_b32 s2, s3, s2
	s_add_i32 s1, s0, 1
	s_cmp_ge_u32 s2, s4
	s_cselect_b32 s0, s1, s0
	v_writelane_b32 v47, s0, 4
	v_writelane_b32 v47, s1, 5
.LBB123_7:
	s_load_dwordx2 s[0:1], s[20:21], 0x370
	v_writelane_b32 v47, s4, 6
	v_writelane_b32 v47, s5, 7
	s_mov_b32 s59, 0
	v_cmp_eq_u32_e64 s[18:19], 0, v0
	s_waitcnt lgkmcnt(0)
	v_writelane_b32 v47, s0, 8
	v_writelane_b32 v47, s1, 9
	s_load_dwordx2 s[0:1], s[20:21], 0x1c8
	s_waitcnt lgkmcnt(0)
	v_writelane_b32 v47, s0, 10
	v_writelane_b32 v47, s1, 11
	s_load_dwordx4 s[0:3], s[20:21], 0xd0
	s_load_dwordx4 s[28:31], s[20:21], 0x1a0
	s_mov_b64 s[4:5], exec
	v_writelane_b32 v47, s18, 12
	v_writelane_b32 v47, s19, 13
	s_and_b64 s[18:19], s[4:5], s[18:19]
	s_mov_b64 exec, s[18:19]
	s_cbranch_execz .LBB123_9
; %bb.8:
	v_mov_b32_e32 v1, 0
	s_waitcnt lgkmcnt(0)
	v_mov_b32_e32 v3, s28
	v_mov_b32_e32 v4, s29
	;; [unrolled: 1-line block ×3, first 2 shown]
	ds_write_b32 v1, v1 offset:5144
	ds_write_b128 v1, v[1:4] offset:5120
.LBB123_9:
	s_or_b64 exec, exec, s[4:5]
	s_mul_i32 s4, s12, s9
	s_mul_hi_u32 s5, s12, s8
	s_add_i32 s5, s5, s4
	s_mul_i32 s4, s12, s8
	s_sub_u32 s4, s22, s4
	s_subb_u32 s5, 0, s5
	s_waitcnt lgkmcnt(0)
	s_mul_i32 s3, s4, s3
	s_mul_hi_u32 s7, s4, s2
	s_add_i32 s3, s7, s3
	s_mul_i32 s5, s5, s2
	s_mul_i32 s4, s4, s2
	;; [unrolled: 1-line block ×3, first 2 shown]
	s_mul_hi_u32 s2, s12, s0
	s_add_i32 s3, s3, s5
	s_add_i32 s2, s2, s1
	s_mul_i32 s0, s12, s0
	s_add_u32 s0, s16, s0
	s_load_dword s1, s[20:21], 0x1b0
	s_addc_u32 s2, s17, s2
	s_load_dwordx4 s[16:19], s[20:21], 0x298
	s_mov_b32 s8, s22
	v_writelane_b32 v47, s8, 14
	v_writelane_b32 v47, s9, 15
	s_add_u32 s34, s0, s4
	s_waitcnt lgkmcnt(0)
	v_writelane_b32 v47, s16, 16
	s_addc_u32 s35, s2, s3
	v_writelane_b32 v47, s17, 17
	v_mbcnt_lo_u32_b32 v1, -1, 0
	v_writelane_b32 v47, s18, 18
	s_bitcmp1_b32 s1, 0
	v_mbcnt_hi_u32_b32 v26, -1, v1
	v_mov_b32_e32 v1, s34
	v_writelane_b32 v47, s19, 19
	s_cselect_b64 s[0:1], -1, 0
	v_mov_b32_e32 v2, s35
	v_writelane_b32 v47, s0, 20
	v_mad_u64_u32 v[12:13], s[2:3], s26, v0, v[1:2]
	v_writelane_b32 v47, s1, 21
	s_xor_b64 s[0:1], s[0:1], -1
	v_writelane_b32 v47, s0, 22
	v_cmp_gt_u32_e32 vcc, 64, v0
	v_cmp_gt_i32_e64 s[2:3], 4, v26
	v_writelane_b32 v47, s1, 23
	s_and_b64 s[2:3], vcc, s[2:3]
	v_writelane_b32 v47, s2, 24
	v_mov_b32_e32 v1, 0xc00
	v_mov_b32_e32 v3, v13
	v_writelane_b32 v47, s3, 25
	v_mov_b32_e32 v2, 0
	v_mad_u64_u32 v[4:5], s[2:3], s27, v0, v[3:4]
	v_cmp_gt_u64_e64 s[2:3], s[28:29], v[1:2]
	v_mov_b32_e32 v3, 0
	v_writelane_b32 v47, s2, 26
	v_mov_b32_e32 v1, v3
	v_writelane_b32 v47, s3, 27
	v_cmp_gt_u64_e64 s[2:3], s[28:29], v[0:1]
	v_writelane_b32 v47, s2, 28
	v_writelane_b32 v47, s3, 29
	v_cmp_gt_u32_e64 s[2:3], 2, v0
	v_writelane_b32 v47, s2, 30
	s_barrier
	v_writelane_b32 v47, s3, 31
	s_load_dword s2, s[10:11], 0xc
	v_lshlrev_b32_e32 v2, 2, v26
	v_and_b32_e32 v23, 0x100, v2
	v_lshrrev_b32_e32 v2, 1, v0
	v_and_b32_e32 v2, 0x1e0, v2
	s_waitcnt lgkmcnt(0)
	s_and_b32 s33, s2, 0xffff
	s_bfe_u32 s2, s2, 0xa0006
	s_cmp_gt_u32 s33, 63
	s_cselect_b64 s[4:5], -1, 0
	v_writelane_b32 v47, s4, 32
	s_add_u32 s3, s33, -1
	v_writelane_b32 v47, s5, 33
	s_addc_u32 s4, 0, -1
	v_mov_b32_e32 v13, v4
	v_lshlrev_b64 v[4:5], v26, -1
	v_writelane_b32 v47, s3, 34
	s_add_u32 s3, s3, s28
	v_or_b32_e32 v27, 0xc00, v2
	v_add_u32_e32 v2, 2, v0
	s_addc_u32 s67, s4, s29
	v_cmp_gt_u64_e32 vcc, s[28:29], v[2:3]
	v_not_b32_e32 v25, v4
	s_cmp_lt_u32 s6, s14
	v_mov_b32_e32 v4, s29
	v_not_b32_e32 v24, v5
	v_writelane_b32 v47, s3, 35
	s_cselect_b32 s3, 12, 18
	v_cndmask_b32_e32 v5, 0, v4, vcc
	v_mov_b32_e32 v4, s28
	v_writelane_b32 v47, s4, 36
	s_add_u32 s4, s10, s3
	v_cndmask_b32_e32 v2, v2, v4, vcc
	v_not_b32_e32 v4, v0
	s_addc_u32 s5, s11, 0
	v_add_co_u32_e32 v4, vcc, v2, v4
	v_writelane_b32 v47, s4, 37
	v_addc_co_u32_e32 v5, vcc, -1, v5, vcc
	v_writelane_b32 v47, s5, 38
	v_cmp_lt_u64_e64 s[4:5], 3, v[4:5]
	s_add_i32 s3, s2, -1
	v_writelane_b32 v47, s4, 39
	v_writelane_b32 v47, s5, 40
	s_bfe_u32 s4, s33, 0x30006
	s_and_b32 s3, s3, 0xffff
	s_cmp_gt_u32 s3, 6
	s_cselect_b64 s[6:7], -1, 0
	v_writelane_b32 v47, s6, 41
	s_and_b32 s68, s2, 0x3f8
	v_writelane_b32 v47, s7, 42
	s_cmp_lg_u32 s4, 0
	v_writelane_b32 v47, s4, 43
	s_cselect_b64 s[2:3], -1, 0
	v_writelane_b32 v47, s2, 44
	v_writelane_b32 v47, s3, 45
	v_writelane_b32 v47, s20, 46
	s_load_dwordx4 s[4:7], s[20:21], 0x440
	v_writelane_b32 v47, s21, 47
	v_and_b32_e32 v16, -4, v4
	v_mov_b32_e32 v17, v5
	v_cmp_ne_u64_e64 s[2:3], v[4:5], v[16:17]
	s_waitcnt lgkmcnt(0)
	v_writelane_b32 v47, s4, 48
	v_writelane_b32 v47, s5, 49
	;; [unrolled: 1-line block ×5, first 2 shown]
	s_mov_b32 s66, s27
	v_writelane_b32 v47, s3, 53
	s_mov_b32 s58, s27
	v_mov_b32_e32 v2, 0xc00
	v_mov_b32_e32 v19, s30
	v_writelane_b32 v47, s66, 54
	v_cmp_eq_u32_e64 s[0:1], 0, v26
	v_lshlrev_b32_e32 v14, 2, v0
	v_mov_b32_e32 v15, v3
	v_add_co_u32_e32 v18, vcc, v16, v0
	s_mov_b32 s61, s26
	s_mov_b32 s62, s26
	;; [unrolled: 1-line block ×5, first 2 shown]
	v_lshl_or_b32 v29, v26, 3, v2
	s_mov_b64 s[74:75], 0
	s_mov_b32 s19, 0xc0c0004
	v_mov_b32_e32 v30, 0x4f800000
	v_mov_b32_e32 v31, 8
	;; [unrolled: 1-line block ×5, first 2 shown]
	s_mov_b32 s70, 0
	v_mov_b32_e32 v32, 0
	v_writelane_b32 v47, s58, 55
                                        ; implicit-def: $sgpr76_sgpr77
                                        ; implicit-def: $sgpr78_sgpr79
                                        ; implicit-def: $sgpr82_sgpr83
                                        ; implicit-def: $sgpr84_sgpr85
                                        ; implicit-def: $sgpr80_sgpr81
                                        ; implicit-def: $sgpr86_sgpr87
                                        ; implicit-def: $sgpr88_sgpr89
                                        ; implicit-def: $sgpr90_sgpr91
                                        ; implicit-def: $sgpr92_sgpr93
                                        ; implicit-def: $sgpr94_sgpr95
	v_writelane_b32 v47, s18, 56
	s_branch .LBB123_12
.LBB123_10:                             ;   in Loop: Header=BB123_12 Depth=1
	s_or_b64 exec, exec, s[4:5]
	s_andn2_b64 s[4:5], s[94:95], exec
	s_and_b64 s[8:9], s[8:9], exec
	v_mov_b32_e32 v20, v5
	s_or_b64 s[94:95], s[4:5], s[8:9]
	s_andn2_b64 s[92:93], s[92:93], exec
	s_andn2_b64 s[90:91], s[90:91], exec
	;; [unrolled: 1-line block ×4, first 2 shown]
	s_orn2_b64 s[6:7], s[6:7], exec
	v_mov_b32_e32 v19, v4
.LBB123_11:                             ;   in Loop: Header=BB123_12 Depth=1
	s_or_b64 exec, exec, s[2:3]
	s_and_b64 s[2:3], exec, s[6:7]
	s_or_b64 s[74:75], s[2:3], s[74:75]
	s_andn2_b64 s[2:3], s[80:81], exec
	s_and_b64 s[4:5], s[94:95], exec
	s_or_b64 s[80:81], s[2:3], s[4:5]
	s_andn2_b64 s[2:3], s[84:85], exec
	s_and_b64 s[4:5], s[92:93], exec
	;; [unrolled: 3-line block ×5, first 2 shown]
	s_or_b64 s[76:77], s[2:3], s[4:5]
	s_andn2_b64 exec, exec, s[74:75]
	s_cbranch_execz .LBB123_481
.LBB123_12:                             ; =>This Loop Header: Depth=1
                                        ;     Child Loop BB123_17 Depth 2
                                        ;     Child Loop BB123_31 Depth 2
	;; [unrolled: 1-line block ×25, first 2 shown]
	ds_read_b128 v[4:7], v3 offset:5120
	s_waitcnt lgkmcnt(0)
	v_readfirstlane_b32 s17, v5
	v_readfirstlane_b32 s16, v4
	s_cmp_lg_u64 s[16:17], 0
	s_cbranch_scc1 .LBB123_44
; %bb.13:                               ;   in Loop: Header=BB123_12 Depth=1
	v_readlane_b32 s2, v47, 26
	v_readlane_b32 s3, v47, 27
	s_and_b64 vcc, exec, s[2:3]
	s_cbranch_vccz .LBB123_25
; %bb.14:                               ;   in Loop: Header=BB123_12 Depth=1
	s_mov_b64 s[2:3], 0xc01
	v_cmp_gt_u64_e32 vcc, s[2:3], v[6:7]
	s_mov_b64 s[2:3], 0
	s_mov_b64 s[6:7], 0
	s_cbranch_vccz .LBB123_26
; %bb.15:                               ;   in Loop: Header=BB123_12 Depth=1
	v_readlane_b32 s4, v47, 37
	v_readlane_b32 s5, v47, 38
	global_load_ubyte v6, v[12:13], off
	v_mov_b32_e32 v5, v1
	s_mov_b64 s[8:9], 0
	v_mov_b32_e32 v4, v0
	s_nop 0
	global_load_ushort v2, v3, s[4:5]
	s_branch .LBB123_17
.LBB123_16:                             ;   in Loop: Header=BB123_17 Depth=2
	s_or_b64 exec, exec, s[4:5]
	s_waitcnt vmcnt(0)
	v_mov_b32_e32 v6, v7
	s_andn2_b64 exec, exec, s[8:9]
	s_cbranch_execz .LBB123_99
.LBB123_17:                             ;   Parent Loop BB123_12 Depth=1
                                        ; =>  This Inner Loop Header: Depth=2
	s_waitcnt vmcnt(0)
	v_add_co_u32_sdwa v4, vcc, v4, v2 dst_sel:DWORD dst_unused:UNUSED_PAD src0_sel:DWORD src1_sel:WORD_0
	v_addc_co_u32_e32 v5, vcc, 0, v5, vcc
	v_cmp_gt_u64_e64 s[6:7], s[28:29], v[4:5]
	v_cmp_le_u64_e32 vcc, s[28:29], v[4:5]
	s_waitcnt lgkmcnt(0)
	v_mov_b32_e32 v8, 0
	v_mov_b32_e32 v7, 0
	s_and_saveexec_b64 s[4:5], s[6:7]
	s_cbranch_execz .LBB123_19
; %bb.18:                               ;   in Loop: Header=BB123_17 Depth=2
	v_mov_b32_e32 v9, s34
	v_mov_b32_e32 v10, s35
	v_mad_u64_u32 v[9:10], s[6:7], v4, s26, v[9:10]
	v_mul_lo_u32 v7, v4, s27
	v_mul_lo_u32 v11, v5, s26
	v_add3_u32 v10, v11, v10, v7
	global_load_ubyte v7, v[9:10], off
.LBB123_19:                             ;   in Loop: Header=BB123_17 Depth=2
	s_or_b64 exec, exec, s[4:5]
	v_and_b32_e32 v9, v6, v32
	v_cmp_eq_u32_sdwa s[10:11], v9, v28 src0_sel:BYTE_0 src1_sel:DWORD
	s_cmp_lg_u64 s[10:11], 0
	s_cselect_b64 s[4:5], -1, 0
	s_and_b64 s[4:5], s[0:1], s[4:5]
	s_and_saveexec_b64 s[12:13], s[4:5]
	s_cbranch_execz .LBB123_23
; %bb.20:                               ;   in Loop: Header=BB123_17 Depth=2
	s_mov_b64 s[14:15], exec
	v_mbcnt_lo_u32_b32 v8, s14, 0
	v_mbcnt_hi_u32_b32 v8, s15, v8
	s_bcnt1_i32_b64 s16, s[10:11]
	v_cmp_eq_u32_e64 s[6:7], 0, v8
                                        ; implicit-def: $vgpr9
	s_and_saveexec_b64 s[4:5], s[6:7]
; %bb.21:                               ;   in Loop: Header=BB123_17 Depth=2
	s_bcnt1_i32_b64 s6, s[14:15]
	s_mul_i32 s6, s16, s6
	v_mov_b32_e32 v9, s6
	ds_add_rtn_u32 v9, v3, v9 offset:5144
; %bb.22:                               ;   in Loop: Header=BB123_17 Depth=2
	s_or_b64 exec, exec, s[4:5]
	s_waitcnt lgkmcnt(0)
	v_readfirstlane_b32 s4, v9
	v_mov_b32_e32 v9, s4
	v_mad_u32_u24 v8, s16, v8, v9
.LBB123_23:                             ;   in Loop: Header=BB123_17 Depth=2
	s_or_b64 exec, exec, s[12:13]
	ds_bpermute_b32 v8, v23, v8
	s_and_b64 s[4:5], exec, vcc
	s_or_b64 s[8:9], s[4:5], s[8:9]
	s_and_saveexec_b64 s[4:5], s[10:11]
	s_cbranch_execz .LBB123_16
; %bb.24:                               ;   in Loop: Header=BB123_17 Depth=2
	v_and_b32_e32 v10, s10, v25
	v_and_b32_e32 v9, s11, v24
	v_bcnt_u32_b32 v10, v10, 0
	v_bcnt_u32_b32 v9, v9, v10
	s_waitcnt lgkmcnt(0)
	v_add_u32_e32 v8, v8, v9
	ds_write_b8 v8, v6
	s_branch .LBB123_16
.LBB123_25:                             ;   in Loop: Header=BB123_12 Depth=1
	s_mov_b64 s[2:3], -1
	s_mov_b64 s[6:7], 0
.LBB123_26:                             ;   in Loop: Header=BB123_12 Depth=1
	s_and_b64 vcc, exec, s[2:3]
	s_cbranch_vccz .LBB123_42
.LBB123_27:                             ;   in Loop: Header=BB123_12 Depth=1
	s_mov_b64 s[2:3], exec
	v_readlane_b32 s4, v47, 28
	v_readlane_b32 s5, v47, 29
	s_and_b64 s[4:5], s[2:3], s[4:5]
	s_mov_b64 exec, s[4:5]
	s_cbranch_execz .LBB123_39
; %bb.28:                               ;   in Loop: Header=BB123_12 Depth=1
	v_readlane_b32 s4, v47, 37
	v_readlane_b32 s5, v47, 38
	s_nop 4
	global_load_ushort v2, v3, s[4:5]
	global_load_ubyte v34, v[12:13], off
	v_mov_b32_e32 v4, v0
	s_waitcnt vmcnt(1)
	v_readfirstlane_b32 s4, v2
	v_add_u32_sdwa v2, v2, v0 dst_sel:DWORD dst_unused:UNUSED_PAD src0_sel:WORD_0 src1_sel:DWORD
	v_cmp_gt_u64_e32 vcc, s[28:29], v[2:3]
	s_and_saveexec_b64 s[8:9], vcc
	s_cbranch_execz .LBB123_38
; %bb.29:                               ;   in Loop: Header=BB123_12 Depth=1
	s_and_b32 s4, s4, 0xffff
	s_cmp_eq_u32 s4, 1
	v_readlane_b32 s10, v47, 39
                                        ; implicit-def: $vgpr4_vgpr5
	s_cselect_b64 s[6:7], -1, 0
	v_readlane_b32 s11, v47, 40
	v_mov_b32_e32 v8, v1
	v_mov_b32_e32 v6, v3
	s_and_b64 s[10:11], s[10:11], s[6:7]
	s_mov_b64 s[12:13], -1
	v_mov_b32_e32 v7, v0
	v_mov_b32_e32 v5, v2
	s_and_saveexec_b64 s[6:7], s[10:11]
	s_cbranch_execz .LBB123_33
; %bb.30:                               ;   in Loop: Header=BB123_12 Depth=1
	v_add_co_u32_e32 v8, vcc, 3, v2
	v_addc_co_u32_e64 v9, s[10:11], 0, 0, vcc
	v_add_co_u32_e32 v6, vcc, 2, v2
	v_addc_co_u32_e64 v7, s[10:11], 0, 0, vcc
	;; [unrolled: 2-line block ×3, first 2 shown]
	v_mov_b32_e32 v22, v17
	v_mov_b32_e32 v11, v9
	s_waitcnt vmcnt(0)
	v_lshlrev_b32_e32 v36, 24, v34
	s_mov_b64 s[10:11], 0
	v_mov_b32_e32 v21, v16
	v_mov_b32_e32 v35, v0
	;; [unrolled: 1-line block ×9, first 2 shown]
.LBB123_31:                             ;   Parent Loop BB123_12 Depth=1
                                        ; =>  This Inner Loop Header: Depth=2
	v_mul_lo_u32 v34, v9, s62
	v_mul_lo_u32 v39, v8, s58
	v_mad_u64_u32 v[37:38], s[12:13], v8, s62, 0
	v_mul_lo_u32 v40, v7, s26
	v_mul_lo_u32 v41, v6, s27
	v_add3_u32 v34, v38, v39, v34
	v_mad_u64_u32 v[38:39], s[12:13], v6, s26, 0
	v_mul_lo_u32 v43, v4, s66
	v_mul_lo_u32 v45, v11, s63
	v_add3_u32 v42, v39, v41, v40
	v_mul_lo_u32 v41, v5, s61
	v_mad_u64_u32 v[39:40], s[12:13], v4, s61, 0
	s_mov_b32 s5, 0xc0c0007
	v_add3_u32 v40, v40, v43, v41
	v_add_co_u32_e32 v39, vcc, s34, v39
	v_mov_b32_e32 v41, s35
	v_addc_co_u32_e32 v40, vcc, v41, v40, vcc
	v_add_co_u32_e32 v41, vcc, s34, v38
	v_mov_b32_e32 v38, s35
	v_addc_co_u32_e32 v42, vcc, v38, v42, vcc
	v_mov_b32_e32 v44, s35
	v_add_co_u32_e32 v37, vcc, s34, v37
	v_mov_b32_e32 v43, s34
	v_addc_co_u32_e32 v38, vcc, v38, v34, vcc
	v_mad_u64_u32 v[43:44], s[12:13], v10, s63, v[43:44]
	v_mul_lo_u32 v34, v10, s18
	v_add_co_u32_e32 v10, vcc, 4, v10
	v_addc_co_u32_e32 v11, vcc, 0, v11, vcc
	v_add3_u32 v44, v45, v44, v34
	global_load_ubyte v34, v[43:44], off
	s_nop 0
	global_load_ubyte v41, v[41:42], off
	s_nop 0
	global_load_ubyte v39, v[39:40], off
	v_add_co_u32_e32 v8, vcc, 4, v8
	global_load_ubyte v37, v[37:38], off
	v_addc_co_u32_e32 v9, vcc, 0, v9, vcc
	v_add_co_u32_e32 v6, vcc, 4, v6
	v_addc_co_u32_e32 v7, vcc, 0, v7, vcc
	v_add_co_u32_e32 v4, vcc, 4, v4
	v_addc_co_u32_e32 v5, vcc, 0, v5, vcc
	v_add_co_u32_e32 v21, vcc, -4, v21
	v_addc_co_u32_e32 v22, vcc, -1, v22, vcc
	v_cmp_eq_u64_e32 vcc, 0, v[21:22]
	s_or_b64 s[10:11], vcc, s[10:11]
	s_waitcnt vmcnt(1)
	v_perm_b32 v40, v39, v41, s19
	v_perm_b32 v36, v36, v39, s5
	s_waitcnt vmcnt(0)
	v_perm_b32 v38, v37, v34, s19
	v_perm_b32 v37, v41, v37, s19
	v_lshl_or_b32 v38, v38, 16, v40
	v_lshl_or_b32 v36, v37, 16, v36
	ds_write_b32 v35, v36
	v_add_u32_e32 v35, 4, v35
	v_mov_b32_e32 v36, v38
	s_andn2_b64 exec, exec, s[10:11]
	s_cbranch_execnz .LBB123_31
; %bb.32:                               ;   in Loop: Header=BB123_12 Depth=1
	s_or_b64 exec, exec, s[10:11]
	v_readlane_b32 s10, v47, 52
	v_add_co_u32_e32 v5, vcc, v2, v16
	v_readlane_b32 s11, v47, 53
	v_addc_co_u32_e32 v6, vcc, 0, v17, vcc
	v_add_co_u32_e32 v4, vcc, -1, v5
	s_orn2_b64 s[12:13], s[10:11], exec
	v_mov_b32_e32 v7, v18
	v_mov_b32_e32 v8, v19
.LBB123_33:                             ;   in Loop: Header=BB123_12 Depth=1
	s_or_b64 exec, exec, s[6:7]
	s_and_saveexec_b64 s[10:11], s[12:13]
	s_cbranch_execz .LBB123_37
; %bb.34:                               ;   in Loop: Header=BB123_12 Depth=1
	s_mov_b64 s[12:13], 0
	s_sub_u32 s5, 0, s4
.LBB123_35:                             ;   Parent Loop BB123_12 Depth=1
                                        ; =>  This Inner Loop Header: Depth=2
	v_mov_b32_e32 v9, v6
	v_mov_b32_e32 v8, v5
	;; [unrolled: 1-line block ×4, first 2 shown]
	v_mad_u64_u32 v[4:5], s[6:7], v8, s26, v[4:5]
	v_mul_lo_u32 v2, v8, s27
	v_mul_lo_u32 v6, v9, s26
	s_waitcnt vmcnt(0)
	ds_write_b8 v7, v34
	v_add3_u32 v5, v6, v5, v2
	global_load_ubyte v2, v[4:5], off
	v_add_co_u32_e32 v5, vcc, s4, v8
	v_addc_co_u32_e32 v6, vcc, 0, v9, vcc
	v_cmp_le_u64_e32 vcc, s[28:29], v[5:6]
	v_mov_b32_e32 v7, v8
	v_add_co_u32_e64 v4, s[6:7], s5, v5
	s_or_b64 s[12:13], vcc, s[12:13]
	v_mov_b32_e32 v8, v9
	s_waitcnt vmcnt(0)
	v_mov_b32_e32 v34, v2
	s_andn2_b64 exec, exec, s[12:13]
	s_cbranch_execnz .LBB123_35
; %bb.36:                               ;   in Loop: Header=BB123_12 Depth=1
	s_or_b64 exec, exec, s[12:13]
	v_mov_b32_e32 v34, v2
.LBB123_37:                             ;   in Loop: Header=BB123_12 Depth=1
	s_or_b64 exec, exec, s[10:11]
.LBB123_38:                             ;   in Loop: Header=BB123_12 Depth=1
	s_or_b64 exec, exec, s[8:9]
	s_waitcnt vmcnt(0)
	ds_write_b8 v4, v34
.LBB123_39:                             ;   in Loop: Header=BB123_12 Depth=1
	s_or_b64 exec, exec, s[2:3]
	s_waitcnt lgkmcnt(0)
	s_barrier
	s_mov_b64 s[2:3], exec
	v_readlane_b32 s4, v47, 12
	v_readlane_b32 s5, v47, 13
	s_and_b64 s[4:5], s[2:3], s[4:5]
	s_mov_b64 exec, s[4:5]
; %bb.40:                               ;   in Loop: Header=BB123_12 Depth=1
	v_mov_b32_e32 v4, s28
	v_mov_b32_e32 v5, s29
	ds_write_b64 v3, v[4:5] offset:5120
; %bb.41:                               ;   in Loop: Header=BB123_12 Depth=1
	s_or_b64 exec, exec, s[2:3]
	s_mov_b64 s[6:7], -1
	s_waitcnt lgkmcnt(0)
	s_barrier
.LBB123_42:                             ;   in Loop: Header=BB123_12 Depth=1
	s_mov_b64 s[16:17], 0
	s_and_b64 vcc, exec, s[6:7]
	s_cbranch_vccz .LBB123_44
; %bb.43:                               ;   in Loop: Header=BB123_12 Depth=1
	ds_read_b64 v[4:5], v3 offset:5120
	s_waitcnt lgkmcnt(0)
	v_readfirstlane_b32 s16, v4
.LBB123_44:                             ;   in Loop: Header=BB123_12 Depth=1
	s_cmp_lt_i32 s16, 1
	s_mov_b64 s[2:3], -1
                                        ; implicit-def: $vgpr10_vgpr11
                                        ; implicit-def: $vgpr6_vgpr7
	s_cbranch_scc1 .LBB123_54
; %bb.45:                               ;   in Loop: Header=BB123_12 Depth=1
	s_and_b64 vcc, exec, s[2:3]
	s_cbranch_vccnz .LBB123_68
.LBB123_46:                             ;   in Loop: Header=BB123_12 Depth=1
	s_lshl_b32 s4, s70, 6
	s_and_saveexec_b64 s[2:3], s[0:1]
	s_cbranch_execz .LBB123_48
.LBB123_47:                             ;   in Loop: Header=BB123_12 Depth=1
	v_lshl_add_u32 v2, s4, 3, v27
	ds_write_b128 v2, v[4:7]
	ds_write_b128 v2, v[8:11] offset:16
.LBB123_48:                             ;   in Loop: Header=BB123_12 Depth=1
	s_or_b64 exec, exec, s[2:3]
	s_waitcnt lgkmcnt(0)
	s_barrier
	s_mov_b64 s[2:3], exec
	v_readlane_b32 s6, v47, 24
	v_readlane_b32 s7, v47, 25
	s_and_b64 s[6:7], s[2:3], s[6:7]
	s_mov_b64 exec, s[6:7]
	s_cbranch_execz .LBB123_83
; %bb.49:                               ;   in Loop: Header=BB123_12 Depth=1
	v_readlane_b32 s6, v47, 32
	v_mov_b32_e32 v4, 0
	v_readlane_b32 s7, v47, 33
	v_mov_b32_e32 v5, 0
	s_andn2_b64 vcc, exec, s[6:7]
	s_cbranch_vccnz .LBB123_82
; %bb.50:                               ;   in Loop: Header=BB123_12 Depth=1
	v_readlane_b32 s6, v47, 41
	v_readlane_b32 s7, v47, 42
	s_andn2_b64 vcc, exec, s[6:7]
	s_cbranch_vccnz .LBB123_78
; %bb.51:                               ;   in Loop: Header=BB123_12 Depth=1
	v_mov_b32_e32 v4, 0
	v_lshl_add_u32 v2, s70, 9, v29
	v_mov_b32_e32 v5, 0
	s_mov_b32 s5, 0
.LBB123_52:                             ;   Parent Loop BB123_12 Depth=1
                                        ; =>  This Inner Loop Header: Depth=2
	ds_read2_b64 v[6:9], v2 offset1:4
	s_add_i32 s5, s5, 8
	s_cmp_eq_u32 s68, s5
	s_waitcnt lgkmcnt(0)
	v_add_co_u32_e32 v4, vcc, v6, v4
	v_addc_co_u32_e32 v5, vcc, v7, v5, vcc
	v_add_co_u32_e32 v8, vcc, v8, v4
	v_addc_co_u32_e32 v9, vcc, v9, v5, vcc
	ds_read2_b64 v[4:7], v2 offset0:8 offset1:12
	s_waitcnt lgkmcnt(0)
	v_add_co_u32_e32 v4, vcc, v4, v8
	v_addc_co_u32_e32 v5, vcc, v5, v9, vcc
	v_add_co_u32_e32 v8, vcc, v6, v4
	v_addc_co_u32_e32 v9, vcc, v7, v5, vcc
	ds_read2_b64 v[4:7], v2 offset0:16 offset1:20
	;; [unrolled: 6-line block ×3, first 2 shown]
	v_add_u32_e32 v2, 0x100, v2
	s_waitcnt lgkmcnt(0)
	v_add_co_u32_e32 v4, vcc, v4, v8
	v_addc_co_u32_e32 v5, vcc, v5, v9, vcc
	v_add_co_u32_e32 v4, vcc, v6, v4
	v_addc_co_u32_e32 v5, vcc, v7, v5, vcc
	s_cbranch_scc0 .LBB123_52
; %bb.53:                               ;   in Loop: Header=BB123_12 Depth=1
	s_mov_b32 s5, s68
	s_branch .LBB123_79
.LBB123_54:                             ;   in Loop: Header=BB123_12 Depth=1
	v_readlane_b32 s2, v47, 37
	v_readlane_b32 s3, v47, 38
	s_nop 4
	global_load_ushort v2, v3, s[2:3]
	s_mov_b32 s2, s59
	s_waitcnt vmcnt(0)
	v_readfirstlane_b32 s3, v2
	s_and_b32 s3, 0xffff, s3
	s_lshl_b32 s8, s3, 2
	s_mov_b32 s3, s29
	s_cmp_lg_u64 s[2:3], 0
	s_cbranch_scc0 .LBB123_77
; %bb.55:                               ;   in Loop: Header=BB123_12 Depth=1
	v_cvt_f32_u32_e32 v4, s8
	s_sub_u32 s4, 0, s8
	s_subb_u32 s5, 0, 0
	v_mac_f32_e32 v4, 0, v30
	v_rcp_f32_e32 v4, v4
	v_mul_f32_e32 v4, 0x5f7ffffc, v4
	v_mul_f32_e32 v5, 0x2f800000, v4
	v_trunc_f32_e32 v5, v5
	v_mac_f32_e32 v4, 0xcf800000, v5
	v_cvt_u32_f32_e32 v5, v5
	v_cvt_u32_f32_e32 v4, v4
	v_readfirstlane_b32 s6, v5
	v_readfirstlane_b32 s2, v4
	s_mul_i32 s3, s4, s6
	s_mul_hi_u32 s9, s4, s2
	s_mul_i32 s7, s5, s2
	s_add_i32 s3, s9, s3
	s_mul_i32 s10, s4, s2
	s_add_i32 s3, s3, s7
	s_mul_hi_u32 s9, s2, s10
	s_mul_i32 s11, s2, s3
	s_mul_hi_u32 s7, s2, s3
	s_add_u32 s9, s9, s11
	s_addc_u32 s7, 0, s7
	s_mul_hi_u32 s12, s6, s10
	s_mul_i32 s10, s6, s10
	s_add_u32 s9, s9, s10
	s_mul_hi_u32 s11, s6, s3
	s_addc_u32 s7, s7, s12
	s_addc_u32 s9, s11, 0
	s_mul_i32 s3, s6, s3
	s_add_u32 s3, s7, s3
	s_addc_u32 s7, 0, s9
	s_add_u32 s9, s2, s3
	s_cselect_b64 s[2:3], -1, 0
	s_cmp_lg_u64 s[2:3], 0
	s_addc_u32 s6, s6, s7
	s_mul_i32 s2, s4, s6
	s_mul_hi_u32 s3, s4, s9
	s_add_i32 s2, s3, s2
	s_mul_i32 s5, s5, s9
	s_add_i32 s2, s2, s5
	s_mul_i32 s4, s4, s9
	s_mul_hi_u32 s5, s6, s4
	s_mul_i32 s7, s6, s4
	s_mul_i32 s11, s9, s2
	s_mul_hi_u32 s4, s9, s4
	s_mul_hi_u32 s10, s9, s2
	s_add_u32 s4, s4, s11
	s_addc_u32 s10, 0, s10
	s_add_u32 s4, s4, s7
	s_mul_hi_u32 s3, s6, s2
	s_addc_u32 s4, s10, s5
	s_addc_u32 s3, s3, 0
	s_mul_i32 s2, s6, s2
	s_add_u32 s2, s4, s2
	s_addc_u32 s4, 0, s3
	s_add_u32 s5, s9, s2
	s_cselect_b64 s[2:3], -1, 0
	s_cmp_lg_u64 s[2:3], 0
	s_addc_u32 s2, s6, s4
	s_mul_i32 s4, s28, s2
	s_mul_hi_u32 s6, s28, s5
	s_mul_hi_u32 s3, s28, s2
	s_add_u32 s4, s6, s4
	s_addc_u32 s3, 0, s3
	s_mul_hi_u32 s7, s29, s5
	s_mul_i32 s5, s29, s5
	s_add_u32 s4, s4, s5
	s_mul_hi_u32 s6, s29, s2
	s_addc_u32 s3, s3, s7
	s_addc_u32 s4, s6, 0
	s_mul_i32 s2, s29, s2
	s_add_u32 s2, s3, s2
	s_addc_u32 s3, 0, s4
	s_mul_i32 s3, s8, s3
	s_mul_hi_u32 s4, s8, s2
	s_add_i32 s4, s4, s3
	s_mul_i32 s2, s8, s2
	s_sub_u32 s5, s28, s2
	s_cselect_b64 s[2:3], -1, 0
	s_cmp_lg_u64 s[2:3], 0
	s_subb_u32 s4, s29, s4
	s_sub_u32 s6, s5, s8
	s_cselect_b64 s[2:3], -1, 0
	s_cmp_lg_u64 s[2:3], 0
	s_subb_u32 s7, s4, 0
	;; [unrolled: 4-line block ×3, first 2 shown]
	s_cmp_ge_u32 s6, s8
	s_cselect_b32 s3, -1, 0
	s_cmp_eq_u32 s7, 0
	s_cselect_b32 s3, s3, -1
	s_cmp_lg_u32 s3, 0
	s_cselect_b32 s2, s2, s7
	s_cselect_b32 s6, s9, s6
	s_cmp_ge_u32 s5, s8
	s_cselect_b32 s3, -1, 0
	s_cmp_eq_u32 s4, 0
	s_cselect_b32 s3, s3, -1
	s_cmp_lg_u32 s3, 0
	s_cselect_b32 s3, s2, s4
	s_cselect_b32 s2, s6, s5
	s_cbranch_execnz .LBB123_57
.LBB123_56:                             ;   in Loop: Header=BB123_12 Depth=1
	v_cvt_f32_u32_e32 v4, s8
	s_sub_i32 s2, 0, s8
	v_rcp_iflag_f32_e32 v4, v4
	v_mul_f32_e32 v4, 0x4f7ffffe, v4
	v_cvt_u32_f32_e32 v4, v4
	v_readfirstlane_b32 s3, v4
	s_mul_i32 s2, s2, s3
	s_mul_hi_u32 s2, s3, s2
	s_add_i32 s3, s3, s2
	s_mul_hi_u32 s2, s28, s3
	s_mul_i32 s2, s2, s8
	s_sub_i32 s2, s28, s2
	s_sub_i32 s3, s2, s8
	s_cmp_ge_u32 s2, s8
	s_cselect_b32 s2, s3, s2
	s_sub_i32 s3, s2, s8
	s_cmp_ge_u32 s2, s8
	s_cselect_b32 s58, s3, s2
	s_mov_b64 s[2:3], s[58:59]
	v_readlane_b32 s58, v47, 55
.LBB123_57:                             ;   in Loop: Header=BB123_12 Depth=1
	s_sub_u32 s14, s28, s2
	s_subb_u32 s15, s29, s3
	v_cmp_gt_u64_e32 vcc, s[14:15], v[14:15]
	v_mov_b32_e32 v4, 0
	v_mov_b32_e32 v6, 0
	v_mov_b32_e32 v8, 0
	v_mov_b32_e32 v10, 0
	v_mov_b32_e32 v5, 0
	v_mov_b32_e32 v7, 0
	v_mov_b32_e32 v9, 0
	v_mov_b32_e32 v11, 0
	s_and_saveexec_b64 s[20:21], vcc
	s_cbranch_execz .LBB123_61
; %bb.58:                               ;   in Loop: Header=BB123_12 Depth=1
	v_mov_b32_e32 v22, v15
	s_mov_b64 s[36:37], 0
	s_mov_b64 s[38:39], 0
	;; [unrolled: 1-line block ×5, first 2 shown]
	v_mov_b32_e32 v21, v14
.LBB123_59:                             ;   Parent Loop BB123_12 Depth=1
                                        ; =>  This Inner Loop Header: Depth=2
	v_mov_b32_e32 v4, s34
	v_mov_b32_e32 v5, s35
	v_mad_u64_u32 v[4:5], s[2:3], v21, s26, v[4:5]
	v_mul_lo_u32 v6, v21, s27
	v_mul_lo_u32 v7, v22, s26
	v_mov_b32_e32 v8, s27
	v_mov_b32_e32 v9, s27
	v_add3_u32 v5, v7, v5, v6
	global_load_ubyte v6, v[4:5], off
	v_add_co_u32_e32 v4, vcc, s26, v4
	v_mov_b32_e32 v7, s27
	v_addc_co_u32_e32 v5, vcc, v5, v7, vcc
	global_load_ubyte v7, v[4:5], off
	v_add_co_u32_e32 v4, vcc, s26, v4
	v_addc_co_u32_e32 v5, vcc, v5, v8, vcc
	global_load_ubyte v8, v[4:5], off
	v_add_co_u32_e32 v4, vcc, s26, v4
	v_addc_co_u32_e32 v5, vcc, v5, v9, vcc
	global_load_ubyte v4, v[4:5], off
	s_waitcnt vmcnt(3)
	v_and_b32_e32 v5, v32, v6
	v_cmp_eq_u32_e32 vcc, v5, v28
	s_waitcnt vmcnt(2)
	v_and_b32_e32 v5, v32, v7
	v_cmp_eq_u32_e64 s[6:7], v5, v28
	s_waitcnt vmcnt(1)
	v_and_b32_e32 v5, v32, v8
	v_cmp_eq_u32_e64 s[18:19], v5, v28
	;; [unrolled: 3-line block ×3, first 2 shown]
	v_bfe_u32 v5, v6, s69, 2
	v_bfe_u32 v6, v7, s69, 2
	v_cmp_eq_u32_e64 s[24:25], 0, v5
	v_bfe_u32 v7, v8, s69, 2
	s_and_b64 s[2:3], vcc, s[24:25]
	v_cmp_eq_u32_e64 s[24:25], 0, v6
	v_bfe_u32 v4, v4, s69, 2
	s_and_b64 s[4:5], s[6:7], s[24:25]
	v_cmp_eq_u32_e64 s[24:25], 0, v7
	s_and_b64 s[10:11], s[18:19], s[24:25]
	v_cmp_eq_u32_e64 s[24:25], 0, v4
	v_cndmask_b32_e64 v8, 0, 1, s[2:3]
	s_and_b64 s[12:13], s[22:23], s[24:25]
	v_cmp_ne_u32_e64 s[24:25], 0, v8
	v_cndmask_b32_e64 v8, 0, 1, s[4:5]
	s_bcnt1_i32_b64 s2, s[24:25]
	v_cmp_ne_u32_e64 s[24:25], 0, v8
	v_cndmask_b32_e64 v8, 0, 1, s[10:11]
	s_bcnt1_i32_b64 s3, s[24:25]
	;; [unrolled: 3-line block ×3, first 2 shown]
	v_cmp_ne_u32_e64 s[24:25], 0, v8
	s_bcnt1_i32_b64 s5, s[24:25]
	s_add_u32 s2, s2, s46
	s_addc_u32 s9, 0, s47
	s_add_u32 s2, s2, s3
	s_addc_u32 s3, s9, 0
	;; [unrolled: 2-line block ×3, first 2 shown]
	s_add_u32 s46, s2, s5
	v_cmp_eq_u32_e64 s[24:25], 1, v5
	s_addc_u32 s47, s3, 0
	s_and_b64 s[2:3], vcc, s[24:25]
	v_cmp_eq_u32_e64 s[24:25], 1, v6
	s_and_b64 s[4:5], s[6:7], s[24:25]
	v_cmp_eq_u32_e64 s[24:25], 1, v7
	s_and_b64 s[10:11], s[18:19], s[24:25]
	v_cmp_eq_u32_e64 s[24:25], 1, v4
	v_cndmask_b32_e64 v8, 0, 1, s[2:3]
	s_and_b64 s[12:13], s[22:23], s[24:25]
	v_cmp_ne_u32_e64 s[24:25], 0, v8
	v_cndmask_b32_e64 v8, 0, 1, s[4:5]
	s_bcnt1_i32_b64 s2, s[24:25]
	v_cmp_ne_u32_e64 s[24:25], 0, v8
	v_cndmask_b32_e64 v8, 0, 1, s[10:11]
	s_bcnt1_i32_b64 s3, s[24:25]
	;; [unrolled: 3-line block ×3, first 2 shown]
	v_cmp_ne_u32_e64 s[24:25], 0, v8
	s_bcnt1_i32_b64 s5, s[24:25]
	s_add_u32 s2, s2, s42
	s_addc_u32 s9, 0, s43
	s_add_u32 s2, s2, s3
	s_addc_u32 s3, s9, 0
	;; [unrolled: 2-line block ×3, first 2 shown]
	s_add_u32 s42, s2, s5
	v_cmp_eq_u32_e64 s[24:25], 2, v5
	s_addc_u32 s43, s3, 0
	s_and_b64 s[2:3], vcc, s[24:25]
	v_cmp_eq_u32_e64 s[24:25], 2, v6
	s_and_b64 s[4:5], s[6:7], s[24:25]
	v_cmp_eq_u32_e64 s[24:25], 2, v7
	s_and_b64 s[10:11], s[18:19], s[24:25]
	v_cmp_eq_u32_e64 s[24:25], 2, v4
	v_cndmask_b32_e64 v8, 0, 1, s[2:3]
	s_and_b64 s[12:13], s[22:23], s[24:25]
	v_cmp_ne_u32_e64 s[24:25], 0, v8
	v_cndmask_b32_e64 v8, 0, 1, s[4:5]
	s_bcnt1_i32_b64 s2, s[24:25]
	v_cmp_ne_u32_e64 s[24:25], 0, v8
	v_cndmask_b32_e64 v8, 0, 1, s[10:11]
	s_bcnt1_i32_b64 s3, s[24:25]
	;; [unrolled: 3-line block ×3, first 2 shown]
	v_cmp_ne_u32_e64 s[24:25], 0, v8
	s_bcnt1_i32_b64 s5, s[24:25]
	s_add_u32 s2, s2, s40
	s_addc_u32 s9, 0, s41
	s_add_u32 s2, s2, s3
	s_addc_u32 s3, s9, 0
	s_add_u32 s2, s2, s4
	s_addc_u32 s3, s3, 0
	s_add_u32 s40, s2, s5
	v_cmp_eq_u32_e64 s[24:25], 3, v5
	s_addc_u32 s41, s3, 0
	s_and_b64 s[2:3], vcc, s[24:25]
	v_cmp_eq_u32_e32 vcc, 3, v6
	s_and_b64 s[4:5], s[6:7], vcc
	v_cmp_eq_u32_e32 vcc, 3, v7
	s_and_b64 s[6:7], s[18:19], vcc
	v_cmp_eq_u32_e32 vcc, 3, v4
	v_cndmask_b32_e64 v4, 0, 1, s[2:3]
	s_and_b64 s[10:11], s[22:23], vcc
	v_cmp_ne_u32_e32 vcc, 0, v4
	v_cndmask_b32_e64 v4, 0, 1, s[4:5]
	s_bcnt1_i32_b64 s2, vcc
	v_cmp_ne_u32_e32 vcc, 0, v4
	v_cndmask_b32_e64 v4, 0, 1, s[6:7]
	s_bcnt1_i32_b64 s3, vcc
	;; [unrolled: 3-line block ×3, first 2 shown]
	v_cmp_ne_u32_e32 vcc, 0, v4
	s_bcnt1_i32_b64 s5, vcc
	s_add_u32 s2, s2, s38
	s_addc_u32 s6, 0, s39
	s_add_u32 s2, s2, s3
	s_addc_u32 s3, s6, 0
	s_add_u32 s2, s2, s4
	v_add_co_u32_e32 v21, vcc, s8, v21
	s_addc_u32 s3, s3, 0
	v_addc_co_u32_e32 v22, vcc, 0, v22, vcc
	s_add_u32 s38, s2, s5
	v_cmp_le_u64_e32 vcc, s[14:15], v[21:22]
	s_addc_u32 s39, s3, 0
	v_mov_b32_e32 v4, s46
	v_mov_b32_e32 v6, s42
	;; [unrolled: 1-line block ×4, first 2 shown]
	s_or_b64 s[36:37], vcc, s[36:37]
	v_mov_b32_e32 v5, s47
	v_mov_b32_e32 v7, s43
	v_mov_b32_e32 v9, s41
	v_mov_b32_e32 v11, s39
	s_andn2_b64 exec, exec, s[36:37]
	s_cbranch_execnz .LBB123_59
; %bb.60:                               ;   in Loop: Header=BB123_12 Depth=1
	s_or_b64 exec, exec, s[36:37]
.LBB123_61:                             ;   in Loop: Header=BB123_12 Depth=1
	s_or_b64 exec, exec, s[20:21]
	v_mov_b32_e32 v22, s15
	v_add_co_u32_e32 v21, vcc, s14, v0
	v_addc_co_u32_e32 v22, vcc, 0, v22, vcc
	v_cmp_gt_u64_e32 vcc, s[28:29], v[21:22]
	s_and_saveexec_b64 s[2:3], vcc
	s_cbranch_execz .LBB123_67
; %bb.62:                               ;   in Loop: Header=BB123_12 Depth=1
	v_mov_b32_e32 v34, s34
	v_mov_b32_e32 v35, s35
	v_mad_u64_u32 v[34:35], s[4:5], v21, s26, v[34:35]
	v_mul_lo_u32 v36, v21, s27
	v_mul_lo_u32 v37, v22, s26
	s_mov_b64 s[8:9], 0
	v_add3_u32 v35, v37, v35, v36
	global_load_ubyte v35, v[34:35], off
	s_branch .LBB123_64
.LBB123_63:                             ;   in Loop: Header=BB123_64 Depth=2
	s_or_b64 exec, exec, s[4:5]
	s_waitcnt vmcnt(0)
	v_and_b32_e32 v35, 0xff, v35
	s_and_b64 s[4:5], exec, vcc
	v_and_b32_e32 v36, v32, v35
	v_bfe_u32 v35, v35, s69, 2
	s_or_b64 s[8:9], s[4:5], s[8:9]
	v_cmp_eq_u32_e32 vcc, v36, v28
	v_cmp_eq_u32_e64 s[6:7], 0, v35
	s_and_b64 s[4:5], vcc, s[6:7]
	v_cndmask_b32_e64 v36, 0, 1, s[4:5]
	v_cmp_ne_u32_e64 s[6:7], 0, v36
	s_bcnt1_i32_b64 s4, s[6:7]
	v_add_co_u32_e64 v4, s[6:7], s4, v4
	v_addc_co_u32_e64 v5, s[6:7], 0, v5, s[6:7]
	v_cmp_eq_u32_e64 s[6:7], 1, v35
	s_and_b64 s[4:5], vcc, s[6:7]
	v_cndmask_b32_e64 v36, 0, 1, s[4:5]
	v_cmp_ne_u32_e64 s[6:7], 0, v36
	s_bcnt1_i32_b64 s4, s[6:7]
	v_add_co_u32_e64 v6, s[6:7], s4, v6
	v_addc_co_u32_e64 v7, s[6:7], 0, v7, s[6:7]
	;; [unrolled: 7-line block ×3, first 2 shown]
	v_cmp_eq_u32_e64 s[6:7], 3, v35
	s_and_b64 s[4:5], vcc, s[6:7]
	v_cndmask_b32_e64 v35, 0, 1, s[4:5]
	v_cmp_ne_u32_e32 vcc, 0, v35
	s_bcnt1_i32_b64 s4, vcc
	v_add_co_u32_e32 v10, vcc, s4, v10
	v_addc_co_u32_e32 v11, vcc, 0, v11, vcc
	v_mov_b32_e32 v35, v34
	s_andn2_b64 exec, exec, s[8:9]
	s_cbranch_execz .LBB123_66
.LBB123_64:                             ;   Parent Loop BB123_12 Depth=1
                                        ; =>  This Inner Loop Header: Depth=2
	v_add_co_u32_sdwa v21, vcc, v21, v2 dst_sel:DWORD dst_unused:UNUSED_PAD src0_sel:DWORD src1_sel:WORD_0
	v_addc_co_u32_e32 v22, vcc, 0, v22, vcc
	v_cmp_gt_u64_e64 s[6:7], s[28:29], v[21:22]
	v_cmp_le_u64_e32 vcc, s[28:29], v[21:22]
	v_mov_b32_e32 v34, 0
	s_and_saveexec_b64 s[4:5], s[6:7]
	s_cbranch_execz .LBB123_63
; %bb.65:                               ;   in Loop: Header=BB123_64 Depth=2
	v_mov_b32_e32 v37, s35
	v_mov_b32_e32 v36, s34
	v_mad_u64_u32 v[36:37], s[6:7], v21, s26, v[36:37]
	v_mul_lo_u32 v34, v21, s27
	v_mul_lo_u32 v38, v22, s26
	v_add3_u32 v37, v38, v37, v34
	global_load_ubyte v34, v[36:37], off
	s_branch .LBB123_63
.LBB123_66:                             ;   in Loop: Header=BB123_12 Depth=1
	s_or_b64 exec, exec, s[8:9]
.LBB123_67:                             ;   in Loop: Header=BB123_12 Depth=1
	s_or_b64 exec, exec, s[2:3]
	s_branch .LBB123_46
.LBB123_68:                             ;   in Loop: Header=BB123_12 Depth=1
	v_readlane_b32 s2, v47, 37
	v_readlane_b32 s3, v47, 38
	v_mov_b32_e32 v8, 0
	v_mov_b32_e32 v9, 0
	s_nop 2
	global_load_ushort v2, v3, s[2:3]
	s_waitcnt vmcnt(0)
	v_readfirstlane_b32 s2, v2
	s_and_b32 s4, 0xffff, s2
	s_lshl_b32 s2, s4, 2
	v_cvt_f32_u32_e32 v4, s2
	s_sub_i32 s3, 0, s2
	v_rcp_iflag_f32_e32 v6, v4
	v_mov_b32_e32 v4, 0
	v_mov_b32_e32 v5, 0
	v_mul_f32_e32 v6, 0x4f7ffffe, v6
	v_cvt_u32_f32_e32 v10, v6
	v_mov_b32_e32 v6, 0
	v_mov_b32_e32 v7, 0
	v_readfirstlane_b32 s5, v10
	s_mul_i32 s3, s3, s5
	s_mul_hi_u32 s3, s5, s3
	s_add_i32 s5, s5, s3
	s_mul_hi_u32 s3, s16, s5
	s_mul_i32 s5, s3, s2
	s_sub_i32 s5, s16, s5
	s_add_i32 s6, s3, 1
	s_sub_i32 s7, s5, s2
	s_cmp_ge_u32 s5, s2
	s_cselect_b32 s3, s6, s3
	s_cselect_b32 s5, s7, s5
	s_add_i32 s6, s3, 1
	s_cmp_ge_u32 s5, s2
	s_cselect_b32 s3, s6, s3
	s_mul_hi_u32 s15, s4, s3
	s_mul_i32 s14, s4, s3
	s_lshl_b64 s[20:21], s[14:15], 2
	v_cmp_gt_u64_e32 vcc, s[20:21], v[14:15]
	v_mov_b32_e32 v10, 0
	v_mov_b32_e32 v11, 0
	s_and_saveexec_b64 s[36:37], vcc
	s_cbranch_execz .LBB123_72
; %bb.69:                               ;   in Loop: Header=BB123_12 Depth=1
	v_mov_b32_e32 v22, v15
	s_mov_b64 s[38:39], 0
	v_mov_b32_e32 v34, v14
	s_mov_b64 s[40:41], 0
	s_mov_b64 s[42:43], 0
	;; [unrolled: 1-line block ×4, first 2 shown]
	v_mov_b32_e32 v21, v14
.LBB123_70:                             ;   Parent Loop BB123_12 Depth=1
                                        ; =>  This Inner Loop Header: Depth=2
	ds_read_b32 v4, v34
	v_add_u32_e32 v34, s2, v34
	s_waitcnt lgkmcnt(0)
	v_and_b32_e32 v6, 0xff, v4
	v_bfe_u32 v7, v4, 8, 8
	v_and_b32_e32 v8, v32, v6
	v_bfe_u32 v6, v6, s69, 2
	v_lshrrev_b32_e32 v5, 24, v4
	v_bfe_u32 v4, v4, 16, 8
	v_cmp_eq_u32_e32 vcc, v8, v28
	v_and_b32_e32 v8, v32, v7
	v_bfe_u32 v7, v7, s69, 2
	v_cmp_eq_u32_e64 s[24:25], 0, v6
	v_cmp_eq_u32_e64 s[6:7], v8, v28
	v_and_b32_e32 v8, v32, v4
	v_bfe_u32 v4, v4, s69, 2
	s_and_b64 s[8:9], vcc, s[24:25]
	v_cmp_eq_u32_e64 s[24:25], 0, v7
	v_cmp_eq_u32_e64 s[18:19], v8, v28
	v_and_b32_e32 v8, v32, v5
	v_bfe_u32 v5, v5, s69, 2
	s_and_b64 s[10:11], s[6:7], s[24:25]
	v_cmp_eq_u32_e64 s[24:25], 0, v4
	v_cmp_eq_u32_e64 s[22:23], v8, v28
	s_and_b64 s[12:13], s[18:19], s[24:25]
	v_cmp_eq_u32_e64 s[24:25], 0, v5
	v_cndmask_b32_e64 v8, 0, 1, s[8:9]
	s_and_b64 s[44:45], s[22:23], s[24:25]
	v_cmp_ne_u32_e64 s[24:25], 0, v8
	v_cndmask_b32_e64 v8, 0, 1, s[10:11]
	s_bcnt1_i32_b64 s3, s[24:25]
	v_cmp_ne_u32_e64 s[24:25], 0, v8
	v_cndmask_b32_e64 v8, 0, 1, s[12:13]
	s_bcnt1_i32_b64 s5, s[24:25]
	;; [unrolled: 3-line block ×3, first 2 shown]
	v_cmp_ne_u32_e64 s[24:25], 0, v8
	s_bcnt1_i32_b64 s9, s[24:25]
	s_add_u32 s3, s3, s48
	s_addc_u32 s10, 0, s49
	s_add_u32 s3, s3, s5
	s_addc_u32 s5, s10, 0
	;; [unrolled: 2-line block ×3, first 2 shown]
	s_add_u32 s48, s3, s9
	v_cmp_eq_u32_e64 s[24:25], 1, v6
	s_addc_u32 s49, s5, 0
	s_and_b64 s[8:9], vcc, s[24:25]
	v_cmp_eq_u32_e64 s[24:25], 1, v7
	s_and_b64 s[10:11], s[6:7], s[24:25]
	v_cmp_eq_u32_e64 s[24:25], 1, v4
	s_and_b64 s[12:13], s[18:19], s[24:25]
	v_cmp_eq_u32_e64 s[24:25], 1, v5
	v_cndmask_b32_e64 v8, 0, 1, s[8:9]
	s_and_b64 s[44:45], s[22:23], s[24:25]
	v_cmp_ne_u32_e64 s[24:25], 0, v8
	v_cndmask_b32_e64 v8, 0, 1, s[10:11]
	s_bcnt1_i32_b64 s3, s[24:25]
	v_cmp_ne_u32_e64 s[24:25], 0, v8
	v_cndmask_b32_e64 v8, 0, 1, s[12:13]
	s_bcnt1_i32_b64 s5, s[24:25]
	;; [unrolled: 3-line block ×3, first 2 shown]
	v_cmp_ne_u32_e64 s[24:25], 0, v8
	s_bcnt1_i32_b64 s9, s[24:25]
	s_add_u32 s3, s3, s46
	s_addc_u32 s10, 0, s47
	s_add_u32 s3, s3, s5
	s_addc_u32 s5, s10, 0
	;; [unrolled: 2-line block ×3, first 2 shown]
	s_add_u32 s46, s3, s9
	v_cmp_eq_u32_e64 s[24:25], 2, v6
	s_addc_u32 s47, s5, 0
	s_and_b64 s[8:9], vcc, s[24:25]
	v_cmp_eq_u32_e64 s[24:25], 2, v7
	s_and_b64 s[10:11], s[6:7], s[24:25]
	v_cmp_eq_u32_e64 s[24:25], 2, v4
	s_and_b64 s[12:13], s[18:19], s[24:25]
	v_cmp_eq_u32_e64 s[24:25], 2, v5
	v_cndmask_b32_e64 v8, 0, 1, s[8:9]
	s_and_b64 s[44:45], s[22:23], s[24:25]
	v_cmp_ne_u32_e64 s[24:25], 0, v8
	v_cndmask_b32_e64 v8, 0, 1, s[10:11]
	s_bcnt1_i32_b64 s3, s[24:25]
	v_cmp_ne_u32_e64 s[24:25], 0, v8
	v_cndmask_b32_e64 v8, 0, 1, s[12:13]
	s_bcnt1_i32_b64 s5, s[24:25]
	;; [unrolled: 3-line block ×3, first 2 shown]
	v_cmp_ne_u32_e64 s[24:25], 0, v8
	s_bcnt1_i32_b64 s9, s[24:25]
	s_add_u32 s3, s3, s42
	s_addc_u32 s10, 0, s43
	s_add_u32 s3, s3, s5
	s_addc_u32 s5, s10, 0
	;; [unrolled: 2-line block ×3, first 2 shown]
	s_add_u32 s42, s3, s9
	v_cmp_eq_u32_e64 s[24:25], 3, v6
	s_addc_u32 s43, s5, 0
	s_and_b64 s[8:9], vcc, s[24:25]
	v_cmp_eq_u32_e32 vcc, 3, v7
	s_and_b64 s[6:7], s[6:7], vcc
	v_cmp_eq_u32_e32 vcc, 3, v4
	s_and_b64 s[10:11], s[18:19], vcc
	v_cmp_eq_u32_e32 vcc, 3, v5
	v_cndmask_b32_e64 v4, 0, 1, s[8:9]
	s_and_b64 s[12:13], s[22:23], vcc
	v_cmp_ne_u32_e32 vcc, 0, v4
	v_cndmask_b32_e64 v4, 0, 1, s[6:7]
	s_bcnt1_i32_b64 s3, vcc
	v_cmp_ne_u32_e32 vcc, 0, v4
	v_cndmask_b32_e64 v4, 0, 1, s[10:11]
	s_bcnt1_i32_b64 s5, vcc
	;; [unrolled: 3-line block ×3, first 2 shown]
	v_cmp_ne_u32_e32 vcc, 0, v4
	s_bcnt1_i32_b64 s7, vcc
	s_add_u32 s3, s3, s40
	s_addc_u32 s8, 0, s41
	s_add_u32 s3, s3, s5
	s_addc_u32 s5, s8, 0
	s_add_u32 s3, s3, s6
	v_add_co_u32_e32 v21, vcc, s2, v21
	s_addc_u32 s5, s5, 0
	v_addc_co_u32_e32 v22, vcc, 0, v22, vcc
	s_add_u32 s40, s3, s7
	v_cmp_le_u64_e32 vcc, s[20:21], v[21:22]
	s_addc_u32 s41, s5, 0
	v_mov_b32_e32 v4, s48
	v_mov_b32_e32 v6, s46
	;; [unrolled: 1-line block ×4, first 2 shown]
	s_or_b64 s[38:39], vcc, s[38:39]
	v_mov_b32_e32 v5, s49
	v_mov_b32_e32 v7, s47
	;; [unrolled: 1-line block ×4, first 2 shown]
	s_andn2_b64 exec, exec, s[38:39]
	s_cbranch_execnz .LBB123_70
; %bb.71:                               ;   in Loop: Header=BB123_12 Depth=1
	s_or_b64 exec, exec, s[38:39]
.LBB123_72:                             ;   in Loop: Header=BB123_12 Depth=1
	s_or_b64 exec, exec, s[36:37]
	v_mov_b32_e32 v22, s21
	v_add_co_u32_e32 v21, vcc, s20, v0
	s_and_b32 s58, s16, 0x7fffffff
	v_addc_co_u32_e32 v22, vcc, 0, v22, vcc
	v_cmp_gt_u64_e32 vcc, s[58:59], v[21:22]
	s_and_saveexec_b64 s[2:3], vcc
	s_cbranch_execz .LBB123_76
; %bb.73:                               ;   in Loop: Header=BB123_12 Depth=1
	v_lshl_add_u32 v34, s14, 2, v0
	s_mov_b64 s[8:9], 0
.LBB123_74:                             ;   Parent Loop BB123_12 Depth=1
                                        ; =>  This Inner Loop Header: Depth=2
	ds_read_u8 v35, v34
	v_add_u32_e32 v34, s4, v34
	s_waitcnt lgkmcnt(0)
	v_and_b32_e32 v36, v32, v35
	v_bfe_u32 v35, v35, s69, 2
	v_cmp_eq_u32_e32 vcc, v36, v28
	v_cmp_eq_u32_e64 s[6:7], 0, v35
	s_and_b64 s[6:7], vcc, s[6:7]
	v_cndmask_b32_e64 v36, 0, 1, s[6:7]
	v_cmp_ne_u32_e64 s[6:7], 0, v36
	s_bcnt1_i32_b64 s5, s[6:7]
	v_add_co_u32_e64 v4, s[6:7], s5, v4
	v_addc_co_u32_e64 v5, s[6:7], 0, v5, s[6:7]
	v_cmp_eq_u32_e64 s[6:7], 1, v35
	s_and_b64 s[6:7], vcc, s[6:7]
	v_cndmask_b32_e64 v36, 0, 1, s[6:7]
	v_cmp_ne_u32_e64 s[6:7], 0, v36
	s_bcnt1_i32_b64 s5, s[6:7]
	v_add_co_u32_e64 v6, s[6:7], s5, v6
	v_addc_co_u32_e64 v7, s[6:7], 0, v7, s[6:7]
	;; [unrolled: 7-line block ×3, first 2 shown]
	v_cmp_eq_u32_e64 s[6:7], 3, v35
	s_and_b64 s[6:7], vcc, s[6:7]
	v_cndmask_b32_e64 v35, 0, 1, s[6:7]
	v_cmp_ne_u32_e32 vcc, 0, v35
	s_bcnt1_i32_b64 s5, vcc
	v_add_co_u32_e32 v10, vcc, s5, v10
	v_addc_co_u32_e32 v11, vcc, 0, v11, vcc
	v_add_co_u32_sdwa v21, vcc, v21, v2 dst_sel:DWORD dst_unused:UNUSED_PAD src0_sel:DWORD src1_sel:WORD_0
	v_addc_co_u32_e32 v22, vcc, 0, v22, vcc
	v_cmp_le_u64_e32 vcc, s[58:59], v[21:22]
	s_or_b64 s[8:9], vcc, s[8:9]
	s_andn2_b64 exec, exec, s[8:9]
	s_cbranch_execnz .LBB123_74
; %bb.75:                               ;   in Loop: Header=BB123_12 Depth=1
	s_or_b64 exec, exec, s[8:9]
.LBB123_76:                             ;   in Loop: Header=BB123_12 Depth=1
	s_or_b64 exec, exec, s[2:3]
	v_readlane_b32 s58, v47, 55
	s_lshl_b32 s4, s70, 6
	s_and_saveexec_b64 s[2:3], s[0:1]
	s_cbranch_execnz .LBB123_47
	s_branch .LBB123_48
.LBB123_77:                             ;   in Loop: Header=BB123_12 Depth=1
                                        ; implicit-def: $sgpr2_sgpr3
	s_branch .LBB123_56
.LBB123_78:                             ;   in Loop: Header=BB123_12 Depth=1
	v_mov_b32_e32 v4, 0
	v_mov_b32_e32 v5, 0
	s_mov_b32 s5, 0
.LBB123_79:                             ;   in Loop: Header=BB123_12 Depth=1
	v_readlane_b32 s6, v47, 44
	v_readlane_b32 s7, v47, 45
	s_andn2_b64 vcc, exec, s[6:7]
	s_cbranch_vccnz .LBB123_82
; %bb.80:                               ;   in Loop: Header=BB123_12 Depth=1
	s_lshl_b32 s6, s70, 9
	s_lshl_b32 s5, s5, 5
	s_add_i32 s6, s6, s5
	v_add_u32_e32 v2, s6, v29
	v_readlane_b32 s5, v47, 43
.LBB123_81:                             ;   Parent Loop BB123_12 Depth=1
                                        ; =>  This Inner Loop Header: Depth=2
	ds_read_b64 v[6:7], v2
	s_add_i32 s5, s5, -1
	v_add_u32_e32 v2, 32, v2
	s_cmp_lg_u32 s5, 0
	s_waitcnt lgkmcnt(0)
	v_add_co_u32_e32 v4, vcc, v6, v4
	v_addc_co_u32_e32 v5, vcc, v7, v5, vcc
	s_cbranch_scc1 .LBB123_81
.LBB123_82:                             ;   in Loop: Header=BB123_12 Depth=1
	v_add_lshl_u32 v2, s4, v26, 3
	ds_write_b64 v2, v[4:5] offset:3072
.LBB123_83:                             ;   in Loop: Header=BB123_12 Depth=1
	s_or_b64 exec, exec, s[2:3]
	s_lshl_b32 s2, s4, 3
	v_mov_b32_e32 v2, s2
	s_waitcnt lgkmcnt(0)
	s_barrier
	ds_read_b128 v[4:7], v2 offset:3072
	ds_read_b128 v[8:11], v2 offset:3088
	v_readlane_b32 s2, v47, 22
	s_lshl_b32 s71, 3, s69
	v_cmp_eq_u64_e64 s[18:19], 1, v[19:20]
	v_readlane_b32 s3, v47, 23
	s_waitcnt lgkmcnt(1)
	v_readfirstlane_b32 s23, v5
	v_readfirstlane_b32 s22, v4
	;; [unrolled: 1-line block ×4, first 2 shown]
	s_waitcnt lgkmcnt(0)
	v_readfirstlane_b32 s57, v9
	v_readfirstlane_b32 s56, v8
	;; [unrolled: 1-line block ×4, first 2 shown]
	s_not_b32 s60, s71
	s_mov_b64 s[50:51], -1
	s_mov_b64 s[24:25], 0
	s_andn2_b64 vcc, exec, s[2:3]
	s_mov_b64 s[40:41], 0
	s_mov_b64 s[38:39], 0
                                        ; implicit-def: $sgpr42_sgpr43
                                        ; implicit-def: $sgpr16_sgpr17
                                        ; implicit-def: $vgpr4_vgpr5
                                        ; implicit-def: $vgpr2
                                        ; implicit-def: $vgpr9
                                        ; implicit-def: $vgpr8
                                        ; implicit-def: $vgpr10
	s_cbranch_vccnz .LBB123_281
; %bb.84:                               ;   in Loop: Header=BB123_12 Depth=1
	s_cmp_eq_u64 s[22:23], 1
	s_cselect_b64 s[2:3], -1, 0
	s_and_b64 s[2:3], s[2:3], s[18:19]
	s_mov_b64 s[8:9], -1
	v_mov_b32_e32 v9, v28
	v_mov_b32_e32 v8, v32
	;; [unrolled: 1-line block ×3, first 2 shown]
                                        ; implicit-def: $sgpr16_sgpr17
                                        ; implicit-def: $sgpr42_sgpr43
	s_and_saveexec_b64 s[6:7], s[2:3]
	s_cbranch_execz .LBB123_122
; %bb.85:                               ;   in Loop: Header=BB123_12 Depth=1
	ds_read_b64 v[4:5], v3 offset:5120
	s_waitcnt lgkmcnt(0)
	s_barrier
	v_readfirstlane_b32 s10, v4
	v_readfirstlane_b32 s11, v5
	s_mov_b64 s[4:5], exec
	v_readlane_b32 s8, v47, 30
	v_readlane_b32 s9, v47, 31
	s_and_b64 s[8:9], s[4:5], s[8:9]
	s_mov_b64 exec, s[8:9]
; %bb.86:                               ;   in Loop: Header=BB123_12 Depth=1
	ds_write_b8 v0, v3 offset:3072
; %bb.87:                               ;   in Loop: Header=BB123_12 Depth=1
	s_or_b64 exec, exec, s[4:5]
	v_and_b32_e32 v9, s60, v28
	v_or_b32_e32 v8, s71, v32
	s_mov_b64 s[42:43], -1
	s_mov_b64 s[16:17], 0
	s_cmp_eq_u64 s[10:11], 0
	s_mov_b64 s[8:9], 0
	s_mov_b64 s[14:15], -1
	s_waitcnt lgkmcnt(0)
	s_barrier
                                        ; implicit-def: $vgpr10
	s_cbranch_scc1 .LBB123_104
; %bb.88:                               ;   in Loop: Header=BB123_12 Depth=1
	v_readlane_b32 s4, v47, 34
	s_add_u32 s14, s10, s4
	v_readlane_b32 s4, v47, 36
	s_addc_u32 s9, s11, s4
	s_mov_b32 s8, s59
	s_cmp_lg_u64 s[8:9], 0
	s_cbranch_scc0 .LBB123_107
; %bb.89:                               ;   in Loop: Header=BB123_12 Depth=1
	v_cvt_f32_u32_e32 v2, s33
	s_sub_u32 s8, 0, s33
	s_subb_u32 s12, 0, 0
	v_mac_f32_e32 v2, 0, v30
	v_rcp_f32_e32 v2, v2
	v_mul_f32_e32 v2, 0x5f7ffffc, v2
	v_mul_f32_e32 v4, 0x2f800000, v2
	v_trunc_f32_e32 v4, v4
	v_mac_f32_e32 v2, 0xcf800000, v4
	v_cvt_u32_f32_e32 v4, v4
	v_cvt_u32_f32_e32 v2, v2
	v_readfirstlane_b32 s13, v4
	v_readfirstlane_b32 s4, v2
	s_mul_i32 s5, s8, s13
	s_mul_hi_u32 s20, s8, s4
	s_mul_i32 s15, s12, s4
	s_add_i32 s5, s20, s5
	s_mul_i32 s21, s8, s4
	s_add_i32 s5, s5, s15
	s_mul_hi_u32 s20, s4, s21
	s_mul_i32 s38, s4, s5
	s_mul_hi_u32 s15, s4, s5
	s_add_u32 s20, s20, s38
	s_addc_u32 s15, 0, s15
	s_mul_hi_u32 s39, s13, s21
	s_mul_i32 s21, s13, s21
	s_add_u32 s20, s20, s21
	s_mul_hi_u32 s38, s13, s5
	s_addc_u32 s15, s15, s39
	s_addc_u32 s20, s38, 0
	s_mul_i32 s5, s13, s5
	s_add_u32 s5, s15, s5
	s_addc_u32 s15, 0, s20
	s_add_u32 s20, s4, s5
	s_cselect_b64 s[4:5], -1, 0
	s_cmp_lg_u64 s[4:5], 0
	s_addc_u32 s13, s13, s15
	s_mul_i32 s4, s8, s13
	s_mul_hi_u32 s5, s8, s20
	s_add_i32 s4, s5, s4
	s_mul_i32 s12, s12, s20
	s_add_i32 s4, s4, s12
	s_mul_i32 s8, s8, s20
	s_mul_hi_u32 s12, s13, s8
	s_mul_i32 s15, s13, s8
	s_mul_i32 s38, s20, s4
	s_mul_hi_u32 s8, s20, s8
	s_mul_hi_u32 s21, s20, s4
	s_add_u32 s8, s8, s38
	s_addc_u32 s21, 0, s21
	s_add_u32 s8, s8, s15
	s_mul_hi_u32 s5, s13, s4
	s_addc_u32 s8, s21, s12
	s_addc_u32 s5, s5, 0
	s_mul_i32 s4, s13, s4
	s_add_u32 s4, s8, s4
	s_addc_u32 s8, 0, s5
	s_add_u32 s12, s20, s4
	s_cselect_b64 s[4:5], -1, 0
	s_cmp_lg_u64 s[4:5], 0
	s_addc_u32 s4, s13, s8
	s_mul_i32 s8, s14, s4
	s_mul_hi_u32 s13, s14, s12
	s_mul_hi_u32 s5, s14, s4
	s_add_u32 s8, s13, s8
	s_addc_u32 s5, 0, s5
	s_mul_hi_u32 s15, s9, s12
	s_mul_i32 s12, s9, s12
	s_add_u32 s8, s8, s12
	s_mul_hi_u32 s13, s9, s4
	s_addc_u32 s5, s5, s15
	s_addc_u32 s8, s13, 0
	s_mul_i32 s4, s9, s4
	s_add_u32 s4, s5, s4
	s_addc_u32 s5, 0, s8
	s_mul_i32 s5, s33, s5
	s_mul_hi_u32 s8, s33, s4
	s_add_i32 s8, s8, s5
	s_mul_i32 s4, s33, s4
	s_sub_u32 s12, s14, s4
	s_cselect_b64 s[4:5], -1, 0
	s_cmp_lg_u64 s[4:5], 0
	s_subb_u32 s8, s9, s8
	s_sub_u32 s13, s12, s33
	s_cselect_b64 s[4:5], -1, 0
	s_cmp_lg_u64 s[4:5], 0
	s_subb_u32 s15, s8, 0
	s_sub_u32 s20, s13, s33
	s_cselect_b64 s[4:5], -1, 0
	s_cmp_lg_u64 s[4:5], 0
	s_subb_u32 s4, s15, 0
	s_cmp_ge_u32 s13, s33
	s_cselect_b32 s5, -1, 0
	s_cmp_eq_u32 s15, 0
	s_cselect_b32 s5, s5, -1
	s_cmp_lg_u32 s5, 0
	s_cselect_b32 s4, s4, s15
	s_cselect_b32 s5, s20, s13
	s_cmp_ge_u32 s12, s33
	s_cselect_b32 s13, -1, 0
	s_cmp_eq_u32 s8, 0
	s_cselect_b32 s13, s13, -1
	s_cmp_lg_u32 s13, 0
	s_cselect_b32 s13, s4, s8
	s_cselect_b32 s12, s5, s12
	s_cbranch_execnz .LBB123_91
.LBB123_90:                             ;   in Loop: Header=BB123_12 Depth=1
	v_cvt_f32_u32_e32 v2, s33
	s_sub_i32 s4, 0, s33
	v_rcp_iflag_f32_e32 v2, v2
	v_mul_f32_e32 v2, 0x4f7ffffe, v2
	v_cvt_u32_f32_e32 v2, v2
	v_readfirstlane_b32 s5, v2
	s_mul_i32 s4, s4, s5
	s_mul_hi_u32 s4, s5, s4
	s_add_i32 s5, s5, s4
	s_mul_hi_u32 s4, s14, s5
	s_mul_i32 s4, s4, s33
	s_sub_i32 s4, s14, s4
	s_sub_i32 s5, s4, s33
	s_cmp_ge_u32 s4, s33
	s_cselect_b32 s4, s5, s4
	s_sub_i32 s5, s4, s33
	s_cmp_ge_u32 s4, s33
	s_cselect_b32 s58, s5, s4
	s_mov_b64 s[12:13], s[58:59]
	v_readlane_b32 s58, v47, 55
.LBB123_91:                             ;   in Loop: Header=BB123_12 Depth=1
	s_sub_u32 s38, s14, s12
	s_subb_u32 s39, s9, s13
	v_cmp_gt_u64_e32 vcc, s[38:39], v[0:1]
	s_mov_b64 s[14:15], 0
	s_mov_b64 s[8:9], 0
                                        ; implicit-def: $vgpr10
	s_and_saveexec_b64 s[20:21], vcc
	s_cbranch_execz .LBB123_103
; %bb.92:                               ;   in Loop: Header=BB123_12 Depth=1
	v_mov_b32_e32 v5, v1
	v_mov_b32_e32 v2, v0
	;; [unrolled: 1-line block ×3, first 2 shown]
                                        ; implicit-def: $sgpr12_sgpr13
	s_branch .LBB123_95
.LBB123_93:                             ;   in Loop: Header=BB123_95 Depth=2
	s_or_b64 exec, exec, s[4:5]
	s_waitcnt lgkmcnt(0)
	s_barrier
	ds_read_u16 v6, v3 offset:3072
	s_mov_b64 s[4:5], -1
	s_waitcnt lgkmcnt(0)
	s_barrier
	v_cmp_ne_u32_sdwa s[40:41], v6, v3 src0_sel:BYTE_0 src1_sel:DWORD
	s_and_b64 vcc, exec, s[40:41]
	s_mov_b64 s[40:41], -1
	s_cbranch_vccz .LBB123_98
.LBB123_94:                             ;   in Loop: Header=BB123_95 Depth=2
	s_and_b64 s[4:5], exec, s[4:5]
	s_or_b64 s[8:9], s[4:5], s[8:9]
	s_andn2_b64 s[4:5], s[12:13], exec
	s_and_b64 s[12:13], s[40:41], exec
	s_or_b64 s[12:13], s[4:5], s[12:13]
	s_andn2_b64 exec, exec, s[8:9]
	s_cbranch_execz .LBB123_102
.LBB123_95:                             ;   Parent Loop BB123_12 Depth=1
                                        ; =>  This Inner Loop Header: Depth=2
	v_cmp_gt_u64_e32 vcc, s[10:11], v[4:5]
	s_and_saveexec_b64 s[4:5], vcc
	s_cbranch_execz .LBB123_93
; %bb.96:                               ;   in Loop: Header=BB123_95 Depth=2
	ds_read_u8 v6, v2
	s_waitcnt lgkmcnt(0)
	v_and_b32_e32 v7, v6, v8
	v_cmp_eq_u32_sdwa s[40:41], v7, v9 src0_sel:BYTE_0 src1_sel:DWORD
	s_and_b64 exec, exec, s[40:41]
	s_cbranch_execz .LBB123_93
; %bb.97:                               ;   in Loop: Header=BB123_95 Depth=2
	v_lshlrev_b16_e32 v6, 8, v6
	v_or_b32_e32 v6, 1, v6
	ds_write_b16 v3, v6 offset:3072
	s_branch .LBB123_93
.LBB123_98:                             ;   in Loop: Header=BB123_95 Depth=2
	v_add_co_u32_e32 v4, vcc, s33, v4
	v_addc_co_u32_e32 v5, vcc, 0, v5, vcc
	v_cmp_le_u64_e32 vcc, s[38:39], v[4:5]
	v_add_u32_e32 v2, s33, v2
	s_mov_b64 s[40:41], 0
	s_orn2_b64 s[4:5], vcc, exec
	s_branch .LBB123_94
.LBB123_99:                             ;   in Loop: Header=BB123_12 Depth=1
	s_or_b64 exec, exec, s[8:9]
	s_waitcnt lgkmcnt(0)
	s_barrier
	s_mov_b64 s[4:5], exec
	v_readlane_b32 s6, v47, 12
	v_readlane_b32 s7, v47, 13
	s_and_b64 s[6:7], s[4:5], s[6:7]
	s_mov_b64 exec, s[6:7]
	s_cbranch_execz .LBB123_101
; %bb.100:                              ;   in Loop: Header=BB123_12 Depth=1
	ds_read_b32 v4, v3 offset:5144
	s_waitcnt lgkmcnt(0)
	v_ashrrev_i32_e32 v5, 31, v4
	ds_write_b64 v3, v[4:5] offset:5120
.LBB123_101:                            ;   in Loop: Header=BB123_12 Depth=1
	s_or_b64 exec, exec, s[4:5]
	s_waitcnt lgkmcnt(0)
	s_barrier
	s_mov_b64 s[6:7], -1
	s_and_b64 vcc, exec, s[2:3]
	s_cbranch_vccnz .LBB123_27
	s_branch .LBB123_42
.LBB123_102:                            ;   in Loop: Header=BB123_12 Depth=1
	s_or_b64 exec, exec, s[8:9]
	v_lshrrev_b32_sdwa v10, v31, v6 dst_sel:DWORD dst_unused:UNUSED_PAD src0_sel:DWORD src1_sel:WORD_0
	s_and_b64 s[8:9], s[12:13], exec
.LBB123_103:                            ;   in Loop: Header=BB123_12 Depth=1
	s_or_b64 exec, exec, s[20:21]
.LBB123_104:                            ;   in Loop: Header=BB123_12 Depth=1
	s_and_b64 vcc, exec, s[14:15]
	s_cbranch_vccz .LBB123_121
; %bb.105:                              ;   in Loop: Header=BB123_12 Depth=1
	s_mov_b32 s66, s59
	s_cmp_lg_u64 s[66:67], 0
	s_cbranch_scc0 .LBB123_108
; %bb.106:                              ;   in Loop: Header=BB123_12 Depth=1
	v_cvt_f32_u32_e32 v2, s33
	s_sub_u32 s10, 0, s33
	s_subb_u32 s11, 0, 0
	v_mac_f32_e32 v2, 0, v30
	v_rcp_f32_e32 v2, v2
	v_mul_f32_e32 v2, 0x5f7ffffc, v2
	v_mul_f32_e32 v4, 0x2f800000, v2
	v_trunc_f32_e32 v4, v4
	v_mac_f32_e32 v2, 0xcf800000, v4
	v_cvt_u32_f32_e32 v4, v4
	v_cvt_u32_f32_e32 v2, v2
	v_readfirstlane_b32 s12, v4
	v_readfirstlane_b32 s4, v2
	s_mul_i32 s5, s10, s12
	s_mul_hi_u32 s14, s10, s4
	s_mul_i32 s13, s11, s4
	s_add_i32 s5, s14, s5
	s_mul_i32 s15, s10, s4
	s_add_i32 s5, s5, s13
	s_mul_hi_u32 s14, s4, s15
	s_mul_i32 s16, s4, s5
	s_mul_hi_u32 s13, s4, s5
	s_add_u32 s14, s14, s16
	s_addc_u32 s13, 0, s13
	s_mul_hi_u32 s17, s12, s15
	s_mul_i32 s15, s12, s15
	s_add_u32 s14, s14, s15
	s_mul_hi_u32 s16, s12, s5
	s_addc_u32 s13, s13, s17
	s_addc_u32 s14, s16, 0
	s_mul_i32 s5, s12, s5
	s_add_u32 s5, s13, s5
	s_addc_u32 s13, 0, s14
	s_add_u32 s14, s4, s5
	s_cselect_b64 s[4:5], -1, 0
	s_cmp_lg_u64 s[4:5], 0
	s_addc_u32 s12, s12, s13
	s_mul_i32 s4, s10, s12
	s_mul_hi_u32 s5, s10, s14
	s_add_i32 s4, s5, s4
	s_mul_i32 s11, s11, s14
	s_add_i32 s4, s4, s11
	s_mul_i32 s10, s10, s14
	s_mul_hi_u32 s11, s12, s10
	s_mul_i32 s13, s12, s10
	s_mul_i32 s16, s14, s4
	s_mul_hi_u32 s10, s14, s10
	s_mul_hi_u32 s15, s14, s4
	s_add_u32 s10, s10, s16
	s_addc_u32 s15, 0, s15
	s_add_u32 s10, s10, s13
	s_mul_hi_u32 s5, s12, s4
	s_addc_u32 s10, s15, s11
	s_addc_u32 s5, s5, 0
	s_mul_i32 s4, s12, s4
	s_add_u32 s4, s10, s4
	s_addc_u32 s10, 0, s5
	s_add_u32 s11, s14, s4
	s_cselect_b64 s[4:5], -1, 0
	s_cmp_lg_u64 s[4:5], 0
	s_addc_u32 s4, s12, s10
	v_readlane_b32 s15, v47, 35
	s_mul_i32 s10, s15, s4
	s_mul_hi_u32 s12, s15, s11
	s_mul_hi_u32 s5, s15, s4
	s_add_u32 s10, s12, s10
	s_addc_u32 s5, 0, s5
	s_mul_hi_u32 s13, s67, s11
	s_mul_i32 s11, s67, s11
	s_add_u32 s10, s10, s11
	s_mul_hi_u32 s12, s67, s4
	s_addc_u32 s5, s5, s13
	s_addc_u32 s10, s12, 0
	s_mul_i32 s4, s67, s4
	s_add_u32 s4, s5, s4
	s_addc_u32 s5, 0, s10
	s_mul_i32 s5, s33, s5
	s_mul_hi_u32 s10, s33, s4
	s_add_i32 s10, s10, s5
	s_mul_i32 s4, s33, s4
	s_sub_u32 s12, s15, s4
	s_cselect_b64 s[4:5], -1, 0
	s_cmp_lg_u64 s[4:5], 0
	s_subb_u32 s10, s67, s10
	s_sub_u32 s11, s12, s33
	s_cselect_b64 s[4:5], -1, 0
	s_cmp_lg_u64 s[4:5], 0
	s_subb_u32 s13, s10, 0
	;; [unrolled: 4-line block ×3, first 2 shown]
	s_cmp_ge_u32 s11, s33
	s_cselect_b32 s5, -1, 0
	s_cmp_eq_u32 s13, 0
	s_cselect_b32 s5, s5, -1
	s_cmp_lg_u32 s5, 0
	s_cselect_b32 s4, s4, s13
	s_cselect_b32 s5, s14, s11
	s_cmp_ge_u32 s12, s33
	s_cselect_b32 s11, -1, 0
	s_cmp_eq_u32 s10, 0
	s_cselect_b32 s11, s11, -1
	s_cmp_lg_u32 s11, 0
	s_cselect_b32 s11, s4, s10
	s_cselect_b32 s10, s5, s12
	s_mov_b64 s[4:5], 0
	s_branch .LBB123_109
.LBB123_107:                            ;   in Loop: Header=BB123_12 Depth=1
                                        ; implicit-def: $sgpr12_sgpr13
	s_branch .LBB123_90
.LBB123_108:                            ;   in Loop: Header=BB123_12 Depth=1
	s_mov_b64 s[4:5], -1
	v_readlane_b32 s15, v47, 35
                                        ; implicit-def: $sgpr10_sgpr11
.LBB123_109:                            ;   in Loop: Header=BB123_12 Depth=1
	s_andn2_b64 vcc, exec, s[4:5]
	v_readlane_b32 s66, v47, 54
	s_cbranch_vccnz .LBB123_111
; %bb.110:                              ;   in Loop: Header=BB123_12 Depth=1
	v_cvt_f32_u32_e32 v2, s33
	s_sub_i32 s4, 0, s33
	v_rcp_iflag_f32_e32 v2, v2
	v_mul_f32_e32 v2, 0x4f7ffffe, v2
	v_cvt_u32_f32_e32 v2, v2
	v_readfirstlane_b32 s5, v2
	s_mul_i32 s4, s4, s5
	s_mul_hi_u32 s4, s5, s4
	s_add_i32 s5, s5, s4
	s_mul_hi_u32 s4, s15, s5
	s_mul_i32 s4, s4, s33
	s_sub_i32 s4, s15, s4
	s_sub_i32 s5, s4, s33
	s_cmp_ge_u32 s4, s33
	s_cselect_b32 s4, s5, s4
	s_sub_i32 s5, s4, s33
	s_cmp_ge_u32 s4, s33
	s_cselect_b32 s58, s5, s4
	s_mov_b64 s[10:11], s[58:59]
	v_readlane_b32 s58, v47, 55
.LBB123_111:                            ;   in Loop: Header=BB123_12 Depth=1
	s_sub_u32 s14, s15, s10
	s_subb_u32 s15, s67, s11
	v_cmp_gt_u64_e32 vcc, s[14:15], v[0:1]
                                        ; implicit-def: $vgpr10
	s_and_saveexec_b64 s[10:11], vcc
	s_cbranch_execz .LBB123_120
; %bb.112:                              ;   in Loop: Header=BB123_12 Depth=1
	v_mov_b32_e32 v5, v1
	s_mov_b64 s[16:17], 0
	v_mov_b32_e32 v4, v0
                                        ; implicit-def: $sgpr20_sgpr21
	s_branch .LBB123_115
.LBB123_113:                            ;   in Loop: Header=BB123_115 Depth=2
	s_or_b64 exec, exec, s[12:13]
	s_waitcnt lgkmcnt(0)
	s_barrier
	ds_read_u16 v2, v3 offset:3072
	s_mov_b64 s[4:5], -1
	s_waitcnt lgkmcnt(0)
	s_barrier
	v_cmp_ne_u32_sdwa s[12:13], v2, v3 src0_sel:BYTE_0 src1_sel:DWORD
	s_and_b64 vcc, exec, s[12:13]
	s_mov_b64 s[12:13], -1
	s_cbranch_vccz .LBB123_118
.LBB123_114:                            ;   in Loop: Header=BB123_115 Depth=2
	s_and_b64 s[4:5], exec, s[4:5]
	s_or_b64 s[16:17], s[4:5], s[16:17]
	s_andn2_b64 s[4:5], s[20:21], exec
	s_and_b64 s[12:13], s[12:13], exec
	s_or_b64 s[20:21], s[4:5], s[12:13]
	s_andn2_b64 exec, exec, s[16:17]
	s_cbranch_execz .LBB123_119
.LBB123_115:                            ;   Parent Loop BB123_12 Depth=1
                                        ; =>  This Inner Loop Header: Depth=2
	v_cmp_gt_u64_e32 vcc, s[28:29], v[4:5]
	s_and_saveexec_b64 s[12:13], vcc
	s_cbranch_execz .LBB123_113
; %bb.116:                              ;   in Loop: Header=BB123_115 Depth=2
	v_mov_b32_e32 v6, s34
	v_mov_b32_e32 v7, s35
	v_mad_u64_u32 v[6:7], s[4:5], v4, s26, v[6:7]
	v_mul_lo_u32 v2, v4, s27
	v_mul_lo_u32 v10, v5, s26
	v_add3_u32 v7, v10, v7, v2
	global_load_ubyte v2, v[6:7], off
	s_waitcnt vmcnt(0)
	v_and_b32_e32 v6, v2, v8
	v_cmp_eq_u32_sdwa s[4:5], v6, v9 src0_sel:BYTE_0 src1_sel:DWORD
	s_and_b64 exec, exec, s[4:5]
	s_cbranch_execz .LBB123_113
; %bb.117:                              ;   in Loop: Header=BB123_115 Depth=2
	v_lshlrev_b16_e32 v2, 8, v2
	v_or_b32_e32 v2, 1, v2
	ds_write_b16 v3, v2 offset:3072
	s_branch .LBB123_113
.LBB123_118:                            ;   in Loop: Header=BB123_115 Depth=2
	v_add_co_u32_e32 v4, vcc, s33, v4
	v_addc_co_u32_e32 v5, vcc, 0, v5, vcc
	v_cmp_le_u64_e32 vcc, s[14:15], v[4:5]
	s_mov_b64 s[12:13], 0
	s_orn2_b64 s[4:5], vcc, exec
	s_branch .LBB123_114
.LBB123_119:                            ;   in Loop: Header=BB123_12 Depth=1
	s_or_b64 exec, exec, s[16:17]
	s_andn2_b64 s[4:5], s[8:9], exec
	s_and_b64 s[8:9], s[20:21], exec
	v_lshrrev_b32_sdwa v10, v31, v2 dst_sel:DWORD dst_unused:UNUSED_PAD src0_sel:DWORD src1_sel:WORD_0
	s_or_b64 s[8:9], s[4:5], s[8:9]
.LBB123_120:                            ;   in Loop: Header=BB123_12 Depth=1
	s_or_b64 exec, exec, s[10:11]
	s_mov_b64 s[42:43], 0
	s_mov_b64 s[16:17], -1
.LBB123_121:                            ;   in Loop: Header=BB123_12 Depth=1
	s_orn2_b64 s[8:9], s[8:9], exec
.LBB123_122:                            ;   in Loop: Header=BB123_12 Depth=1
	s_or_b64 exec, exec, s[6:7]
	s_mov_b64 s[50:51], 0
	s_mov_b64 s[40:41], 0
	;; [unrolled: 1-line block ×3, first 2 shown]
                                        ; implicit-def: $vgpr4_vgpr5
                                        ; implicit-def: $vgpr2
	s_and_saveexec_b64 s[52:53], s[8:9]
	s_cbranch_execz .LBB123_280
; %bb.123:                              ;   in Loop: Header=BB123_12 Depth=1
	v_mov_b32_e32 v4, 1
	s_xor_b64 s[4:5], s[2:3], -1
	v_mov_b32_e32 v2, 1
	v_mov_b32_e32 v5, 0
	s_mov_b64 s[6:7], 0
	s_and_saveexec_b64 s[2:3], s[4:5]
	s_cbranch_execz .LBB123_132
; %bb.124:                              ;   in Loop: Header=BB123_12 Depth=1
	v_cmp_ge_u64_e32 vcc, s[22:23], v[19:20]
	s_and_saveexec_b64 s[4:5], vcc
	s_xor_b64 s[6:7], exec, s[4:5]
	s_cbranch_execz .LBB123_129
; %bb.125:                              ;   in Loop: Header=BB123_12 Depth=1
	ds_read_b64 v[4:5], v3 offset:5120
	v_and_b32_e32 v9, s60, v9
	v_or_b32_e32 v8, s71, v8
	s_waitcnt lgkmcnt(0)
	v_cmp_ne_u64_e32 vcc, 0, v[4:5]
	s_cbranch_vccnz .LBB123_129
; %bb.126:                              ;   in Loop: Header=BB123_12 Depth=1
	s_mov_b64 s[4:5], exec
	v_readlane_b32 s8, v47, 12
	v_readlane_b32 s9, v47, 13
	s_and_b64 s[8:9], s[4:5], s[8:9]
	s_mov_b64 exec, s[8:9]
; %bb.127:                              ;   in Loop: Header=BB123_12 Depth=1
	v_mov_b32_e32 v4, s22
	v_mov_b32_e32 v5, s23
	ds_write_b64 v3, v[4:5] offset:5128
; %bb.128:                              ;   in Loop: Header=BB123_12 Depth=1
	s_or_b64 exec, exec, s[4:5]
	s_waitcnt lgkmcnt(0)
	s_barrier
.LBB123_129:                            ;   in Loop: Header=BB123_12 Depth=1
	s_or_saveexec_b64 s[6:7], s[6:7]
	v_mov_b32_e32 v4, v19
	s_mov_b64 s[8:9], 0
	v_mov_b32_e32 v2, 8
	v_mov_b32_e32 v5, v20
	s_xor_b64 exec, exec, s[6:7]
; %bb.130:                              ;   in Loop: Header=BB123_12 Depth=1
	v_subrev_co_u32_e32 v4, vcc, s22, v19
	v_mov_b32_e32 v2, s23
	v_subb_co_u32_e32 v5, vcc, v20, v2, vcc
	v_mov_b32_e32 v2, 0
	s_mov_b64 s[8:9], exec
; %bb.131:                              ;   in Loop: Header=BB123_12 Depth=1
	s_or_b64 exec, exec, s[6:7]
	s_and_b64 s[6:7], s[8:9], exec
.LBB123_132:                            ;   in Loop: Header=BB123_12 Depth=1
	s_or_b64 exec, exec, s[2:3]
	s_mov_b64 s[2:3], -1
                                        ; implicit-def: $sgpr38_sgpr39
                                        ; implicit-def: $sgpr40_sgpr41
	s_and_saveexec_b64 s[4:5], s[6:7]
	s_xor_b64 s[6:7], exec, s[4:5]
	s_cbranch_execz .LBB123_277
; %bb.133:                              ;   in Loop: Header=BB123_12 Depth=1
	s_cmp_eq_u64 s[54:55], 1
	v_cmp_eq_u64_e32 vcc, 1, v[4:5]
	s_cselect_b64 s[2:3], -1, 0
	s_and_b64 s[2:3], s[2:3], vcc
	s_mov_b64 s[8:9], -1
                                        ; implicit-def: $sgpr40_sgpr41
                                        ; implicit-def: $sgpr38_sgpr39
	s_and_saveexec_b64 s[14:15], s[2:3]
	s_cbranch_execz .LBB123_168
; %bb.134:                              ;   in Loop: Header=BB123_12 Depth=1
	ds_read_b64 v[6:7], v3 offset:5120
	s_waitcnt lgkmcnt(0)
	s_barrier
	v_readfirstlane_b32 s10, v6
	v_readfirstlane_b32 s11, v7
	s_mov_b64 s[4:5], exec
	v_readlane_b32 s8, v47, 30
	v_readlane_b32 s9, v47, 31
	s_and_b64 s[8:9], s[4:5], s[8:9]
	s_mov_b64 exec, s[8:9]
; %bb.135:                              ;   in Loop: Header=BB123_12 Depth=1
	ds_write_b8 v0, v3 offset:3072
; %bb.136:                              ;   in Loop: Header=BB123_12 Depth=1
	s_or_b64 exec, exec, s[4:5]
	v_and_b32_e32 v6, s60, v9
	v_lshl_or_b32 v9, 1, s69, v6
	v_or_b32_e32 v8, s71, v8
	s_mov_b64 s[38:39], -1
	s_mov_b64 s[40:41], 0
	s_cmp_eq_u64 s[10:11], 0
	s_mov_b64 s[8:9], 0
	s_mov_b64 s[20:21], -1
	s_waitcnt lgkmcnt(0)
	s_barrier
                                        ; implicit-def: $vgpr10
	s_cbranch_scc1 .LBB123_150
; %bb.137:                              ;   in Loop: Header=BB123_12 Depth=1
	v_readlane_b32 s4, v47, 34
	s_add_u32 s20, s10, s4
	v_readlane_b32 s4, v47, 36
	s_addc_u32 s9, s11, s4
	s_mov_b32 s8, s59
	s_cmp_lg_u64 s[8:9], 0
	s_cbranch_scc0 .LBB123_153
; %bb.138:                              ;   in Loop: Header=BB123_12 Depth=1
	v_cvt_f32_u32_e32 v6, s33
	s_sub_u32 s8, 0, s33
	s_subb_u32 s12, 0, 0
	v_mac_f32_e32 v6, 0, v30
	v_rcp_f32_e32 v6, v6
	v_mul_f32_e32 v6, 0x5f7ffffc, v6
	v_mul_f32_e32 v7, 0x2f800000, v6
	v_trunc_f32_e32 v7, v7
	v_mac_f32_e32 v6, 0xcf800000, v7
	v_cvt_u32_f32_e32 v7, v7
	v_cvt_u32_f32_e32 v6, v6
	v_readfirstlane_b32 s13, v7
	v_readfirstlane_b32 s4, v6
	s_mul_i32 s5, s8, s13
	s_mul_hi_u32 s44, s8, s4
	s_mul_i32 s21, s12, s4
	s_add_i32 s5, s44, s5
	s_mul_i32 s45, s8, s4
	s_add_i32 s5, s5, s21
	s_mul_hi_u32 s44, s4, s45
	s_mul_i32 s46, s4, s5
	s_mul_hi_u32 s21, s4, s5
	s_add_u32 s44, s44, s46
	s_addc_u32 s21, 0, s21
	s_mul_hi_u32 s47, s13, s45
	s_mul_i32 s45, s13, s45
	s_add_u32 s44, s44, s45
	s_mul_hi_u32 s46, s13, s5
	s_addc_u32 s21, s21, s47
	s_addc_u32 s44, s46, 0
	s_mul_i32 s5, s13, s5
	s_add_u32 s5, s21, s5
	s_addc_u32 s21, 0, s44
	s_add_u32 s44, s4, s5
	s_cselect_b64 s[4:5], -1, 0
	s_cmp_lg_u64 s[4:5], 0
	s_addc_u32 s13, s13, s21
	s_mul_i32 s4, s8, s13
	s_mul_hi_u32 s5, s8, s44
	s_add_i32 s4, s5, s4
	s_mul_i32 s12, s12, s44
	s_add_i32 s4, s4, s12
	s_mul_i32 s8, s8, s44
	s_mul_hi_u32 s12, s13, s8
	s_mul_i32 s21, s13, s8
	s_mul_i32 s46, s44, s4
	s_mul_hi_u32 s8, s44, s8
	s_mul_hi_u32 s45, s44, s4
	s_add_u32 s8, s8, s46
	s_addc_u32 s45, 0, s45
	s_add_u32 s8, s8, s21
	s_mul_hi_u32 s5, s13, s4
	s_addc_u32 s8, s45, s12
	s_addc_u32 s5, s5, 0
	s_mul_i32 s4, s13, s4
	s_add_u32 s4, s8, s4
	s_addc_u32 s8, 0, s5
	s_add_u32 s12, s44, s4
	s_cselect_b64 s[4:5], -1, 0
	s_cmp_lg_u64 s[4:5], 0
	s_addc_u32 s4, s13, s8
	s_mul_i32 s8, s20, s4
	s_mul_hi_u32 s13, s20, s12
	s_mul_hi_u32 s5, s20, s4
	s_add_u32 s8, s13, s8
	s_addc_u32 s5, 0, s5
	s_mul_hi_u32 s21, s9, s12
	s_mul_i32 s12, s9, s12
	s_add_u32 s8, s8, s12
	s_mul_hi_u32 s13, s9, s4
	s_addc_u32 s5, s5, s21
	s_addc_u32 s8, s13, 0
	s_mul_i32 s4, s9, s4
	s_add_u32 s4, s5, s4
	s_addc_u32 s5, 0, s8
	s_mul_i32 s5, s33, s5
	s_mul_hi_u32 s8, s33, s4
	s_add_i32 s8, s8, s5
	s_mul_i32 s4, s33, s4
	s_sub_u32 s12, s20, s4
	s_cselect_b64 s[4:5], -1, 0
	s_cmp_lg_u64 s[4:5], 0
	s_subb_u32 s8, s9, s8
	s_sub_u32 s13, s12, s33
	s_cselect_b64 s[4:5], -1, 0
	s_cmp_lg_u64 s[4:5], 0
	s_subb_u32 s21, s8, 0
	;; [unrolled: 4-line block ×3, first 2 shown]
	s_cmp_ge_u32 s13, s33
	s_cselect_b32 s5, -1, 0
	s_cmp_eq_u32 s21, 0
	s_cselect_b32 s5, s5, -1
	s_cmp_lg_u32 s5, 0
	s_cselect_b32 s4, s4, s21
	s_cselect_b32 s5, s44, s13
	s_cmp_ge_u32 s12, s33
	s_cselect_b32 s13, -1, 0
	s_cmp_eq_u32 s8, 0
	s_cselect_b32 s13, s13, -1
	s_cmp_lg_u32 s13, 0
	s_cselect_b32 s13, s4, s8
	s_cselect_b32 s12, s5, s12
	s_cbranch_execnz .LBB123_140
.LBB123_139:                            ;   in Loop: Header=BB123_12 Depth=1
	v_cvt_f32_u32_e32 v6, s33
	s_sub_i32 s4, 0, s33
	v_rcp_iflag_f32_e32 v6, v6
	v_mul_f32_e32 v6, 0x4f7ffffe, v6
	v_cvt_u32_f32_e32 v6, v6
	v_readfirstlane_b32 s5, v6
	s_mul_i32 s4, s4, s5
	s_mul_hi_u32 s4, s5, s4
	s_add_i32 s5, s5, s4
	s_mul_hi_u32 s4, s20, s5
	s_mul_i32 s4, s4, s33
	s_sub_i32 s4, s20, s4
	s_sub_i32 s5, s4, s33
	s_cmp_ge_u32 s4, s33
	s_cselect_b32 s4, s5, s4
	s_sub_i32 s5, s4, s33
	s_cmp_ge_u32 s4, s33
	s_cselect_b32 s58, s5, s4
	s_mov_b64 s[12:13], s[58:59]
	v_readlane_b32 s58, v47, 55
.LBB123_140:                            ;   in Loop: Header=BB123_12 Depth=1
	s_sub_u32 s46, s20, s12
	s_subb_u32 s47, s9, s13
	v_cmp_gt_u64_e32 vcc, s[46:47], v[0:1]
	s_mov_b64 s[20:21], 0
	s_mov_b64 s[8:9], 0
                                        ; implicit-def: $vgpr10
	s_and_saveexec_b64 s[44:45], vcc
	s_cbranch_execz .LBB123_149
; %bb.141:                              ;   in Loop: Header=BB123_12 Depth=1
	v_mov_b32_e32 v7, v1
	v_mov_b32_e32 v10, v0
	v_mov_b32_e32 v6, v0
                                        ; implicit-def: $sgpr48_sgpr49
	s_branch .LBB123_144
.LBB123_142:                            ;   in Loop: Header=BB123_144 Depth=2
	s_or_b64 exec, exec, s[12:13]
	s_waitcnt lgkmcnt(0)
	s_barrier
	ds_read_u16 v11, v3 offset:3072
	s_mov_b64 s[4:5], -1
	s_waitcnt lgkmcnt(0)
	s_barrier
	v_cmp_ne_u32_sdwa s[12:13], v11, v3 src0_sel:BYTE_0 src1_sel:DWORD
	s_and_b64 vcc, exec, s[12:13]
	s_mov_b64 s[12:13], -1
	s_cbranch_vccz .LBB123_147
.LBB123_143:                            ;   in Loop: Header=BB123_144 Depth=2
	s_and_b64 s[4:5], exec, s[4:5]
	s_or_b64 s[8:9], s[4:5], s[8:9]
	s_andn2_b64 s[4:5], s[48:49], exec
	s_and_b64 s[12:13], s[12:13], exec
	s_or_b64 s[48:49], s[4:5], s[12:13]
	s_andn2_b64 exec, exec, s[8:9]
	s_cbranch_execz .LBB123_148
.LBB123_144:                            ;   Parent Loop BB123_12 Depth=1
                                        ; =>  This Inner Loop Header: Depth=2
	v_cmp_gt_u64_e32 vcc, s[10:11], v[6:7]
	s_and_saveexec_b64 s[12:13], vcc
	s_cbranch_execz .LBB123_142
; %bb.145:                              ;   in Loop: Header=BB123_144 Depth=2
	ds_read_u8 v11, v10
	s_waitcnt lgkmcnt(0)
	v_and_b32_e32 v21, v11, v8
	v_cmp_eq_u32_sdwa s[4:5], v21, v9 src0_sel:BYTE_0 src1_sel:DWORD
	s_and_b64 exec, exec, s[4:5]
	s_cbranch_execz .LBB123_142
; %bb.146:                              ;   in Loop: Header=BB123_144 Depth=2
	v_lshlrev_b16_e32 v11, 8, v11
	v_or_b32_e32 v11, 1, v11
	ds_write_b16 v3, v11 offset:3072
	s_branch .LBB123_142
.LBB123_147:                            ;   in Loop: Header=BB123_144 Depth=2
	v_add_co_u32_e32 v6, vcc, s33, v6
	v_addc_co_u32_e32 v7, vcc, 0, v7, vcc
	v_cmp_le_u64_e32 vcc, s[46:47], v[6:7]
	v_add_u32_e32 v10, s33, v10
	s_mov_b64 s[12:13], 0
	s_orn2_b64 s[4:5], vcc, exec
	s_branch .LBB123_143
.LBB123_148:                            ;   in Loop: Header=BB123_12 Depth=1
	s_or_b64 exec, exec, s[8:9]
	v_lshrrev_b32_sdwa v10, v31, v11 dst_sel:DWORD dst_unused:UNUSED_PAD src0_sel:DWORD src1_sel:WORD_0
	s_and_b64 s[8:9], s[48:49], exec
.LBB123_149:                            ;   in Loop: Header=BB123_12 Depth=1
	s_or_b64 exec, exec, s[44:45]
.LBB123_150:                            ;   in Loop: Header=BB123_12 Depth=1
	s_and_b64 vcc, exec, s[20:21]
	s_cbranch_vccz .LBB123_167
; %bb.151:                              ;   in Loop: Header=BB123_12 Depth=1
	s_mov_b32 s66, s59
	s_cmp_lg_u64 s[66:67], 0
	s_cbranch_scc0 .LBB123_154
; %bb.152:                              ;   in Loop: Header=BB123_12 Depth=1
	v_cvt_f32_u32_e32 v6, s33
	s_sub_u32 s10, 0, s33
	s_subb_u32 s11, 0, 0
	v_mac_f32_e32 v6, 0, v30
	v_rcp_f32_e32 v6, v6
	v_mul_f32_e32 v6, 0x5f7ffffc, v6
	v_mul_f32_e32 v7, 0x2f800000, v6
	v_trunc_f32_e32 v7, v7
	v_mac_f32_e32 v6, 0xcf800000, v7
	v_cvt_u32_f32_e32 v7, v7
	v_cvt_u32_f32_e32 v6, v6
	v_readfirstlane_b32 s12, v7
	v_readfirstlane_b32 s4, v6
	s_mul_i32 s5, s10, s12
	s_mul_hi_u32 s20, s10, s4
	s_mul_i32 s13, s11, s4
	s_add_i32 s5, s20, s5
	s_mul_i32 s21, s10, s4
	s_add_i32 s5, s5, s13
	s_mul_hi_u32 s20, s4, s21
	s_mul_i32 s38, s4, s5
	s_mul_hi_u32 s13, s4, s5
	s_add_u32 s20, s20, s38
	s_addc_u32 s13, 0, s13
	s_mul_hi_u32 s39, s12, s21
	s_mul_i32 s21, s12, s21
	s_add_u32 s20, s20, s21
	s_mul_hi_u32 s38, s12, s5
	s_addc_u32 s13, s13, s39
	s_addc_u32 s20, s38, 0
	s_mul_i32 s5, s12, s5
	s_add_u32 s5, s13, s5
	s_addc_u32 s13, 0, s20
	s_add_u32 s20, s4, s5
	s_cselect_b64 s[4:5], -1, 0
	s_cmp_lg_u64 s[4:5], 0
	s_addc_u32 s12, s12, s13
	s_mul_i32 s4, s10, s12
	s_mul_hi_u32 s5, s10, s20
	s_add_i32 s4, s5, s4
	s_mul_i32 s11, s11, s20
	s_add_i32 s4, s4, s11
	s_mul_i32 s10, s10, s20
	s_mul_hi_u32 s11, s12, s10
	s_mul_i32 s13, s12, s10
	s_mul_i32 s38, s20, s4
	s_mul_hi_u32 s10, s20, s10
	s_mul_hi_u32 s21, s20, s4
	s_add_u32 s10, s10, s38
	s_addc_u32 s21, 0, s21
	s_add_u32 s10, s10, s13
	s_mul_hi_u32 s5, s12, s4
	s_addc_u32 s10, s21, s11
	s_addc_u32 s5, s5, 0
	s_mul_i32 s4, s12, s4
	s_add_u32 s4, s10, s4
	s_addc_u32 s10, 0, s5
	s_add_u32 s11, s20, s4
	s_cselect_b64 s[4:5], -1, 0
	s_cmp_lg_u64 s[4:5], 0
	s_addc_u32 s4, s12, s10
	v_readlane_b32 s21, v47, 35
	s_mul_i32 s10, s21, s4
	s_mul_hi_u32 s12, s21, s11
	s_mul_hi_u32 s5, s21, s4
	s_add_u32 s10, s12, s10
	s_addc_u32 s5, 0, s5
	s_mul_hi_u32 s13, s67, s11
	s_mul_i32 s11, s67, s11
	s_add_u32 s10, s10, s11
	s_mul_hi_u32 s12, s67, s4
	s_addc_u32 s5, s5, s13
	s_addc_u32 s10, s12, 0
	s_mul_i32 s4, s67, s4
	s_add_u32 s4, s5, s4
	s_addc_u32 s5, 0, s10
	s_mul_i32 s5, s33, s5
	s_mul_hi_u32 s10, s33, s4
	s_add_i32 s10, s10, s5
	s_mul_i32 s4, s33, s4
	s_sub_u32 s12, s21, s4
	s_cselect_b64 s[4:5], -1, 0
	s_cmp_lg_u64 s[4:5], 0
	s_subb_u32 s10, s67, s10
	s_sub_u32 s11, s12, s33
	s_cselect_b64 s[4:5], -1, 0
	s_cmp_lg_u64 s[4:5], 0
	s_subb_u32 s13, s10, 0
	;; [unrolled: 4-line block ×3, first 2 shown]
	s_cmp_ge_u32 s11, s33
	s_cselect_b32 s5, -1, 0
	s_cmp_eq_u32 s13, 0
	s_cselect_b32 s5, s5, -1
	s_cmp_lg_u32 s5, 0
	s_cselect_b32 s4, s4, s13
	s_cselect_b32 s5, s20, s11
	s_cmp_ge_u32 s12, s33
	s_cselect_b32 s11, -1, 0
	s_cmp_eq_u32 s10, 0
	s_cselect_b32 s11, s11, -1
	s_cmp_lg_u32 s11, 0
	s_cselect_b32 s11, s4, s10
	s_cselect_b32 s10, s5, s12
	s_mov_b64 s[4:5], 0
	s_branch .LBB123_155
.LBB123_153:                            ;   in Loop: Header=BB123_12 Depth=1
                                        ; implicit-def: $sgpr12_sgpr13
	s_branch .LBB123_139
.LBB123_154:                            ;   in Loop: Header=BB123_12 Depth=1
	s_mov_b64 s[4:5], -1
	v_readlane_b32 s21, v47, 35
                                        ; implicit-def: $sgpr10_sgpr11
.LBB123_155:                            ;   in Loop: Header=BB123_12 Depth=1
	s_andn2_b64 vcc, exec, s[4:5]
	v_readlane_b32 s66, v47, 54
	s_cbranch_vccnz .LBB123_157
; %bb.156:                              ;   in Loop: Header=BB123_12 Depth=1
	v_cvt_f32_u32_e32 v6, s33
	s_sub_i32 s4, 0, s33
	v_rcp_iflag_f32_e32 v6, v6
	v_mul_f32_e32 v6, 0x4f7ffffe, v6
	v_cvt_u32_f32_e32 v6, v6
	v_readfirstlane_b32 s5, v6
	s_mul_i32 s4, s4, s5
	s_mul_hi_u32 s4, s5, s4
	s_add_i32 s5, s5, s4
	s_mul_hi_u32 s4, s21, s5
	s_mul_i32 s4, s4, s33
	s_sub_i32 s4, s21, s4
	s_sub_i32 s5, s4, s33
	s_cmp_ge_u32 s4, s33
	s_cselect_b32 s4, s5, s4
	s_sub_i32 s5, s4, s33
	s_cmp_ge_u32 s4, s33
	s_cselect_b32 s58, s5, s4
	s_mov_b64 s[10:11], s[58:59]
	v_readlane_b32 s58, v47, 55
.LBB123_157:                            ;   in Loop: Header=BB123_12 Depth=1
	s_sub_u32 s20, s21, s10
	s_subb_u32 s21, s67, s11
	v_cmp_gt_u64_e32 vcc, s[20:21], v[0:1]
                                        ; implicit-def: $vgpr10
	s_and_saveexec_b64 s[10:11], vcc
	s_cbranch_execz .LBB123_166
; %bb.158:                              ;   in Loop: Header=BB123_12 Depth=1
	v_mov_b32_e32 v7, v1
	s_mov_b64 s[38:39], 0
	v_mov_b32_e32 v6, v0
                                        ; implicit-def: $sgpr40_sgpr41
	s_branch .LBB123_161
.LBB123_159:                            ;   in Loop: Header=BB123_161 Depth=2
	s_or_b64 exec, exec, s[12:13]
	s_waitcnt lgkmcnt(0)
	s_barrier
	ds_read_u16 v10, v3 offset:3072
	s_mov_b64 s[4:5], -1
	s_waitcnt lgkmcnt(0)
	s_barrier
	v_cmp_eq_u32_sdwa s[12:13], v10, v3 src0_sel:BYTE_0 src1_sel:DWORD
	s_and_b64 vcc, exec, s[12:13]
	s_mov_b64 s[12:13], -1
	s_cbranch_vccnz .LBB123_164
.LBB123_160:                            ;   in Loop: Header=BB123_161 Depth=2
	s_and_b64 s[4:5], exec, s[4:5]
	s_or_b64 s[38:39], s[4:5], s[38:39]
	s_andn2_b64 s[4:5], s[40:41], exec
	s_and_b64 s[12:13], s[12:13], exec
	s_or_b64 s[40:41], s[4:5], s[12:13]
	s_andn2_b64 exec, exec, s[38:39]
	s_cbranch_execz .LBB123_165
.LBB123_161:                            ;   Parent Loop BB123_12 Depth=1
                                        ; =>  This Inner Loop Header: Depth=2
	v_cmp_gt_u64_e32 vcc, s[28:29], v[6:7]
	s_and_saveexec_b64 s[12:13], vcc
	s_cbranch_execz .LBB123_159
; %bb.162:                              ;   in Loop: Header=BB123_161 Depth=2
	v_mov_b32_e32 v10, s34
	v_mov_b32_e32 v11, s35
	v_mad_u64_u32 v[10:11], s[4:5], v6, s26, v[10:11]
	v_mul_lo_u32 v21, v6, s27
	v_mul_lo_u32 v22, v7, s26
	v_add3_u32 v11, v22, v11, v21
	global_load_ubyte v10, v[10:11], off
	s_waitcnt vmcnt(0)
	v_and_b32_e32 v11, v10, v8
	v_cmp_eq_u32_sdwa s[4:5], v11, v9 src0_sel:BYTE_0 src1_sel:DWORD
	s_and_b64 exec, exec, s[4:5]
	s_cbranch_execz .LBB123_159
; %bb.163:                              ;   in Loop: Header=BB123_161 Depth=2
	v_lshlrev_b16_e32 v10, 8, v10
	v_or_b32_e32 v10, 1, v10
	ds_write_b16 v3, v10 offset:3072
	s_branch .LBB123_159
.LBB123_164:                            ;   in Loop: Header=BB123_161 Depth=2
	v_add_co_u32_e32 v6, vcc, s33, v6
	v_addc_co_u32_e32 v7, vcc, 0, v7, vcc
	v_cmp_le_u64_e32 vcc, s[20:21], v[6:7]
	s_mov_b64 s[12:13], 0
	s_orn2_b64 s[4:5], vcc, exec
	s_branch .LBB123_160
.LBB123_165:                            ;   in Loop: Header=BB123_12 Depth=1
	s_or_b64 exec, exec, s[38:39]
	s_andn2_b64 s[4:5], s[8:9], exec
	s_and_b64 s[8:9], s[40:41], exec
	v_lshrrev_b32_sdwa v10, v31, v10 dst_sel:DWORD dst_unused:UNUSED_PAD src0_sel:DWORD src1_sel:WORD_0
	s_or_b64 s[8:9], s[4:5], s[8:9]
.LBB123_166:                            ;   in Loop: Header=BB123_12 Depth=1
	s_or_b64 exec, exec, s[10:11]
	s_mov_b64 s[38:39], 0
	s_mov_b64 s[40:41], -1
.LBB123_167:                            ;   in Loop: Header=BB123_12 Depth=1
	s_orn2_b64 s[8:9], s[8:9], exec
.LBB123_168:                            ;   in Loop: Header=BB123_12 Depth=1
	s_or_b64 exec, exec, s[14:15]
	s_mov_b64 s[10:11], 0
	s_and_saveexec_b64 s[14:15], s[8:9]
	s_cbranch_execz .LBB123_276
; %bb.169:                              ;   in Loop: Header=BB123_12 Depth=1
	v_mov_b32_e32 v6, 1
	s_xor_b64 s[4:5], s[2:3], -1
	v_mov_b32_e32 v2, 1
	v_mov_b32_e32 v7, 0
	s_mov_b64 s[8:9], 0
	s_and_saveexec_b64 s[2:3], s[4:5]
	s_cbranch_execz .LBB123_178
; %bb.170:                              ;   in Loop: Header=BB123_12 Depth=1
	v_cmp_ge_u64_e32 vcc, s[54:55], v[4:5]
	s_and_saveexec_b64 s[4:5], vcc
	s_xor_b64 s[8:9], exec, s[4:5]
	s_cbranch_execz .LBB123_175
; %bb.171:                              ;   in Loop: Header=BB123_12 Depth=1
	ds_read_b64 v[6:7], v3 offset:5120
	v_and_b32_e32 v2, s60, v9
	v_lshl_or_b32 v9, 1, s69, v2
	v_or_b32_e32 v8, s71, v8
	s_waitcnt lgkmcnt(0)
	v_cmp_ne_u64_e32 vcc, 0, v[6:7]
	s_cbranch_vccnz .LBB123_175
; %bb.172:                              ;   in Loop: Header=BB123_12 Depth=1
	s_mov_b64 s[4:5], exec
	v_readlane_b32 s10, v47, 12
	v_readlane_b32 s11, v47, 13
	s_and_b64 s[10:11], s[4:5], s[10:11]
	s_mov_b64 exec, s[10:11]
; %bb.173:                              ;   in Loop: Header=BB123_12 Depth=1
	v_mov_b32_e32 v6, s54
	v_mov_b32_e32 v7, s55
	ds_write_b64 v3, v[6:7] offset:5128
; %bb.174:                              ;   in Loop: Header=BB123_12 Depth=1
	s_or_b64 exec, exec, s[4:5]
	s_waitcnt lgkmcnt(0)
	s_barrier
.LBB123_175:                            ;   in Loop: Header=BB123_12 Depth=1
	s_or_saveexec_b64 s[8:9], s[8:9]
	s_mov_b64 s[10:11], 0
	v_mov_b32_e32 v2, 8
	s_xor_b64 exec, exec, s[8:9]
; %bb.176:                              ;   in Loop: Header=BB123_12 Depth=1
	v_subrev_co_u32_e32 v4, vcc, s54, v4
	v_mov_b32_e32 v2, s55
	v_subb_co_u32_e32 v5, vcc, v5, v2, vcc
	v_mov_b32_e32 v2, 0
	s_mov_b64 s[10:11], exec
; %bb.177:                              ;   in Loop: Header=BB123_12 Depth=1
	s_or_b64 exec, exec, s[8:9]
	v_mov_b32_e32 v7, v5
	s_and_b64 s[8:9], s[10:11], exec
	v_mov_b32_e32 v6, v4
.LBB123_178:                            ;   in Loop: Header=BB123_12 Depth=1
	s_or_b64 exec, exec, s[2:3]
	s_mov_b64 s[2:3], -1
                                        ; implicit-def: $sgpr4_sgpr5
                                        ; kill: killed $sgpr4_sgpr5
                                        ; implicit-def: $sgpr20_sgpr21
	s_and_saveexec_b64 s[12:13], s[8:9]
	s_cbranch_execz .LBB123_275
; %bb.179:                              ;   in Loop: Header=BB123_12 Depth=1
	s_cmp_eq_u64 s[56:57], 1
	v_cmp_eq_u64_e32 vcc, 1, v[6:7]
	s_cselect_b64 s[2:3], -1, 0
	v_writelane_b32 v47, s12, 59
	s_and_b64 s[46:47], s[2:3], vcc
	s_mov_b64 s[8:9], -1
	v_writelane_b32 v47, s13, 60
                                        ; implicit-def: $sgpr20_sgpr21
                                        ; implicit-def: $sgpr2_sgpr3
                                        ; kill: killed $sgpr2_sgpr3
	s_and_saveexec_b64 s[2:3], s[46:47]
	s_cbranch_execz .LBB123_214
; %bb.180:                              ;   in Loop: Header=BB123_12 Depth=1
	ds_read_b64 v[4:5], v3 offset:5120
	s_waitcnt lgkmcnt(0)
	s_barrier
	v_readfirstlane_b32 s10, v4
	v_readfirstlane_b32 s11, v5
	s_mov_b64 s[4:5], exec
	v_readlane_b32 s8, v47, 30
	v_readlane_b32 s9, v47, 31
	s_and_b64 s[8:9], s[4:5], s[8:9]
	s_mov_b64 exec, s[8:9]
; %bb.181:                              ;   in Loop: Header=BB123_12 Depth=1
	ds_write_b8 v0, v3 offset:3072
; %bb.182:                              ;   in Loop: Header=BB123_12 Depth=1
	s_or_b64 exec, exec, s[4:5]
	v_and_b32_e32 v4, s60, v9
	s_mov_b64 s[4:5], -1
	v_lshl_or_b32 v9, 2, s69, v4
	v_or_b32_e32 v8, s71, v8
	v_writelane_b32 v47, s4, 57
	s_mov_b64 s[20:21], 0
	s_cmp_eq_u64 s[10:11], 0
	s_mov_b64 s[8:9], 0
	s_mov_b64 s[44:45], -1
	s_waitcnt lgkmcnt(0)
	s_barrier
	v_writelane_b32 v47, s5, 58
                                        ; implicit-def: $vgpr10
	s_cbranch_scc1 .LBB123_196
; %bb.183:                              ;   in Loop: Header=BB123_12 Depth=1
	v_readlane_b32 s4, v47, 34
	s_add_u32 s44, s10, s4
	v_readlane_b32 s4, v47, 36
	s_addc_u32 s9, s11, s4
	s_mov_b32 s8, s59
	s_cmp_lg_u64 s[8:9], 0
	s_cbranch_scc0 .LBB123_199
; %bb.184:                              ;   in Loop: Header=BB123_12 Depth=1
	v_cvt_f32_u32_e32 v4, s33
	s_sub_u32 s8, 0, s33
	s_subb_u32 s12, 0, 0
	v_mac_f32_e32 v4, 0, v30
	v_rcp_f32_e32 v4, v4
	v_mul_f32_e32 v4, 0x5f7ffffc, v4
	v_mul_f32_e32 v5, 0x2f800000, v4
	v_trunc_f32_e32 v5, v5
	v_mac_f32_e32 v4, 0xcf800000, v5
	v_cvt_u32_f32_e32 v5, v5
	v_cvt_u32_f32_e32 v4, v4
	v_readfirstlane_b32 s13, v5
	v_readfirstlane_b32 s4, v4
	s_mul_i32 s5, s8, s13
	s_mul_hi_u32 s48, s8, s4
	s_mul_i32 s45, s12, s4
	s_add_i32 s5, s48, s5
	s_mul_i32 s49, s8, s4
	s_add_i32 s5, s5, s45
	s_mul_hi_u32 s48, s4, s49
	s_mul_i32 s58, s4, s5
	s_mul_hi_u32 s45, s4, s5
	s_add_u32 s48, s48, s58
	s_addc_u32 s45, 0, s45
	s_mul_hi_u32 s64, s13, s49
	s_mul_i32 s49, s13, s49
	s_add_u32 s48, s48, s49
	s_mul_hi_u32 s58, s13, s5
	s_addc_u32 s45, s45, s64
	s_addc_u32 s48, s58, 0
	s_mul_i32 s5, s13, s5
	s_add_u32 s5, s45, s5
	s_addc_u32 s45, 0, s48
	s_add_u32 s48, s4, s5
	s_cselect_b64 s[4:5], -1, 0
	s_cmp_lg_u64 s[4:5], 0
	s_addc_u32 s13, s13, s45
	s_mul_i32 s4, s8, s13
	s_mul_hi_u32 s5, s8, s48
	s_add_i32 s4, s5, s4
	s_mul_i32 s12, s12, s48
	s_add_i32 s4, s4, s12
	s_mul_i32 s8, s8, s48
	s_mul_hi_u32 s12, s13, s8
	s_mul_i32 s45, s13, s8
	s_mul_i32 s58, s48, s4
	s_mul_hi_u32 s8, s48, s8
	s_mul_hi_u32 s49, s48, s4
	s_add_u32 s8, s8, s58
	s_addc_u32 s49, 0, s49
	s_add_u32 s8, s8, s45
	s_mul_hi_u32 s5, s13, s4
	s_addc_u32 s8, s49, s12
	s_addc_u32 s5, s5, 0
	s_mul_i32 s4, s13, s4
	s_add_u32 s4, s8, s4
	s_addc_u32 s8, 0, s5
	s_add_u32 s12, s48, s4
	s_cselect_b64 s[4:5], -1, 0
	s_cmp_lg_u64 s[4:5], 0
	s_addc_u32 s4, s13, s8
	s_mul_i32 s8, s44, s4
	s_mul_hi_u32 s13, s44, s12
	s_mul_hi_u32 s5, s44, s4
	s_add_u32 s8, s13, s8
	s_addc_u32 s5, 0, s5
	s_mul_hi_u32 s45, s9, s12
	s_mul_i32 s12, s9, s12
	s_add_u32 s8, s8, s12
	s_mul_hi_u32 s13, s9, s4
	s_addc_u32 s5, s5, s45
	s_addc_u32 s8, s13, 0
	s_mul_i32 s4, s9, s4
	s_add_u32 s4, s5, s4
	s_addc_u32 s5, 0, s8
	s_mul_i32 s5, s33, s5
	s_mul_hi_u32 s8, s33, s4
	s_add_i32 s8, s8, s5
	s_mul_i32 s4, s33, s4
	s_sub_u32 s12, s44, s4
	s_cselect_b64 s[4:5], -1, 0
	s_cmp_lg_u64 s[4:5], 0
	s_subb_u32 s8, s9, s8
	s_sub_u32 s13, s12, s33
	s_cselect_b64 s[4:5], -1, 0
	s_cmp_lg_u64 s[4:5], 0
	s_subb_u32 s45, s8, 0
	;; [unrolled: 4-line block ×3, first 2 shown]
	s_cmp_ge_u32 s13, s33
	s_cselect_b32 s5, -1, 0
	s_cmp_eq_u32 s45, 0
	s_cselect_b32 s5, s5, -1
	s_cmp_lg_u32 s5, 0
	s_cselect_b32 s4, s4, s45
	s_cselect_b32 s5, s48, s13
	s_cmp_ge_u32 s12, s33
	s_cselect_b32 s13, -1, 0
	s_cmp_eq_u32 s8, 0
	s_cselect_b32 s13, s13, -1
	s_cmp_lg_u32 s13, 0
	s_cselect_b32 s13, s4, s8
	s_cselect_b32 s12, s5, s12
	s_cbranch_execnz .LBB123_186
.LBB123_185:                            ;   in Loop: Header=BB123_12 Depth=1
	v_cvt_f32_u32_e32 v4, s33
	s_sub_i32 s4, 0, s33
	v_rcp_iflag_f32_e32 v4, v4
	v_mul_f32_e32 v4, 0x4f7ffffe, v4
	v_cvt_u32_f32_e32 v4, v4
	v_readfirstlane_b32 s5, v4
	s_mul_i32 s4, s4, s5
	s_mul_hi_u32 s4, s5, s4
	s_add_i32 s5, s5, s4
	s_mul_hi_u32 s4, s44, s5
	s_mul_i32 s4, s4, s33
	s_sub_i32 s4, s44, s4
	s_sub_i32 s5, s4, s33
	s_cmp_ge_u32 s4, s33
	s_cselect_b32 s4, s5, s4
	s_sub_i32 s5, s4, s33
	s_cmp_ge_u32 s4, s33
	s_cselect_b32 s58, s5, s4
	s_mov_b64 s[12:13], s[58:59]
.LBB123_186:                            ;   in Loop: Header=BB123_12 Depth=1
	s_sub_u32 s64, s44, s12
	s_subb_u32 s65, s9, s13
	v_cmp_gt_u64_e32 vcc, s[64:65], v[0:1]
	s_mov_b64 s[44:45], 0
	s_mov_b64 s[8:9], 0
                                        ; implicit-def: $vgpr10
	s_and_saveexec_b64 s[72:73], vcc
	v_readlane_b32 s58, v47, 55
	s_cbranch_execz .LBB123_195
; %bb.187:                              ;   in Loop: Header=BB123_12 Depth=1
	v_mov_b32_e32 v5, v1
	v_mov_b32_e32 v10, v0
	;; [unrolled: 1-line block ×3, first 2 shown]
                                        ; implicit-def: $sgpr12_sgpr13
	s_branch .LBB123_190
.LBB123_188:                            ;   in Loop: Header=BB123_190 Depth=2
	s_or_b64 exec, exec, s[4:5]
	s_waitcnt lgkmcnt(0)
	s_barrier
	ds_read_u16 v11, v3 offset:3072
	s_mov_b64 s[4:5], -1
	s_waitcnt lgkmcnt(0)
	s_barrier
	v_cmp_ne_u32_sdwa s[48:49], v11, v3 src0_sel:BYTE_0 src1_sel:DWORD
	s_and_b64 vcc, exec, s[48:49]
	s_mov_b64 s[48:49], -1
	s_cbranch_vccz .LBB123_193
.LBB123_189:                            ;   in Loop: Header=BB123_190 Depth=2
	s_and_b64 s[4:5], exec, s[4:5]
	s_or_b64 s[8:9], s[4:5], s[8:9]
	s_andn2_b64 s[4:5], s[12:13], exec
	s_and_b64 s[12:13], s[48:49], exec
	s_or_b64 s[12:13], s[4:5], s[12:13]
	s_andn2_b64 exec, exec, s[8:9]
	s_cbranch_execz .LBB123_194
.LBB123_190:                            ;   Parent Loop BB123_12 Depth=1
                                        ; =>  This Inner Loop Header: Depth=2
	v_cmp_gt_u64_e32 vcc, s[10:11], v[4:5]
	s_and_saveexec_b64 s[4:5], vcc
	s_cbranch_execz .LBB123_188
; %bb.191:                              ;   in Loop: Header=BB123_190 Depth=2
	ds_read_u8 v11, v10
	s_waitcnt lgkmcnt(0)
	v_and_b32_e32 v21, v11, v8
	v_cmp_eq_u32_sdwa s[48:49], v21, v9 src0_sel:BYTE_0 src1_sel:DWORD
	s_and_b64 exec, exec, s[48:49]
	s_cbranch_execz .LBB123_188
; %bb.192:                              ;   in Loop: Header=BB123_190 Depth=2
	v_lshlrev_b16_e32 v11, 8, v11
	v_or_b32_e32 v11, 1, v11
	ds_write_b16 v3, v11 offset:3072
	s_branch .LBB123_188
.LBB123_193:                            ;   in Loop: Header=BB123_190 Depth=2
	v_add_co_u32_e32 v4, vcc, s33, v4
	v_addc_co_u32_e32 v5, vcc, 0, v5, vcc
	v_cmp_le_u64_e32 vcc, s[64:65], v[4:5]
	v_add_u32_e32 v10, s33, v10
	s_mov_b64 s[48:49], 0
	s_orn2_b64 s[4:5], vcc, exec
	s_branch .LBB123_189
.LBB123_194:                            ;   in Loop: Header=BB123_12 Depth=1
	s_or_b64 exec, exec, s[8:9]
	v_lshrrev_b32_sdwa v10, v31, v11 dst_sel:DWORD dst_unused:UNUSED_PAD src0_sel:DWORD src1_sel:WORD_0
	s_and_b64 s[8:9], s[12:13], exec
.LBB123_195:                            ;   in Loop: Header=BB123_12 Depth=1
	s_or_b64 exec, exec, s[72:73]
.LBB123_196:                            ;   in Loop: Header=BB123_12 Depth=1
	s_and_b64 vcc, exec, s[44:45]
	s_cbranch_vccz .LBB123_213
; %bb.197:                              ;   in Loop: Header=BB123_12 Depth=1
	s_mov_b32 s66, s59
	s_cmp_lg_u64 s[66:67], 0
	s_cbranch_scc0 .LBB123_200
; %bb.198:                              ;   in Loop: Header=BB123_12 Depth=1
	v_cvt_f32_u32_e32 v4, s33
	s_sub_u32 s10, 0, s33
	s_subb_u32 s11, 0, 0
	v_mac_f32_e32 v4, 0, v30
	v_rcp_f32_e32 v4, v4
	v_mul_f32_e32 v4, 0x5f7ffffc, v4
	v_mul_f32_e32 v5, 0x2f800000, v4
	v_trunc_f32_e32 v5, v5
	v_mac_f32_e32 v4, 0xcf800000, v5
	v_cvt_u32_f32_e32 v5, v5
	v_cvt_u32_f32_e32 v4, v4
	v_readfirstlane_b32 s12, v5
	v_readfirstlane_b32 s4, v4
	s_mul_i32 s5, s10, s12
	s_mul_hi_u32 s20, s10, s4
	s_mul_i32 s13, s11, s4
	s_add_i32 s5, s20, s5
	s_mul_i32 s21, s10, s4
	s_add_i32 s5, s5, s13
	s_mul_hi_u32 s20, s4, s21
	s_mul_i32 s44, s4, s5
	s_mul_hi_u32 s13, s4, s5
	s_add_u32 s20, s20, s44
	s_addc_u32 s13, 0, s13
	s_mul_hi_u32 s45, s12, s21
	s_mul_i32 s21, s12, s21
	s_add_u32 s20, s20, s21
	s_mul_hi_u32 s44, s12, s5
	s_addc_u32 s13, s13, s45
	s_addc_u32 s20, s44, 0
	s_mul_i32 s5, s12, s5
	s_add_u32 s5, s13, s5
	s_addc_u32 s13, 0, s20
	s_add_u32 s20, s4, s5
	s_cselect_b64 s[4:5], -1, 0
	s_cmp_lg_u64 s[4:5], 0
	s_addc_u32 s12, s12, s13
	s_mul_i32 s4, s10, s12
	s_mul_hi_u32 s5, s10, s20
	s_add_i32 s4, s5, s4
	s_mul_i32 s11, s11, s20
	s_add_i32 s4, s4, s11
	s_mul_i32 s10, s10, s20
	s_mul_hi_u32 s11, s12, s10
	s_mul_i32 s13, s12, s10
	s_mul_i32 s44, s20, s4
	s_mul_hi_u32 s10, s20, s10
	s_mul_hi_u32 s21, s20, s4
	s_add_u32 s10, s10, s44
	s_addc_u32 s21, 0, s21
	s_add_u32 s10, s10, s13
	s_mul_hi_u32 s5, s12, s4
	s_addc_u32 s10, s21, s11
	s_addc_u32 s5, s5, 0
	s_mul_i32 s4, s12, s4
	s_add_u32 s4, s10, s4
	s_addc_u32 s10, 0, s5
	s_add_u32 s11, s20, s4
	s_cselect_b64 s[4:5], -1, 0
	s_cmp_lg_u64 s[4:5], 0
	s_addc_u32 s4, s12, s10
	v_readlane_b32 s21, v47, 35
	s_mul_i32 s10, s21, s4
	s_mul_hi_u32 s12, s21, s11
	s_mul_hi_u32 s5, s21, s4
	s_add_u32 s10, s12, s10
	s_addc_u32 s5, 0, s5
	s_mul_hi_u32 s13, s67, s11
	s_mul_i32 s11, s67, s11
	s_add_u32 s10, s10, s11
	s_mul_hi_u32 s12, s67, s4
	s_addc_u32 s5, s5, s13
	s_addc_u32 s10, s12, 0
	s_mul_i32 s4, s67, s4
	s_add_u32 s4, s5, s4
	s_addc_u32 s5, 0, s10
	s_mul_i32 s5, s33, s5
	s_mul_hi_u32 s10, s33, s4
	s_add_i32 s10, s10, s5
	s_mul_i32 s4, s33, s4
	s_sub_u32 s12, s21, s4
	s_cselect_b64 s[4:5], -1, 0
	s_cmp_lg_u64 s[4:5], 0
	s_subb_u32 s10, s67, s10
	s_sub_u32 s11, s12, s33
	s_cselect_b64 s[4:5], -1, 0
	s_cmp_lg_u64 s[4:5], 0
	s_subb_u32 s13, s10, 0
	;; [unrolled: 4-line block ×3, first 2 shown]
	s_cmp_ge_u32 s11, s33
	s_cselect_b32 s5, -1, 0
	s_cmp_eq_u32 s13, 0
	s_cselect_b32 s5, s5, -1
	s_cmp_lg_u32 s5, 0
	s_cselect_b32 s4, s4, s13
	s_cselect_b32 s5, s20, s11
	s_cmp_ge_u32 s12, s33
	s_cselect_b32 s11, -1, 0
	s_cmp_eq_u32 s10, 0
	s_cselect_b32 s11, s11, -1
	s_cmp_lg_u32 s11, 0
	s_cselect_b32 s11, s4, s10
	s_cselect_b32 s10, s5, s12
	s_mov_b64 s[4:5], 0
	s_branch .LBB123_201
.LBB123_199:                            ;   in Loop: Header=BB123_12 Depth=1
                                        ; implicit-def: $sgpr12_sgpr13
	s_branch .LBB123_185
.LBB123_200:                            ;   in Loop: Header=BB123_12 Depth=1
	s_mov_b64 s[4:5], -1
	v_readlane_b32 s21, v47, 35
                                        ; implicit-def: $sgpr10_sgpr11
.LBB123_201:                            ;   in Loop: Header=BB123_12 Depth=1
	s_andn2_b64 vcc, exec, s[4:5]
	v_readlane_b32 s66, v47, 54
	s_cbranch_vccnz .LBB123_203
; %bb.202:                              ;   in Loop: Header=BB123_12 Depth=1
	v_cvt_f32_u32_e32 v4, s33
	s_sub_i32 s4, 0, s33
	v_rcp_iflag_f32_e32 v4, v4
	v_mul_f32_e32 v4, 0x4f7ffffe, v4
	v_cvt_u32_f32_e32 v4, v4
	v_readfirstlane_b32 s5, v4
	s_mul_i32 s4, s4, s5
	s_mul_hi_u32 s4, s5, s4
	s_add_i32 s5, s5, s4
	s_mul_hi_u32 s4, s21, s5
	s_mul_i32 s4, s4, s33
	s_sub_i32 s4, s21, s4
	s_sub_i32 s5, s4, s33
	s_cmp_ge_u32 s4, s33
	s_cselect_b32 s4, s5, s4
	s_sub_i32 s5, s4, s33
	s_cmp_ge_u32 s4, s33
	s_cselect_b32 s58, s5, s4
	s_mov_b64 s[10:11], s[58:59]
	v_readlane_b32 s58, v47, 55
.LBB123_203:                            ;   in Loop: Header=BB123_12 Depth=1
	s_sub_u32 s20, s21, s10
	s_subb_u32 s21, s67, s11
	v_cmp_gt_u64_e32 vcc, s[20:21], v[0:1]
                                        ; implicit-def: $vgpr10
	s_and_saveexec_b64 s[10:11], vcc
	s_cbranch_execz .LBB123_212
; %bb.204:                              ;   in Loop: Header=BB123_12 Depth=1
	v_mov_b32_e32 v5, v1
	s_mov_b64 s[44:45], 0
	v_mov_b32_e32 v4, v0
                                        ; implicit-def: $sgpr48_sgpr49
	s_branch .LBB123_207
.LBB123_205:                            ;   in Loop: Header=BB123_207 Depth=2
	s_or_b64 exec, exec, s[12:13]
	s_waitcnt lgkmcnt(0)
	s_barrier
	ds_read_u16 v10, v3 offset:3072
	s_mov_b64 s[4:5], -1
	s_waitcnt lgkmcnt(0)
	s_barrier
	v_cmp_eq_u32_sdwa s[12:13], v10, v3 src0_sel:BYTE_0 src1_sel:DWORD
	s_and_b64 vcc, exec, s[12:13]
	s_mov_b64 s[12:13], -1
	s_cbranch_vccnz .LBB123_210
.LBB123_206:                            ;   in Loop: Header=BB123_207 Depth=2
	s_and_b64 s[4:5], exec, s[4:5]
	s_or_b64 s[44:45], s[4:5], s[44:45]
	s_andn2_b64 s[4:5], s[48:49], exec
	s_and_b64 s[12:13], s[12:13], exec
	s_or_b64 s[48:49], s[4:5], s[12:13]
	s_andn2_b64 exec, exec, s[44:45]
	s_cbranch_execz .LBB123_211
.LBB123_207:                            ;   Parent Loop BB123_12 Depth=1
                                        ; =>  This Inner Loop Header: Depth=2
	v_cmp_gt_u64_e32 vcc, s[28:29], v[4:5]
	s_and_saveexec_b64 s[12:13], vcc
	s_cbranch_execz .LBB123_205
; %bb.208:                              ;   in Loop: Header=BB123_207 Depth=2
	v_mov_b32_e32 v10, s34
	v_mov_b32_e32 v11, s35
	v_mad_u64_u32 v[10:11], s[4:5], v4, s26, v[10:11]
	v_mul_lo_u32 v21, v4, s27
	v_mul_lo_u32 v22, v5, s26
	v_add3_u32 v11, v22, v11, v21
	global_load_ubyte v10, v[10:11], off
	s_waitcnt vmcnt(0)
	v_and_b32_e32 v11, v10, v8
	v_cmp_eq_u32_sdwa s[4:5], v11, v9 src0_sel:BYTE_0 src1_sel:DWORD
	s_and_b64 exec, exec, s[4:5]
	s_cbranch_execz .LBB123_205
; %bb.209:                              ;   in Loop: Header=BB123_207 Depth=2
	v_lshlrev_b16_e32 v10, 8, v10
	v_or_b32_e32 v10, 1, v10
	ds_write_b16 v3, v10 offset:3072
	s_branch .LBB123_205
.LBB123_210:                            ;   in Loop: Header=BB123_207 Depth=2
	v_add_co_u32_e32 v4, vcc, s33, v4
	v_addc_co_u32_e32 v5, vcc, 0, v5, vcc
	v_cmp_le_u64_e32 vcc, s[20:21], v[4:5]
	s_mov_b64 s[12:13], 0
	s_orn2_b64 s[4:5], vcc, exec
	s_branch .LBB123_206
.LBB123_211:                            ;   in Loop: Header=BB123_12 Depth=1
	s_or_b64 exec, exec, s[44:45]
	s_andn2_b64 s[4:5], s[8:9], exec
	s_and_b64 s[8:9], s[48:49], exec
	v_lshrrev_b32_sdwa v10, v31, v10 dst_sel:DWORD dst_unused:UNUSED_PAD src0_sel:DWORD src1_sel:WORD_0
	s_or_b64 s[8:9], s[4:5], s[8:9]
.LBB123_212:                            ;   in Loop: Header=BB123_12 Depth=1
	s_or_b64 exec, exec, s[10:11]
	s_mov_b64 s[4:5], 0
	v_writelane_b32 v47, s4, 57
	s_mov_b64 s[20:21], -1
	v_writelane_b32 v47, s5, 58
.LBB123_213:                            ;   in Loop: Header=BB123_12 Depth=1
	s_orn2_b64 s[8:9], s[8:9], exec
.LBB123_214:                            ;   in Loop: Header=BB123_12 Depth=1
	s_or_b64 exec, exec, s[2:3]
	s_mov_b64 s[10:11], 0
	s_and_saveexec_b64 s[2:3], s[8:9]
	v_readlane_b32 s12, v47, 59
	v_readlane_b32 s13, v47, 60
	s_cbranch_execz .LBB123_274
; %bb.215:                              ;   in Loop: Header=BB123_12 Depth=1
	v_mov_b32_e32 v4, 1
	s_xor_b64 s[4:5], s[46:47], -1
	v_mov_b32_e32 v2, 1
	v_mov_b32_e32 v5, 0
	s_and_saveexec_b64 s[8:9], s[4:5]
	s_cbranch_execz .LBB123_224
; %bb.216:                              ;   in Loop: Header=BB123_12 Depth=1
	v_cmp_ge_u64_e32 vcc, s[56:57], v[6:7]
	s_and_saveexec_b64 s[4:5], vcc
	s_xor_b64 s[10:11], exec, s[4:5]
	s_cbranch_execz .LBB123_221
; %bb.217:                              ;   in Loop: Header=BB123_12 Depth=1
	ds_read_b64 v[4:5], v3 offset:5120
	v_and_b32_e32 v2, s60, v9
	v_lshl_or_b32 v9, 2, s69, v2
	v_or_b32_e32 v8, s71, v8
	s_waitcnt lgkmcnt(0)
	v_cmp_ne_u64_e32 vcc, 0, v[4:5]
	s_cbranch_vccnz .LBB123_221
; %bb.218:                              ;   in Loop: Header=BB123_12 Depth=1
	s_mov_b64 s[4:5], exec
	v_readlane_b32 s12, v47, 12
	v_readlane_b32 s13, v47, 13
	s_and_b64 s[12:13], s[4:5], s[12:13]
	s_mov_b64 exec, s[12:13]
; %bb.219:                              ;   in Loop: Header=BB123_12 Depth=1
	v_mov_b32_e32 v4, s56
	v_mov_b32_e32 v5, s57
	ds_write_b64 v3, v[4:5] offset:5128
; %bb.220:                              ;   in Loop: Header=BB123_12 Depth=1
	s_or_b64 exec, exec, s[4:5]
	s_waitcnt lgkmcnt(0)
	s_barrier
.LBB123_221:                            ;   in Loop: Header=BB123_12 Depth=1
	s_or_saveexec_b64 s[10:11], s[10:11]
	s_mov_b64 s[12:13], 0
	v_mov_b32_e32 v2, 8
	s_xor_b64 exec, exec, s[10:11]
; %bb.222:                              ;   in Loop: Header=BB123_12 Depth=1
	v_subrev_co_u32_e32 v6, vcc, s56, v6
	v_mov_b32_e32 v2, s57
	v_subb_co_u32_e32 v7, vcc, v7, v2, vcc
	v_mov_b32_e32 v2, 0
	s_mov_b64 s[12:13], exec
; %bb.223:                              ;   in Loop: Header=BB123_12 Depth=1
	s_or_b64 exec, exec, s[10:11]
	s_and_b64 s[10:11], s[12:13], exec
	v_mov_b32_e32 v4, v6
	v_readlane_b32 s12, v47, 59
	v_mov_b32_e32 v5, v7
	v_readlane_b32 s13, v47, 60
.LBB123_224:                            ;   in Loop: Header=BB123_12 Depth=1
	s_or_b64 exec, exec, s[8:9]
	s_mov_b64 s[8:9], -1
                                        ; implicit-def: $sgpr64_sgpr65
                                        ; implicit-def: $sgpr48_sgpr49
	s_and_saveexec_b64 s[46:47], s[10:11]
	s_cbranch_execz .LBB123_273
; %bb.225:                              ;   in Loop: Header=BB123_12 Depth=1
	s_cmp_eq_u64 s[36:37], 1
	v_cmp_eq_u64_e32 vcc, 1, v[4:5]
	v_writelane_b32 v47, s46, 61
	s_cselect_b64 s[4:5], -1, 0
	v_writelane_b32 v47, s47, 62
	s_and_b64 s[4:5], s[4:5], vcc
                                        ; implicit-def: $sgpr64_sgpr65
                                        ; implicit-def: $sgpr48_sgpr49
	s_mov_b64 s[10:11], exec
                                        ; implicit-def: $vgpr46 : SGPR spill to VGPR lane
	v_writelane_b32 v47, s4, 63
	v_writelane_b32 v46, s5, 0
	;; [unrolled: 1-line block ×3, first 2 shown]
	s_and_b64 s[4:5], s[10:11], s[4:5]
	v_writelane_b32 v46, s11, 2
	s_mov_b64 exec, s[4:5]
	s_cbranch_execz .LBB123_261
; %bb.226:                              ;   in Loop: Header=BB123_12 Depth=1
	ds_read_b64 v[6:7], v3 offset:5120
	s_waitcnt lgkmcnt(0)
	s_barrier
	v_readfirstlane_b32 s72, v6
	v_readfirstlane_b32 s73, v7
	s_mov_b64 s[4:5], exec
	v_readlane_b32 s8, v47, 30
	v_readlane_b32 s9, v47, 31
	s_and_b64 s[8:9], s[4:5], s[8:9]
	s_mov_b64 exec, s[8:9]
; %bb.227:                              ;   in Loop: Header=BB123_12 Depth=1
	ds_write_b8 v0, v3 offset:3072
; %bb.228:                              ;   in Loop: Header=BB123_12 Depth=1
	s_or_b64 exec, exec, s[4:5]
	v_or_b32_e32 v9, s71, v9
	v_or_b32_e32 v8, s71, v8
	s_mov_b64 s[48:49], -1
	s_mov_b64 s[64:65], 0
	s_cmp_eq_u64 s[72:73], 0
	s_mov_b64 s[46:47], 0
	s_mov_b64 s[44:45], -1
	s_waitcnt lgkmcnt(0)
	s_barrier
                                        ; implicit-def: $vgpr10
	s_cbranch_scc1 .LBB123_244
; %bb.229:                              ;   in Loop: Header=BB123_12 Depth=1
	v_readlane_b32 s4, v47, 34
	s_add_u32 s10, s72, s4
	v_readlane_b32 s4, v47, 36
	s_addc_u32 s45, s73, s4
	s_mov_b32 s44, s59
	s_cmp_lg_u64 s[44:45], 0
	s_cbranch_scc0 .LBB123_231
; %bb.230:                              ;   in Loop: Header=BB123_12 Depth=1
	v_cvt_f32_u32_e32 v6, s33
	s_sub_u32 s8, 0, s33
	s_subb_u32 s9, 0, 0
	v_mac_f32_e32 v6, 0, v30
	v_rcp_f32_e32 v6, v6
	v_mul_f32_e32 v6, 0x5f7ffffc, v6
	v_mul_f32_e32 v7, 0x2f800000, v6
	v_trunc_f32_e32 v7, v7
	v_mac_f32_e32 v6, 0xcf800000, v7
	v_cvt_u32_f32_e32 v7, v7
	v_cvt_u32_f32_e32 v6, v6
	v_readfirstlane_b32 s11, v7
	v_readfirstlane_b32 s4, v6
	s_mul_i32 s5, s8, s11
	s_mul_hi_u32 s13, s8, s4
	s_mul_i32 s12, s9, s4
	s_add_i32 s5, s13, s5
	s_mul_i32 s44, s8, s4
	s_add_i32 s5, s5, s12
	s_mul_hi_u32 s13, s4, s44
	s_mul_i32 s46, s4, s5
	s_mul_hi_u32 s12, s4, s5
	s_add_u32 s13, s13, s46
	s_addc_u32 s12, 0, s12
	s_mul_hi_u32 s47, s11, s44
	s_mul_i32 s44, s11, s44
	s_add_u32 s13, s13, s44
	s_mul_hi_u32 s46, s11, s5
	s_addc_u32 s12, s12, s47
	s_addc_u32 s13, s46, 0
	s_mul_i32 s5, s11, s5
	s_add_u32 s5, s12, s5
	s_addc_u32 s12, 0, s13
	s_add_u32 s13, s4, s5
	s_cselect_b64 s[4:5], -1, 0
	s_cmp_lg_u64 s[4:5], 0
	s_addc_u32 s11, s11, s12
	s_mul_i32 s4, s8, s11
	s_mul_hi_u32 s5, s8, s13
	s_add_i32 s4, s5, s4
	s_mul_i32 s9, s9, s13
	s_add_i32 s4, s4, s9
	s_mul_i32 s8, s8, s13
	s_mul_hi_u32 s9, s11, s8
	s_mul_i32 s12, s11, s8
	s_mul_i32 s46, s13, s4
	s_mul_hi_u32 s8, s13, s8
	s_mul_hi_u32 s44, s13, s4
	s_add_u32 s8, s8, s46
	s_addc_u32 s44, 0, s44
	s_add_u32 s8, s8, s12
	s_mul_hi_u32 s5, s11, s4
	s_addc_u32 s8, s44, s9
	s_addc_u32 s5, s5, 0
	s_mul_i32 s4, s11, s4
	s_add_u32 s4, s8, s4
	s_addc_u32 s8, 0, s5
	s_add_u32 s9, s13, s4
	s_cselect_b64 s[4:5], -1, 0
	s_cmp_lg_u64 s[4:5], 0
	s_addc_u32 s4, s11, s8
	s_mul_i32 s8, s10, s4
	s_mul_hi_u32 s11, s10, s9
	s_mul_hi_u32 s5, s10, s4
	s_add_u32 s8, s11, s8
	s_addc_u32 s5, 0, s5
	s_mul_hi_u32 s12, s45, s9
	s_mul_i32 s9, s45, s9
	s_add_u32 s8, s8, s9
	s_mul_hi_u32 s11, s45, s4
	s_addc_u32 s5, s5, s12
	s_addc_u32 s8, s11, 0
	s_mul_i32 s4, s45, s4
	s_add_u32 s4, s5, s4
	s_addc_u32 s5, 0, s8
	s_mul_i32 s5, s33, s5
	s_mul_hi_u32 s8, s33, s4
	s_add_i32 s8, s8, s5
	s_mul_i32 s4, s33, s4
	s_sub_u32 s11, s10, s4
	s_cselect_b64 s[4:5], -1, 0
	s_cmp_lg_u64 s[4:5], 0
	s_subb_u32 s8, s45, s8
	s_sub_u32 s9, s11, s33
	s_cselect_b64 s[4:5], -1, 0
	s_cmp_lg_u64 s[4:5], 0
	s_subb_u32 s12, s8, 0
	s_sub_u32 s13, s9, s33
	s_cselect_b64 s[4:5], -1, 0
	s_cmp_lg_u64 s[4:5], 0
	s_subb_u32 s4, s12, 0
	s_cmp_ge_u32 s9, s33
	s_cselect_b32 s5, -1, 0
	s_cmp_eq_u32 s12, 0
	s_cselect_b32 s5, s5, -1
	s_cmp_lg_u32 s5, 0
	s_cselect_b32 s4, s4, s12
	s_cselect_b32 s5, s13, s9
	s_cmp_ge_u32 s11, s33
	s_cselect_b32 s9, -1, 0
	s_cmp_eq_u32 s8, 0
	s_cselect_b32 s9, s9, -1
	s_cmp_lg_u32 s9, 0
	s_cselect_b32 s9, s4, s8
	s_cselect_b32 s8, s5, s11
	s_mov_b64 s[4:5], 0
	s_branch .LBB123_232
.LBB123_231:                            ;   in Loop: Header=BB123_12 Depth=1
	s_mov_b64 s[4:5], -1
                                        ; implicit-def: $sgpr8_sgpr9
.LBB123_232:                            ;   in Loop: Header=BB123_12 Depth=1
	s_andn2_b64 vcc, exec, s[4:5]
	s_cbranch_vccnz .LBB123_234
; %bb.233:                              ;   in Loop: Header=BB123_12 Depth=1
	v_cvt_f32_u32_e32 v6, s33
	s_sub_i32 s4, 0, s33
	v_rcp_iflag_f32_e32 v6, v6
	v_mul_f32_e32 v6, 0x4f7ffffe, v6
	v_cvt_u32_f32_e32 v6, v6
	v_readfirstlane_b32 s5, v6
	s_mul_i32 s4, s4, s5
	s_mul_hi_u32 s4, s5, s4
	s_add_i32 s5, s5, s4
	s_mul_hi_u32 s4, s10, s5
	s_mul_i32 s4, s4, s33
	s_sub_i32 s4, s10, s4
	s_sub_i32 s5, s4, s33
	s_cmp_ge_u32 s4, s33
	s_cselect_b32 s4, s5, s4
	s_sub_i32 s5, s4, s33
	s_cmp_ge_u32 s4, s33
	s_cselect_b32 s58, s5, s4
	s_mov_b64 s[8:9], s[58:59]
	v_readlane_b32 s58, v47, 55
.LBB123_234:                            ;   in Loop: Header=BB123_12 Depth=1
	s_sub_u32 s64, s10, s8
	s_subb_u32 s65, s45, s9
	v_cmp_gt_u64_e32 vcc, s[64:65], v[0:1]
	s_mov_b64 s[44:45], 0
	s_mov_b64 s[46:47], 0
                                        ; implicit-def: $vgpr10
	s_and_saveexec_b64 s[8:9], vcc
	s_cbranch_execz .LBB123_243
; %bb.235:                              ;   in Loop: Header=BB123_12 Depth=1
	v_mov_b32_e32 v7, v1
	s_mov_b64 s[10:11], 0
	v_mov_b32_e32 v10, v0
	v_mov_b32_e32 v6, v0
                                        ; implicit-def: $sgpr12_sgpr13
	s_branch .LBB123_238
.LBB123_236:                            ;   in Loop: Header=BB123_238 Depth=2
	s_or_b64 exec, exec, s[4:5]
	s_waitcnt lgkmcnt(0)
	s_barrier
	ds_read_u16 v11, v3 offset:3072
	s_mov_b64 s[4:5], -1
	s_mov_b64 s[48:49], -1
	s_waitcnt lgkmcnt(0)
	s_barrier
	v_cmp_ne_u32_sdwa s[46:47], v11, v3 src0_sel:BYTE_0 src1_sel:DWORD
	s_and_b64 vcc, exec, s[46:47]
	s_cbranch_vccz .LBB123_241
.LBB123_237:                            ;   in Loop: Header=BB123_238 Depth=2
	s_and_b64 s[4:5], exec, s[4:5]
	s_or_b64 s[10:11], s[4:5], s[10:11]
	s_andn2_b64 s[4:5], s[12:13], exec
	s_and_b64 s[12:13], s[48:49], exec
	s_or_b64 s[12:13], s[4:5], s[12:13]
	s_andn2_b64 exec, exec, s[10:11]
	s_cbranch_execz .LBB123_242
.LBB123_238:                            ;   Parent Loop BB123_12 Depth=1
                                        ; =>  This Inner Loop Header: Depth=2
	v_cmp_gt_u64_e32 vcc, s[72:73], v[6:7]
	s_and_saveexec_b64 s[4:5], vcc
	s_cbranch_execz .LBB123_236
; %bb.239:                              ;   in Loop: Header=BB123_238 Depth=2
	ds_read_u8 v11, v10
	s_waitcnt lgkmcnt(0)
	v_and_b32_e32 v21, v11, v8
	v_cmp_eq_u32_sdwa s[46:47], v21, v9 src0_sel:BYTE_0 src1_sel:DWORD
	s_and_b64 exec, exec, s[46:47]
	s_cbranch_execz .LBB123_236
; %bb.240:                              ;   in Loop: Header=BB123_238 Depth=2
	v_lshlrev_b16_e32 v11, 8, v11
	v_or_b32_e32 v11, 1, v11
	ds_write_b16 v3, v11 offset:3072
	s_branch .LBB123_236
.LBB123_241:                            ;   in Loop: Header=BB123_238 Depth=2
	v_add_co_u32_e32 v6, vcc, s33, v6
	v_addc_co_u32_e32 v7, vcc, 0, v7, vcc
	v_cmp_le_u64_e32 vcc, s[64:65], v[6:7]
	v_add_u32_e32 v10, s33, v10
	s_mov_b64 s[48:49], 0
	s_orn2_b64 s[4:5], vcc, exec
	s_branch .LBB123_237
.LBB123_242:                            ;   in Loop: Header=BB123_12 Depth=1
	s_or_b64 exec, exec, s[10:11]
	v_lshrrev_b32_sdwa v10, v31, v11 dst_sel:DWORD dst_unused:UNUSED_PAD src0_sel:DWORD src1_sel:WORD_0
	s_and_b64 s[46:47], s[12:13], exec
.LBB123_243:                            ;   in Loop: Header=BB123_12 Depth=1
	s_or_b64 exec, exec, s[8:9]
	s_mov_b64 s[48:49], -1
	s_mov_b64 s[64:65], 0
.LBB123_244:                            ;   in Loop: Header=BB123_12 Depth=1
	s_and_b64 vcc, exec, s[44:45]
	s_cbranch_vccz .LBB123_260
; %bb.245:                              ;   in Loop: Header=BB123_12 Depth=1
	s_mov_b32 s66, s59
	s_cmp_lg_u64 s[66:67], 0
	s_cbranch_scc0 .LBB123_247
; %bb.246:                              ;   in Loop: Header=BB123_12 Depth=1
	v_cvt_f32_u32_e32 v6, s33
	s_sub_u32 s8, 0, s33
	s_subb_u32 s9, 0, 0
	v_mac_f32_e32 v6, 0, v30
	v_rcp_f32_e32 v6, v6
	v_mul_f32_e32 v6, 0x5f7ffffc, v6
	v_mul_f32_e32 v7, 0x2f800000, v6
	v_trunc_f32_e32 v7, v7
	v_mac_f32_e32 v6, 0xcf800000, v7
	v_cvt_u32_f32_e32 v7, v7
	v_cvt_u32_f32_e32 v6, v6
	v_readfirstlane_b32 s10, v7
	v_readfirstlane_b32 s4, v6
	s_mul_i32 s5, s8, s10
	s_mul_hi_u32 s12, s8, s4
	s_mul_i32 s11, s9, s4
	s_add_i32 s5, s12, s5
	s_mul_i32 s13, s8, s4
	s_add_i32 s5, s5, s11
	s_mul_hi_u32 s12, s4, s13
	s_mul_i32 s44, s4, s5
	s_mul_hi_u32 s11, s4, s5
	s_add_u32 s12, s12, s44
	s_addc_u32 s11, 0, s11
	s_mul_hi_u32 s45, s10, s13
	s_mul_i32 s13, s10, s13
	s_add_u32 s12, s12, s13
	s_mul_hi_u32 s44, s10, s5
	s_addc_u32 s11, s11, s45
	s_addc_u32 s12, s44, 0
	s_mul_i32 s5, s10, s5
	s_add_u32 s5, s11, s5
	s_addc_u32 s11, 0, s12
	s_add_u32 s12, s4, s5
	s_cselect_b64 s[4:5], -1, 0
	s_cmp_lg_u64 s[4:5], 0
	s_addc_u32 s10, s10, s11
	s_mul_i32 s4, s8, s10
	s_mul_hi_u32 s5, s8, s12
	s_add_i32 s4, s5, s4
	s_mul_i32 s9, s9, s12
	s_add_i32 s4, s4, s9
	s_mul_i32 s8, s8, s12
	s_mul_hi_u32 s9, s10, s8
	s_mul_i32 s11, s10, s8
	s_mul_i32 s44, s12, s4
	s_mul_hi_u32 s8, s12, s8
	s_mul_hi_u32 s13, s12, s4
	s_add_u32 s8, s8, s44
	s_addc_u32 s13, 0, s13
	s_add_u32 s8, s8, s11
	s_mul_hi_u32 s5, s10, s4
	s_addc_u32 s8, s13, s9
	s_addc_u32 s5, s5, 0
	s_mul_i32 s4, s10, s4
	s_add_u32 s4, s8, s4
	s_addc_u32 s8, 0, s5
	s_add_u32 s9, s12, s4
	s_cselect_b64 s[4:5], -1, 0
	s_cmp_lg_u64 s[4:5], 0
	s_addc_u32 s4, s10, s8
	v_readlane_b32 s13, v47, 35
	s_mul_i32 s8, s13, s4
	s_mul_hi_u32 s10, s13, s9
	s_mul_hi_u32 s5, s13, s4
	s_add_u32 s8, s10, s8
	s_addc_u32 s5, 0, s5
	s_mul_hi_u32 s11, s67, s9
	s_mul_i32 s9, s67, s9
	s_add_u32 s8, s8, s9
	s_mul_hi_u32 s10, s67, s4
	s_addc_u32 s5, s5, s11
	s_addc_u32 s8, s10, 0
	s_mul_i32 s4, s67, s4
	s_add_u32 s4, s5, s4
	s_addc_u32 s5, 0, s8
	s_mul_i32 s5, s33, s5
	s_mul_hi_u32 s8, s33, s4
	s_add_i32 s8, s8, s5
	s_mul_i32 s4, s33, s4
	s_sub_u32 s10, s13, s4
	s_cselect_b64 s[4:5], -1, 0
	s_cmp_lg_u64 s[4:5], 0
	s_subb_u32 s8, s67, s8
	s_sub_u32 s9, s10, s33
	s_cselect_b64 s[4:5], -1, 0
	s_cmp_lg_u64 s[4:5], 0
	s_subb_u32 s11, s8, 0
	;; [unrolled: 4-line block ×3, first 2 shown]
	s_cmp_ge_u32 s9, s33
	s_cselect_b32 s5, -1, 0
	s_cmp_eq_u32 s11, 0
	s_cselect_b32 s5, s5, -1
	s_cmp_lg_u32 s5, 0
	s_cselect_b32 s4, s4, s11
	s_cselect_b32 s5, s12, s9
	s_cmp_ge_u32 s10, s33
	s_cselect_b32 s9, -1, 0
	s_cmp_eq_u32 s8, 0
	s_cselect_b32 s9, s9, -1
	s_cmp_lg_u32 s9, 0
	s_cselect_b32 s9, s4, s8
	s_cselect_b32 s8, s5, s10
	s_mov_b64 s[4:5], 0
	s_branch .LBB123_248
.LBB123_247:                            ;   in Loop: Header=BB123_12 Depth=1
	s_mov_b64 s[4:5], -1
	v_readlane_b32 s13, v47, 35
                                        ; implicit-def: $sgpr8_sgpr9
.LBB123_248:                            ;   in Loop: Header=BB123_12 Depth=1
	s_andn2_b64 vcc, exec, s[4:5]
	v_readlane_b32 s66, v47, 54
	s_cbranch_vccnz .LBB123_250
; %bb.249:                              ;   in Loop: Header=BB123_12 Depth=1
	v_cvt_f32_u32_e32 v6, s33
	s_sub_i32 s4, 0, s33
	v_rcp_iflag_f32_e32 v6, v6
	v_mul_f32_e32 v6, 0x4f7ffffe, v6
	v_cvt_u32_f32_e32 v6, v6
	v_readfirstlane_b32 s5, v6
	s_mul_i32 s4, s4, s5
	s_mul_hi_u32 s4, s5, s4
	s_add_i32 s5, s5, s4
	s_mul_hi_u32 s4, s13, s5
	s_mul_i32 s4, s4, s33
	s_sub_i32 s4, s13, s4
	s_sub_i32 s5, s4, s33
	s_cmp_ge_u32 s4, s33
	s_cselect_b32 s4, s5, s4
	s_sub_i32 s5, s4, s33
	s_cmp_ge_u32 s4, s33
	s_cselect_b32 s58, s5, s4
	s_mov_b64 s[8:9], s[58:59]
	v_readlane_b32 s58, v47, 55
.LBB123_250:                            ;   in Loop: Header=BB123_12 Depth=1
	s_sub_u32 s10, s13, s8
	s_subb_u32 s11, s67, s9
	v_cmp_gt_u64_e32 vcc, s[10:11], v[0:1]
                                        ; implicit-def: $vgpr10
	s_and_saveexec_b64 s[8:9], vcc
	s_cbranch_execz .LBB123_259
; %bb.251:                              ;   in Loop: Header=BB123_12 Depth=1
	v_mov_b32_e32 v7, v1
	s_mov_b64 s[44:45], 0
	v_mov_b32_e32 v6, v0
                                        ; implicit-def: $sgpr64_sgpr65
	s_branch .LBB123_254
.LBB123_252:                            ;   in Loop: Header=BB123_254 Depth=2
	s_or_b64 exec, exec, s[12:13]
	s_waitcnt lgkmcnt(0)
	s_barrier
	ds_read_u16 v10, v3 offset:3072
	s_mov_b64 s[4:5], -1
	s_waitcnt lgkmcnt(0)
	s_barrier
	v_cmp_eq_u32_sdwa s[12:13], v10, v3 src0_sel:BYTE_0 src1_sel:DWORD
	s_and_b64 vcc, exec, s[12:13]
	s_mov_b64 s[12:13], -1
	s_cbranch_vccnz .LBB123_257
.LBB123_253:                            ;   in Loop: Header=BB123_254 Depth=2
	s_and_b64 s[4:5], exec, s[4:5]
	s_or_b64 s[44:45], s[4:5], s[44:45]
	s_andn2_b64 s[4:5], s[64:65], exec
	s_and_b64 s[12:13], s[12:13], exec
	s_or_b64 s[64:65], s[4:5], s[12:13]
	s_andn2_b64 exec, exec, s[44:45]
	s_cbranch_execz .LBB123_258
.LBB123_254:                            ;   Parent Loop BB123_12 Depth=1
                                        ; =>  This Inner Loop Header: Depth=2
	v_cmp_gt_u64_e32 vcc, s[28:29], v[6:7]
	s_and_saveexec_b64 s[12:13], vcc
	s_cbranch_execz .LBB123_252
; %bb.255:                              ;   in Loop: Header=BB123_254 Depth=2
	v_mov_b32_e32 v10, s34
	v_mov_b32_e32 v11, s35
	v_mad_u64_u32 v[10:11], s[4:5], v6, s26, v[10:11]
	v_mul_lo_u32 v21, v6, s27
	v_mul_lo_u32 v22, v7, s26
	v_add3_u32 v11, v22, v11, v21
	global_load_ubyte v10, v[10:11], off
	s_waitcnt vmcnt(0)
	v_and_b32_e32 v11, v10, v8
	v_cmp_eq_u32_sdwa s[4:5], v11, v9 src0_sel:BYTE_0 src1_sel:DWORD
	s_and_b64 exec, exec, s[4:5]
	s_cbranch_execz .LBB123_252
; %bb.256:                              ;   in Loop: Header=BB123_254 Depth=2
	v_lshlrev_b16_e32 v10, 8, v10
	v_or_b32_e32 v10, 1, v10
	ds_write_b16 v3, v10 offset:3072
	s_branch .LBB123_252
.LBB123_257:                            ;   in Loop: Header=BB123_254 Depth=2
	v_add_co_u32_e32 v6, vcc, s33, v6
	v_addc_co_u32_e32 v7, vcc, 0, v7, vcc
	v_cmp_le_u64_e32 vcc, s[10:11], v[6:7]
	s_mov_b64 s[12:13], 0
	s_orn2_b64 s[4:5], vcc, exec
	s_branch .LBB123_253
.LBB123_258:                            ;   in Loop: Header=BB123_12 Depth=1
	s_or_b64 exec, exec, s[44:45]
	s_andn2_b64 s[4:5], s[46:47], exec
	s_and_b64 s[10:11], s[64:65], exec
	v_lshrrev_b32_sdwa v10, v31, v10 dst_sel:DWORD dst_unused:UNUSED_PAD src0_sel:DWORD src1_sel:WORD_0
	s_or_b64 s[46:47], s[4:5], s[10:11]
.LBB123_259:                            ;   in Loop: Header=BB123_12 Depth=1
	s_or_b64 exec, exec, s[8:9]
	s_mov_b64 s[48:49], 0
	s_mov_b64 s[64:65], -1
.LBB123_260:                            ;   in Loop: Header=BB123_12 Depth=1
	s_orn2_b64 s[8:9], s[46:47], exec
.LBB123_261:                            ;   in Loop: Header=BB123_12 Depth=1
	v_readlane_b32 s4, v46, 1
	v_readlane_b32 s5, v46, 2
	s_or_b64 exec, exec, s[4:5]
	s_mov_b64 s[10:11], 0
	s_and_saveexec_b64 s[44:45], s[8:9]
	v_readlane_b32 s12, v47, 59
	v_readlane_b32 s46, v47, 61
	;; [unrolled: 1-line block ×4, first 2 shown]
	s_cbranch_execz .LBB123_272
; %bb.262:                              ;   in Loop: Header=BB123_12 Depth=1
	v_readlane_b32 s4, v47, 63
	v_readlane_b32 s5, v46, 0
	v_mov_b32_e32 v6, 1
	s_xor_b64 s[4:5], s[4:5], -1
	v_mov_b32_e32 v7, 0
	v_mov_b32_e32 v2, 1
	s_and_saveexec_b64 s[8:9], s[4:5]
	s_cbranch_execz .LBB123_271
; %bb.263:                              ;   in Loop: Header=BB123_12 Depth=1
	v_cmp_ge_u64_e32 vcc, s[36:37], v[4:5]
	s_and_saveexec_b64 s[4:5], vcc
	s_xor_b64 s[10:11], exec, s[4:5]
	s_cbranch_execz .LBB123_268
; %bb.264:                              ;   in Loop: Header=BB123_12 Depth=1
	ds_read_b64 v[6:7], v3 offset:5120
	v_or_b32_e32 v9, s71, v9
	v_or_b32_e32 v8, s71, v8
	s_waitcnt lgkmcnt(0)
	v_cmp_ne_u64_e32 vcc, 0, v[6:7]
	s_cbranch_vccnz .LBB123_268
; %bb.265:                              ;   in Loop: Header=BB123_12 Depth=1
	s_mov_b64 s[4:5], exec
	v_readlane_b32 s12, v47, 12
	v_readlane_b32 s13, v47, 13
	s_and_b64 s[12:13], s[4:5], s[12:13]
	s_mov_b64 exec, s[12:13]
; %bb.266:                              ;   in Loop: Header=BB123_12 Depth=1
	v_mov_b32_e32 v6, s36
	v_mov_b32_e32 v7, s37
	ds_write_b64 v3, v[6:7] offset:5128
; %bb.267:                              ;   in Loop: Header=BB123_12 Depth=1
	s_or_b64 exec, exec, s[4:5]
	s_waitcnt lgkmcnt(0)
	s_barrier
.LBB123_268:                            ;   in Loop: Header=BB123_12 Depth=1
	s_andn2_saveexec_b64 s[10:11], s[10:11]
; %bb.269:                              ;   in Loop: Header=BB123_12 Depth=1
	v_mov_b32_e32 v2, s37
	v_subrev_co_u32_e32 v4, vcc, s36, v4
	v_subb_co_u32_e32 v5, vcc, v5, v2, vcc
; %bb.270:                              ;   in Loop: Header=BB123_12 Depth=1
	s_or_b64 exec, exec, s[10:11]
	v_mov_b32_e32 v7, v5
	v_readlane_b32 s12, v47, 59
	v_readlane_b32 s46, v47, 61
	v_mov_b32_e32 v2, 8
	v_mov_b32_e32 v6, v4
	v_readlane_b32 s13, v47, 60
	v_readlane_b32 s47, v47, 62
.LBB123_271:                            ;   in Loop: Header=BB123_12 Depth=1
	s_or_b64 exec, exec, s[8:9]
	v_mov_b32_e32 v4, v6
	s_mov_b64 s[10:11], exec
	v_mov_b32_e32 v5, v7
.LBB123_272:                            ;   in Loop: Header=BB123_12 Depth=1
	s_or_b64 exec, exec, s[44:45]
	s_orn2_b64 s[8:9], s[10:11], exec
.LBB123_273:                            ;   in Loop: Header=BB123_12 Depth=1
	s_or_b64 exec, exec, s[46:47]
	s_andn2_b64 s[4:5], s[20:21], exec
	s_and_b64 s[10:11], s[64:65], exec
	s_or_b64 s[20:21], s[4:5], s[10:11]
	v_readlane_b32 s4, v47, 57
	v_readlane_b32 s5, v47, 58
	s_andn2_b64 s[4:5], s[4:5], exec
	s_and_b64 s[10:11], s[48:49], exec
	s_or_b64 s[4:5], s[4:5], s[10:11]
	v_mov_b32_e32 v7, v5
	v_writelane_b32 v47, s4, 57
	s_and_b64 s[10:11], s[8:9], exec
	v_mov_b32_e32 v6, v4
	v_writelane_b32 v47, s5, 58
.LBB123_274:                            ;   in Loop: Header=BB123_12 Depth=1
	s_or_b64 exec, exec, s[2:3]
	s_orn2_b64 s[2:3], s[10:11], exec
.LBB123_275:                            ;   in Loop: Header=BB123_12 Depth=1
	s_or_b64 exec, exec, s[12:13]
	s_andn2_b64 s[4:5], s[40:41], exec
	s_and_b64 s[8:9], s[20:21], exec
	s_or_b64 s[40:41], s[4:5], s[8:9]
	v_readlane_b32 s8, v47, 57
	v_readlane_b32 s9, v47, 58
	s_andn2_b64 s[4:5], s[38:39], exec
	s_and_b64 s[8:9], s[8:9], exec
	v_mov_b32_e32 v4, v6
	s_or_b64 s[38:39], s[4:5], s[8:9]
	s_and_b64 s[10:11], s[2:3], exec
	v_mov_b32_e32 v5, v7
.LBB123_276:                            ;   in Loop: Header=BB123_12 Depth=1
	s_or_b64 exec, exec, s[14:15]
	s_orn2_b64 s[2:3], s[10:11], exec
.LBB123_277:                            ;   in Loop: Header=BB123_12 Depth=1
	s_or_b64 exec, exec, s[6:7]
	s_mov_b64 s[6:7], 0
	s_mov_b64 s[8:9], 0
	s_and_saveexec_b64 s[4:5], s[2:3]
	s_xor_b64 s[2:3], exec, s[4:5]
; %bb.278:                              ;   in Loop: Header=BB123_12 Depth=1
	v_cmp_eq_u32_e32 vcc, 8, v2
	v_cmp_ne_u32_e64 s[6:7], 8, v2
	s_and_b64 s[8:9], s[6:7], exec
	s_and_b64 s[6:7], vcc, exec
; %bb.279:                              ;   in Loop: Header=BB123_12 Depth=1
	s_or_b64 exec, exec, s[2:3]
	s_andn2_b64 s[2:3], s[16:17], exec
	s_and_b64 s[4:5], s[40:41], exec
	s_or_b64 s[16:17], s[2:3], s[4:5]
	s_andn2_b64 s[2:3], s[42:43], exec
	s_and_b64 s[4:5], s[38:39], exec
	s_or_b64 s[42:43], s[2:3], s[4:5]
	s_and_b64 s[38:39], s[8:9], exec
	s_and_b64 s[40:41], s[6:7], exec
.LBB123_280:                            ;   in Loop: Header=BB123_12 Depth=1
	s_or_b64 exec, exec, s[52:53]
.LBB123_281:                            ;   in Loop: Header=BB123_12 Depth=1
	s_and_b64 vcc, exec, s[50:51]
	s_cbranch_vccz .LBB123_297
; %bb.282:                              ;   in Loop: Header=BB123_12 Depth=1
	s_cmp_eq_u64 s[36:37], 1
	s_cselect_b64 s[2:3], -1, 0
	s_and_b64 s[2:3], s[2:3], s[18:19]
	s_mov_b64 s[8:9], -1
                                        ; implicit-def: $sgpr18_sgpr19
                                        ; implicit-def: $sgpr24_sgpr25
	s_and_saveexec_b64 s[6:7], s[2:3]
	s_cbranch_execz .LBB123_318
; %bb.283:                              ;   in Loop: Header=BB123_12 Depth=1
	ds_read_b64 v[4:5], v3 offset:5120
	s_waitcnt lgkmcnt(0)
	s_barrier
	v_readfirstlane_b32 s10, v4
	v_readfirstlane_b32 s11, v5
	s_mov_b64 s[4:5], exec
	v_readlane_b32 s8, v47, 30
	v_readlane_b32 s9, v47, 31
	s_and_b64 s[8:9], s[4:5], s[8:9]
	s_mov_b64 exec, s[8:9]
; %bb.284:                              ;   in Loop: Header=BB123_12 Depth=1
	ds_write_b8 v0, v3 offset:3072
; %bb.285:                              ;   in Loop: Header=BB123_12 Depth=1
	s_or_b64 exec, exec, s[4:5]
	v_or_b32_e32 v28, s71, v28
	v_or_b32_e32 v32, s71, v32
	s_mov_b64 s[24:25], -1
	s_mov_b64 s[18:19], 0
	s_cmp_eq_u64 s[10:11], 0
	s_mov_b64 s[8:9], 0
	s_mov_b64 s[14:15], -1
	s_waitcnt lgkmcnt(0)
	s_barrier
                                        ; implicit-def: $vgpr33
	s_cbranch_scc1 .LBB123_300
; %bb.286:                              ;   in Loop: Header=BB123_12 Depth=1
	v_readlane_b32 s4, v47, 34
	s_add_u32 s14, s10, s4
	v_readlane_b32 s4, v47, 36
	s_addc_u32 s9, s11, s4
	s_mov_b32 s8, s59
	s_cmp_lg_u64 s[8:9], 0
	s_cbranch_scc0 .LBB123_303
; %bb.287:                              ;   in Loop: Header=BB123_12 Depth=1
	v_cvt_f32_u32_e32 v2, s33
	s_sub_u32 s8, 0, s33
	s_subb_u32 s12, 0, 0
	v_mac_f32_e32 v2, 0, v30
	v_rcp_f32_e32 v2, v2
	v_mul_f32_e32 v2, 0x5f7ffffc, v2
	v_mul_f32_e32 v4, 0x2f800000, v2
	v_trunc_f32_e32 v4, v4
	v_mac_f32_e32 v2, 0xcf800000, v4
	v_cvt_u32_f32_e32 v4, v4
	v_cvt_u32_f32_e32 v2, v2
	v_readfirstlane_b32 s13, v4
	v_readfirstlane_b32 s4, v2
	s_mul_i32 s5, s8, s13
	s_mul_hi_u32 s16, s8, s4
	s_mul_i32 s15, s12, s4
	s_add_i32 s5, s16, s5
	s_mul_i32 s17, s8, s4
	s_add_i32 s5, s5, s15
	s_mul_hi_u32 s16, s4, s17
	s_mul_i32 s20, s4, s5
	s_mul_hi_u32 s15, s4, s5
	s_add_u32 s16, s16, s20
	s_addc_u32 s15, 0, s15
	s_mul_hi_u32 s21, s13, s17
	s_mul_i32 s17, s13, s17
	s_add_u32 s16, s16, s17
	s_mul_hi_u32 s20, s13, s5
	s_addc_u32 s15, s15, s21
	s_addc_u32 s16, s20, 0
	s_mul_i32 s5, s13, s5
	s_add_u32 s5, s15, s5
	s_addc_u32 s15, 0, s16
	s_add_u32 s16, s4, s5
	s_cselect_b64 s[4:5], -1, 0
	s_cmp_lg_u64 s[4:5], 0
	s_addc_u32 s13, s13, s15
	s_mul_i32 s4, s8, s13
	s_mul_hi_u32 s5, s8, s16
	s_add_i32 s4, s5, s4
	s_mul_i32 s12, s12, s16
	s_add_i32 s4, s4, s12
	s_mul_i32 s8, s8, s16
	s_mul_hi_u32 s12, s13, s8
	s_mul_i32 s15, s13, s8
	s_mul_i32 s20, s16, s4
	s_mul_hi_u32 s8, s16, s8
	s_mul_hi_u32 s17, s16, s4
	s_add_u32 s8, s8, s20
	s_addc_u32 s17, 0, s17
	s_add_u32 s8, s8, s15
	s_mul_hi_u32 s5, s13, s4
	s_addc_u32 s8, s17, s12
	s_addc_u32 s5, s5, 0
	s_mul_i32 s4, s13, s4
	s_add_u32 s4, s8, s4
	s_addc_u32 s8, 0, s5
	s_add_u32 s12, s16, s4
	s_cselect_b64 s[4:5], -1, 0
	s_cmp_lg_u64 s[4:5], 0
	s_addc_u32 s4, s13, s8
	s_mul_i32 s8, s14, s4
	s_mul_hi_u32 s13, s14, s12
	s_mul_hi_u32 s5, s14, s4
	s_add_u32 s8, s13, s8
	s_addc_u32 s5, 0, s5
	s_mul_hi_u32 s15, s9, s12
	s_mul_i32 s12, s9, s12
	s_add_u32 s8, s8, s12
	s_mul_hi_u32 s13, s9, s4
	s_addc_u32 s5, s5, s15
	s_addc_u32 s8, s13, 0
	s_mul_i32 s4, s9, s4
	s_add_u32 s4, s5, s4
	s_addc_u32 s5, 0, s8
	s_mul_i32 s5, s33, s5
	s_mul_hi_u32 s8, s33, s4
	s_add_i32 s8, s8, s5
	s_mul_i32 s4, s33, s4
	s_sub_u32 s12, s14, s4
	s_cselect_b64 s[4:5], -1, 0
	s_cmp_lg_u64 s[4:5], 0
	s_subb_u32 s8, s9, s8
	s_sub_u32 s13, s12, s33
	s_cselect_b64 s[4:5], -1, 0
	s_cmp_lg_u64 s[4:5], 0
	s_subb_u32 s15, s8, 0
	s_sub_u32 s16, s13, s33
	s_cselect_b64 s[4:5], -1, 0
	s_cmp_lg_u64 s[4:5], 0
	s_subb_u32 s4, s15, 0
	s_cmp_ge_u32 s13, s33
	s_cselect_b32 s5, -1, 0
	s_cmp_eq_u32 s15, 0
	s_cselect_b32 s5, s5, -1
	s_cmp_lg_u32 s5, 0
	s_cselect_b32 s4, s4, s15
	s_cselect_b32 s5, s16, s13
	s_cmp_ge_u32 s12, s33
	s_cselect_b32 s13, -1, 0
	s_cmp_eq_u32 s8, 0
	s_cselect_b32 s13, s13, -1
	s_cmp_lg_u32 s13, 0
	s_cselect_b32 s13, s4, s8
	s_cselect_b32 s12, s5, s12
	s_cbranch_execnz .LBB123_289
.LBB123_288:                            ;   in Loop: Header=BB123_12 Depth=1
	v_cvt_f32_u32_e32 v2, s33
	s_sub_i32 s4, 0, s33
	v_rcp_iflag_f32_e32 v2, v2
	v_mul_f32_e32 v2, 0x4f7ffffe, v2
	v_cvt_u32_f32_e32 v2, v2
	v_readfirstlane_b32 s5, v2
	s_mul_i32 s4, s4, s5
	s_mul_hi_u32 s4, s5, s4
	s_add_i32 s5, s5, s4
	s_mul_hi_u32 s4, s14, s5
	s_mul_i32 s4, s4, s33
	s_sub_i32 s4, s14, s4
	s_sub_i32 s5, s4, s33
	s_cmp_ge_u32 s4, s33
	s_cselect_b32 s4, s5, s4
	s_sub_i32 s5, s4, s33
	s_cmp_ge_u32 s4, s33
	s_cselect_b32 s58, s5, s4
	s_mov_b64 s[12:13], s[58:59]
	v_readlane_b32 s58, v47, 55
.LBB123_289:                            ;   in Loop: Header=BB123_12 Depth=1
	s_sub_u32 s20, s14, s12
	s_subb_u32 s21, s9, s13
	v_cmp_gt_u64_e32 vcc, s[20:21], v[0:1]
	s_mov_b64 s[14:15], 0
	s_mov_b64 s[8:9], 0
                                        ; implicit-def: $vgpr33
	s_and_saveexec_b64 s[16:17], vcc
	s_cbranch_execz .LBB123_299
; %bb.290:                              ;   in Loop: Header=BB123_12 Depth=1
	v_mov_b32_e32 v5, v1
	v_mov_b32_e32 v2, v0
	;; [unrolled: 1-line block ×3, first 2 shown]
                                        ; implicit-def: $sgpr42_sgpr43
	s_branch .LBB123_293
.LBB123_291:                            ;   in Loop: Header=BB123_293 Depth=2
	s_or_b64 exec, exec, s[12:13]
	s_waitcnt lgkmcnt(0)
	s_barrier
	ds_read_u16 v6, v3 offset:3072
	s_mov_b64 s[4:5], -1
	s_waitcnt lgkmcnt(0)
	s_barrier
	v_cmp_ne_u32_sdwa s[12:13], v6, v3 src0_sel:BYTE_0 src1_sel:DWORD
	s_and_b64 vcc, exec, s[12:13]
	s_mov_b64 s[12:13], -1
	s_cbranch_vccz .LBB123_296
.LBB123_292:                            ;   in Loop: Header=BB123_293 Depth=2
	s_and_b64 s[4:5], exec, s[4:5]
	s_or_b64 s[8:9], s[4:5], s[8:9]
	s_andn2_b64 s[4:5], s[42:43], exec
	s_and_b64 s[12:13], s[12:13], exec
	s_or_b64 s[42:43], s[4:5], s[12:13]
	s_andn2_b64 exec, exec, s[8:9]
	s_cbranch_execz .LBB123_298
.LBB123_293:                            ;   Parent Loop BB123_12 Depth=1
                                        ; =>  This Inner Loop Header: Depth=2
	v_cmp_gt_u64_e32 vcc, s[10:11], v[4:5]
	s_and_saveexec_b64 s[12:13], vcc
	s_cbranch_execz .LBB123_291
; %bb.294:                              ;   in Loop: Header=BB123_293 Depth=2
	ds_read_u8 v6, v2
	s_waitcnt lgkmcnt(0)
	v_and_b32_e32 v7, v6, v32
	v_cmp_eq_u32_sdwa s[4:5], v7, v28 src0_sel:BYTE_0 src1_sel:DWORD
	s_and_b64 exec, exec, s[4:5]
	s_cbranch_execz .LBB123_291
; %bb.295:                              ;   in Loop: Header=BB123_293 Depth=2
	v_lshlrev_b16_e32 v6, 8, v6
	v_or_b32_e32 v6, 1, v6
	ds_write_b16 v3, v6 offset:3072
	s_branch .LBB123_291
.LBB123_296:                            ;   in Loop: Header=BB123_293 Depth=2
	v_add_co_u32_e32 v4, vcc, s33, v4
	v_addc_co_u32_e32 v5, vcc, 0, v5, vcc
	v_cmp_le_u64_e32 vcc, s[20:21], v[4:5]
	v_add_u32_e32 v2, s33, v2
	s_mov_b64 s[12:13], 0
	s_orn2_b64 s[4:5], vcc, exec
	s_branch .LBB123_292
.LBB123_297:                            ;   in Loop: Header=BB123_12 Depth=1
	s_mov_b64 s[18:19], 0
	v_mov_b32_e32 v28, v9
	v_mov_b32_e32 v32, v8
	;; [unrolled: 1-line block ×3, first 2 shown]
	s_and_saveexec_b64 s[2:3], s[40:41]
	s_cbranch_execnz .LBB123_477
	s_branch .LBB123_478
.LBB123_298:                            ;   in Loop: Header=BB123_12 Depth=1
	s_or_b64 exec, exec, s[8:9]
	v_lshrrev_b32_sdwa v33, v31, v6 dst_sel:DWORD dst_unused:UNUSED_PAD src0_sel:DWORD src1_sel:WORD_0
	s_and_b64 s[8:9], s[42:43], exec
.LBB123_299:                            ;   in Loop: Header=BB123_12 Depth=1
	s_or_b64 exec, exec, s[16:17]
.LBB123_300:                            ;   in Loop: Header=BB123_12 Depth=1
	s_and_b64 vcc, exec, s[14:15]
	s_cbranch_vccz .LBB123_317
; %bb.301:                              ;   in Loop: Header=BB123_12 Depth=1
	s_mov_b32 s66, s59
	s_cmp_lg_u64 s[66:67], 0
	s_cbranch_scc0 .LBB123_304
; %bb.302:                              ;   in Loop: Header=BB123_12 Depth=1
	v_cvt_f32_u32_e32 v2, s33
	s_sub_u32 s10, 0, s33
	s_subb_u32 s11, 0, 0
	v_mac_f32_e32 v2, 0, v30
	v_rcp_f32_e32 v2, v2
	v_mul_f32_e32 v2, 0x5f7ffffc, v2
	v_mul_f32_e32 v4, 0x2f800000, v2
	v_trunc_f32_e32 v4, v4
	v_mac_f32_e32 v2, 0xcf800000, v4
	v_cvt_u32_f32_e32 v4, v4
	v_cvt_u32_f32_e32 v2, v2
	v_readfirstlane_b32 s12, v4
	v_readfirstlane_b32 s4, v2
	s_mul_i32 s5, s10, s12
	s_mul_hi_u32 s14, s10, s4
	s_mul_i32 s13, s11, s4
	s_add_i32 s5, s14, s5
	s_mul_i32 s15, s10, s4
	s_add_i32 s5, s5, s13
	s_mul_hi_u32 s14, s4, s15
	s_mul_i32 s16, s4, s5
	s_mul_hi_u32 s13, s4, s5
	s_add_u32 s14, s14, s16
	s_addc_u32 s13, 0, s13
	s_mul_hi_u32 s17, s12, s15
	s_mul_i32 s15, s12, s15
	s_add_u32 s14, s14, s15
	s_mul_hi_u32 s16, s12, s5
	s_addc_u32 s13, s13, s17
	s_addc_u32 s14, s16, 0
	s_mul_i32 s5, s12, s5
	s_add_u32 s5, s13, s5
	s_addc_u32 s13, 0, s14
	s_add_u32 s14, s4, s5
	s_cselect_b64 s[4:5], -1, 0
	s_cmp_lg_u64 s[4:5], 0
	s_addc_u32 s12, s12, s13
	s_mul_i32 s4, s10, s12
	s_mul_hi_u32 s5, s10, s14
	s_add_i32 s4, s5, s4
	s_mul_i32 s11, s11, s14
	s_add_i32 s4, s4, s11
	s_mul_i32 s10, s10, s14
	s_mul_hi_u32 s11, s12, s10
	s_mul_i32 s13, s12, s10
	s_mul_i32 s16, s14, s4
	s_mul_hi_u32 s10, s14, s10
	s_mul_hi_u32 s15, s14, s4
	s_add_u32 s10, s10, s16
	s_addc_u32 s15, 0, s15
	s_add_u32 s10, s10, s13
	s_mul_hi_u32 s5, s12, s4
	s_addc_u32 s10, s15, s11
	s_addc_u32 s5, s5, 0
	s_mul_i32 s4, s12, s4
	s_add_u32 s4, s10, s4
	s_addc_u32 s10, 0, s5
	s_add_u32 s11, s14, s4
	s_cselect_b64 s[4:5], -1, 0
	s_cmp_lg_u64 s[4:5], 0
	s_addc_u32 s4, s12, s10
	v_readlane_b32 s15, v47, 35
	s_mul_i32 s10, s15, s4
	s_mul_hi_u32 s12, s15, s11
	s_mul_hi_u32 s5, s15, s4
	s_add_u32 s10, s12, s10
	s_addc_u32 s5, 0, s5
	s_mul_hi_u32 s13, s67, s11
	s_mul_i32 s11, s67, s11
	s_add_u32 s10, s10, s11
	s_mul_hi_u32 s12, s67, s4
	s_addc_u32 s5, s5, s13
	s_addc_u32 s10, s12, 0
	s_mul_i32 s4, s67, s4
	s_add_u32 s4, s5, s4
	s_addc_u32 s5, 0, s10
	s_mul_i32 s5, s33, s5
	s_mul_hi_u32 s10, s33, s4
	s_add_i32 s10, s10, s5
	s_mul_i32 s4, s33, s4
	s_sub_u32 s12, s15, s4
	s_cselect_b64 s[4:5], -1, 0
	s_cmp_lg_u64 s[4:5], 0
	s_subb_u32 s10, s67, s10
	s_sub_u32 s11, s12, s33
	s_cselect_b64 s[4:5], -1, 0
	s_cmp_lg_u64 s[4:5], 0
	s_subb_u32 s13, s10, 0
	;; [unrolled: 4-line block ×3, first 2 shown]
	s_cmp_ge_u32 s11, s33
	s_cselect_b32 s5, -1, 0
	s_cmp_eq_u32 s13, 0
	s_cselect_b32 s5, s5, -1
	s_cmp_lg_u32 s5, 0
	s_cselect_b32 s4, s4, s13
	s_cselect_b32 s5, s14, s11
	s_cmp_ge_u32 s12, s33
	s_cselect_b32 s11, -1, 0
	s_cmp_eq_u32 s10, 0
	s_cselect_b32 s11, s11, -1
	s_cmp_lg_u32 s11, 0
	s_cselect_b32 s11, s4, s10
	s_cselect_b32 s10, s5, s12
	s_mov_b64 s[4:5], 0
	s_branch .LBB123_305
.LBB123_303:                            ;   in Loop: Header=BB123_12 Depth=1
                                        ; implicit-def: $sgpr12_sgpr13
	s_branch .LBB123_288
.LBB123_304:                            ;   in Loop: Header=BB123_12 Depth=1
	s_mov_b64 s[4:5], -1
	v_readlane_b32 s15, v47, 35
                                        ; implicit-def: $sgpr10_sgpr11
.LBB123_305:                            ;   in Loop: Header=BB123_12 Depth=1
	s_andn2_b64 vcc, exec, s[4:5]
	v_readlane_b32 s66, v47, 54
	s_cbranch_vccnz .LBB123_307
; %bb.306:                              ;   in Loop: Header=BB123_12 Depth=1
	v_cvt_f32_u32_e32 v2, s33
	s_sub_i32 s4, 0, s33
	v_rcp_iflag_f32_e32 v2, v2
	v_mul_f32_e32 v2, 0x4f7ffffe, v2
	v_cvt_u32_f32_e32 v2, v2
	v_readfirstlane_b32 s5, v2
	s_mul_i32 s4, s4, s5
	s_mul_hi_u32 s4, s5, s4
	s_add_i32 s5, s5, s4
	s_mul_hi_u32 s4, s15, s5
	s_mul_i32 s4, s4, s33
	s_sub_i32 s4, s15, s4
	s_sub_i32 s5, s4, s33
	s_cmp_ge_u32 s4, s33
	s_cselect_b32 s4, s5, s4
	s_sub_i32 s5, s4, s33
	s_cmp_ge_u32 s4, s33
	s_cselect_b32 s58, s5, s4
	s_mov_b64 s[10:11], s[58:59]
	v_readlane_b32 s58, v47, 55
.LBB123_307:                            ;   in Loop: Header=BB123_12 Depth=1
	s_sub_u32 s14, s15, s10
	s_subb_u32 s15, s67, s11
	v_cmp_gt_u64_e32 vcc, s[14:15], v[0:1]
                                        ; implicit-def: $vgpr33
	s_and_saveexec_b64 s[10:11], vcc
	s_cbranch_execz .LBB123_316
; %bb.308:                              ;   in Loop: Header=BB123_12 Depth=1
	v_mov_b32_e32 v5, v1
	s_mov_b64 s[16:17], 0
	v_mov_b32_e32 v4, v0
                                        ; implicit-def: $sgpr18_sgpr19
	s_branch .LBB123_311
.LBB123_309:                            ;   in Loop: Header=BB123_311 Depth=2
	s_or_b64 exec, exec, s[12:13]
	s_waitcnt lgkmcnt(0)
	s_barrier
	ds_read_u16 v2, v3 offset:3072
	s_mov_b64 s[4:5], -1
	s_waitcnt lgkmcnt(0)
	s_barrier
	v_cmp_ne_u32_sdwa s[12:13], v2, v3 src0_sel:BYTE_0 src1_sel:DWORD
	s_and_b64 vcc, exec, s[12:13]
	s_mov_b64 s[12:13], -1
	s_cbranch_vccz .LBB123_314
.LBB123_310:                            ;   in Loop: Header=BB123_311 Depth=2
	s_and_b64 s[4:5], exec, s[4:5]
	s_or_b64 s[16:17], s[4:5], s[16:17]
	s_andn2_b64 s[4:5], s[18:19], exec
	s_and_b64 s[12:13], s[12:13], exec
	s_or_b64 s[18:19], s[4:5], s[12:13]
	s_andn2_b64 exec, exec, s[16:17]
	s_cbranch_execz .LBB123_315
.LBB123_311:                            ;   Parent Loop BB123_12 Depth=1
                                        ; =>  This Inner Loop Header: Depth=2
	v_cmp_gt_u64_e32 vcc, s[28:29], v[4:5]
	s_and_saveexec_b64 s[12:13], vcc
	s_cbranch_execz .LBB123_309
; %bb.312:                              ;   in Loop: Header=BB123_311 Depth=2
	v_mov_b32_e32 v6, s34
	v_mov_b32_e32 v7, s35
	v_mad_u64_u32 v[6:7], s[4:5], v4, s26, v[6:7]
	v_mul_lo_u32 v2, v4, s27
	v_mul_lo_u32 v8, v5, s26
	v_add3_u32 v7, v8, v7, v2
	global_load_ubyte v2, v[6:7], off
	s_waitcnt vmcnt(0)
	v_and_b32_e32 v6, v2, v32
	v_cmp_eq_u32_sdwa s[4:5], v6, v28 src0_sel:BYTE_0 src1_sel:DWORD
	s_and_b64 exec, exec, s[4:5]
	s_cbranch_execz .LBB123_309
; %bb.313:                              ;   in Loop: Header=BB123_311 Depth=2
	v_lshlrev_b16_e32 v2, 8, v2
	v_or_b32_e32 v2, 1, v2
	ds_write_b16 v3, v2 offset:3072
	s_branch .LBB123_309
.LBB123_314:                            ;   in Loop: Header=BB123_311 Depth=2
	v_add_co_u32_e32 v4, vcc, s33, v4
	v_addc_co_u32_e32 v5, vcc, 0, v5, vcc
	v_cmp_le_u64_e32 vcc, s[14:15], v[4:5]
	s_mov_b64 s[12:13], 0
	s_orn2_b64 s[4:5], vcc, exec
	s_branch .LBB123_310
.LBB123_315:                            ;   in Loop: Header=BB123_12 Depth=1
	s_or_b64 exec, exec, s[16:17]
	s_andn2_b64 s[4:5], s[8:9], exec
	s_and_b64 s[8:9], s[18:19], exec
	v_lshrrev_b32_sdwa v33, v31, v2 dst_sel:DWORD dst_unused:UNUSED_PAD src0_sel:DWORD src1_sel:WORD_0
	s_or_b64 s[8:9], s[4:5], s[8:9]
.LBB123_316:                            ;   in Loop: Header=BB123_12 Depth=1
	s_or_b64 exec, exec, s[10:11]
	s_mov_b64 s[24:25], 0
	s_mov_b64 s[18:19], -1
.LBB123_317:                            ;   in Loop: Header=BB123_12 Depth=1
	s_orn2_b64 s[8:9], s[8:9], exec
.LBB123_318:                            ;   in Loop: Header=BB123_12 Depth=1
	s_or_b64 exec, exec, s[6:7]
                                        ; implicit-def: $vgpr4_vgpr5
                                        ; implicit-def: $vgpr2
	s_and_saveexec_b64 s[16:17], s[8:9]
	s_cbranch_execz .LBB123_476
; %bb.319:                              ;   in Loop: Header=BB123_12 Depth=1
	v_mov_b32_e32 v4, 1
	s_xor_b64 s[4:5], s[2:3], -1
	v_mov_b32_e32 v2, 1
	v_mov_b32_e32 v5, 0
	s_mov_b64 s[6:7], 0
	s_and_saveexec_b64 s[2:3], s[4:5]
	s_cbranch_execz .LBB123_328
; %bb.320:                              ;   in Loop: Header=BB123_12 Depth=1
	v_cmp_ge_u64_e32 vcc, s[36:37], v[19:20]
	s_and_saveexec_b64 s[4:5], vcc
	s_xor_b64 s[6:7], exec, s[4:5]
	s_cbranch_execz .LBB123_325
; %bb.321:                              ;   in Loop: Header=BB123_12 Depth=1
	ds_read_b64 v[4:5], v3 offset:5120
	v_or_b32_e32 v28, s71, v28
	v_or_b32_e32 v32, s71, v32
	s_waitcnt lgkmcnt(0)
	v_cmp_ne_u64_e32 vcc, 0, v[4:5]
	s_cbranch_vccnz .LBB123_325
; %bb.322:                              ;   in Loop: Header=BB123_12 Depth=1
	s_mov_b64 s[4:5], exec
	v_readlane_b32 s8, v47, 12
	v_readlane_b32 s9, v47, 13
	s_and_b64 s[8:9], s[4:5], s[8:9]
	s_mov_b64 exec, s[8:9]
; %bb.323:                              ;   in Loop: Header=BB123_12 Depth=1
	v_mov_b32_e32 v4, s36
	v_mov_b32_e32 v5, s37
	ds_write_b64 v3, v[4:5] offset:5128
; %bb.324:                              ;   in Loop: Header=BB123_12 Depth=1
	s_or_b64 exec, exec, s[4:5]
	s_waitcnt lgkmcnt(0)
	s_barrier
.LBB123_325:                            ;   in Loop: Header=BB123_12 Depth=1
	s_or_saveexec_b64 s[6:7], s[6:7]
	s_mov_b64 s[8:9], 0
	v_mov_b32_e32 v2, 5
	s_xor_b64 exec, exec, s[6:7]
; %bb.326:                              ;   in Loop: Header=BB123_12 Depth=1
	v_subrev_co_u32_e32 v19, vcc, s36, v19
	v_mov_b32_e32 v2, s37
	v_subb_co_u32_e32 v20, vcc, v20, v2, vcc
	v_mov_b32_e32 v2, 0
	s_mov_b64 s[8:9], exec
; %bb.327:                              ;   in Loop: Header=BB123_12 Depth=1
	s_or_b64 exec, exec, s[6:7]
	v_mov_b32_e32 v4, v19
	s_and_b64 s[6:7], s[8:9], exec
	v_mov_b32_e32 v5, v20
.LBB123_328:                            ;   in Loop: Header=BB123_12 Depth=1
	s_or_b64 exec, exec, s[2:3]
	s_mov_b64 s[2:3], -1
                                        ; implicit-def: $sgpr36_sgpr37
                                        ; implicit-def: $sgpr42_sgpr43
	s_and_saveexec_b64 s[4:5], s[6:7]
	s_xor_b64 s[6:7], exec, s[4:5]
	s_cbranch_execz .LBB123_473
; %bb.329:                              ;   in Loop: Header=BB123_12 Depth=1
	s_cmp_eq_u64 s[56:57], 1
	v_cmp_eq_u64_e32 vcc, 1, v[4:5]
	s_cselect_b64 s[2:3], -1, 0
	s_and_b64 s[2:3], s[2:3], vcc
	s_mov_b64 s[8:9], -1
                                        ; implicit-def: $sgpr42_sgpr43
                                        ; implicit-def: $sgpr36_sgpr37
	s_and_saveexec_b64 s[14:15], s[2:3]
	s_cbranch_execz .LBB123_364
; %bb.330:                              ;   in Loop: Header=BB123_12 Depth=1
	ds_read_b64 v[6:7], v3 offset:5120
	s_waitcnt lgkmcnt(0)
	s_barrier
	v_readfirstlane_b32 s10, v6
	v_readfirstlane_b32 s11, v7
	s_mov_b64 s[4:5], exec
	v_readlane_b32 s8, v47, 30
	v_readlane_b32 s9, v47, 31
	s_and_b64 s[8:9], s[4:5], s[8:9]
	s_mov_b64 exec, s[8:9]
; %bb.331:                              ;   in Loop: Header=BB123_12 Depth=1
	ds_write_b8 v0, v3 offset:3072
; %bb.332:                              ;   in Loop: Header=BB123_12 Depth=1
	s_or_b64 exec, exec, s[4:5]
	v_and_b32_e32 v6, s60, v28
	v_lshl_or_b32 v28, 2, s69, v6
	v_or_b32_e32 v32, s71, v32
	s_mov_b64 s[36:37], -1
	s_mov_b64 s[42:43], 0
	s_cmp_eq_u64 s[10:11], 0
	s_mov_b64 s[8:9], 0
	s_mov_b64 s[20:21], -1
	s_waitcnt lgkmcnt(0)
	s_barrier
                                        ; implicit-def: $vgpr33
	s_cbranch_scc1 .LBB123_346
; %bb.333:                              ;   in Loop: Header=BB123_12 Depth=1
	v_readlane_b32 s4, v47, 34
	s_add_u32 s20, s10, s4
	v_readlane_b32 s4, v47, 36
	s_addc_u32 s9, s11, s4
	s_mov_b32 s8, s59
	s_cmp_lg_u64 s[8:9], 0
	s_cbranch_scc0 .LBB123_349
; %bb.334:                              ;   in Loop: Header=BB123_12 Depth=1
	v_cvt_f32_u32_e32 v6, s33
	s_sub_u32 s8, 0, s33
	s_subb_u32 s12, 0, 0
	v_mac_f32_e32 v6, 0, v30
	v_rcp_f32_e32 v6, v6
	v_mul_f32_e32 v6, 0x5f7ffffc, v6
	v_mul_f32_e32 v7, 0x2f800000, v6
	v_trunc_f32_e32 v7, v7
	v_mac_f32_e32 v6, 0xcf800000, v7
	v_cvt_u32_f32_e32 v7, v7
	v_cvt_u32_f32_e32 v6, v6
	v_readfirstlane_b32 s13, v7
	v_readfirstlane_b32 s4, v6
	s_mul_i32 s5, s8, s13
	s_mul_hi_u32 s44, s8, s4
	s_mul_i32 s21, s12, s4
	s_add_i32 s5, s44, s5
	s_mul_i32 s45, s8, s4
	s_add_i32 s5, s5, s21
	s_mul_hi_u32 s44, s4, s45
	s_mul_i32 s46, s4, s5
	s_mul_hi_u32 s21, s4, s5
	s_add_u32 s44, s44, s46
	s_addc_u32 s21, 0, s21
	s_mul_hi_u32 s47, s13, s45
	s_mul_i32 s45, s13, s45
	s_add_u32 s44, s44, s45
	s_mul_hi_u32 s46, s13, s5
	s_addc_u32 s21, s21, s47
	s_addc_u32 s44, s46, 0
	s_mul_i32 s5, s13, s5
	s_add_u32 s5, s21, s5
	s_addc_u32 s21, 0, s44
	s_add_u32 s44, s4, s5
	s_cselect_b64 s[4:5], -1, 0
	s_cmp_lg_u64 s[4:5], 0
	s_addc_u32 s13, s13, s21
	s_mul_i32 s4, s8, s13
	s_mul_hi_u32 s5, s8, s44
	s_add_i32 s4, s5, s4
	s_mul_i32 s12, s12, s44
	s_add_i32 s4, s4, s12
	s_mul_i32 s8, s8, s44
	s_mul_hi_u32 s12, s13, s8
	s_mul_i32 s21, s13, s8
	s_mul_i32 s46, s44, s4
	s_mul_hi_u32 s8, s44, s8
	s_mul_hi_u32 s45, s44, s4
	s_add_u32 s8, s8, s46
	s_addc_u32 s45, 0, s45
	s_add_u32 s8, s8, s21
	s_mul_hi_u32 s5, s13, s4
	s_addc_u32 s8, s45, s12
	s_addc_u32 s5, s5, 0
	s_mul_i32 s4, s13, s4
	s_add_u32 s4, s8, s4
	s_addc_u32 s8, 0, s5
	s_add_u32 s12, s44, s4
	s_cselect_b64 s[4:5], -1, 0
	s_cmp_lg_u64 s[4:5], 0
	s_addc_u32 s4, s13, s8
	s_mul_i32 s8, s20, s4
	s_mul_hi_u32 s13, s20, s12
	s_mul_hi_u32 s5, s20, s4
	s_add_u32 s8, s13, s8
	s_addc_u32 s5, 0, s5
	s_mul_hi_u32 s21, s9, s12
	s_mul_i32 s12, s9, s12
	s_add_u32 s8, s8, s12
	s_mul_hi_u32 s13, s9, s4
	s_addc_u32 s5, s5, s21
	s_addc_u32 s8, s13, 0
	s_mul_i32 s4, s9, s4
	s_add_u32 s4, s5, s4
	s_addc_u32 s5, 0, s8
	s_mul_i32 s5, s33, s5
	s_mul_hi_u32 s8, s33, s4
	s_add_i32 s8, s8, s5
	s_mul_i32 s4, s33, s4
	s_sub_u32 s12, s20, s4
	s_cselect_b64 s[4:5], -1, 0
	s_cmp_lg_u64 s[4:5], 0
	s_subb_u32 s8, s9, s8
	s_sub_u32 s13, s12, s33
	s_cselect_b64 s[4:5], -1, 0
	s_cmp_lg_u64 s[4:5], 0
	s_subb_u32 s21, s8, 0
	;; [unrolled: 4-line block ×3, first 2 shown]
	s_cmp_ge_u32 s13, s33
	s_cselect_b32 s5, -1, 0
	s_cmp_eq_u32 s21, 0
	s_cselect_b32 s5, s5, -1
	s_cmp_lg_u32 s5, 0
	s_cselect_b32 s4, s4, s21
	s_cselect_b32 s5, s44, s13
	s_cmp_ge_u32 s12, s33
	s_cselect_b32 s13, -1, 0
	s_cmp_eq_u32 s8, 0
	s_cselect_b32 s13, s13, -1
	s_cmp_lg_u32 s13, 0
	s_cselect_b32 s13, s4, s8
	s_cselect_b32 s12, s5, s12
	s_cbranch_execnz .LBB123_336
.LBB123_335:                            ;   in Loop: Header=BB123_12 Depth=1
	v_cvt_f32_u32_e32 v6, s33
	s_sub_i32 s4, 0, s33
	v_rcp_iflag_f32_e32 v6, v6
	v_mul_f32_e32 v6, 0x4f7ffffe, v6
	v_cvt_u32_f32_e32 v6, v6
	v_readfirstlane_b32 s5, v6
	s_mul_i32 s4, s4, s5
	s_mul_hi_u32 s4, s5, s4
	s_add_i32 s5, s5, s4
	s_mul_hi_u32 s4, s20, s5
	s_mul_i32 s4, s4, s33
	s_sub_i32 s4, s20, s4
	s_sub_i32 s5, s4, s33
	s_cmp_ge_u32 s4, s33
	s_cselect_b32 s4, s5, s4
	s_sub_i32 s5, s4, s33
	s_cmp_ge_u32 s4, s33
	s_cselect_b32 s58, s5, s4
	s_mov_b64 s[12:13], s[58:59]
	v_readlane_b32 s58, v47, 55
.LBB123_336:                            ;   in Loop: Header=BB123_12 Depth=1
	s_sub_u32 s46, s20, s12
	s_subb_u32 s47, s9, s13
	v_cmp_gt_u64_e32 vcc, s[46:47], v[0:1]
	s_mov_b64 s[20:21], 0
	s_mov_b64 s[8:9], 0
                                        ; implicit-def: $vgpr33
	s_and_saveexec_b64 s[44:45], vcc
	s_cbranch_execz .LBB123_345
; %bb.337:                              ;   in Loop: Header=BB123_12 Depth=1
	v_mov_b32_e32 v7, v1
	v_mov_b32_e32 v8, v0
	;; [unrolled: 1-line block ×3, first 2 shown]
                                        ; implicit-def: $sgpr48_sgpr49
	s_branch .LBB123_340
.LBB123_338:                            ;   in Loop: Header=BB123_340 Depth=2
	s_or_b64 exec, exec, s[12:13]
	s_waitcnt lgkmcnt(0)
	s_barrier
	ds_read_u16 v9, v3 offset:3072
	s_mov_b64 s[4:5], -1
	s_waitcnt lgkmcnt(0)
	s_barrier
	v_cmp_ne_u32_sdwa s[12:13], v9, v3 src0_sel:BYTE_0 src1_sel:DWORD
	s_and_b64 vcc, exec, s[12:13]
	s_mov_b64 s[12:13], -1
	s_cbranch_vccz .LBB123_343
.LBB123_339:                            ;   in Loop: Header=BB123_340 Depth=2
	s_and_b64 s[4:5], exec, s[4:5]
	s_or_b64 s[8:9], s[4:5], s[8:9]
	s_andn2_b64 s[4:5], s[48:49], exec
	s_and_b64 s[12:13], s[12:13], exec
	s_or_b64 s[48:49], s[4:5], s[12:13]
	s_andn2_b64 exec, exec, s[8:9]
	s_cbranch_execz .LBB123_344
.LBB123_340:                            ;   Parent Loop BB123_12 Depth=1
                                        ; =>  This Inner Loop Header: Depth=2
	v_cmp_gt_u64_e32 vcc, s[10:11], v[6:7]
	s_and_saveexec_b64 s[12:13], vcc
	s_cbranch_execz .LBB123_338
; %bb.341:                              ;   in Loop: Header=BB123_340 Depth=2
	ds_read_u8 v9, v8
	s_waitcnt lgkmcnt(0)
	v_and_b32_e32 v10, v9, v32
	v_cmp_eq_u32_sdwa s[4:5], v10, v28 src0_sel:BYTE_0 src1_sel:DWORD
	s_and_b64 exec, exec, s[4:5]
	s_cbranch_execz .LBB123_338
; %bb.342:                              ;   in Loop: Header=BB123_340 Depth=2
	v_lshlrev_b16_e32 v9, 8, v9
	v_or_b32_e32 v9, 1, v9
	ds_write_b16 v3, v9 offset:3072
	s_branch .LBB123_338
.LBB123_343:                            ;   in Loop: Header=BB123_340 Depth=2
	v_add_co_u32_e32 v6, vcc, s33, v6
	v_addc_co_u32_e32 v7, vcc, 0, v7, vcc
	v_cmp_le_u64_e32 vcc, s[46:47], v[6:7]
	v_add_u32_e32 v8, s33, v8
	s_mov_b64 s[12:13], 0
	s_orn2_b64 s[4:5], vcc, exec
	s_branch .LBB123_339
.LBB123_344:                            ;   in Loop: Header=BB123_12 Depth=1
	s_or_b64 exec, exec, s[8:9]
	v_lshrrev_b32_sdwa v33, v31, v9 dst_sel:DWORD dst_unused:UNUSED_PAD src0_sel:DWORD src1_sel:WORD_0
	s_and_b64 s[8:9], s[48:49], exec
.LBB123_345:                            ;   in Loop: Header=BB123_12 Depth=1
	s_or_b64 exec, exec, s[44:45]
.LBB123_346:                            ;   in Loop: Header=BB123_12 Depth=1
	s_and_b64 vcc, exec, s[20:21]
	s_cbranch_vccz .LBB123_363
; %bb.347:                              ;   in Loop: Header=BB123_12 Depth=1
	s_mov_b32 s66, s59
	s_cmp_lg_u64 s[66:67], 0
	s_cbranch_scc0 .LBB123_350
; %bb.348:                              ;   in Loop: Header=BB123_12 Depth=1
	v_cvt_f32_u32_e32 v6, s33
	s_sub_u32 s10, 0, s33
	s_subb_u32 s11, 0, 0
	v_mac_f32_e32 v6, 0, v30
	v_rcp_f32_e32 v6, v6
	v_mul_f32_e32 v6, 0x5f7ffffc, v6
	v_mul_f32_e32 v7, 0x2f800000, v6
	v_trunc_f32_e32 v7, v7
	v_mac_f32_e32 v6, 0xcf800000, v7
	v_cvt_u32_f32_e32 v7, v7
	v_cvt_u32_f32_e32 v6, v6
	v_readfirstlane_b32 s12, v7
	v_readfirstlane_b32 s4, v6
	s_mul_i32 s5, s10, s12
	s_mul_hi_u32 s20, s10, s4
	s_mul_i32 s13, s11, s4
	s_add_i32 s5, s20, s5
	s_mul_i32 s21, s10, s4
	s_add_i32 s5, s5, s13
	s_mul_hi_u32 s20, s4, s21
	s_mul_i32 s36, s4, s5
	s_mul_hi_u32 s13, s4, s5
	s_add_u32 s20, s20, s36
	s_addc_u32 s13, 0, s13
	s_mul_hi_u32 s37, s12, s21
	s_mul_i32 s21, s12, s21
	s_add_u32 s20, s20, s21
	s_mul_hi_u32 s36, s12, s5
	s_addc_u32 s13, s13, s37
	s_addc_u32 s20, s36, 0
	s_mul_i32 s5, s12, s5
	s_add_u32 s5, s13, s5
	s_addc_u32 s13, 0, s20
	s_add_u32 s20, s4, s5
	s_cselect_b64 s[4:5], -1, 0
	s_cmp_lg_u64 s[4:5], 0
	s_addc_u32 s12, s12, s13
	s_mul_i32 s4, s10, s12
	s_mul_hi_u32 s5, s10, s20
	s_add_i32 s4, s5, s4
	s_mul_i32 s11, s11, s20
	s_add_i32 s4, s4, s11
	s_mul_i32 s10, s10, s20
	s_mul_hi_u32 s11, s12, s10
	s_mul_i32 s13, s12, s10
	s_mul_i32 s36, s20, s4
	s_mul_hi_u32 s10, s20, s10
	s_mul_hi_u32 s21, s20, s4
	s_add_u32 s10, s10, s36
	s_addc_u32 s21, 0, s21
	s_add_u32 s10, s10, s13
	s_mul_hi_u32 s5, s12, s4
	s_addc_u32 s10, s21, s11
	s_addc_u32 s5, s5, 0
	s_mul_i32 s4, s12, s4
	s_add_u32 s4, s10, s4
	s_addc_u32 s10, 0, s5
	s_add_u32 s11, s20, s4
	s_cselect_b64 s[4:5], -1, 0
	s_cmp_lg_u64 s[4:5], 0
	s_addc_u32 s4, s12, s10
	v_readlane_b32 s21, v47, 35
	s_mul_i32 s10, s21, s4
	s_mul_hi_u32 s12, s21, s11
	s_mul_hi_u32 s5, s21, s4
	s_add_u32 s10, s12, s10
	s_addc_u32 s5, 0, s5
	s_mul_hi_u32 s13, s67, s11
	s_mul_i32 s11, s67, s11
	s_add_u32 s10, s10, s11
	s_mul_hi_u32 s12, s67, s4
	s_addc_u32 s5, s5, s13
	s_addc_u32 s10, s12, 0
	s_mul_i32 s4, s67, s4
	s_add_u32 s4, s5, s4
	s_addc_u32 s5, 0, s10
	s_mul_i32 s5, s33, s5
	s_mul_hi_u32 s10, s33, s4
	s_add_i32 s10, s10, s5
	s_mul_i32 s4, s33, s4
	s_sub_u32 s12, s21, s4
	s_cselect_b64 s[4:5], -1, 0
	s_cmp_lg_u64 s[4:5], 0
	s_subb_u32 s10, s67, s10
	s_sub_u32 s11, s12, s33
	s_cselect_b64 s[4:5], -1, 0
	s_cmp_lg_u64 s[4:5], 0
	s_subb_u32 s13, s10, 0
	;; [unrolled: 4-line block ×3, first 2 shown]
	s_cmp_ge_u32 s11, s33
	s_cselect_b32 s5, -1, 0
	s_cmp_eq_u32 s13, 0
	s_cselect_b32 s5, s5, -1
	s_cmp_lg_u32 s5, 0
	s_cselect_b32 s4, s4, s13
	s_cselect_b32 s5, s20, s11
	s_cmp_ge_u32 s12, s33
	s_cselect_b32 s11, -1, 0
	s_cmp_eq_u32 s10, 0
	s_cselect_b32 s11, s11, -1
	s_cmp_lg_u32 s11, 0
	s_cselect_b32 s11, s4, s10
	s_cselect_b32 s10, s5, s12
	s_mov_b64 s[4:5], 0
	s_branch .LBB123_351
.LBB123_349:                            ;   in Loop: Header=BB123_12 Depth=1
                                        ; implicit-def: $sgpr12_sgpr13
	s_branch .LBB123_335
.LBB123_350:                            ;   in Loop: Header=BB123_12 Depth=1
	s_mov_b64 s[4:5], -1
	v_readlane_b32 s21, v47, 35
                                        ; implicit-def: $sgpr10_sgpr11
.LBB123_351:                            ;   in Loop: Header=BB123_12 Depth=1
	s_andn2_b64 vcc, exec, s[4:5]
	v_readlane_b32 s66, v47, 54
	s_cbranch_vccnz .LBB123_353
; %bb.352:                              ;   in Loop: Header=BB123_12 Depth=1
	v_cvt_f32_u32_e32 v6, s33
	s_sub_i32 s4, 0, s33
	v_rcp_iflag_f32_e32 v6, v6
	v_mul_f32_e32 v6, 0x4f7ffffe, v6
	v_cvt_u32_f32_e32 v6, v6
	v_readfirstlane_b32 s5, v6
	s_mul_i32 s4, s4, s5
	s_mul_hi_u32 s4, s5, s4
	s_add_i32 s5, s5, s4
	s_mul_hi_u32 s4, s21, s5
	s_mul_i32 s4, s4, s33
	s_sub_i32 s4, s21, s4
	s_sub_i32 s5, s4, s33
	s_cmp_ge_u32 s4, s33
	s_cselect_b32 s4, s5, s4
	s_sub_i32 s5, s4, s33
	s_cmp_ge_u32 s4, s33
	s_cselect_b32 s58, s5, s4
	s_mov_b64 s[10:11], s[58:59]
	v_readlane_b32 s58, v47, 55
.LBB123_353:                            ;   in Loop: Header=BB123_12 Depth=1
	s_sub_u32 s20, s21, s10
	s_subb_u32 s21, s67, s11
	v_cmp_gt_u64_e32 vcc, s[20:21], v[0:1]
                                        ; implicit-def: $vgpr33
	s_and_saveexec_b64 s[10:11], vcc
	s_cbranch_execz .LBB123_362
; %bb.354:                              ;   in Loop: Header=BB123_12 Depth=1
	v_mov_b32_e32 v7, v1
	s_mov_b64 s[36:37], 0
	v_mov_b32_e32 v6, v0
                                        ; implicit-def: $sgpr42_sgpr43
	s_branch .LBB123_357
.LBB123_355:                            ;   in Loop: Header=BB123_357 Depth=2
	s_or_b64 exec, exec, s[12:13]
	s_waitcnt lgkmcnt(0)
	s_barrier
	ds_read_u16 v8, v3 offset:3072
	s_mov_b64 s[4:5], -1
	s_waitcnt lgkmcnt(0)
	s_barrier
	v_cmp_eq_u32_sdwa s[12:13], v8, v3 src0_sel:BYTE_0 src1_sel:DWORD
	s_and_b64 vcc, exec, s[12:13]
	s_mov_b64 s[12:13], -1
	s_cbranch_vccnz .LBB123_360
.LBB123_356:                            ;   in Loop: Header=BB123_357 Depth=2
	s_and_b64 s[4:5], exec, s[4:5]
	s_or_b64 s[36:37], s[4:5], s[36:37]
	s_andn2_b64 s[4:5], s[42:43], exec
	s_and_b64 s[12:13], s[12:13], exec
	s_or_b64 s[42:43], s[4:5], s[12:13]
	s_andn2_b64 exec, exec, s[36:37]
	s_cbranch_execz .LBB123_361
.LBB123_357:                            ;   Parent Loop BB123_12 Depth=1
                                        ; =>  This Inner Loop Header: Depth=2
	v_cmp_gt_u64_e32 vcc, s[28:29], v[6:7]
	s_and_saveexec_b64 s[12:13], vcc
	s_cbranch_execz .LBB123_355
; %bb.358:                              ;   in Loop: Header=BB123_357 Depth=2
	v_mov_b32_e32 v8, s34
	v_mov_b32_e32 v9, s35
	v_mad_u64_u32 v[8:9], s[4:5], v6, s26, v[8:9]
	v_mul_lo_u32 v10, v6, s27
	v_mul_lo_u32 v11, v7, s26
	v_add3_u32 v9, v11, v9, v10
	global_load_ubyte v8, v[8:9], off
	s_waitcnt vmcnt(0)
	v_and_b32_e32 v9, v8, v32
	v_cmp_eq_u32_sdwa s[4:5], v9, v28 src0_sel:BYTE_0 src1_sel:DWORD
	s_and_b64 exec, exec, s[4:5]
	s_cbranch_execz .LBB123_355
; %bb.359:                              ;   in Loop: Header=BB123_357 Depth=2
	v_lshlrev_b16_e32 v8, 8, v8
	v_or_b32_e32 v8, 1, v8
	ds_write_b16 v3, v8 offset:3072
	s_branch .LBB123_355
.LBB123_360:                            ;   in Loop: Header=BB123_357 Depth=2
	v_add_co_u32_e32 v6, vcc, s33, v6
	v_addc_co_u32_e32 v7, vcc, 0, v7, vcc
	v_cmp_le_u64_e32 vcc, s[20:21], v[6:7]
	s_mov_b64 s[12:13], 0
	s_orn2_b64 s[4:5], vcc, exec
	s_branch .LBB123_356
.LBB123_361:                            ;   in Loop: Header=BB123_12 Depth=1
	s_or_b64 exec, exec, s[36:37]
	s_andn2_b64 s[4:5], s[8:9], exec
	s_and_b64 s[8:9], s[42:43], exec
	v_lshrrev_b32_sdwa v33, v31, v8 dst_sel:DWORD dst_unused:UNUSED_PAD src0_sel:DWORD src1_sel:WORD_0
	s_or_b64 s[8:9], s[4:5], s[8:9]
.LBB123_362:                            ;   in Loop: Header=BB123_12 Depth=1
	s_or_b64 exec, exec, s[10:11]
	s_mov_b64 s[36:37], 0
	s_mov_b64 s[42:43], -1
.LBB123_363:                            ;   in Loop: Header=BB123_12 Depth=1
	s_orn2_b64 s[8:9], s[8:9], exec
.LBB123_364:                            ;   in Loop: Header=BB123_12 Depth=1
	s_or_b64 exec, exec, s[14:15]
	s_mov_b64 s[10:11], 0
	s_and_saveexec_b64 s[50:51], s[8:9]
	s_cbranch_execz .LBB123_472
; %bb.365:                              ;   in Loop: Header=BB123_12 Depth=1
	v_mov_b32_e32 v6, 1
	s_xor_b64 s[4:5], s[2:3], -1
	v_mov_b32_e32 v2, 1
	v_mov_b32_e32 v7, 0
	s_mov_b64 s[8:9], 0
	s_and_saveexec_b64 s[2:3], s[4:5]
	s_cbranch_execz .LBB123_374
; %bb.366:                              ;   in Loop: Header=BB123_12 Depth=1
	v_cmp_ge_u64_e32 vcc, s[56:57], v[4:5]
	s_and_saveexec_b64 s[4:5], vcc
	s_xor_b64 s[8:9], exec, s[4:5]
	s_cbranch_execz .LBB123_371
; %bb.367:                              ;   in Loop: Header=BB123_12 Depth=1
	ds_read_b64 v[6:7], v3 offset:5120
	v_and_b32_e32 v2, s60, v28
	v_lshl_or_b32 v28, 2, s69, v2
	v_or_b32_e32 v32, s71, v32
	s_waitcnt lgkmcnt(0)
	v_cmp_ne_u64_e32 vcc, 0, v[6:7]
	s_cbranch_vccnz .LBB123_371
; %bb.368:                              ;   in Loop: Header=BB123_12 Depth=1
	s_mov_b64 s[4:5], exec
	v_readlane_b32 s10, v47, 12
	v_readlane_b32 s11, v47, 13
	s_and_b64 s[10:11], s[4:5], s[10:11]
	s_mov_b64 exec, s[10:11]
; %bb.369:                              ;   in Loop: Header=BB123_12 Depth=1
	v_mov_b32_e32 v6, s56
	v_mov_b32_e32 v7, s57
	ds_write_b64 v3, v[6:7] offset:5128
; %bb.370:                              ;   in Loop: Header=BB123_12 Depth=1
	s_or_b64 exec, exec, s[4:5]
	s_waitcnt lgkmcnt(0)
	s_barrier
.LBB123_371:                            ;   in Loop: Header=BB123_12 Depth=1
	s_or_saveexec_b64 s[8:9], s[8:9]
	s_mov_b64 s[10:11], 0
	v_mov_b32_e32 v2, 5
	s_xor_b64 exec, exec, s[8:9]
; %bb.372:                              ;   in Loop: Header=BB123_12 Depth=1
	v_subrev_co_u32_e32 v4, vcc, s56, v4
	v_mov_b32_e32 v2, s57
	v_subb_co_u32_e32 v5, vcc, v5, v2, vcc
	v_mov_b32_e32 v2, 0
	s_mov_b64 s[10:11], exec
; %bb.373:                              ;   in Loop: Header=BB123_12 Depth=1
	s_or_b64 exec, exec, s[8:9]
	v_mov_b32_e32 v7, v5
	s_and_b64 s[8:9], s[10:11], exec
	v_mov_b32_e32 v6, v4
.LBB123_374:                            ;   in Loop: Header=BB123_12 Depth=1
	s_or_b64 exec, exec, s[2:3]
	s_mov_b64 s[2:3], -1
                                        ; implicit-def: $sgpr46_sgpr47
                                        ; implicit-def: $sgpr52_sgpr53
	s_and_saveexec_b64 s[14:15], s[8:9]
	s_cbranch_execz .LBB123_471
; %bb.375:                              ;   in Loop: Header=BB123_12 Depth=1
	s_cmp_eq_u64 s[54:55], 1
	v_cmp_eq_u64_e32 vcc, 1, v[6:7]
	s_cselect_b64 s[2:3], -1, 0
	s_and_b64 s[2:3], s[2:3], vcc
	s_mov_b64 s[8:9], -1
                                        ; implicit-def: $sgpr52_sgpr53
                                        ; implicit-def: $sgpr46_sgpr47
	s_and_saveexec_b64 s[20:21], s[2:3]
	s_cbranch_execz .LBB123_410
; %bb.376:                              ;   in Loop: Header=BB123_12 Depth=1
	ds_read_b64 v[4:5], v3 offset:5120
	s_waitcnt lgkmcnt(0)
	s_barrier
	v_readfirstlane_b32 s10, v4
	v_readfirstlane_b32 s11, v5
	s_mov_b64 s[4:5], exec
	v_readlane_b32 s8, v47, 30
	v_readlane_b32 s9, v47, 31
	s_and_b64 s[8:9], s[4:5], s[8:9]
	s_mov_b64 exec, s[8:9]
; %bb.377:                              ;   in Loop: Header=BB123_12 Depth=1
	ds_write_b8 v0, v3 offset:3072
; %bb.378:                              ;   in Loop: Header=BB123_12 Depth=1
	s_or_b64 exec, exec, s[4:5]
	v_and_b32_e32 v4, s60, v28
	v_lshl_or_b32 v28, 1, s69, v4
	v_or_b32_e32 v32, s71, v32
	s_mov_b64 s[46:47], -1
	s_mov_b64 s[52:53], 0
	s_cmp_eq_u64 s[10:11], 0
	s_mov_b64 s[8:9], 0
	s_mov_b64 s[44:45], -1
	s_waitcnt lgkmcnt(0)
	s_barrier
                                        ; implicit-def: $vgpr33
	s_cbranch_scc1 .LBB123_392
; %bb.379:                              ;   in Loop: Header=BB123_12 Depth=1
	v_readlane_b32 s4, v47, 34
	s_add_u32 s44, s10, s4
	v_readlane_b32 s4, v47, 36
	s_addc_u32 s9, s11, s4
	s_mov_b32 s8, s59
	s_cmp_lg_u64 s[8:9], 0
	s_cbranch_scc0 .LBB123_395
; %bb.380:                              ;   in Loop: Header=BB123_12 Depth=1
	v_cvt_f32_u32_e32 v4, s33
	s_sub_u32 s8, 0, s33
	s_subb_u32 s12, 0, 0
	v_mac_f32_e32 v4, 0, v30
	v_rcp_f32_e32 v4, v4
	v_mul_f32_e32 v4, 0x5f7ffffc, v4
	v_mul_f32_e32 v5, 0x2f800000, v4
	v_trunc_f32_e32 v5, v5
	v_mac_f32_e32 v4, 0xcf800000, v5
	v_cvt_u32_f32_e32 v5, v5
	v_cvt_u32_f32_e32 v4, v4
	v_readfirstlane_b32 s13, v5
	v_readfirstlane_b32 s4, v4
	s_mul_i32 s5, s8, s13
	s_mul_hi_u32 s48, s8, s4
	s_mul_i32 s45, s12, s4
	s_add_i32 s5, s48, s5
	s_mul_i32 s49, s8, s4
	s_add_i32 s5, s5, s45
	s_mul_hi_u32 s48, s4, s49
	s_mul_i32 s56, s4, s5
	s_mul_hi_u32 s45, s4, s5
	s_add_u32 s48, s48, s56
	s_addc_u32 s45, 0, s45
	s_mul_hi_u32 s57, s13, s49
	s_mul_i32 s49, s13, s49
	s_add_u32 s48, s48, s49
	s_mul_hi_u32 s56, s13, s5
	s_addc_u32 s45, s45, s57
	s_addc_u32 s48, s56, 0
	s_mul_i32 s5, s13, s5
	s_add_u32 s5, s45, s5
	s_addc_u32 s45, 0, s48
	s_add_u32 s48, s4, s5
	s_cselect_b64 s[4:5], -1, 0
	s_cmp_lg_u64 s[4:5], 0
	s_addc_u32 s13, s13, s45
	s_mul_i32 s4, s8, s13
	s_mul_hi_u32 s5, s8, s48
	s_add_i32 s4, s5, s4
	s_mul_i32 s12, s12, s48
	s_add_i32 s4, s4, s12
	s_mul_i32 s8, s8, s48
	s_mul_hi_u32 s12, s13, s8
	s_mul_i32 s45, s13, s8
	s_mul_i32 s56, s48, s4
	s_mul_hi_u32 s8, s48, s8
	s_mul_hi_u32 s49, s48, s4
	s_add_u32 s8, s8, s56
	s_addc_u32 s49, 0, s49
	s_add_u32 s8, s8, s45
	s_mul_hi_u32 s5, s13, s4
	s_addc_u32 s8, s49, s12
	s_addc_u32 s5, s5, 0
	s_mul_i32 s4, s13, s4
	s_add_u32 s4, s8, s4
	s_addc_u32 s8, 0, s5
	s_add_u32 s12, s48, s4
	s_cselect_b64 s[4:5], -1, 0
	s_cmp_lg_u64 s[4:5], 0
	s_addc_u32 s4, s13, s8
	s_mul_i32 s8, s44, s4
	s_mul_hi_u32 s13, s44, s12
	s_mul_hi_u32 s5, s44, s4
	s_add_u32 s8, s13, s8
	s_addc_u32 s5, 0, s5
	s_mul_hi_u32 s45, s9, s12
	s_mul_i32 s12, s9, s12
	s_add_u32 s8, s8, s12
	s_mul_hi_u32 s13, s9, s4
	s_addc_u32 s5, s5, s45
	s_addc_u32 s8, s13, 0
	s_mul_i32 s4, s9, s4
	s_add_u32 s4, s5, s4
	s_addc_u32 s5, 0, s8
	s_mul_i32 s5, s33, s5
	s_mul_hi_u32 s8, s33, s4
	s_add_i32 s8, s8, s5
	s_mul_i32 s4, s33, s4
	s_sub_u32 s12, s44, s4
	s_cselect_b64 s[4:5], -1, 0
	s_cmp_lg_u64 s[4:5], 0
	s_subb_u32 s8, s9, s8
	s_sub_u32 s13, s12, s33
	s_cselect_b64 s[4:5], -1, 0
	s_cmp_lg_u64 s[4:5], 0
	s_subb_u32 s45, s8, 0
	;; [unrolled: 4-line block ×3, first 2 shown]
	s_cmp_ge_u32 s13, s33
	s_cselect_b32 s5, -1, 0
	s_cmp_eq_u32 s45, 0
	s_cselect_b32 s5, s5, -1
	s_cmp_lg_u32 s5, 0
	s_cselect_b32 s4, s4, s45
	s_cselect_b32 s5, s48, s13
	s_cmp_ge_u32 s12, s33
	s_cselect_b32 s13, -1, 0
	s_cmp_eq_u32 s8, 0
	s_cselect_b32 s13, s13, -1
	s_cmp_lg_u32 s13, 0
	s_cselect_b32 s13, s4, s8
	s_cselect_b32 s12, s5, s12
	s_cbranch_execnz .LBB123_382
.LBB123_381:                            ;   in Loop: Header=BB123_12 Depth=1
	v_cvt_f32_u32_e32 v4, s33
	s_sub_i32 s4, 0, s33
	v_rcp_iflag_f32_e32 v4, v4
	v_mul_f32_e32 v4, 0x4f7ffffe, v4
	v_cvt_u32_f32_e32 v4, v4
	v_readfirstlane_b32 s5, v4
	s_mul_i32 s4, s4, s5
	s_mul_hi_u32 s4, s5, s4
	s_add_i32 s5, s5, s4
	s_mul_hi_u32 s4, s44, s5
	s_mul_i32 s4, s4, s33
	s_sub_i32 s4, s44, s4
	s_sub_i32 s5, s4, s33
	s_cmp_ge_u32 s4, s33
	s_cselect_b32 s4, s5, s4
	s_sub_i32 s5, s4, s33
	s_cmp_ge_u32 s4, s33
	s_cselect_b32 s58, s5, s4
	s_mov_b64 s[12:13], s[58:59]
	v_readlane_b32 s58, v47, 55
.LBB123_382:                            ;   in Loop: Header=BB123_12 Depth=1
	s_sub_u32 s56, s44, s12
	s_subb_u32 s57, s9, s13
	v_cmp_gt_u64_e32 vcc, s[56:57], v[0:1]
	s_mov_b64 s[44:45], 0
	s_mov_b64 s[8:9], 0
                                        ; implicit-def: $vgpr33
	s_and_saveexec_b64 s[48:49], vcc
	s_cbranch_execz .LBB123_391
; %bb.383:                              ;   in Loop: Header=BB123_12 Depth=1
	v_mov_b32_e32 v5, v1
	v_mov_b32_e32 v8, v0
	;; [unrolled: 1-line block ×3, first 2 shown]
                                        ; implicit-def: $sgpr64_sgpr65
	s_branch .LBB123_386
.LBB123_384:                            ;   in Loop: Header=BB123_386 Depth=2
	s_or_b64 exec, exec, s[12:13]
	s_waitcnt lgkmcnt(0)
	s_barrier
	ds_read_u16 v9, v3 offset:3072
	s_mov_b64 s[4:5], -1
	s_waitcnt lgkmcnt(0)
	s_barrier
	v_cmp_ne_u32_sdwa s[12:13], v9, v3 src0_sel:BYTE_0 src1_sel:DWORD
	s_and_b64 vcc, exec, s[12:13]
	s_mov_b64 s[12:13], -1
	s_cbranch_vccz .LBB123_389
.LBB123_385:                            ;   in Loop: Header=BB123_386 Depth=2
	s_and_b64 s[4:5], exec, s[4:5]
	s_or_b64 s[8:9], s[4:5], s[8:9]
	s_andn2_b64 s[4:5], s[64:65], exec
	s_and_b64 s[12:13], s[12:13], exec
	s_or_b64 s[64:65], s[4:5], s[12:13]
	s_andn2_b64 exec, exec, s[8:9]
	s_cbranch_execz .LBB123_390
.LBB123_386:                            ;   Parent Loop BB123_12 Depth=1
                                        ; =>  This Inner Loop Header: Depth=2
	v_cmp_gt_u64_e32 vcc, s[10:11], v[4:5]
	s_and_saveexec_b64 s[12:13], vcc
	s_cbranch_execz .LBB123_384
; %bb.387:                              ;   in Loop: Header=BB123_386 Depth=2
	ds_read_u8 v9, v8
	s_waitcnt lgkmcnt(0)
	v_and_b32_e32 v10, v9, v32
	v_cmp_eq_u32_sdwa s[4:5], v10, v28 src0_sel:BYTE_0 src1_sel:DWORD
	s_and_b64 exec, exec, s[4:5]
	s_cbranch_execz .LBB123_384
; %bb.388:                              ;   in Loop: Header=BB123_386 Depth=2
	v_lshlrev_b16_e32 v9, 8, v9
	v_or_b32_e32 v9, 1, v9
	ds_write_b16 v3, v9 offset:3072
	s_branch .LBB123_384
.LBB123_389:                            ;   in Loop: Header=BB123_386 Depth=2
	v_add_co_u32_e32 v4, vcc, s33, v4
	v_addc_co_u32_e32 v5, vcc, 0, v5, vcc
	v_cmp_le_u64_e32 vcc, s[56:57], v[4:5]
	v_add_u32_e32 v8, s33, v8
	s_mov_b64 s[12:13], 0
	s_orn2_b64 s[4:5], vcc, exec
	s_branch .LBB123_385
.LBB123_390:                            ;   in Loop: Header=BB123_12 Depth=1
	s_or_b64 exec, exec, s[8:9]
	v_lshrrev_b32_sdwa v33, v31, v9 dst_sel:DWORD dst_unused:UNUSED_PAD src0_sel:DWORD src1_sel:WORD_0
	s_and_b64 s[8:9], s[64:65], exec
.LBB123_391:                            ;   in Loop: Header=BB123_12 Depth=1
	s_or_b64 exec, exec, s[48:49]
.LBB123_392:                            ;   in Loop: Header=BB123_12 Depth=1
	s_and_b64 vcc, exec, s[44:45]
	s_cbranch_vccz .LBB123_409
; %bb.393:                              ;   in Loop: Header=BB123_12 Depth=1
	s_mov_b32 s66, s59
	s_cmp_lg_u64 s[66:67], 0
	s_cbranch_scc0 .LBB123_396
; %bb.394:                              ;   in Loop: Header=BB123_12 Depth=1
	v_cvt_f32_u32_e32 v4, s33
	s_sub_u32 s10, 0, s33
	s_subb_u32 s11, 0, 0
	v_mac_f32_e32 v4, 0, v30
	v_rcp_f32_e32 v4, v4
	v_mul_f32_e32 v4, 0x5f7ffffc, v4
	v_mul_f32_e32 v5, 0x2f800000, v4
	v_trunc_f32_e32 v5, v5
	v_mac_f32_e32 v4, 0xcf800000, v5
	v_cvt_u32_f32_e32 v5, v5
	v_cvt_u32_f32_e32 v4, v4
	v_readfirstlane_b32 s12, v5
	v_readfirstlane_b32 s4, v4
	s_mul_i32 s5, s10, s12
	s_mul_hi_u32 s44, s10, s4
	s_mul_i32 s13, s11, s4
	s_add_i32 s5, s44, s5
	s_mul_i32 s45, s10, s4
	s_add_i32 s5, s5, s13
	s_mul_hi_u32 s44, s4, s45
	s_mul_i32 s46, s4, s5
	s_mul_hi_u32 s13, s4, s5
	s_add_u32 s44, s44, s46
	s_addc_u32 s13, 0, s13
	s_mul_hi_u32 s47, s12, s45
	s_mul_i32 s45, s12, s45
	s_add_u32 s44, s44, s45
	s_mul_hi_u32 s46, s12, s5
	s_addc_u32 s13, s13, s47
	s_addc_u32 s44, s46, 0
	s_mul_i32 s5, s12, s5
	s_add_u32 s5, s13, s5
	s_addc_u32 s13, 0, s44
	s_add_u32 s44, s4, s5
	s_cselect_b64 s[4:5], -1, 0
	s_cmp_lg_u64 s[4:5], 0
	s_addc_u32 s12, s12, s13
	s_mul_i32 s4, s10, s12
	s_mul_hi_u32 s5, s10, s44
	s_add_i32 s4, s5, s4
	s_mul_i32 s11, s11, s44
	s_add_i32 s4, s4, s11
	s_mul_i32 s10, s10, s44
	s_mul_hi_u32 s11, s12, s10
	s_mul_i32 s13, s12, s10
	s_mul_i32 s46, s44, s4
	s_mul_hi_u32 s10, s44, s10
	s_mul_hi_u32 s45, s44, s4
	s_add_u32 s10, s10, s46
	s_addc_u32 s45, 0, s45
	s_add_u32 s10, s10, s13
	s_mul_hi_u32 s5, s12, s4
	s_addc_u32 s10, s45, s11
	s_addc_u32 s5, s5, 0
	s_mul_i32 s4, s12, s4
	s_add_u32 s4, s10, s4
	s_addc_u32 s10, 0, s5
	s_add_u32 s11, s44, s4
	s_cselect_b64 s[4:5], -1, 0
	s_cmp_lg_u64 s[4:5], 0
	s_addc_u32 s4, s12, s10
	v_readlane_b32 s45, v47, 35
	s_mul_i32 s10, s45, s4
	s_mul_hi_u32 s12, s45, s11
	s_mul_hi_u32 s5, s45, s4
	s_add_u32 s10, s12, s10
	s_addc_u32 s5, 0, s5
	s_mul_hi_u32 s13, s67, s11
	s_mul_i32 s11, s67, s11
	s_add_u32 s10, s10, s11
	s_mul_hi_u32 s12, s67, s4
	s_addc_u32 s5, s5, s13
	s_addc_u32 s10, s12, 0
	s_mul_i32 s4, s67, s4
	s_add_u32 s4, s5, s4
	s_addc_u32 s5, 0, s10
	s_mul_i32 s5, s33, s5
	s_mul_hi_u32 s10, s33, s4
	s_add_i32 s10, s10, s5
	s_mul_i32 s4, s33, s4
	s_sub_u32 s12, s45, s4
	s_cselect_b64 s[4:5], -1, 0
	s_cmp_lg_u64 s[4:5], 0
	s_subb_u32 s10, s67, s10
	s_sub_u32 s11, s12, s33
	s_cselect_b64 s[4:5], -1, 0
	s_cmp_lg_u64 s[4:5], 0
	s_subb_u32 s13, s10, 0
	;; [unrolled: 4-line block ×3, first 2 shown]
	s_cmp_ge_u32 s11, s33
	s_cselect_b32 s5, -1, 0
	s_cmp_eq_u32 s13, 0
	s_cselect_b32 s5, s5, -1
	s_cmp_lg_u32 s5, 0
	s_cselect_b32 s4, s4, s13
	s_cselect_b32 s5, s44, s11
	s_cmp_ge_u32 s12, s33
	s_cselect_b32 s11, -1, 0
	s_cmp_eq_u32 s10, 0
	s_cselect_b32 s11, s11, -1
	s_cmp_lg_u32 s11, 0
	s_cselect_b32 s11, s4, s10
	s_cselect_b32 s10, s5, s12
	s_mov_b64 s[4:5], 0
	s_branch .LBB123_397
.LBB123_395:                            ;   in Loop: Header=BB123_12 Depth=1
                                        ; implicit-def: $sgpr12_sgpr13
	s_branch .LBB123_381
.LBB123_396:                            ;   in Loop: Header=BB123_12 Depth=1
	s_mov_b64 s[4:5], -1
	v_readlane_b32 s45, v47, 35
                                        ; implicit-def: $sgpr10_sgpr11
.LBB123_397:                            ;   in Loop: Header=BB123_12 Depth=1
	s_andn2_b64 vcc, exec, s[4:5]
	v_readlane_b32 s66, v47, 54
	s_cbranch_vccnz .LBB123_399
; %bb.398:                              ;   in Loop: Header=BB123_12 Depth=1
	v_cvt_f32_u32_e32 v4, s33
	s_sub_i32 s4, 0, s33
	v_rcp_iflag_f32_e32 v4, v4
	v_mul_f32_e32 v4, 0x4f7ffffe, v4
	v_cvt_u32_f32_e32 v4, v4
	v_readfirstlane_b32 s5, v4
	s_mul_i32 s4, s4, s5
	s_mul_hi_u32 s4, s5, s4
	s_add_i32 s5, s5, s4
	s_mul_hi_u32 s4, s45, s5
	s_mul_i32 s4, s4, s33
	s_sub_i32 s4, s45, s4
	s_sub_i32 s5, s4, s33
	s_cmp_ge_u32 s4, s33
	s_cselect_b32 s4, s5, s4
	s_sub_i32 s5, s4, s33
	s_cmp_ge_u32 s4, s33
	s_cselect_b32 s58, s5, s4
	s_mov_b64 s[10:11], s[58:59]
	v_readlane_b32 s58, v47, 55
.LBB123_399:                            ;   in Loop: Header=BB123_12 Depth=1
	s_sub_u32 s44, s45, s10
	s_subb_u32 s45, s67, s11
	v_cmp_gt_u64_e32 vcc, s[44:45], v[0:1]
                                        ; implicit-def: $vgpr33
	s_and_saveexec_b64 s[10:11], vcc
	s_cbranch_execz .LBB123_408
; %bb.400:                              ;   in Loop: Header=BB123_12 Depth=1
	v_mov_b32_e32 v5, v1
	s_mov_b64 s[46:47], 0
	v_mov_b32_e32 v4, v0
                                        ; implicit-def: $sgpr48_sgpr49
	s_branch .LBB123_403
.LBB123_401:                            ;   in Loop: Header=BB123_403 Depth=2
	s_or_b64 exec, exec, s[12:13]
	s_waitcnt lgkmcnt(0)
	s_barrier
	ds_read_u16 v8, v3 offset:3072
	s_mov_b64 s[4:5], -1
	s_waitcnt lgkmcnt(0)
	s_barrier
	v_cmp_eq_u32_sdwa s[12:13], v8, v3 src0_sel:BYTE_0 src1_sel:DWORD
	s_and_b64 vcc, exec, s[12:13]
	s_mov_b64 s[12:13], -1
	s_cbranch_vccnz .LBB123_406
.LBB123_402:                            ;   in Loop: Header=BB123_403 Depth=2
	s_and_b64 s[4:5], exec, s[4:5]
	s_or_b64 s[46:47], s[4:5], s[46:47]
	s_andn2_b64 s[4:5], s[48:49], exec
	s_and_b64 s[12:13], s[12:13], exec
	s_or_b64 s[48:49], s[4:5], s[12:13]
	s_andn2_b64 exec, exec, s[46:47]
	s_cbranch_execz .LBB123_407
.LBB123_403:                            ;   Parent Loop BB123_12 Depth=1
                                        ; =>  This Inner Loop Header: Depth=2
	v_cmp_gt_u64_e32 vcc, s[28:29], v[4:5]
	s_and_saveexec_b64 s[12:13], vcc
	s_cbranch_execz .LBB123_401
; %bb.404:                              ;   in Loop: Header=BB123_403 Depth=2
	v_mov_b32_e32 v8, s34
	v_mov_b32_e32 v9, s35
	v_mad_u64_u32 v[8:9], s[4:5], v4, s26, v[8:9]
	v_mul_lo_u32 v10, v4, s27
	v_mul_lo_u32 v11, v5, s26
	v_add3_u32 v9, v11, v9, v10
	global_load_ubyte v8, v[8:9], off
	s_waitcnt vmcnt(0)
	v_and_b32_e32 v9, v8, v32
	v_cmp_eq_u32_sdwa s[4:5], v9, v28 src0_sel:BYTE_0 src1_sel:DWORD
	s_and_b64 exec, exec, s[4:5]
	s_cbranch_execz .LBB123_401
; %bb.405:                              ;   in Loop: Header=BB123_403 Depth=2
	v_lshlrev_b16_e32 v8, 8, v8
	v_or_b32_e32 v8, 1, v8
	ds_write_b16 v3, v8 offset:3072
	s_branch .LBB123_401
.LBB123_406:                            ;   in Loop: Header=BB123_403 Depth=2
	v_add_co_u32_e32 v4, vcc, s33, v4
	v_addc_co_u32_e32 v5, vcc, 0, v5, vcc
	v_cmp_le_u64_e32 vcc, s[44:45], v[4:5]
	s_mov_b64 s[12:13], 0
	s_orn2_b64 s[4:5], vcc, exec
	s_branch .LBB123_402
.LBB123_407:                            ;   in Loop: Header=BB123_12 Depth=1
	s_or_b64 exec, exec, s[46:47]
	s_andn2_b64 s[4:5], s[8:9], exec
	s_and_b64 s[8:9], s[48:49], exec
	v_lshrrev_b32_sdwa v33, v31, v8 dst_sel:DWORD dst_unused:UNUSED_PAD src0_sel:DWORD src1_sel:WORD_0
	s_or_b64 s[8:9], s[4:5], s[8:9]
.LBB123_408:                            ;   in Loop: Header=BB123_12 Depth=1
	s_or_b64 exec, exec, s[10:11]
	s_mov_b64 s[46:47], 0
	s_mov_b64 s[52:53], -1
.LBB123_409:                            ;   in Loop: Header=BB123_12 Depth=1
	s_orn2_b64 s[8:9], s[8:9], exec
.LBB123_410:                            ;   in Loop: Header=BB123_12 Depth=1
	s_or_b64 exec, exec, s[20:21]
	s_mov_b64 s[10:11], 0
	s_and_saveexec_b64 s[20:21], s[8:9]
	s_cbranch_execz .LBB123_470
; %bb.411:                              ;   in Loop: Header=BB123_12 Depth=1
	v_mov_b32_e32 v4, 1
	s_xor_b64 s[4:5], s[2:3], -1
	v_mov_b32_e32 v2, 1
	v_mov_b32_e32 v5, 0
	s_and_saveexec_b64 s[2:3], s[4:5]
	s_cbranch_execz .LBB123_420
; %bb.412:                              ;   in Loop: Header=BB123_12 Depth=1
	v_cmp_ge_u64_e32 vcc, s[54:55], v[6:7]
	s_and_saveexec_b64 s[4:5], vcc
	s_xor_b64 s[8:9], exec, s[4:5]
	s_cbranch_execz .LBB123_417
; %bb.413:                              ;   in Loop: Header=BB123_12 Depth=1
	ds_read_b64 v[4:5], v3 offset:5120
	v_and_b32_e32 v2, s60, v28
	v_lshl_or_b32 v28, 1, s69, v2
	v_or_b32_e32 v32, s71, v32
	s_waitcnt lgkmcnt(0)
	v_cmp_ne_u64_e32 vcc, 0, v[4:5]
	s_cbranch_vccnz .LBB123_417
; %bb.414:                              ;   in Loop: Header=BB123_12 Depth=1
	s_mov_b64 s[4:5], exec
	v_readlane_b32 s10, v47, 12
	v_readlane_b32 s11, v47, 13
	s_and_b64 s[10:11], s[4:5], s[10:11]
	s_mov_b64 exec, s[10:11]
; %bb.415:                              ;   in Loop: Header=BB123_12 Depth=1
	v_mov_b32_e32 v4, s54
	v_mov_b32_e32 v5, s55
	ds_write_b64 v3, v[4:5] offset:5128
; %bb.416:                              ;   in Loop: Header=BB123_12 Depth=1
	s_or_b64 exec, exec, s[4:5]
	s_waitcnt lgkmcnt(0)
	s_barrier
.LBB123_417:                            ;   in Loop: Header=BB123_12 Depth=1
	s_or_saveexec_b64 s[8:9], s[8:9]
	s_mov_b64 s[10:11], 0
	v_mov_b32_e32 v2, 5
	s_xor_b64 exec, exec, s[8:9]
; %bb.418:                              ;   in Loop: Header=BB123_12 Depth=1
	v_subrev_co_u32_e32 v6, vcc, s54, v6
	v_mov_b32_e32 v2, s55
	v_subb_co_u32_e32 v7, vcc, v7, v2, vcc
	v_mov_b32_e32 v2, 0
	s_mov_b64 s[10:11], exec
; %bb.419:                              ;   in Loop: Header=BB123_12 Depth=1
	s_or_b64 exec, exec, s[8:9]
	v_mov_b32_e32 v4, v6
	s_and_b64 s[10:11], s[10:11], exec
	v_mov_b32_e32 v5, v7
.LBB123_420:                            ;   in Loop: Header=BB123_12 Depth=1
	s_or_b64 exec, exec, s[2:3]
	s_mov_b64 s[8:9], -1
                                        ; implicit-def: $sgpr54_sgpr55
                                        ; implicit-def: $sgpr56_sgpr57
	s_and_saveexec_b64 s[2:3], s[10:11]
	s_cbranch_execz .LBB123_469
; %bb.421:                              ;   in Loop: Header=BB123_12 Depth=1
	s_cmp_eq_u64 s[22:23], 1
	v_cmp_eq_u64_e32 vcc, 1, v[4:5]
	s_cselect_b64 s[4:5], -1, 0
	s_mov_b64 s[10:11], -1
	s_and_b64 s[4:5], s[4:5], vcc
                                        ; implicit-def: $sgpr54_sgpr55
                                        ; implicit-def: $sgpr56_sgpr57
	s_mov_b64 s[8:9], exec
	v_writelane_b32 v47, s4, 57
	v_writelane_b32 v47, s5, 58
	s_and_b64 s[4:5], s[8:9], s[4:5]
	s_mov_b64 exec, s[4:5]
	s_cbranch_execz .LBB123_457
; %bb.422:                              ;   in Loop: Header=BB123_12 Depth=1
	ds_read_b64 v[6:7], v3 offset:5120
	v_writelane_b32 v47, s8, 59
	v_writelane_b32 v47, s9, 60
	s_waitcnt lgkmcnt(0)
	s_barrier
	v_readfirstlane_b32 s10, v6
	v_readfirstlane_b32 s11, v7
	s_mov_b64 s[4:5], exec
	v_readlane_b32 s8, v47, 30
	v_readlane_b32 s9, v47, 31
	s_and_b64 s[8:9], s[4:5], s[8:9]
	s_mov_b64 exec, s[8:9]
; %bb.423:                              ;   in Loop: Header=BB123_12 Depth=1
	ds_write_b8 v0, v3 offset:3072
; %bb.424:                              ;   in Loop: Header=BB123_12 Depth=1
	s_or_b64 exec, exec, s[4:5]
	v_and_b32_e32 v28, s60, v28
	v_or_b32_e32 v32, s71, v32
	s_mov_b64 s[56:57], -1
	s_mov_b64 s[54:55], 0
	s_cmp_eq_u64 s[10:11], 0
	s_mov_b64 s[8:9], 0
	s_mov_b64 s[44:45], -1
	s_waitcnt lgkmcnt(0)
	s_barrier
                                        ; implicit-def: $vgpr33
	s_cbranch_scc1 .LBB123_440
; %bb.425:                              ;   in Loop: Header=BB123_12 Depth=1
	v_readlane_b32 s4, v47, 34
	s_add_u32 s44, s10, s4
	v_readlane_b32 s4, v47, 36
	s_addc_u32 s9, s11, s4
	s_mov_b32 s8, s59
	s_cmp_lg_u64 s[8:9], 0
	s_cbranch_scc0 .LBB123_427
; %bb.426:                              ;   in Loop: Header=BB123_12 Depth=1
	v_cvt_f32_u32_e32 v6, s33
	s_sub_u32 s8, 0, s33
	s_subb_u32 s12, 0, 0
	v_mac_f32_e32 v6, 0, v30
	v_rcp_f32_e32 v6, v6
	v_mul_f32_e32 v6, 0x5f7ffffc, v6
	v_mul_f32_e32 v7, 0x2f800000, v6
	v_trunc_f32_e32 v7, v7
	v_mac_f32_e32 v6, 0xcf800000, v7
	v_cvt_u32_f32_e32 v7, v7
	v_cvt_u32_f32_e32 v6, v6
	v_readfirstlane_b32 s13, v7
	v_readfirstlane_b32 s4, v6
	s_mul_i32 s5, s8, s13
	s_mul_hi_u32 s48, s8, s4
	s_mul_i32 s45, s12, s4
	s_add_i32 s5, s48, s5
	s_mul_i32 s49, s8, s4
	s_add_i32 s5, s5, s45
	s_mul_hi_u32 s48, s4, s49
	s_mul_i32 s58, s4, s5
	s_mul_hi_u32 s45, s4, s5
	s_add_u32 s48, s48, s58
	s_addc_u32 s45, 0, s45
	s_mul_hi_u32 s64, s13, s49
	s_mul_i32 s49, s13, s49
	s_add_u32 s48, s48, s49
	s_mul_hi_u32 s58, s13, s5
	s_addc_u32 s45, s45, s64
	s_addc_u32 s48, s58, 0
	s_mul_i32 s5, s13, s5
	s_add_u32 s5, s45, s5
	s_addc_u32 s45, 0, s48
	s_add_u32 s48, s4, s5
	s_cselect_b64 s[4:5], -1, 0
	s_cmp_lg_u64 s[4:5], 0
	s_addc_u32 s13, s13, s45
	s_mul_i32 s4, s8, s13
	s_mul_hi_u32 s5, s8, s48
	s_add_i32 s4, s5, s4
	s_mul_i32 s12, s12, s48
	s_add_i32 s4, s4, s12
	s_mul_i32 s8, s8, s48
	s_mul_hi_u32 s12, s13, s8
	s_mul_i32 s45, s13, s8
	s_mul_i32 s58, s48, s4
	s_mul_hi_u32 s8, s48, s8
	s_mul_hi_u32 s49, s48, s4
	s_add_u32 s8, s8, s58
	s_addc_u32 s49, 0, s49
	s_add_u32 s8, s8, s45
	s_mul_hi_u32 s5, s13, s4
	s_addc_u32 s8, s49, s12
	s_addc_u32 s5, s5, 0
	s_mul_i32 s4, s13, s4
	s_add_u32 s4, s8, s4
	s_addc_u32 s8, 0, s5
	s_add_u32 s12, s48, s4
	s_cselect_b64 s[4:5], -1, 0
	s_cmp_lg_u64 s[4:5], 0
	s_addc_u32 s4, s13, s8
	s_mul_i32 s8, s44, s4
	s_mul_hi_u32 s13, s44, s12
	s_mul_hi_u32 s5, s44, s4
	s_add_u32 s8, s13, s8
	s_addc_u32 s5, 0, s5
	s_mul_hi_u32 s45, s9, s12
	s_mul_i32 s12, s9, s12
	s_add_u32 s8, s8, s12
	s_mul_hi_u32 s13, s9, s4
	s_addc_u32 s5, s5, s45
	s_addc_u32 s8, s13, 0
	s_mul_i32 s4, s9, s4
	s_add_u32 s4, s5, s4
	s_addc_u32 s5, 0, s8
	s_mul_i32 s5, s33, s5
	s_mul_hi_u32 s8, s33, s4
	s_add_i32 s8, s8, s5
	s_mul_i32 s4, s33, s4
	s_sub_u32 s12, s44, s4
	s_cselect_b64 s[4:5], -1, 0
	s_cmp_lg_u64 s[4:5], 0
	s_subb_u32 s8, s9, s8
	s_sub_u32 s13, s12, s33
	s_cselect_b64 s[4:5], -1, 0
	s_cmp_lg_u64 s[4:5], 0
	s_subb_u32 s45, s8, 0
	;; [unrolled: 4-line block ×3, first 2 shown]
	s_cmp_ge_u32 s13, s33
	s_cselect_b32 s5, -1, 0
	s_cmp_eq_u32 s45, 0
	s_cselect_b32 s5, s5, -1
	s_cmp_lg_u32 s5, 0
	s_cselect_b32 s4, s4, s45
	s_cselect_b32 s5, s48, s13
	s_cmp_ge_u32 s12, s33
	s_cselect_b32 s13, -1, 0
	s_cmp_eq_u32 s8, 0
	s_cselect_b32 s13, s13, -1
	s_cmp_lg_u32 s13, 0
	s_cselect_b32 s13, s4, s8
	s_cselect_b32 s12, s5, s12
	s_mov_b64 s[4:5], 0
	s_branch .LBB123_428
.LBB123_427:                            ;   in Loop: Header=BB123_12 Depth=1
	s_mov_b64 s[4:5], -1
                                        ; implicit-def: $sgpr12_sgpr13
.LBB123_428:                            ;   in Loop: Header=BB123_12 Depth=1
	s_andn2_b64 vcc, exec, s[4:5]
	s_cbranch_vccnz .LBB123_430
; %bb.429:                              ;   in Loop: Header=BB123_12 Depth=1
	v_cvt_f32_u32_e32 v6, s33
	s_sub_i32 s4, 0, s33
	v_rcp_iflag_f32_e32 v6, v6
	v_mul_f32_e32 v6, 0x4f7ffffe, v6
	v_cvt_u32_f32_e32 v6, v6
	v_readfirstlane_b32 s5, v6
	s_mul_i32 s4, s4, s5
	s_mul_hi_u32 s4, s5, s4
	s_add_i32 s5, s5, s4
	s_mul_hi_u32 s4, s44, s5
	s_mul_i32 s4, s4, s33
	s_sub_i32 s4, s44, s4
	s_sub_i32 s5, s4, s33
	s_cmp_ge_u32 s4, s33
	s_cselect_b32 s4, s5, s4
	s_sub_i32 s5, s4, s33
	s_cmp_ge_u32 s4, s33
	s_cselect_b32 s58, s5, s4
	s_mov_b64 s[12:13], s[58:59]
.LBB123_430:                            ;   in Loop: Header=BB123_12 Depth=1
	s_sub_u32 s48, s44, s12
	s_subb_u32 s49, s9, s13
	v_cmp_gt_u64_e32 vcc, s[48:49], v[0:1]
	s_mov_b64 s[44:45], 0
	s_mov_b64 s[8:9], 0
                                        ; implicit-def: $vgpr33
	s_and_saveexec_b64 s[72:73], vcc
	v_readlane_b32 s58, v47, 55
	s_cbranch_execz .LBB123_439
; %bb.431:                              ;   in Loop: Header=BB123_12 Depth=1
	v_mov_b32_e32 v7, v1
	v_mov_b32_e32 v8, v0
	;; [unrolled: 1-line block ×3, first 2 shown]
                                        ; implicit-def: $sgpr64_sgpr65
	s_branch .LBB123_434
.LBB123_432:                            ;   in Loop: Header=BB123_434 Depth=2
	s_or_b64 exec, exec, s[12:13]
	s_waitcnt lgkmcnt(0)
	s_barrier
	ds_read_u16 v9, v3 offset:3072
	s_mov_b64 s[4:5], -1
	s_waitcnt lgkmcnt(0)
	s_barrier
	v_cmp_ne_u32_sdwa s[12:13], v9, v3 src0_sel:BYTE_0 src1_sel:DWORD
	s_and_b64 vcc, exec, s[12:13]
	s_mov_b64 s[12:13], -1
	s_cbranch_vccz .LBB123_437
.LBB123_433:                            ;   in Loop: Header=BB123_434 Depth=2
	s_and_b64 s[4:5], exec, s[4:5]
	s_or_b64 s[8:9], s[4:5], s[8:9]
	s_andn2_b64 s[4:5], s[64:65], exec
	s_and_b64 s[12:13], s[12:13], exec
	s_or_b64 s[64:65], s[4:5], s[12:13]
	s_andn2_b64 exec, exec, s[8:9]
	s_cbranch_execz .LBB123_438
.LBB123_434:                            ;   Parent Loop BB123_12 Depth=1
                                        ; =>  This Inner Loop Header: Depth=2
	v_cmp_gt_u64_e32 vcc, s[10:11], v[6:7]
	s_and_saveexec_b64 s[12:13], vcc
	s_cbranch_execz .LBB123_432
; %bb.435:                              ;   in Loop: Header=BB123_434 Depth=2
	ds_read_u8 v9, v8
	s_waitcnt lgkmcnt(0)
	v_and_b32_e32 v10, v9, v32
	v_cmp_eq_u32_sdwa s[4:5], v10, v28 src0_sel:BYTE_0 src1_sel:DWORD
	s_and_b64 exec, exec, s[4:5]
	s_cbranch_execz .LBB123_432
; %bb.436:                              ;   in Loop: Header=BB123_434 Depth=2
	v_lshlrev_b16_e32 v9, 8, v9
	v_or_b32_e32 v9, 1, v9
	ds_write_b16 v3, v9 offset:3072
	s_branch .LBB123_432
.LBB123_437:                            ;   in Loop: Header=BB123_434 Depth=2
	v_add_co_u32_e32 v6, vcc, s33, v6
	v_addc_co_u32_e32 v7, vcc, 0, v7, vcc
	v_cmp_le_u64_e32 vcc, s[48:49], v[6:7]
	v_add_u32_e32 v8, s33, v8
	s_mov_b64 s[12:13], 0
	s_orn2_b64 s[4:5], vcc, exec
	s_branch .LBB123_433
.LBB123_438:                            ;   in Loop: Header=BB123_12 Depth=1
	s_or_b64 exec, exec, s[8:9]
	v_lshrrev_b32_sdwa v33, v31, v9 dst_sel:DWORD dst_unused:UNUSED_PAD src0_sel:DWORD src1_sel:WORD_0
	s_and_b64 s[8:9], s[64:65], exec
.LBB123_439:                            ;   in Loop: Header=BB123_12 Depth=1
	s_or_b64 exec, exec, s[72:73]
.LBB123_440:                            ;   in Loop: Header=BB123_12 Depth=1
	s_and_b64 vcc, exec, s[44:45]
	s_cbranch_vccz .LBB123_456
; %bb.441:                              ;   in Loop: Header=BB123_12 Depth=1
	s_mov_b32 s66, s59
	s_cmp_lg_u64 s[66:67], 0
	s_cbranch_scc0 .LBB123_443
; %bb.442:                              ;   in Loop: Header=BB123_12 Depth=1
	v_cvt_f32_u32_e32 v6, s33
	s_sub_u32 s10, 0, s33
	s_subb_u32 s11, 0, 0
	v_mac_f32_e32 v6, 0, v30
	v_rcp_f32_e32 v6, v6
	v_mul_f32_e32 v6, 0x5f7ffffc, v6
	v_mul_f32_e32 v7, 0x2f800000, v6
	v_trunc_f32_e32 v7, v7
	v_mac_f32_e32 v6, 0xcf800000, v7
	v_cvt_u32_f32_e32 v7, v7
	v_cvt_u32_f32_e32 v6, v6
	v_readfirstlane_b32 s12, v7
	v_readfirstlane_b32 s4, v6
	s_mul_i32 s5, s10, s12
	s_mul_hi_u32 s44, s10, s4
	s_mul_i32 s13, s11, s4
	s_add_i32 s5, s44, s5
	s_mul_i32 s45, s10, s4
	s_add_i32 s5, s5, s13
	s_mul_hi_u32 s44, s4, s45
	s_mul_i32 s48, s4, s5
	s_mul_hi_u32 s13, s4, s5
	s_add_u32 s44, s44, s48
	s_addc_u32 s13, 0, s13
	s_mul_hi_u32 s49, s12, s45
	s_mul_i32 s45, s12, s45
	s_add_u32 s44, s44, s45
	s_mul_hi_u32 s48, s12, s5
	s_addc_u32 s13, s13, s49
	s_addc_u32 s44, s48, 0
	s_mul_i32 s5, s12, s5
	s_add_u32 s5, s13, s5
	s_addc_u32 s13, 0, s44
	s_add_u32 s44, s4, s5
	s_cselect_b64 s[4:5], -1, 0
	s_cmp_lg_u64 s[4:5], 0
	s_addc_u32 s12, s12, s13
	s_mul_i32 s4, s10, s12
	s_mul_hi_u32 s5, s10, s44
	s_add_i32 s4, s5, s4
	s_mul_i32 s11, s11, s44
	s_add_i32 s4, s4, s11
	s_mul_i32 s10, s10, s44
	s_mul_hi_u32 s11, s12, s10
	s_mul_i32 s13, s12, s10
	s_mul_i32 s48, s44, s4
	s_mul_hi_u32 s10, s44, s10
	s_mul_hi_u32 s45, s44, s4
	s_add_u32 s10, s10, s48
	s_addc_u32 s45, 0, s45
	s_add_u32 s10, s10, s13
	s_mul_hi_u32 s5, s12, s4
	s_addc_u32 s10, s45, s11
	s_addc_u32 s5, s5, 0
	s_mul_i32 s4, s12, s4
	s_add_u32 s4, s10, s4
	s_addc_u32 s10, 0, s5
	s_add_u32 s11, s44, s4
	s_cselect_b64 s[4:5], -1, 0
	s_cmp_lg_u64 s[4:5], 0
	s_addc_u32 s4, s12, s10
	v_readlane_b32 s45, v47, 35
	s_mul_i32 s10, s45, s4
	s_mul_hi_u32 s12, s45, s11
	s_mul_hi_u32 s5, s45, s4
	s_add_u32 s10, s12, s10
	s_addc_u32 s5, 0, s5
	s_mul_hi_u32 s13, s67, s11
	s_mul_i32 s11, s67, s11
	s_add_u32 s10, s10, s11
	s_mul_hi_u32 s12, s67, s4
	s_addc_u32 s5, s5, s13
	s_addc_u32 s10, s12, 0
	s_mul_i32 s4, s67, s4
	s_add_u32 s4, s5, s4
	s_addc_u32 s5, 0, s10
	s_mul_i32 s5, s33, s5
	s_mul_hi_u32 s10, s33, s4
	s_add_i32 s10, s10, s5
	s_mul_i32 s4, s33, s4
	s_sub_u32 s12, s45, s4
	s_cselect_b64 s[4:5], -1, 0
	s_cmp_lg_u64 s[4:5], 0
	s_subb_u32 s10, s67, s10
	s_sub_u32 s11, s12, s33
	s_cselect_b64 s[4:5], -1, 0
	s_cmp_lg_u64 s[4:5], 0
	s_subb_u32 s13, s10, 0
	;; [unrolled: 4-line block ×3, first 2 shown]
	s_cmp_ge_u32 s11, s33
	s_cselect_b32 s5, -1, 0
	s_cmp_eq_u32 s13, 0
	s_cselect_b32 s5, s5, -1
	s_cmp_lg_u32 s5, 0
	s_cselect_b32 s4, s4, s13
	s_cselect_b32 s5, s44, s11
	s_cmp_ge_u32 s12, s33
	s_cselect_b32 s11, -1, 0
	s_cmp_eq_u32 s10, 0
	s_cselect_b32 s11, s11, -1
	s_cmp_lg_u32 s11, 0
	s_cselect_b32 s11, s4, s10
	s_cselect_b32 s10, s5, s12
	s_mov_b64 s[4:5], 0
	s_branch .LBB123_444
.LBB123_443:                            ;   in Loop: Header=BB123_12 Depth=1
	s_mov_b64 s[4:5], -1
	v_readlane_b32 s45, v47, 35
                                        ; implicit-def: $sgpr10_sgpr11
.LBB123_444:                            ;   in Loop: Header=BB123_12 Depth=1
	s_andn2_b64 vcc, exec, s[4:5]
	v_readlane_b32 s66, v47, 54
	s_cbranch_vccnz .LBB123_446
; %bb.445:                              ;   in Loop: Header=BB123_12 Depth=1
	v_cvt_f32_u32_e32 v6, s33
	s_sub_i32 s4, 0, s33
	v_rcp_iflag_f32_e32 v6, v6
	v_mul_f32_e32 v6, 0x4f7ffffe, v6
	v_cvt_u32_f32_e32 v6, v6
	v_readfirstlane_b32 s5, v6
	s_mul_i32 s4, s4, s5
	s_mul_hi_u32 s4, s5, s4
	s_add_i32 s5, s5, s4
	s_mul_hi_u32 s4, s45, s5
	s_mul_i32 s4, s4, s33
	s_sub_i32 s4, s45, s4
	s_sub_i32 s5, s4, s33
	s_cmp_ge_u32 s4, s33
	s_cselect_b32 s4, s5, s4
	s_sub_i32 s5, s4, s33
	s_cmp_ge_u32 s4, s33
	s_cselect_b32 s58, s5, s4
	s_mov_b64 s[10:11], s[58:59]
	v_readlane_b32 s58, v47, 55
.LBB123_446:                            ;   in Loop: Header=BB123_12 Depth=1
	s_sub_u32 s44, s45, s10
	s_subb_u32 s45, s67, s11
	v_cmp_gt_u64_e32 vcc, s[44:45], v[0:1]
                                        ; implicit-def: $vgpr33
	s_and_saveexec_b64 s[10:11], vcc
	s_cbranch_execz .LBB123_455
; %bb.447:                              ;   in Loop: Header=BB123_12 Depth=1
	v_mov_b32_e32 v7, v1
	s_mov_b64 s[48:49], 0
	v_mov_b32_e32 v6, v0
                                        ; implicit-def: $sgpr56_sgpr57
	s_branch .LBB123_450
.LBB123_448:                            ;   in Loop: Header=BB123_450 Depth=2
	s_or_b64 exec, exec, s[12:13]
	s_waitcnt lgkmcnt(0)
	s_barrier
	ds_read_u16 v8, v3 offset:3072
	s_mov_b64 s[4:5], -1
	s_waitcnt lgkmcnt(0)
	s_barrier
	v_cmp_eq_u32_sdwa s[12:13], v8, v3 src0_sel:BYTE_0 src1_sel:DWORD
	s_and_b64 vcc, exec, s[12:13]
	s_mov_b64 s[12:13], -1
	s_cbranch_vccnz .LBB123_453
.LBB123_449:                            ;   in Loop: Header=BB123_450 Depth=2
	s_and_b64 s[4:5], exec, s[4:5]
	s_or_b64 s[48:49], s[4:5], s[48:49]
	s_andn2_b64 s[4:5], s[56:57], exec
	s_and_b64 s[12:13], s[12:13], exec
	s_or_b64 s[56:57], s[4:5], s[12:13]
	s_andn2_b64 exec, exec, s[48:49]
	s_cbranch_execz .LBB123_454
.LBB123_450:                            ;   Parent Loop BB123_12 Depth=1
                                        ; =>  This Inner Loop Header: Depth=2
	v_cmp_gt_u64_e32 vcc, s[28:29], v[6:7]
	s_and_saveexec_b64 s[12:13], vcc
	s_cbranch_execz .LBB123_448
; %bb.451:                              ;   in Loop: Header=BB123_450 Depth=2
	v_mov_b32_e32 v8, s34
	v_mov_b32_e32 v9, s35
	v_mad_u64_u32 v[8:9], s[4:5], v6, s26, v[8:9]
	v_mul_lo_u32 v10, v6, s27
	v_mul_lo_u32 v11, v7, s26
	v_add3_u32 v9, v11, v9, v10
	global_load_ubyte v8, v[8:9], off
	s_waitcnt vmcnt(0)
	v_and_b32_e32 v9, v8, v32
	v_cmp_eq_u32_sdwa s[4:5], v9, v28 src0_sel:BYTE_0 src1_sel:DWORD
	s_and_b64 exec, exec, s[4:5]
	s_cbranch_execz .LBB123_448
; %bb.452:                              ;   in Loop: Header=BB123_450 Depth=2
	v_lshlrev_b16_e32 v8, 8, v8
	v_or_b32_e32 v8, 1, v8
	ds_write_b16 v3, v8 offset:3072
	s_branch .LBB123_448
.LBB123_453:                            ;   in Loop: Header=BB123_450 Depth=2
	v_add_co_u32_e32 v6, vcc, s33, v6
	v_addc_co_u32_e32 v7, vcc, 0, v7, vcc
	v_cmp_le_u64_e32 vcc, s[44:45], v[6:7]
	s_mov_b64 s[12:13], 0
	s_orn2_b64 s[4:5], vcc, exec
	s_branch .LBB123_449
.LBB123_454:                            ;   in Loop: Header=BB123_12 Depth=1
	s_or_b64 exec, exec, s[48:49]
	s_andn2_b64 s[4:5], s[8:9], exec
	s_and_b64 s[8:9], s[56:57], exec
	v_lshrrev_b32_sdwa v33, v31, v8 dst_sel:DWORD dst_unused:UNUSED_PAD src0_sel:DWORD src1_sel:WORD_0
	s_or_b64 s[8:9], s[4:5], s[8:9]
.LBB123_455:                            ;   in Loop: Header=BB123_12 Depth=1
	s_or_b64 exec, exec, s[10:11]
	s_mov_b64 s[56:57], 0
	s_mov_b64 s[54:55], -1
.LBB123_456:                            ;   in Loop: Header=BB123_12 Depth=1
	s_orn2_b64 s[10:11], s[8:9], exec
	v_readlane_b32 s8, v47, 59
	v_readlane_b32 s9, v47, 60
.LBB123_457:                            ;   in Loop: Header=BB123_12 Depth=1
	s_or_b64 exec, exec, s[8:9]
	s_mov_b64 s[12:13], 0
	s_and_saveexec_b64 s[8:9], s[10:11]
	s_cbranch_execz .LBB123_468
; %bb.458:                              ;   in Loop: Header=BB123_12 Depth=1
	v_readlane_b32 s4, v47, 57
	v_readlane_b32 s5, v47, 58
	v_mov_b32_e32 v6, 1
	s_xor_b64 s[4:5], s[4:5], -1
	v_mov_b32_e32 v7, 0
	v_mov_b32_e32 v2, 1
	s_and_saveexec_b64 s[10:11], s[4:5]
	s_cbranch_execz .LBB123_467
; %bb.459:                              ;   in Loop: Header=BB123_12 Depth=1
	v_cmp_ge_u64_e32 vcc, s[22:23], v[4:5]
	s_and_saveexec_b64 s[4:5], vcc
	s_xor_b64 s[12:13], exec, s[4:5]
	s_cbranch_execz .LBB123_464
; %bb.460:                              ;   in Loop: Header=BB123_12 Depth=1
	ds_read_b64 v[6:7], v3 offset:5120
	v_and_b32_e32 v28, s60, v28
	v_or_b32_e32 v32, s71, v32
	s_waitcnt lgkmcnt(0)
	v_cmp_ne_u64_e32 vcc, 0, v[6:7]
	s_cbranch_vccnz .LBB123_464
; %bb.461:                              ;   in Loop: Header=BB123_12 Depth=1
	s_mov_b64 s[4:5], exec
	v_readlane_b32 s44, v47, 12
	v_readlane_b32 s45, v47, 13
	s_and_b64 s[44:45], s[4:5], s[44:45]
	s_mov_b64 exec, s[44:45]
; %bb.462:                              ;   in Loop: Header=BB123_12 Depth=1
	v_mov_b32_e32 v6, s22
	v_mov_b32_e32 v7, s23
	ds_write_b64 v3, v[6:7] offset:5128
; %bb.463:                              ;   in Loop: Header=BB123_12 Depth=1
	s_or_b64 exec, exec, s[4:5]
	s_waitcnt lgkmcnt(0)
	s_barrier
.LBB123_464:                            ;   in Loop: Header=BB123_12 Depth=1
	s_andn2_saveexec_b64 s[12:13], s[12:13]
; %bb.465:                              ;   in Loop: Header=BB123_12 Depth=1
	v_mov_b32_e32 v2, s23
	v_subrev_co_u32_e32 v4, vcc, s22, v4
	v_subb_co_u32_e32 v5, vcc, v5, v2, vcc
; %bb.466:                              ;   in Loop: Header=BB123_12 Depth=1
	s_or_b64 exec, exec, s[12:13]
	v_mov_b32_e32 v7, v5
	v_mov_b32_e32 v2, 5
	;; [unrolled: 1-line block ×3, first 2 shown]
.LBB123_467:                            ;   in Loop: Header=BB123_12 Depth=1
	s_or_b64 exec, exec, s[10:11]
	v_mov_b32_e32 v4, v6
	s_mov_b64 s[12:13], exec
	v_mov_b32_e32 v5, v7
.LBB123_468:                            ;   in Loop: Header=BB123_12 Depth=1
	s_or_b64 exec, exec, s[8:9]
	s_orn2_b64 s[8:9], s[12:13], exec
.LBB123_469:                            ;   in Loop: Header=BB123_12 Depth=1
	s_or_b64 exec, exec, s[2:3]
	s_andn2_b64 s[2:3], s[52:53], exec
	s_and_b64 s[4:5], s[54:55], exec
	s_or_b64 s[52:53], s[2:3], s[4:5]
	s_andn2_b64 s[2:3], s[46:47], exec
	s_and_b64 s[4:5], s[56:57], exec
	v_mov_b32_e32 v7, v5
	s_or_b64 s[46:47], s[2:3], s[4:5]
	s_and_b64 s[10:11], s[8:9], exec
	v_mov_b32_e32 v6, v4
.LBB123_470:                            ;   in Loop: Header=BB123_12 Depth=1
	s_or_b64 exec, exec, s[20:21]
	s_orn2_b64 s[2:3], s[10:11], exec
.LBB123_471:                            ;   in Loop: Header=BB123_12 Depth=1
	s_or_b64 exec, exec, s[14:15]
	s_andn2_b64 s[4:5], s[42:43], exec
	s_and_b64 s[8:9], s[52:53], exec
	s_or_b64 s[42:43], s[4:5], s[8:9]
	s_andn2_b64 s[4:5], s[36:37], exec
	s_and_b64 s[8:9], s[46:47], exec
	v_mov_b32_e32 v4, v6
	s_or_b64 s[36:37], s[4:5], s[8:9]
	s_and_b64 s[10:11], s[2:3], exec
	v_mov_b32_e32 v5, v7
.LBB123_472:                            ;   in Loop: Header=BB123_12 Depth=1
	s_or_b64 exec, exec, s[50:51]
	s_orn2_b64 s[2:3], s[10:11], exec
.LBB123_473:                            ;   in Loop: Header=BB123_12 Depth=1
	s_or_b64 exec, exec, s[6:7]
	s_mov_b64 s[6:7], s[40:41]
	s_mov_b64 s[8:9], s[38:39]
	s_and_saveexec_b64 s[4:5], s[2:3]
; %bb.474:                              ;   in Loop: Header=BB123_12 Depth=1
	v_cmp_ne_u32_e64 s[6:7], 5, v2
	v_cmp_eq_u32_e32 vcc, 5, v2
	s_andn2_b64 s[2:3], s[38:39], exec
	s_and_b64 s[6:7], s[6:7], exec
	s_or_b64 s[8:9], s[2:3], s[6:7]
	s_andn2_b64 s[2:3], s[40:41], exec
	s_and_b64 s[6:7], vcc, exec
	s_or_b64 s[6:7], s[2:3], s[6:7]
; %bb.475:                              ;   in Loop: Header=BB123_12 Depth=1
	s_or_b64 exec, exec, s[4:5]
	s_andn2_b64 s[2:3], s[18:19], exec
	s_and_b64 s[4:5], s[42:43], exec
	s_or_b64 s[18:19], s[2:3], s[4:5]
	s_andn2_b64 s[2:3], s[24:25], exec
	s_and_b64 s[4:5], s[36:37], exec
	s_or_b64 s[24:25], s[2:3], s[4:5]
	;; [unrolled: 3-line block ×4, first 2 shown]
.LBB123_476:                            ;   in Loop: Header=BB123_12 Depth=1
	s_or_b64 exec, exec, s[16:17]
	s_mov_b64 s[42:43], 0
	s_mov_b64 s[16:17], 0
	s_and_saveexec_b64 s[2:3], s[40:41]
.LBB123_477:                            ;   in Loop: Header=BB123_12 Depth=1
	v_mov_b32_e32 v2, 0
	s_or_b64 s[38:39], s[38:39], exec
.LBB123_478:                            ;   in Loop: Header=BB123_12 Depth=1
	s_or_b64 exec, exec, s[2:3]
	s_andn2_b64 s[2:3], s[92:93], exec
	s_and_b64 s[4:5], s[18:19], exec
	s_or_b64 s[92:93], s[2:3], s[4:5]
	s_andn2_b64 s[2:3], s[90:91], exec
	s_and_b64 s[4:5], s[24:25], exec
	s_or_b64 s[90:91], s[2:3], s[4:5]
	;; [unrolled: 3-line block ×3, first 2 shown]
	s_andn2_b64 s[2:3], s[86:87], exec
	s_and_b64 s[4:5], s[42:43], exec
	v_mov_b32_e32 v20, v5
	s_mov_b64 s[6:7], -1
	s_andn2_b64 s[94:95], s[94:95], exec
	s_or_b64 s[86:87], s[2:3], s[4:5]
	v_mov_b32_e32 v19, v4
	s_and_saveexec_b64 s[2:3], s[38:39]
	s_xor_b64 s[2:3], exec, s[2:3]
	v_readlane_b32 s18, v47, 56
	s_mov_b32 s19, 0xc0c0004
	s_cbranch_execz .LBB123_11
; %bb.479:                              ;   in Loop: Header=BB123_12 Depth=1
	v_cmp_eq_u32_e32 vcc, 0, v2
	s_mov_b64 s[8:9], -1
	s_and_saveexec_b64 s[4:5], vcc
	s_cbranch_execz .LBB123_10
; %bb.480:                              ;   in Loop: Header=BB123_12 Depth=1
	s_xor_b32 s70, s70, 1
	s_add_i32 s10, s69, -2
	s_cmp_eq_u32 s69, 0
	s_cselect_b64 s[6:7], -1, 0
	s_xor_b64 s[8:9], exec, -1
	s_orn2_b64 s[6:7], s[6:7], exec
	s_mov_b32 s69, s10
	s_branch .LBB123_10
.LBB123_481:
	s_or_b64 exec, exec, s[74:75]
	s_xor_b64 s[4:5], s[84:85], -1
	s_xor_b64 s[8:9], s[82:83], -1
	;; [unrolled: 1-line block ×5, first 2 shown]
	s_mov_b64 s[6:7], 0
	s_and_saveexec_b64 s[14:15], s[10:11]
	s_xor_b64 s[10:11], exec, s[14:15]
	s_cbranch_execnz .LBB123_486
; %bb.482:
	s_andn2_saveexec_b64 s[0:1], s[10:11]
	s_cbranch_execnz .LBB123_505
.LBB123_483:
	s_or_b64 exec, exec, s[0:1]
	s_and_saveexec_b64 s[0:1], s[6:7]
.LBB123_484:
	; divergent unreachable
.LBB123_485:
	s_endpgm
.LBB123_486:
	s_and_saveexec_b64 s[14:15], s[12:13]
	s_xor_b64 s[12:13], exec, s[14:15]
	s_cbranch_execz .LBB123_503
; %bb.487:
	s_and_saveexec_b64 s[14:15], s[8:9]
	s_xor_b64 s[14:15], exec, s[14:15]
	s_cbranch_execz .LBB123_501
; %bb.488:
	s_and_saveexec_b64 s[8:9], s[4:5]
	s_xor_b64 s[16:17], exec, s[8:9]
	s_cbranch_execz .LBB123_499
; %bb.489:
	s_and_saveexec_b64 s[4:5], s[2:3]
	s_xor_b64 s[2:3], exec, s[4:5]
; %bb.490:
	v_mov_b32_e32 v33, v28
; %bb.491:
	s_or_b64 exec, exec, s[2:3]
	s_mov_b64 s[2:3], exec
	v_readlane_b32 s4, v47, 12
	v_readlane_b32 s5, v47, 13
	;; [unrolled: 1-line block ×4, first 2 shown]
	s_and_b64 s[4:5], s[2:3], s[4:5]
	v_readlane_b32 s25, v47, 47
	v_readlane_b32 s53, v47, 21
	s_mov_b64 exec, s[4:5]
; %bb.492:
	v_mov_b32_e32 v2, 0
	v_mov_b32_e32 v3, v2
	ds_write_b64 v2, v[2:3] offset:5136
; %bb.493:
	s_or_b64 exec, exec, s[2:3]
	v_mov_b32_e32 v14, 0
	s_waitcnt lgkmcnt(0)
	s_barrier
	s_mov_b64 s[2:3], exec
	v_readlane_b32 s4, v47, 28
	v_readlane_b32 s5, v47, 29
	s_and_b64 s[4:5], s[2:3], s[4:5]
	s_mov_b64 exec, s[4:5]
	s_cbranch_execz .LBB123_495
; %bb.494:
	global_load_ubyte v14, v[12:13], off
.LBB123_495:
	s_or_b64 exec, exec, s[2:3]
	s_add_u32 s2, s28, 63
	s_addc_u32 s9, s29, 0
	s_and_b32 s8, s2, 0xffffffc0
	v_readlane_b32 s4, v47, 2
	v_readlane_b32 s2, v47, 0
	;; [unrolled: 1-line block ×4, first 2 shown]
	s_mov_b32 s22, s2
	s_mul_i32 s2, s2, s5
	s_mul_hi_u32 s3, s22, s4
	s_add_i32 s3, s3, s2
	s_mul_i32 s2, s22, s4
	v_readlane_b32 s4, v47, 14
	v_readlane_b32 s36, v47, 16
	;; [unrolled: 1-line block ×3, first 2 shown]
	s_sub_u32 s2, s4, s2
	v_readlane_b32 s38, v47, 18
	v_readlane_b32 s39, v47, 19
	s_mov_b32 s20, s4
	s_subb_u32 s3, 0, s3
	s_mul_i32 s4, s2, s39
	s_mul_hi_u32 s5, s2, s38
	v_readlane_b32 s37, v47, 17
	s_add_i32 s4, s5, s4
	s_mul_i32 s3, s3, s38
	s_add_i32 s6, s4, s3
	s_mul_i32 s7, s2, s38
	s_mul_i32 s2, s22, s37
	s_mul_hi_u32 s3, s22, s36
	s_add_i32 s18, s3, s2
	v_readlane_b32 s4, v47, 6
	v_readlane_b32 s2, v47, 4
	s_mul_i32 s19, s22, s36
	v_readlane_b32 s5, v47, 7
	v_readlane_b32 s3, v47, 5
	s_mov_b32 s22, s2
	s_mul_i32 s2, s2, s5
	s_mul_hi_u32 s3, s22, s4
	s_add_i32 s3, s3, s2
	s_mul_i32 s2, s22, s4
	v_readlane_b32 s36, v47, 48
	s_sub_u32 s2, s20, s2
	v_readlane_b32 s38, v47, 50
	v_readlane_b32 s39, v47, 51
	s_subb_u32 s3, 0, s3
	s_mul_i32 s4, s2, s39
	s_mul_hi_u32 s5, s2, s38
	v_readlane_b32 s37, v47, 49
	s_add_i32 s4, s5, s4
	s_mul_i32 s3, s3, s38
	s_add_i32 s3, s4, s3
	s_mul_i32 s4, s22, s37
	s_mul_hi_u32 s5, s22, s36
	s_add_i32 s5, s5, s4
	v_readlane_b32 s20, v47, 10
	v_readlane_b32 s21, v47, 11
	s_add_u32 s19, s20, s19
	s_addc_u32 s20, s21, s18
	s_mul_i32 s4, s22, s36
	s_add_u32 s18, s19, s7
	s_addc_u32 s19, s20, s6
	s_lshl_b64 s[4:5], s[4:5], 3
	v_readlane_b32 s6, v47, 8
	s_load_dwordx2 s[20:21], s[24:25], 0x368
	s_load_dwordx2 s[22:23], s[24:25], 0x510
	s_mul_i32 s2, s2, s38
	v_readlane_b32 s7, v47, 9
	s_add_u32 s4, s6, s4
	s_addc_u32 s5, s7, s5
	s_lshl_b64 s[2:3], s[2:3], 3
	s_add_u32 s48, s4, s2
	v_cmp_gt_u64_e32 vcc, s[8:9], v[0:1]
	s_addc_u32 s49, s5, s3
	s_mov_b64 s[36:37], -1
	s_mov_b64 s[2:3], 0
	s_mov_b64 s[4:5], 0
	s_and_saveexec_b64 s[24:25], vcc
	s_cbranch_execnz .LBB123_506
; %bb.496:
	s_or_b64 exec, exec, s[24:25]
	s_and_saveexec_b64 s[6:7], s[36:37]
	s_cbranch_execnz .LBB123_521
.LBB123_497:
	s_or_b64 exec, exec, s[6:7]
	s_and_saveexec_b64 s[0:1], s[4:5]
	s_xor_b64 s[0:1], exec, s[0:1]
	s_cbranch_execnz .LBB123_544
.LBB123_498:
	s_or_b64 exec, exec, s[0:1]
	s_and_b64 s[6:7], s[2:3], exec
.LBB123_499:
	s_andn2_saveexec_b64 s[0:1], s[16:17]
	s_cbranch_execnz .LBB123_546
.LBB123_500:
	s_or_b64 exec, exec, s[0:1]
	s_and_b64 s[6:7], s[6:7], exec
.LBB123_501:
	s_andn2_saveexec_b64 s[0:1], s[14:15]
	s_cbranch_execnz .LBB123_545
.LBB123_502:
	s_or_b64 exec, exec, s[0:1]
	s_and_b64 s[6:7], s[6:7], exec
.LBB123_503:
	s_andn2_saveexec_b64 s[0:1], s[12:13]
	s_cbranch_execnz .LBB123_540
.LBB123_504:
	s_or_b64 exec, exec, s[0:1]
	s_and_b64 s[6:7], s[6:7], exec
	s_andn2_saveexec_b64 s[0:1], s[10:11]
	s_cbranch_execz .LBB123_483
.LBB123_505:
	s_or_b64 s[6:7], s[6:7], exec
	s_trap 2
	s_or_b64 exec, exec, s[0:1]
	s_and_saveexec_b64 s[0:1], s[6:7]
	s_cbranch_execnz .LBB123_484
	s_branch .LBB123_485
.LBB123_506:
	v_mov_b32_e32 v9, v1
	s_mov_b64 s[36:37], 0
	v_mov_b32_e32 v3, 0
	v_mov_b32_e32 v8, v0
                                        ; implicit-def: $sgpr38_sgpr39
                                        ; implicit-def: $vgpr6_vgpr7
	s_branch .LBB123_508
.LBB123_507:                            ;   in Loop: Header=BB123_508 Depth=1
	s_or_b64 exec, exec, s[42:43]
	s_xor_b64 s[4:5], s[40:41], -1
	s_and_b64 s[6:7], exec, s[6:7]
	s_or_b64 s[36:37], s[6:7], s[36:37]
	s_andn2_b64 s[6:7], s[38:39], exec
	s_and_b64 s[4:5], s[4:5], exec
	v_mov_b32_e32 v9, v5
	s_or_b64 s[38:39], s[6:7], s[4:5]
	v_mov_b32_e32 v14, v15
	v_mov_b32_e32 v8, v4
	s_andn2_b64 exec, exec, s[36:37]
	s_cbranch_execz .LBB123_520
.LBB123_508:                            ; =>This Inner Loop Header: Depth=1
	v_add_co_u32_e64 v4, s[4:5], s33, v8
	v_addc_co_u32_e64 v5, s[4:5], 0, v9, s[4:5]
	v_cmp_gt_u64_e64 s[4:5], s[28:29], v[4:5]
	v_mov_b32_e32 v15, 0
	s_and_saveexec_b64 s[6:7], s[4:5]
	s_cbranch_execz .LBB123_510
; %bb.509:                              ;   in Loop: Header=BB123_508 Depth=1
	v_mov_b32_e32 v10, s34
	v_mov_b32_e32 v11, s35
	v_mad_u64_u32 v[10:11], s[4:5], v4, s26, v[10:11]
	v_mul_lo_u32 v2, v4, s27
	v_mul_lo_u32 v15, v5, s26
	v_add3_u32 v11, v15, v11, v2
	global_load_ubyte v15, v[10:11], off
.LBB123_510:                            ;   in Loop: Header=BB123_508 Depth=1
	s_or_b64 exec, exec, s[6:7]
	s_waitcnt vmcnt(0)
	v_cmp_gt_u16_sdwa s[6:7], v14, v33 src0_sel:BYTE_0 src1_sel:BYTE_0
	v_cndmask_b32_e64 v2, 0, 1, s[6:7]
	v_cmp_lt_u16_sdwa s[6:7], v14, v33 src0_sel:BYTE_0 src1_sel:BYTE_0
	v_cndmask_b32_e64 v10, 0, 1, s[6:7]
	v_cndmask_b32_e64 v2, v10, v2, s[52:53]
	v_cmp_gt_u64_e64 s[4:5], s[28:29], v[8:9]
	v_and_b32_e32 v2, 1, v2
	v_cmp_eq_u32_e64 s[6:7], 1, v2
	s_and_b64 s[40:41], s[4:5], s[6:7]
	v_cndmask_b32_e64 v2, 0, 1, s[40:41]
	v_cmp_ne_u32_e64 s[4:5], 0, v2
	s_cmp_lg_u64 s[4:5], 0
	s_cselect_b64 s[6:7], -1, 0
	s_and_b64 s[6:7], s[0:1], s[6:7]
	s_and_saveexec_b64 s[42:43], s[6:7]
	s_cbranch_execz .LBB123_514
; %bb.511:                              ;   in Loop: Header=BB123_508 Depth=1
	s_mov_b64 s[46:47], exec
	v_mbcnt_lo_u32_b32 v2, s46, 0
	v_mbcnt_hi_u32_b32 v10, s47, v2
	s_bcnt1_i32_b64 s50, s[4:5]
	v_cmp_eq_u32_e64 s[6:7], 0, v10
                                        ; implicit-def: $vgpr6_vgpr7
	s_and_saveexec_b64 s[44:45], s[6:7]
	s_cbranch_execz .LBB123_513
; %bb.512:                              ;   in Loop: Header=BB123_508 Depth=1
	s_bcnt1_i32_b64 s6, s[46:47]
	s_mul_i32 s6, s50, s6
	v_mov_b32_e32 v2, s6
	s_waitcnt lgkmcnt(0)
	ds_add_rtn_u64 v[6:7], v3, v[2:3] offset:5136
.LBB123_513:                            ;   in Loop: Header=BB123_508 Depth=1
	s_or_b64 exec, exec, s[44:45]
	s_waitcnt lgkmcnt(0)
	v_readfirstlane_b32 s6, v7
	v_readfirstlane_b32 s7, v6
	v_mov_b32_e32 v6, s7
	v_mov_b32_e32 v7, s6
	v_mad_u64_u32 v[6:7], s[6:7], s50, v10, v[6:7]
.LBB123_514:                            ;   in Loop: Header=BB123_508 Depth=1
	s_or_b64 exec, exec, s[42:43]
	s_waitcnt lgkmcnt(0)
	ds_bpermute_b32 v6, v23, v6
	ds_bpermute_b32 v7, v23, v7
	s_mov_b64 s[6:7], -1
	s_mov_b64 s[44:45], -1
	s_and_saveexec_b64 s[42:43], s[40:41]
	s_cbranch_execz .LBB123_518
; %bb.515:                              ;   in Loop: Header=BB123_508 Depth=1
	v_and_b32_e32 v10, s4, v25
	v_and_b32_e32 v2, s5, v24
	v_bcnt_u32_b32 v10, v10, 0
	v_bcnt_u32_b32 v2, v2, v10
	s_waitcnt lgkmcnt(0)
	v_add_co_u32_e64 v10, s[4:5], v6, v2
	v_addc_co_u32_e64 v11, s[4:5], 0, v7, s[4:5]
	v_cmp_gt_u64_e64 s[4:5], s[30:31], v[10:11]
	s_mov_b64 s[40:41], 0
	s_and_saveexec_b64 s[44:45], s[4:5]
; %bb.516:                              ;   in Loop: Header=BB123_508 Depth=1
	v_mov_b32_e32 v18, s18
	v_mul_lo_u32 v2, v11, s22
	v_mul_lo_u32 v20, v10, s23
	v_mad_u64_u32 v[16:17], s[4:5], v10, s22, 0
	v_mov_b32_e32 v19, s19
	v_mad_u64_u32 v[18:19], s[4:5], v10, s20, v[18:19]
	v_mul_lo_u32 v10, v10, s21
	v_mul_lo_u32 v11, v11, s20
	v_add3_u32 v17, v17, v20, v2
	v_mov_b32_e32 v2, s49
	s_mov_b64 s[40:41], exec
	v_add3_u32 v19, v11, v19, v10
	v_lshlrev_b64 v[10:11], 3, v[16:17]
	global_store_byte v[18:19], v14, off
	v_add_co_u32_e64 v10, s[4:5], s48, v10
	v_addc_co_u32_e64 v11, s[4:5], v2, v11, s[4:5]
	global_store_dwordx2 v[10:11], v[8:9], off
; %bb.517:                              ;   in Loop: Header=BB123_508 Depth=1
	s_or_b64 exec, exec, s[44:45]
	s_orn2_b64 s[44:45], s[40:41], exec
.LBB123_518:                            ;   in Loop: Header=BB123_508 Depth=1
	s_or_b64 exec, exec, s[42:43]
	s_mov_b64 s[40:41], -1
	s_and_saveexec_b64 s[42:43], s[44:45]
	s_cbranch_execz .LBB123_507
; %bb.519:                              ;   in Loop: Header=BB123_508 Depth=1
	v_cmp_le_u64_e64 s[4:5], s[8:9], v[4:5]
	s_xor_b64 s[40:41], exec, -1
	s_orn2_b64 s[6:7], s[4:5], exec
	s_branch .LBB123_507
.LBB123_520:
	s_or_b64 exec, exec, s[36:37]
	s_mov_b64 s[4:5], exec
	s_orn2_b64 s[36:37], s[38:39], exec
	s_or_b64 exec, exec, s[24:25]
	s_and_saveexec_b64 s[6:7], s[36:37]
	s_cbranch_execz .LBB123_497
.LBB123_521:
	v_mov_b32_e32 v2, 0
	s_waitcnt vmcnt(0) lgkmcnt(0)
	s_barrier
	s_mov_b64 s[2:3], exec
	v_readlane_b32 s24, v47, 28
	v_readlane_b32 s25, v47, 29
	s_and_b64 s[24:25], s[2:3], s[24:25]
	s_mov_b64 exec, s[24:25]
	s_cbranch_execz .LBB123_523
; %bb.522:
	global_load_ubyte v2, v[12:13], off
.LBB123_523:
	s_or_b64 exec, exec, s[2:3]
	s_mov_b64 s[2:3], 0
	s_and_saveexec_b64 s[24:25], vcc
	s_cbranch_execz .LBB123_543
; %bb.524:
	s_mov_b64 s[36:37], 0
	v_mov_b32_e32 v3, 0
                                        ; implicit-def: $sgpr38_sgpr39
                                        ; implicit-def: $vgpr6_vgpr7
	s_branch .LBB123_527
.LBB123_525:                            ;   in Loop: Header=BB123_527 Depth=1
	s_or_b64 exec, exec, s[42:43]
	s_orn2_b64 s[44:45], s[46:47], exec
	s_orn2_b64 s[42:43], s[40:41], exec
.LBB123_526:                            ;   in Loop: Header=BB123_527 Depth=1
	s_or_b64 exec, exec, s[2:3]
	s_xor_b64 s[2:3], s[44:45], -1
	s_and_b64 s[40:41], exec, s[42:43]
	s_or_b64 s[36:37], s[40:41], s[36:37]
	s_andn2_b64 s[38:39], s[38:39], exec
	s_and_b64 s[2:3], s[2:3], exec
	v_mov_b32_e32 v0, v4
	s_or_b64 s[38:39], s[38:39], s[2:3]
	v_mov_b32_e32 v1, v5
	v_mov_b32_e32 v2, v10
	s_andn2_b64 exec, exec, s[36:37]
	s_cbranch_execz .LBB123_541
.LBB123_527:                            ; =>This Inner Loop Header: Depth=1
	v_add_co_u32_e32 v4, vcc, s33, v0
	v_addc_co_u32_e32 v5, vcc, 0, v1, vcc
	v_cmp_gt_u64_e32 vcc, s[28:29], v[4:5]
	v_mov_b32_e32 v10, 0
	s_and_saveexec_b64 s[2:3], vcc
	s_cbranch_execz .LBB123_529
; %bb.528:                              ;   in Loop: Header=BB123_527 Depth=1
	v_mov_b32_e32 v8, s34
	v_mov_b32_e32 v9, s35
	v_mad_u64_u32 v[8:9], s[40:41], v4, s26, v[8:9]
	v_mul_lo_u32 v10, v4, s27
	v_mul_lo_u32 v11, v5, s26
	v_add3_u32 v9, v11, v9, v10
	global_load_ubyte v10, v[8:9], off
.LBB123_529:                            ;   in Loop: Header=BB123_527 Depth=1
	s_or_b64 exec, exec, s[2:3]
	v_cmp_gt_u64_e32 vcc, s[28:29], v[0:1]
	s_waitcnt vmcnt(0)
	v_cmp_eq_u16_sdwa s[2:3], v2, v33 src0_sel:BYTE_0 src1_sel:BYTE_0
	s_and_b64 s[40:41], vcc, s[2:3]
	v_cndmask_b32_e64 v2, 0, 1, s[40:41]
	v_cmp_ne_u32_e32 vcc, 0, v2
	s_cmp_lg_u64 vcc, 0
	s_cselect_b64 s[2:3], -1, 0
	s_and_b64 s[2:3], s[0:1], s[2:3]
	s_and_saveexec_b64 s[42:43], s[2:3]
	s_cbranch_execz .LBB123_533
; %bb.530:                              ;   in Loop: Header=BB123_527 Depth=1
	s_mov_b64 s[46:47], exec
	v_mbcnt_lo_u32_b32 v2, s46, 0
	v_mbcnt_hi_u32_b32 v8, s47, v2
	s_bcnt1_i32_b64 s50, vcc
	v_cmp_eq_u32_e64 s[2:3], 0, v8
                                        ; implicit-def: $vgpr6_vgpr7
	s_and_saveexec_b64 s[44:45], s[2:3]
; %bb.531:                              ;   in Loop: Header=BB123_527 Depth=1
	s_bcnt1_i32_b64 s2, s[46:47]
	s_mul_i32 s2, s50, s2
	v_mov_b32_e32 v2, s2
	ds_add_rtn_u64 v[6:7], v3, v[2:3] offset:5136
; %bb.532:                              ;   in Loop: Header=BB123_527 Depth=1
	s_or_b64 exec, exec, s[44:45]
	s_waitcnt lgkmcnt(0)
	v_readfirstlane_b32 s2, v7
	v_readfirstlane_b32 s3, v6
	v_mov_b32_e32 v6, s3
	v_mov_b32_e32 v7, s2
	v_mad_u64_u32 v[6:7], s[2:3], s50, v8, v[6:7]
.LBB123_533:                            ;   in Loop: Header=BB123_527 Depth=1
	s_or_b64 exec, exec, s[42:43]
	ds_bpermute_b32 v6, v23, v6
	ds_bpermute_b32 v7, v23, v7
	s_cmp_eq_u64 vcc, 0
	s_cselect_b64 s[44:45], -1, 0
	s_mov_b64 s[42:43], -1
	s_waitcnt lgkmcnt(0)
	v_cmp_gt_u64_e64 s[2:3], s[30:31], v[6:7]
	s_or_b64 s[46:47], s[44:45], s[2:3]
	s_mov_b64 s[44:45], -1
	s_and_saveexec_b64 s[2:3], s[46:47]
	s_cbranch_execz .LBB123_526
; %bb.534:                              ;   in Loop: Header=BB123_527 Depth=1
	v_and_b32_e32 v8, vcc_lo, v25
	v_and_b32_e32 v2, vcc_hi, v24
	v_bcnt_u32_b32 v8, v8, 0
	v_bcnt_u32_b32 v2, v2, v8
	v_mov_b32_e32 v9, s31
	v_sub_co_u32_e32 v8, vcc, s30, v6
	v_subb_co_u32_e32 v9, vcc, v9, v7, vcc
	v_cmp_gt_u64_e32 vcc, v[8:9], v[2:3]
	s_mov_b64 s[46:47], -1
	s_and_b64 s[50:51], s[40:41], vcc
	s_mov_b64 s[40:41], -1
	s_and_saveexec_b64 s[42:43], s[50:51]
	s_cbranch_execz .LBB123_538
; %bb.535:                              ;   in Loop: Header=BB123_527 Depth=1
	v_add_co_u32_e32 v8, vcc, v6, v2
	v_addc_co_u32_e32 v9, vcc, 0, v7, vcc
	v_cmp_gt_u64_e32 vcc, s[30:31], v[8:9]
	s_mov_b64 s[44:45], 0
	s_and_saveexec_b64 s[46:47], vcc
; %bb.536:                              ;   in Loop: Header=BB123_527 Depth=1
	v_mov_b32_e32 v13, s18
	v_mul_lo_u32 v2, v9, s22
	v_mul_lo_u32 v15, v8, s23
	v_mad_u64_u32 v[11:12], s[50:51], v8, s22, 0
	v_mov_b32_e32 v14, s19
	v_mad_u64_u32 v[13:14], s[50:51], v8, s20, v[13:14]
	v_mul_lo_u32 v8, v8, s21
	v_mul_lo_u32 v9, v9, s20
	v_add3_u32 v12, v12, v15, v2
	v_mov_b32_e32 v2, s49
	s_mov_b64 s[44:45], exec
	v_add3_u32 v14, v9, v14, v8
	v_lshlrev_b64 v[8:9], 3, v[11:12]
	global_store_byte v[13:14], v33, off
	v_add_co_u32_e32 v8, vcc, s48, v8
	v_addc_co_u32_e32 v9, vcc, v2, v9, vcc
	global_store_dwordx2 v[8:9], v[0:1], off
; %bb.537:                              ;   in Loop: Header=BB123_527 Depth=1
	s_or_b64 exec, exec, s[46:47]
	s_xor_b64 s[46:47], exec, -1
	s_orn2_b64 s[44:45], s[44:45], exec
.LBB123_538:                            ;   in Loop: Header=BB123_527 Depth=1
	s_or_b64 exec, exec, s[42:43]
	s_and_saveexec_b64 s[42:43], s[44:45]
	s_cbranch_execz .LBB123_525
; %bb.539:                              ;   in Loop: Header=BB123_527 Depth=1
	v_cmp_le_u64_e32 vcc, s[8:9], v[4:5]
	s_or_b64 s[46:47], s[46:47], exec
	s_orn2_b64 s[40:41], vcc, exec
	s_branch .LBB123_525
.LBB123_540:
	s_or_b64 s[6:7], s[6:7], exec
	s_trap 2
	s_branch .LBB123_504
.LBB123_541:
	s_or_b64 exec, exec, s[36:37]
	s_mov_b64 s[0:1], 0
	s_and_saveexec_b64 s[2:3], s[38:39]
	s_xor_b64 s[2:3], exec, s[2:3]
	s_cbranch_execnz .LBB123_547
.LBB123_542:
	s_or_b64 exec, exec, s[2:3]
	s_and_b64 s[2:3], s[0:1], exec
.LBB123_543:
	s_or_b64 exec, exec, s[24:25]
	s_and_b64 s[2:3], s[2:3], exec
	s_andn2_b64 s[4:5], s[4:5], exec
	s_or_b64 exec, exec, s[6:7]
	s_and_saveexec_b64 s[0:1], s[4:5]
	s_xor_b64 s[0:1], exec, s[0:1]
	s_cbranch_execz .LBB123_498
.LBB123_544:
	s_trap 2
	s_or_b64 s[2:3], s[2:3], exec
	s_branch .LBB123_498
.LBB123_545:
	s_or_b64 s[6:7], s[6:7], exec
	s_trap 2
	s_branch .LBB123_502
.LBB123_546:
	s_trap 2
	s_or_b64 s[6:7], s[6:7], exec
	s_branch .LBB123_500
.LBB123_547:
	s_mov_b64 s[0:1], exec
	s_trap 2
	s_branch .LBB123_542
	.section	.rodata,"a",@progbits
	.p2align	6, 0x0
	.amdhsa_kernel _ZN2at6native6sbtopk10gatherTopKIhmLi2ELb0EEEvNS_4cuda6detail10TensorInfoIKT_T0_EES8_S8_bS8_S8_NS5_IS6_S8_EES8_NS5_IlS8_EES8_PS6_
		.amdhsa_group_segment_fixed_size 5152
		.amdhsa_private_segment_fixed_size 0
		.amdhsa_kernarg_size 1568
		.amdhsa_user_sgpr_count 6
		.amdhsa_user_sgpr_private_segment_buffer 1
		.amdhsa_user_sgpr_dispatch_ptr 0
		.amdhsa_user_sgpr_queue_ptr 0
		.amdhsa_user_sgpr_kernarg_segment_ptr 1
		.amdhsa_user_sgpr_dispatch_id 0
		.amdhsa_user_sgpr_flat_scratch_init 0
		.amdhsa_user_sgpr_private_segment_size 0
		.amdhsa_uses_dynamic_stack 0
		.amdhsa_system_sgpr_private_segment_wavefront_offset 0
		.amdhsa_system_sgpr_workgroup_id_x 1
		.amdhsa_system_sgpr_workgroup_id_y 1
		.amdhsa_system_sgpr_workgroup_id_z 1
		.amdhsa_system_sgpr_workgroup_info 0
		.amdhsa_system_vgpr_workitem_id 0
		.amdhsa_next_free_vgpr 48
		.amdhsa_next_free_sgpr 96
		.amdhsa_reserve_vcc 1
		.amdhsa_reserve_flat_scratch 0
		.amdhsa_float_round_mode_32 0
		.amdhsa_float_round_mode_16_64 0
		.amdhsa_float_denorm_mode_32 3
		.amdhsa_float_denorm_mode_16_64 3
		.amdhsa_dx10_clamp 1
		.amdhsa_ieee_mode 1
		.amdhsa_fp16_overflow 0
		.amdhsa_exception_fp_ieee_invalid_op 0
		.amdhsa_exception_fp_denorm_src 0
		.amdhsa_exception_fp_ieee_div_zero 0
		.amdhsa_exception_fp_ieee_overflow 0
		.amdhsa_exception_fp_ieee_underflow 0
		.amdhsa_exception_fp_ieee_inexact 0
		.amdhsa_exception_int_div_zero 0
	.end_amdhsa_kernel
	.section	.text._ZN2at6native6sbtopk10gatherTopKIhmLi2ELb0EEEvNS_4cuda6detail10TensorInfoIKT_T0_EES8_S8_bS8_S8_NS5_IS6_S8_EES8_NS5_IlS8_EES8_PS6_,"axG",@progbits,_ZN2at6native6sbtopk10gatherTopKIhmLi2ELb0EEEvNS_4cuda6detail10TensorInfoIKT_T0_EES8_S8_bS8_S8_NS5_IS6_S8_EES8_NS5_IlS8_EES8_PS6_,comdat
.Lfunc_end123:
	.size	_ZN2at6native6sbtopk10gatherTopKIhmLi2ELb0EEEvNS_4cuda6detail10TensorInfoIKT_T0_EES8_S8_bS8_S8_NS5_IS6_S8_EES8_NS5_IlS8_EES8_PS6_, .Lfunc_end123-_ZN2at6native6sbtopk10gatherTopKIhmLi2ELb0EEEvNS_4cuda6detail10TensorInfoIKT_T0_EES8_S8_bS8_S8_NS5_IS6_S8_EES8_NS5_IlS8_EES8_PS6_
                                        ; -- End function
	.set _ZN2at6native6sbtopk10gatherTopKIhmLi2ELb0EEEvNS_4cuda6detail10TensorInfoIKT_T0_EES8_S8_bS8_S8_NS5_IS6_S8_EES8_NS5_IlS8_EES8_PS6_.num_vgpr, 48
	.set _ZN2at6native6sbtopk10gatherTopKIhmLi2ELb0EEEvNS_4cuda6detail10TensorInfoIKT_T0_EES8_S8_bS8_S8_NS5_IS6_S8_EES8_NS5_IlS8_EES8_PS6_.num_agpr, 0
	.set _ZN2at6native6sbtopk10gatherTopKIhmLi2ELb0EEEvNS_4cuda6detail10TensorInfoIKT_T0_EES8_S8_bS8_S8_NS5_IS6_S8_EES8_NS5_IlS8_EES8_PS6_.numbered_sgpr, 96
	.set _ZN2at6native6sbtopk10gatherTopKIhmLi2ELb0EEEvNS_4cuda6detail10TensorInfoIKT_T0_EES8_S8_bS8_S8_NS5_IS6_S8_EES8_NS5_IlS8_EES8_PS6_.num_named_barrier, 0
	.set _ZN2at6native6sbtopk10gatherTopKIhmLi2ELb0EEEvNS_4cuda6detail10TensorInfoIKT_T0_EES8_S8_bS8_S8_NS5_IS6_S8_EES8_NS5_IlS8_EES8_PS6_.private_seg_size, 0
	.set _ZN2at6native6sbtopk10gatherTopKIhmLi2ELb0EEEvNS_4cuda6detail10TensorInfoIKT_T0_EES8_S8_bS8_S8_NS5_IS6_S8_EES8_NS5_IlS8_EES8_PS6_.uses_vcc, 1
	.set _ZN2at6native6sbtopk10gatherTopKIhmLi2ELb0EEEvNS_4cuda6detail10TensorInfoIKT_T0_EES8_S8_bS8_S8_NS5_IS6_S8_EES8_NS5_IlS8_EES8_PS6_.uses_flat_scratch, 0
	.set _ZN2at6native6sbtopk10gatherTopKIhmLi2ELb0EEEvNS_4cuda6detail10TensorInfoIKT_T0_EES8_S8_bS8_S8_NS5_IS6_S8_EES8_NS5_IlS8_EES8_PS6_.has_dyn_sized_stack, 0
	.set _ZN2at6native6sbtopk10gatherTopKIhmLi2ELb0EEEvNS_4cuda6detail10TensorInfoIKT_T0_EES8_S8_bS8_S8_NS5_IS6_S8_EES8_NS5_IlS8_EES8_PS6_.has_recursion, 0
	.set _ZN2at6native6sbtopk10gatherTopKIhmLi2ELb0EEEvNS_4cuda6detail10TensorInfoIKT_T0_EES8_S8_bS8_S8_NS5_IS6_S8_EES8_NS5_IlS8_EES8_PS6_.has_indirect_call, 0
	.section	.AMDGPU.csdata,"",@progbits
; Kernel info:
; codeLenInByte = 26308
; TotalNumSgprs: 100
; NumVgprs: 48
; ScratchSize: 0
; MemoryBound: 0
; FloatMode: 240
; IeeeMode: 1
; LDSByteSize: 5152 bytes/workgroup (compile time only)
; SGPRBlocks: 12
; VGPRBlocks: 11
; NumSGPRsForWavesPerEU: 100
; NumVGPRsForWavesPerEU: 48
; Occupancy: 5
; WaveLimiterHint : 1
; COMPUTE_PGM_RSRC2:SCRATCH_EN: 0
; COMPUTE_PGM_RSRC2:USER_SGPR: 6
; COMPUTE_PGM_RSRC2:TRAP_HANDLER: 0
; COMPUTE_PGM_RSRC2:TGID_X_EN: 1
; COMPUTE_PGM_RSRC2:TGID_Y_EN: 1
; COMPUTE_PGM_RSRC2:TGID_Z_EN: 1
; COMPUTE_PGM_RSRC2:TIDIG_COMP_CNT: 0
	.section	.text._ZN2at6native6mbtopk23computeBlockDigitCountsIhmjLi3EEEvNS_4cuda6detail10TensorInfoIKT_T0_EEjPjjS8_iijT1_PSB_Ps,"axG",@progbits,_ZN2at6native6mbtopk23computeBlockDigitCountsIhmjLi3EEEvNS_4cuda6detail10TensorInfoIKT_T0_EEjPjjS8_iijT1_PSB_Ps,comdat
	.protected	_ZN2at6native6mbtopk23computeBlockDigitCountsIhmjLi3EEEvNS_4cuda6detail10TensorInfoIKT_T0_EEjPjjS8_iijT1_PSB_Ps ; -- Begin function _ZN2at6native6mbtopk23computeBlockDigitCountsIhmjLi3EEEvNS_4cuda6detail10TensorInfoIKT_T0_EEjPjjS8_iijT1_PSB_Ps
	.globl	_ZN2at6native6mbtopk23computeBlockDigitCountsIhmjLi3EEEvNS_4cuda6detail10TensorInfoIKT_T0_EEjPjjS8_iijT1_PSB_Ps
	.p2align	8
	.type	_ZN2at6native6mbtopk23computeBlockDigitCountsIhmjLi3EEEvNS_4cuda6detail10TensorInfoIKT_T0_EEjPjjS8_iijT1_PSB_Ps,@function
_ZN2at6native6mbtopk23computeBlockDigitCountsIhmjLi3EEEvNS_4cuda6detail10TensorInfoIKT_T0_EEjPjjS8_iijT1_PSB_Ps: ; @_ZN2at6native6mbtopk23computeBlockDigitCountsIhmjLi3EEEvNS_4cuda6detail10TensorInfoIKT_T0_EEjPjjS8_iijT1_PSB_Ps
; %bb.0:
	s_load_dwordx4 s[0:3], s[4:5], 0x1c0
	s_load_dword s9, s[4:5], 0x1b0
	s_load_dwordx2 s[10:11], s[4:5], 0x1e0
	s_mov_b32 s21, 0
	s_waitcnt lgkmcnt(0)
	v_cvt_f32_u32_e32 v1, s2
	s_mul_i32 s8, s11, s8
	s_add_i32 s7, s8, s7
	v_rcp_iflag_f32_e32 v1, v1
	s_mul_i32 s24, s7, s10
	s_sub_i32 s11, 0, s2
	s_add_i32 s24, s24, s6
	v_mul_f32_e32 v1, 0x4f7ffffe, v1
	v_cvt_u32_f32_e32 v1, v1
	v_readfirstlane_b32 s6, v1
	s_mul_i32 s11, s11, s6
	s_mul_hi_u32 s7, s6, s11
	s_add_i32 s6, s6, s7
	s_mul_hi_u32 s6, s24, s6
	s_mul_i32 s7, s6, s2
	s_sub_i32 s7, s24, s7
	s_add_i32 s8, s6, 1
	s_sub_i32 s10, s7, s2
	s_cmp_ge_u32 s7, s2
	s_cselect_b32 s6, s8, s6
	s_cselect_b32 s7, s10, s7
	s_add_i32 s8, s6, 1
	s_cmp_ge_u32 s7, s2
	s_cselect_b32 s20, s8, s6
	s_cmp_ge_u32 s20, s9
	s_cbranch_scc1 .LBB124_31
; %bb.1:
	s_load_dwordx4 s[8:11], s[4:5], 0x1d0
	s_load_dwordx4 s[12:15], s[4:5], 0x10
	s_lshl_b64 s[16:17], s[20:21], 2
	s_mov_b64 s[6:7], 0
	s_waitcnt lgkmcnt(0)
	s_add_u32 s22, s8, s16
	v_mov_b32_e32 v1, s14
	v_mov_b32_e32 v2, s15
	v_cmp_lt_u64_e32 vcc, s[20:21], v[1:2]
	s_addc_u32 s23, s9, s17
	s_mov_b64 s[8:9], 0
	s_cbranch_vccnz .LBB124_3
; %bb.2:
	v_cvt_f32_u32_e32 v1, s14
	s_sub_i32 s7, 0, s14
	s_mov_b32 s9, 0
	v_rcp_iflag_f32_e32 v1, v1
	v_mul_f32_e32 v1, 0x4f7ffffe, v1
	v_cvt_u32_f32_e32 v1, v1
	v_readfirstlane_b32 s8, v1
	s_mul_i32 s7, s7, s8
	s_mul_hi_u32 s7, s8, s7
	s_add_i32 s8, s8, s7
	s_mul_hi_u32 s7, s20, s8
	s_mul_i32 s16, s7, s14
	s_sub_i32 s16, s20, s16
	s_add_i32 s8, s7, 1
	s_sub_i32 s17, s16, s14
	s_cmp_ge_u32 s16, s14
	s_cselect_b32 s7, s8, s7
	s_cselect_b32 s16, s17, s16
	s_add_i32 s8, s7, 1
	s_cmp_ge_u32 s16, s14
	s_cselect_b32 s8, s8, s7
.LBB124_3:
	v_mov_b32_e32 v1, s12
	v_mov_b32_e32 v2, s13
	v_cmp_lt_u64_e32 vcc, s[8:9], v[1:2]
	s_cbranch_vccnz .LBB124_5
; %bb.4:
	v_cvt_f32_u32_e32 v1, s12
	s_sub_i32 s6, 0, s12
	v_rcp_iflag_f32_e32 v1, v1
	v_mul_f32_e32 v1, 0x4f7ffffe, v1
	v_cvt_u32_f32_e32 v1, v1
	v_readfirstlane_b32 s7, v1
	s_mul_i32 s6, s6, s7
	s_mul_hi_u32 s6, s7, s6
	s_add_i32 s7, s7, s6
	s_mul_hi_u32 s6, s8, s7
	s_mul_i32 s16, s6, s12
	s_sub_i32 s16, s8, s16
	s_add_i32 s7, s6, 1
	s_sub_i32 s17, s16, s12
	s_cmp_ge_u32 s16, s12
	s_cselect_b32 s6, s7, s6
	s_cselect_b32 s16, s17, s16
	s_add_i32 s7, s6, 1
	s_cmp_ge_u32 s16, s12
	s_cselect_b32 s6, s7, s6
.LBB124_5:
	s_movk_i32 s7, 0x100
	v_cmp_gt_u32_e32 vcc, s7, v0
	v_lshlrev_b32_e32 v1, 2, v0
	s_and_saveexec_b64 s[16:17], vcc
; %bb.6:
	v_mov_b32_e32 v2, 0
	ds_write_b32 v1, v2
; %bb.7:
	s_or_b64 exec, exec, s[16:17]
	s_load_dword s21, s[4:5], 0x1a0
	s_mul_i32 s7, s20, s2
	s_sub_i32 s7, s24, s7
	s_add_i32 s18, s7, 1
	s_mul_i32 s7, s1, s7
	s_lshl_b32 s25, s7, 8
	s_waitcnt lgkmcnt(0)
	s_sub_i32 s7, s21, s25
	s_add_u32 s16, s7, 0xff
	s_addc_u32 s17, 0, 0
	s_lshr_b64 s[16:17], s[16:17], 8
	s_cmp_lt_u32 s18, s2
	s_cselect_b32 s27, s1, s16
	s_cmp_lt_i32 s27, 1
	s_mov_b32 s26, 0
	s_barrier
	s_cbranch_scc1 .LBB124_29
; %bb.8:
	s_mul_i32 s1, s8, s15
	s_mul_hi_u32 s7, s8, s14
	s_load_dwordx2 s[28:29], s[4:5], 0xe0
	s_load_dwordx4 s[16:19], s[4:5], 0xd0
	s_load_dwordx2 s[30:31], s[4:5], 0x0
	s_load_dword s2, s[22:23], 0x0
	s_add_i32 s7, s7, s1
	s_mul_i32 s1, s8, s14
	s_sub_u32 s1, s20, s1
	s_subb_u32 s7, 0, s7
	s_waitcnt lgkmcnt(0)
	s_mul_i32 s14, s1, s29
	s_mul_hi_u32 s15, s1, s28
	s_add_i32 s14, s15, s14
	s_mul_i32 s7, s7, s28
	s_add_i32 s14, s14, s7
	s_mul_i32 s7, s6, s13
	s_mul_hi_u32 s13, s6, s12
	s_add_i32 s13, s13, s7
	s_mul_i32 s7, s6, s12
	s_sub_u32 s7, s8, s7
	s_subb_u32 s8, s9, s13
	s_mul_i32 s9, s7, s19
	s_mul_hi_u32 s12, s7, s18
	s_add_i32 s9, s12, s9
	s_mul_i32 s8, s8, s18
	s_add_i32 s9, s9, s8
	s_mul_i32 s8, s6, s17
	s_mul_hi_u32 s12, s6, s16
	s_add_i32 s12, s12, s8
	s_mul_i32 s6, s6, s16
	s_add_u32 s6, s30, s6
	s_mul_i32 s7, s7, s18
	s_addc_u32 s8, s31, s12
	s_load_dwordx2 s[4:5], s[4:5], 0x1b8
	s_add_u32 s6, s6, s7
	s_mul_i32 s1, s1, s28
	s_addc_u32 s7, s8, s9
	s_add_u32 s6, s6, s1
	s_addc_u32 s7, s7, s14
	s_and_b32 s12, s0, 0xff
	s_cmp_lt_u32 s27, 4
	s_cbranch_scc1 .LBB124_23
; %bb.9:
	s_and_b32 s26, s27, 0x7ffffffc
	v_add_u32_e32 v2, s25, v0
	s_mov_b32 s13, 0
	v_mov_b32_e32 v3, 1
	s_branch .LBB124_11
.LBB124_10:                             ;   in Loop: Header=BB124_11 Depth=1
	s_or_b64 exec, exec, s[8:9]
	s_add_i32 s13, s13, 4
	s_cmp_eq_u32 s26, s13
	v_add_u32_e32 v2, 0x400, v2
	s_cbranch_scc1 .LBB124_23
.LBB124_11:                             ; =>This Inner Loop Header: Depth=1
	v_cmp_gt_u32_e64 s[0:1], s21, v2
	s_and_saveexec_b64 s[8:9], s[0:1]
	s_cbranch_execz .LBB124_14
; %bb.12:                               ;   in Loop: Header=BB124_11 Depth=1
	v_mov_b32_e32 v4, s6
	v_mov_b32_e32 v5, s7
	s_waitcnt lgkmcnt(0)
	v_mad_u64_u32 v[4:5], s[0:1], s4, v2, v[4:5]
	v_mad_u64_u32 v[5:6], s[0:1], s5, v2, v[5:6]
	global_load_ubyte v4, v[4:5], off
	s_waitcnt vmcnt(0)
	v_xor_b32_e32 v5, s2, v4
	v_and_b32_e32 v5, s3, v5
	v_cmp_eq_u32_e64 s[0:1], 0, v5
	s_and_b64 exec, exec, s[0:1]
; %bb.13:                               ;   in Loop: Header=BB124_11 Depth=1
	v_lshrrev_b32_e32 v4, s12, v4
	v_lshlrev_b32_e32 v4, 2, v4
	ds_add_u32 v4, v3
.LBB124_14:                             ;   in Loop: Header=BB124_11 Depth=1
	s_or_b64 exec, exec, s[8:9]
	v_add_u32_e32 v4, 0x100, v2
	v_cmp_gt_u32_e64 s[0:1], s21, v4
	s_and_saveexec_b64 s[8:9], s[0:1]
	s_cbranch_execz .LBB124_17
; %bb.15:                               ;   in Loop: Header=BB124_11 Depth=1
	v_mov_b32_e32 v5, s6
	v_mov_b32_e32 v6, s7
	s_waitcnt lgkmcnt(0)
	v_mad_u64_u32 v[5:6], s[0:1], s4, v4, v[5:6]
	v_mad_u64_u32 v[6:7], s[0:1], s5, v4, v[6:7]
	global_load_ubyte v4, v[5:6], off
	s_waitcnt vmcnt(0)
	v_xor_b32_e32 v5, s2, v4
	v_and_b32_e32 v5, s3, v5
	v_cmp_eq_u32_e64 s[0:1], 0, v5
	s_and_b64 exec, exec, s[0:1]
; %bb.16:                               ;   in Loop: Header=BB124_11 Depth=1
	v_lshrrev_b32_e32 v4, s12, v4
	v_lshlrev_b32_e32 v4, 2, v4
	ds_add_u32 v4, v3
.LBB124_17:                             ;   in Loop: Header=BB124_11 Depth=1
	s_or_b64 exec, exec, s[8:9]
	v_add_u32_e32 v4, 0x200, v2
	;; [unrolled: 22-line block ×3, first 2 shown]
	v_cmp_gt_u32_e64 s[0:1], s21, v4
	s_and_saveexec_b64 s[8:9], s[0:1]
	s_cbranch_execz .LBB124_10
; %bb.21:                               ;   in Loop: Header=BB124_11 Depth=1
	v_mov_b32_e32 v5, s6
	v_mov_b32_e32 v6, s7
	s_waitcnt lgkmcnt(0)
	v_mad_u64_u32 v[5:6], s[0:1], s4, v4, v[5:6]
	v_mad_u64_u32 v[6:7], s[0:1], s5, v4, v[6:7]
	global_load_ubyte v4, v[5:6], off
	s_waitcnt vmcnt(0)
	v_xor_b32_e32 v5, s2, v4
	v_and_b32_e32 v5, s3, v5
	v_cmp_eq_u32_e64 s[0:1], 0, v5
	s_and_b64 exec, exec, s[0:1]
	s_cbranch_execz .LBB124_10
; %bb.22:                               ;   in Loop: Header=BB124_11 Depth=1
	v_lshrrev_b32_e32 v4, s12, v4
	v_lshlrev_b32_e32 v4, 2, v4
	ds_add_u32 v4, v3
	s_branch .LBB124_10
.LBB124_23:
	s_and_b32 s13, s27, 3
	s_cmp_eq_u32 s13, 0
	s_cbranch_scc1 .LBB124_29
; %bb.24:
	s_lshl_b32 s0, s26, 8
	s_add_i32 s0, s0, s25
	v_add_u32_e32 v2, s0, v0
	v_mov_b32_e32 v3, 1
	s_branch .LBB124_26
.LBB124_25:                             ;   in Loop: Header=BB124_26 Depth=1
	s_or_b64 exec, exec, s[8:9]
	s_add_i32 s13, s13, -1
	s_cmp_lg_u32 s13, 0
	v_add_u32_e32 v2, 0x100, v2
	s_cbranch_scc0 .LBB124_29
.LBB124_26:                             ; =>This Inner Loop Header: Depth=1
	v_cmp_gt_u32_e64 s[0:1], s21, v2
	s_and_saveexec_b64 s[8:9], s[0:1]
	s_cbranch_execz .LBB124_25
; %bb.27:                               ;   in Loop: Header=BB124_26 Depth=1
	v_mov_b32_e32 v4, s6
	v_mov_b32_e32 v5, s7
	s_waitcnt lgkmcnt(0)
	v_mad_u64_u32 v[4:5], s[0:1], s4, v2, v[4:5]
	v_mad_u64_u32 v[5:6], s[0:1], s5, v2, v[5:6]
	global_load_ubyte v4, v[4:5], off
	s_waitcnt vmcnt(0)
	v_xor_b32_e32 v5, s2, v4
	v_and_b32_e32 v5, s3, v5
	v_cmp_eq_u32_e64 s[0:1], 0, v5
	s_and_b64 exec, exec, s[0:1]
	s_cbranch_execz .LBB124_25
; %bb.28:                               ;   in Loop: Header=BB124_26 Depth=1
	v_lshrrev_b32_e32 v4, s12, v4
	v_lshlrev_b32_e32 v4, 2, v4
	ds_add_u32 v4, v3
	s_branch .LBB124_25
.LBB124_29:
	s_waitcnt lgkmcnt(0)
	s_barrier
	s_and_saveexec_b64 s[0:1], vcc
	s_cbranch_execz .LBB124_31
; %bb.30:
	v_lshl_or_b32 v2, s24, 8, v0
	v_mov_b32_e32 v3, 0
	ds_read_b32 v5, v1
	v_lshlrev_b64 v[2:3], 1, v[2:3]
	v_mov_b32_e32 v4, s11
	v_add_co_u32_e32 v0, vcc, s10, v2
	v_addc_co_u32_e32 v1, vcc, v4, v3, vcc
	s_waitcnt lgkmcnt(0)
	global_store_short v[0:1], v5, off
.LBB124_31:
	s_endpgm
	.section	.rodata,"a",@progbits
	.p2align	6, 0x0
	.amdhsa_kernel _ZN2at6native6mbtopk23computeBlockDigitCountsIhmjLi3EEEvNS_4cuda6detail10TensorInfoIKT_T0_EEjPjjS8_iijT1_PSB_Ps
		.amdhsa_group_segment_fixed_size 1024
		.amdhsa_private_segment_fixed_size 0
		.amdhsa_kernarg_size 736
		.amdhsa_user_sgpr_count 6
		.amdhsa_user_sgpr_private_segment_buffer 1
		.amdhsa_user_sgpr_dispatch_ptr 0
		.amdhsa_user_sgpr_queue_ptr 0
		.amdhsa_user_sgpr_kernarg_segment_ptr 1
		.amdhsa_user_sgpr_dispatch_id 0
		.amdhsa_user_sgpr_flat_scratch_init 0
		.amdhsa_user_sgpr_private_segment_size 0
		.amdhsa_uses_dynamic_stack 0
		.amdhsa_system_sgpr_private_segment_wavefront_offset 0
		.amdhsa_system_sgpr_workgroup_id_x 1
		.amdhsa_system_sgpr_workgroup_id_y 1
		.amdhsa_system_sgpr_workgroup_id_z 1
		.amdhsa_system_sgpr_workgroup_info 0
		.amdhsa_system_vgpr_workitem_id 0
		.amdhsa_next_free_vgpr 8
		.amdhsa_next_free_sgpr 32
		.amdhsa_reserve_vcc 1
		.amdhsa_reserve_flat_scratch 0
		.amdhsa_float_round_mode_32 0
		.amdhsa_float_round_mode_16_64 0
		.amdhsa_float_denorm_mode_32 3
		.amdhsa_float_denorm_mode_16_64 3
		.amdhsa_dx10_clamp 1
		.amdhsa_ieee_mode 1
		.amdhsa_fp16_overflow 0
		.amdhsa_exception_fp_ieee_invalid_op 0
		.amdhsa_exception_fp_denorm_src 0
		.amdhsa_exception_fp_ieee_div_zero 0
		.amdhsa_exception_fp_ieee_overflow 0
		.amdhsa_exception_fp_ieee_underflow 0
		.amdhsa_exception_fp_ieee_inexact 0
		.amdhsa_exception_int_div_zero 0
	.end_amdhsa_kernel
	.section	.text._ZN2at6native6mbtopk23computeBlockDigitCountsIhmjLi3EEEvNS_4cuda6detail10TensorInfoIKT_T0_EEjPjjS8_iijT1_PSB_Ps,"axG",@progbits,_ZN2at6native6mbtopk23computeBlockDigitCountsIhmjLi3EEEvNS_4cuda6detail10TensorInfoIKT_T0_EEjPjjS8_iijT1_PSB_Ps,comdat
.Lfunc_end124:
	.size	_ZN2at6native6mbtopk23computeBlockDigitCountsIhmjLi3EEEvNS_4cuda6detail10TensorInfoIKT_T0_EEjPjjS8_iijT1_PSB_Ps, .Lfunc_end124-_ZN2at6native6mbtopk23computeBlockDigitCountsIhmjLi3EEEvNS_4cuda6detail10TensorInfoIKT_T0_EEjPjjS8_iijT1_PSB_Ps
                                        ; -- End function
	.set _ZN2at6native6mbtopk23computeBlockDigitCountsIhmjLi3EEEvNS_4cuda6detail10TensorInfoIKT_T0_EEjPjjS8_iijT1_PSB_Ps.num_vgpr, 8
	.set _ZN2at6native6mbtopk23computeBlockDigitCountsIhmjLi3EEEvNS_4cuda6detail10TensorInfoIKT_T0_EEjPjjS8_iijT1_PSB_Ps.num_agpr, 0
	.set _ZN2at6native6mbtopk23computeBlockDigitCountsIhmjLi3EEEvNS_4cuda6detail10TensorInfoIKT_T0_EEjPjjS8_iijT1_PSB_Ps.numbered_sgpr, 32
	.set _ZN2at6native6mbtopk23computeBlockDigitCountsIhmjLi3EEEvNS_4cuda6detail10TensorInfoIKT_T0_EEjPjjS8_iijT1_PSB_Ps.num_named_barrier, 0
	.set _ZN2at6native6mbtopk23computeBlockDigitCountsIhmjLi3EEEvNS_4cuda6detail10TensorInfoIKT_T0_EEjPjjS8_iijT1_PSB_Ps.private_seg_size, 0
	.set _ZN2at6native6mbtopk23computeBlockDigitCountsIhmjLi3EEEvNS_4cuda6detail10TensorInfoIKT_T0_EEjPjjS8_iijT1_PSB_Ps.uses_vcc, 1
	.set _ZN2at6native6mbtopk23computeBlockDigitCountsIhmjLi3EEEvNS_4cuda6detail10TensorInfoIKT_T0_EEjPjjS8_iijT1_PSB_Ps.uses_flat_scratch, 0
	.set _ZN2at6native6mbtopk23computeBlockDigitCountsIhmjLi3EEEvNS_4cuda6detail10TensorInfoIKT_T0_EEjPjjS8_iijT1_PSB_Ps.has_dyn_sized_stack, 0
	.set _ZN2at6native6mbtopk23computeBlockDigitCountsIhmjLi3EEEvNS_4cuda6detail10TensorInfoIKT_T0_EEjPjjS8_iijT1_PSB_Ps.has_recursion, 0
	.set _ZN2at6native6mbtopk23computeBlockDigitCountsIhmjLi3EEEvNS_4cuda6detail10TensorInfoIKT_T0_EEjPjjS8_iijT1_PSB_Ps.has_indirect_call, 0
	.section	.AMDGPU.csdata,"",@progbits
; Kernel info:
; codeLenInByte = 1376
; TotalNumSgprs: 36
; NumVgprs: 8
; ScratchSize: 0
; MemoryBound: 0
; FloatMode: 240
; IeeeMode: 1
; LDSByteSize: 1024 bytes/workgroup (compile time only)
; SGPRBlocks: 4
; VGPRBlocks: 1
; NumSGPRsForWavesPerEU: 36
; NumVGPRsForWavesPerEU: 8
; Occupancy: 10
; WaveLimiterHint : 1
; COMPUTE_PGM_RSRC2:SCRATCH_EN: 0
; COMPUTE_PGM_RSRC2:USER_SGPR: 6
; COMPUTE_PGM_RSRC2:TRAP_HANDLER: 0
; COMPUTE_PGM_RSRC2:TGID_X_EN: 1
; COMPUTE_PGM_RSRC2:TGID_Y_EN: 1
; COMPUTE_PGM_RSRC2:TGID_Z_EN: 1
; COMPUTE_PGM_RSRC2:TIDIG_COMP_CNT: 0
	.section	.text._ZN2at6native6mbtopk10gatherTopKIhmLi3EEEvNS_4cuda6detail10TensorInfoIKT_T0_EES8_S8_bjS8_NS5_IS6_S8_EES8_NS5_IlS8_EES8_jjPS6_PjSD_j,"axG",@progbits,_ZN2at6native6mbtopk10gatherTopKIhmLi3EEEvNS_4cuda6detail10TensorInfoIKT_T0_EES8_S8_bjS8_NS5_IS6_S8_EES8_NS5_IlS8_EES8_jjPS6_PjSD_j,comdat
	.protected	_ZN2at6native6mbtopk10gatherTopKIhmLi3EEEvNS_4cuda6detail10TensorInfoIKT_T0_EES8_S8_bjS8_NS5_IS6_S8_EES8_NS5_IlS8_EES8_jjPS6_PjSD_j ; -- Begin function _ZN2at6native6mbtopk10gatherTopKIhmLi3EEEvNS_4cuda6detail10TensorInfoIKT_T0_EES8_S8_bjS8_NS5_IS6_S8_EES8_NS5_IlS8_EES8_jjPS6_PjSD_j
	.globl	_ZN2at6native6mbtopk10gatherTopKIhmLi3EEEvNS_4cuda6detail10TensorInfoIKT_T0_EES8_S8_bjS8_NS5_IS6_S8_EES8_NS5_IlS8_EES8_jjPS6_PjSD_j
	.p2align	8
	.type	_ZN2at6native6mbtopk10gatherTopKIhmLi3EEEvNS_4cuda6detail10TensorInfoIKT_T0_EES8_S8_bjS8_NS5_IS6_S8_EES8_NS5_IlS8_EES8_jjPS6_PjSD_j,@function
_ZN2at6native6mbtopk10gatherTopKIhmLi3EEEvNS_4cuda6detail10TensorInfoIKT_T0_EES8_S8_bjS8_NS5_IS6_S8_EES8_NS5_IlS8_EES8_jjPS6_PjSD_j: ; @_ZN2at6native6mbtopk10gatherTopKIhmLi3EEEvNS_4cuda6detail10TensorInfoIKT_T0_EES8_S8_bjS8_NS5_IS6_S8_EES8_NS5_IlS8_EES8_jjPS6_PjSD_j
; %bb.0:
	s_load_dwordx2 s[0:1], s[4:5], 0x538
	s_load_dword s2, s[4:5], 0x530
	s_waitcnt lgkmcnt(0)
	s_mul_i32 s1, s1, s8
	s_add_i32 s1, s1, s7
	s_mul_i32 s0, s1, s0
	s_add_i32 s0, s0, s6
	s_cmp_ge_u32 s0, s2
	s_cbranch_scc1 .LBB125_54
; %bb.1:
	s_load_dwordx2 s[34:35], s[4:5], 0x510
	s_load_dwordx4 s[8:11], s[4:5], 0x1a0
	s_load_dwordx4 s[12:15], s[4:5], 0x10
	s_mov_b32 s7, 0
	s_waitcnt lgkmcnt(0)
	v_cvt_f32_u32_e32 v1, s35
	s_sub_i32 s2, 0, s35
	s_lshl_b32 s1, s34, 8
	v_rcp_iflag_f32_e32 v1, v1
	v_mul_f32_e32 v1, 0x4f7ffffe, v1
	v_cvt_u32_f32_e32 v1, v1
	v_readfirstlane_b32 s3, v1
	s_mul_i32 s2, s2, s3
	s_mul_hi_u32 s2, s3, s2
	s_add_i32 s3, s3, s2
	s_mul_hi_u32 s2, s0, s3
	s_mul_i32 s3, s2, s35
	s_sub_i32 s3, s0, s3
	s_add_i32 s6, s2, 1
	s_sub_i32 s16, s3, s35
	s_cmp_ge_u32 s3, s35
	s_cselect_b32 s2, s6, s2
	s_cselect_b32 s3, s16, s3
	s_add_i32 s6, s2, 1
	s_cmp_ge_u32 s3, s35
	s_cselect_b32 s6, s6, s2
	s_mul_i32 s52, s6, s35
	s_sub_i32 s76, s0, s52
	s_add_i32 s0, s76, 1
	s_cmp_lt_u32 s0, s35
	s_mul_i32 s33, s76, s1
	s_cbranch_scc1 .LBB125_3
; %bb.2:
	s_sub_u32 s0, s8, s33
	s_subb_u32 s1, s9, 0
	s_add_u32 s0, s0, 0xff
	s_addc_u32 s1, s1, 0
	s_ashr_i32 s2, s1, 31
	s_lshr_b32 s2, s2, 24
	s_add_u32 s0, s0, s2
	s_addc_u32 s1, s1, 0
	s_lshr_b64 s[0:1], s[0:1], 8
	s_mov_b32 s34, s0
.LBB125_3:
	v_mov_b32_e32 v1, s14
	v_mov_b32_e32 v2, s15
	v_cmp_lt_u64_e32 vcc, s[6:7], v[1:2]
	s_mov_b64 s[50:51], 0
	s_mov_b64 s[48:49], 0
	s_cbranch_vccnz .LBB125_5
; %bb.4:
	v_cvt_f32_u32_e32 v1, s14
	s_sub_i32 s0, 0, s14
	s_mov_b32 s49, 0
	v_rcp_iflag_f32_e32 v1, v1
	v_mul_f32_e32 v1, 0x4f7ffffe, v1
	v_cvt_u32_f32_e32 v1, v1
	v_readfirstlane_b32 s1, v1
	s_mul_i32 s0, s0, s1
	s_mul_hi_u32 s0, s1, s0
	s_add_i32 s1, s1, s0
	s_mul_hi_u32 s0, s6, s1
	s_mul_i32 s2, s0, s14
	s_sub_i32 s2, s6, s2
	s_add_i32 s1, s0, 1
	s_sub_i32 s3, s2, s14
	s_cmp_ge_u32 s2, s14
	s_cselect_b32 s0, s1, s0
	s_cselect_b32 s2, s3, s2
	s_add_i32 s1, s0, 1
	s_cmp_ge_u32 s2, s14
	s_cselect_b32 s48, s1, s0
.LBB125_5:
	s_load_dwordx4 s[16:19], s[4:5], 0x1d0
	v_mov_b32_e32 v1, s12
	v_mov_b32_e32 v2, s13
	v_cmp_lt_u64_e32 vcc, s[48:49], v[1:2]
	s_cbranch_vccnz .LBB125_7
; %bb.6:
	v_cvt_f32_u32_e32 v1, s12
	s_sub_i32 s0, 0, s12
	v_rcp_iflag_f32_e32 v1, v1
	v_mul_f32_e32 v1, 0x4f7ffffe, v1
	v_cvt_u32_f32_e32 v1, v1
	v_readfirstlane_b32 s1, v1
	s_mul_i32 s0, s0, s1
	s_mul_hi_u32 s0, s1, s0
	s_add_i32 s1, s1, s0
	s_mul_hi_u32 s0, s48, s1
	s_mul_i32 s2, s0, s12
	s_sub_i32 s2, s48, s2
	s_add_i32 s1, s0, 1
	s_sub_i32 s3, s2, s12
	s_cmp_ge_u32 s2, s12
	s_cselect_b32 s0, s1, s0
	s_cselect_b32 s2, s3, s2
	s_add_i32 s1, s0, 1
	s_cmp_ge_u32 s2, s12
	s_cselect_b32 s50, s1, s0
.LBB125_7:
	s_waitcnt lgkmcnt(0)
	v_mov_b32_e32 v1, s18
	v_mov_b32_e32 v2, s19
	v_cmp_lt_u64_e32 vcc, s[6:7], v[1:2]
	s_mov_b64 s[56:57], 0
	s_mov_b64 s[54:55], 0
	s_cbranch_vccnz .LBB125_9
; %bb.8:
	v_cvt_f32_u32_e32 v1, s18
	s_sub_i32 s0, 0, s18
	s_mov_b32 s55, 0
	v_rcp_iflag_f32_e32 v1, v1
	v_mul_f32_e32 v1, 0x4f7ffffe, v1
	v_cvt_u32_f32_e32 v1, v1
	v_readfirstlane_b32 s1, v1
	s_mul_i32 s0, s0, s1
	s_mul_hi_u32 s0, s1, s0
	s_add_i32 s1, s1, s0
	s_mul_hi_u32 s0, s6, s1
	s_mul_i32 s2, s0, s18
	s_sub_i32 s2, s6, s2
	s_add_i32 s1, s0, 1
	s_sub_i32 s3, s2, s18
	s_cmp_ge_u32 s2, s18
	s_cselect_b32 s0, s1, s0
	s_cselect_b32 s2, s3, s2
	s_add_i32 s1, s0, 1
	s_cmp_ge_u32 s2, s18
	s_cselect_b32 s54, s1, s0
.LBB125_9:
	s_load_dwordx4 s[28:31], s[4:5], 0x378
	v_mov_b32_e32 v1, s16
	v_mov_b32_e32 v2, s17
	v_cmp_lt_u64_e32 vcc, s[54:55], v[1:2]
	s_cbranch_vccnz .LBB125_11
; %bb.10:
	v_cvt_f32_u32_e32 v1, s16
	s_sub_i32 s0, 0, s16
	v_rcp_iflag_f32_e32 v1, v1
	v_mul_f32_e32 v1, 0x4f7ffffe, v1
	v_cvt_u32_f32_e32 v1, v1
	v_readfirstlane_b32 s1, v1
	s_mul_i32 s0, s0, s1
	s_mul_hi_u32 s0, s1, s0
	s_add_i32 s1, s1, s0
	s_mul_hi_u32 s0, s54, s1
	s_mul_i32 s2, s0, s16
	s_sub_i32 s2, s54, s2
	s_add_i32 s1, s0, 1
	s_sub_i32 s3, s2, s16
	s_cmp_ge_u32 s2, s16
	s_cselect_b32 s0, s1, s0
	s_cselect_b32 s2, s3, s2
	s_add_i32 s1, s0, 1
	s_cmp_ge_u32 s2, s16
	s_cselect_b32 s56, s1, s0
.LBB125_11:
	s_waitcnt lgkmcnt(0)
	v_mov_b32_e32 v1, s30
	v_mov_b32_e32 v2, s31
	v_cmp_lt_u64_e32 vcc, s[6:7], v[1:2]
	s_mov_b64 s[58:59], 0
	s_mov_b64 s[60:61], 0
	s_cbranch_vccnz .LBB125_13
; %bb.12:
	v_cvt_f32_u32_e32 v1, s30
	s_sub_i32 s0, 0, s30
	s_mov_b32 s61, 0
	v_rcp_iflag_f32_e32 v1, v1
	v_mul_f32_e32 v1, 0x4f7ffffe, v1
	v_cvt_u32_f32_e32 v1, v1
	v_readfirstlane_b32 s1, v1
	s_mul_i32 s0, s0, s1
	s_mul_hi_u32 s0, s1, s0
	s_add_i32 s1, s1, s0
	s_mul_hi_u32 s0, s6, s1
	s_mul_i32 s2, s0, s30
	s_sub_i32 s2, s6, s2
	s_add_i32 s1, s0, 1
	s_sub_i32 s3, s2, s30
	s_cmp_ge_u32 s2, s30
	s_cselect_b32 s0, s1, s0
	s_cselect_b32 s2, s3, s2
	s_add_i32 s1, s0, 1
	s_cmp_ge_u32 s2, s30
	s_cselect_b32 s60, s1, s0
.LBB125_13:
	s_load_dwordx2 s[62:63], s[4:5], 0xe0
	s_load_dwordx4 s[40:43], s[4:5], 0xd0
	s_load_dwordx2 s[66:67], s[4:5], 0x2a0
	s_load_dwordx4 s[44:47], s[4:5], 0x290
	;; [unrolled: 2-line block ×3, first 2 shown]
	v_mov_b32_e32 v1, s28
	v_mov_b32_e32 v2, s29
	v_cmp_lt_u64_e32 vcc, s[60:61], v[1:2]
	s_cbranch_vccnz .LBB125_15
; %bb.14:
	v_cvt_f32_u32_e32 v1, s28
	s_sub_i32 s0, 0, s28
	v_rcp_iflag_f32_e32 v1, v1
	v_mul_f32_e32 v1, 0x4f7ffffe, v1
	v_cvt_u32_f32_e32 v1, v1
	v_readfirstlane_b32 s1, v1
	s_mul_i32 s0, s0, s1
	s_mul_hi_u32 s0, s1, s0
	s_add_i32 s1, s1, s0
	s_mul_hi_u32 s0, s60, s1
	s_mul_i32 s2, s0, s28
	s_sub_i32 s2, s60, s2
	s_add_i32 s1, s0, 1
	s_sub_i32 s3, s2, s28
	s_cmp_ge_u32 s2, s28
	s_cselect_b32 s0, s1, s0
	s_cselect_b32 s2, s3, s2
	s_add_i32 s1, s0, 1
	s_cmp_ge_u32 s2, s28
	s_cselect_b32 s58, s1, s0
.LBB125_15:
	s_load_dwordx4 s[20:23], s[4:5], 0x518
	s_load_dwordx2 s[64:65], s[4:5], 0x0
	v_mov_b32_e32 v1, 0
	s_mov_b32 s53, 0
	v_cmp_eq_u32_e64 s[2:3], 0, v0
	s_waitcnt lgkmcnt(0)
	s_add_u32 s0, s20, s6
	s_addc_u32 s1, s21, 0
	global_load_ubyte v8, v1, s[0:1]
	v_cmp_ne_u32_e64 s[0:1], 0, v0
	s_and_saveexec_b64 s[20:21], s[2:3]
	s_cbranch_execz .LBB125_31
; %bb.16:
	s_load_dwordx2 s[70:71], s[4:5], 0x528
	s_lshl_b64 s[72:73], s[52:53], 2
	s_add_u32 s24, s22, s72
	s_addc_u32 s25, s23, s73
	s_mov_b32 s51, 0
	s_waitcnt lgkmcnt(0)
	s_add_u32 s26, s70, s72
	s_addc_u32 s27, s71, s73
	s_cmp_lt_u32 s35, 4
	s_cbranch_scc1 .LBB125_28
; %bb.17:
	s_mov_b32 s52, 0
.LBB125_18:                             ; =>This Inner Loop Header: Depth=1
	s_add_u32 s74, s22, s72
	s_addc_u32 s75, s23, s73
	s_load_dwordx4 s[24:27], s[74:75], 0x0
	s_add_u32 s74, s70, s72
	s_addc_u32 s75, s71, s73
	s_cmp_ge_u32 s52, s76
	s_cbranch_scc0 .LBB125_25
; %bb.19:                               ;   in Loop: Header=BB125_18 Depth=1
	s_add_i32 s57, s52, 1
	s_cmp_ge_u32 s57, s76
	s_cbranch_scc0 .LBB125_26
.LBB125_20:                             ;   in Loop: Header=BB125_18 Depth=1
	s_add_i32 s57, s57, 1
	s_cmp_ge_u32 s57, s76
	s_cbranch_scc0 .LBB125_27
.LBB125_21:                             ;   in Loop: Header=BB125_18 Depth=1
	s_add_i32 s57, s57, 1
	s_cmp_ge_u32 s57, s76
	s_cbranch_scc1 .LBB125_23
.LBB125_22:                             ;   in Loop: Header=BB125_18 Depth=1
	s_load_dword s59, s[74:75], 0xc
	s_waitcnt lgkmcnt(0)
	s_add_i32 s53, s53, s27
	s_add_i32 s7, s59, s7
.LBB125_23:                             ;   in Loop: Header=BB125_18 Depth=1
	s_waitcnt lgkmcnt(0)
	s_add_i32 s24, s24, s51
	s_add_i32 s24, s24, s25
	;; [unrolled: 1-line block ×4, first 2 shown]
	s_add_u32 s22, s22, 16
	s_addc_u32 s23, s23, 0
	s_add_u32 s70, s70, 16
	s_addc_u32 s71, s71, 0
	s_add_i32 s59, s57, 4
	s_add_u32 s26, s70, s72
	s_addc_u32 s27, s71, s73
	s_add_u32 s24, s22, s72
	s_addc_u32 s25, s23, s73
	s_add_i32 s57, s57, 1
	s_cmp_ge_u32 s59, s35
	s_cbranch_scc1 .LBB125_29
; %bb.24:                               ;   in Loop: Header=BB125_18 Depth=1
	s_mov_b32 s52, s57
	s_branch .LBB125_18
.LBB125_25:                             ;   in Loop: Header=BB125_18 Depth=1
	s_load_dword s57, s[74:75], 0x0
	s_waitcnt lgkmcnt(0)
	s_add_i32 s53, s24, s53
	s_add_i32 s7, s57, s7
	;; [unrolled: 1-line block ×3, first 2 shown]
	s_cmp_ge_u32 s57, s76
	s_cbranch_scc1 .LBB125_20
.LBB125_26:                             ;   in Loop: Header=BB125_18 Depth=1
	s_load_dword s59, s[74:75], 0x4
	s_waitcnt lgkmcnt(0)
	s_add_i32 s53, s53, s25
	s_add_i32 s7, s59, s7
	;; [unrolled: 1-line block ×3, first 2 shown]
	s_cmp_ge_u32 s57, s76
	s_cbranch_scc1 .LBB125_21
.LBB125_27:                             ;   in Loop: Header=BB125_18 Depth=1
	s_load_dword s59, s[74:75], 0x8
	s_waitcnt lgkmcnt(0)
	s_add_i32 s53, s53, s26
	s_add_i32 s7, s59, s7
	;; [unrolled: 1-line block ×3, first 2 shown]
	s_cmp_ge_u32 s57, s76
	s_cbranch_scc0 .LBB125_22
	s_branch .LBB125_23
.LBB125_28:
	s_mov_b32 s22, 0
	s_cmp_ge_u32 s22, s35
	s_cbranch_scc0 .LBB125_52
	s_branch .LBB125_30
.LBB125_29:
	s_add_i32 s22, s52, 4
	s_cmp_ge_u32 s22, s35
	s_cbranch_scc0 .LBB125_52
.LBB125_30:
	v_mov_b32_e32 v1, s7
	v_mov_b32_e32 v2, s51
	;; [unrolled: 1-line block ×4, first 2 shown]
	ds_write_b96 v4, v[1:3] offset:1056
.LBB125_31:
	s_or_b64 exec, exec, s[20:21]
	s_load_dwordx4 s[20:23], s[4:5], 0x1b8
	s_load_dwordx4 s[24:27], s[4:5], 0x360
	s_cmp_eq_u32 s34, 0
	s_waitcnt vmcnt(0) lgkmcnt(0)
	s_barrier
	s_cbranch_scc1 .LBB125_54
; %bb.32:
	s_mul_i32 s7, s60, s31
	s_mul_hi_u32 s31, s60, s30
	s_add_i32 s31, s31, s7
	s_mul_i32 s7, s60, s30
	s_sub_u32 s7, s6, s7
	s_subb_u32 s30, 0, s31
	s_mul_i32 s31, s7, s69
	s_mul_hi_u32 s35, s7, s68
	s_add_i32 s31, s35, s31
	s_mul_i32 s30, s30, s68
	s_add_i32 s31, s31, s30
	s_mul_i32 s30, s7, s68
	s_mul_i32 s7, s56, s17
	s_mul_hi_u32 s17, s56, s16
	s_add_i32 s17, s17, s7
	s_mul_i32 s7, s56, s16
	s_sub_u32 s7, s54, s7
	s_subb_u32 s16, s55, s17
	s_mul_i32 s17, s7, s47
	s_mul_hi_u32 s35, s7, s46
	s_add_i32 s17, s35, s17
	s_mul_i32 s16, s16, s46
	s_add_i32 s35, s17, s16
	s_mul_i32 s16, s56, s45
	s_mul_hi_u32 s17, s56, s44
	s_add_i32 s45, s17, s16
	s_mul_i32 s46, s7, s46
	s_mul_i32 s7, s54, s19
	s_mul_hi_u32 s16, s54, s18
	s_add_i32 s16, s16, s7
	s_mul_i32 s7, s54, s18
	s_sub_u32 s7, s6, s7
	s_subb_u32 s16, 0, s16
	s_mul_i32 s17, s7, s67
	s_mul_hi_u32 s18, s7, s66
	s_add_i32 s17, s18, s17
	s_mul_i32 s16, s16, s66
	s_mul_i32 s19, s7, s66
	;; [unrolled: 1-line block ×3, first 2 shown]
	s_mul_hi_u32 s13, s50, s12
	s_add_i32 s18, s17, s16
	s_add_i32 s13, s13, s7
	s_mul_i32 s7, s50, s12
	s_sub_u32 s7, s48, s7
	s_subb_u32 s12, s49, s13
	s_mul_i32 s13, s7, s43
	s_mul_hi_u32 s16, s7, s42
	s_add_i32 s13, s16, s13
	s_mul_i32 s12, s12, s42
	s_add_i32 s13, s13, s12
	s_mul_i32 s12, s7, s42
	s_mul_i32 s7, s50, s41
	s_mul_hi_u32 s16, s50, s40
	s_add_i32 s41, s16, s7
	s_mul_i32 s7, s48, s15
	s_mul_hi_u32 s15, s48, s14
	s_add_i32 s15, s15, s7
	s_mul_i32 s7, s48, s14
	s_sub_u32 s6, s6, s7
	s_subb_u32 s7, 0, s15
	s_mul_i32 s14, s6, s63
	s_mul_hi_u32 s15, s6, s62
	s_add_i32 s14, s15, s14
	s_mul_i32 s7, s7, s62
	s_add_i32 s14, s14, s7
	s_mul_i32 s15, s6, s62
	s_mul_i32 s6, s58, s29
	s_mul_hi_u32 s7, s58, s28
	s_add_i32 s7, s7, s6
	s_mul_i32 s6, s58, s28
	s_sub_u32 s6, s60, s6
	s_subb_u32 s7, s61, s7
	s_mul_i32 s16, s6, s39
	s_mul_hi_u32 s17, s6, s38
	s_add_i32 s16, s17, s16
	s_mul_i32 s7, s7, s38
	s_add_i32 s7, s16, s7
	s_mul_i32 s16, s58, s37
	s_mul_hi_u32 s17, s58, s36
	s_mul_i32 s40, s50, s40
	s_add_i32 s17, s17, s16
	s_add_u32 s28, s64, s40
	s_addc_u32 s29, s65, s41
	s_add_u32 s12, s28, s12
	s_addc_u32 s13, s29, s13
	s_add_u32 s12, s12, s15
	s_mul_i32 s44, s56, s44
	s_addc_u32 s13, s13, s14
	s_add_u32 s14, s22, s44
	s_addc_u32 s15, s23, s45
	s_add_u32 s14, s14, s46
	s_addc_u32 s15, s15, s35
	v_mov_b32_e32 v5, 0
	s_mul_i32 s16, s58, s36
	s_add_u32 s14, s14, s19
	ds_read_b96 v[1:3], v5 offset:1056
	s_addc_u32 s15, s15, s18
	s_lshl_b64 s[16:17], s[16:17], 3
	s_mul_i32 s6, s6, s38
	s_add_u32 s16, s26, s16
	s_addc_u32 s17, s27, s17
	s_lshl_b64 s[6:7], s[6:7], 3
	s_add_u32 s16, s16, s6
	s_addc_u32 s17, s17, s7
	s_lshl_b64 s[6:7], s[30:31], 3
	s_waitcnt lgkmcnt(0)
	v_add_u32_e32 v1, v1, v2
	v_lshrrev_b32_e32 v2, 3, v0
	s_add_u32 s22, s16, s6
	s_load_dword s6, s[4:5], 0x1b0
	v_and_b32_e32 v2, 28, v2
	v_lshl_add_u32 v9, v0, 2, v2
	v_lshrrev_b32_e32 v2, 1, v0
	s_addc_u32 s23, s17, s7
	s_load_dwordx2 s[16:17], s[4:5], 0x508
	v_and_b32_e32 v10, 0x7c, v2
	v_add_u32_e32 v2, -1, v0
	v_lshrrev_b32_e32 v4, 3, v2
	v_and_b32_e32 v4, 0x1ffffffc, v4
	s_waitcnt lgkmcnt(0)
	s_bitcmp1_b32 s6, 0
	v_cmp_gt_u32_e64 s[6:7], 64, v0
	v_lshlrev_b32_e32 v11, 4, v0
	v_lshl_add_u32 v12, v2, 2, v4
	v_add_u32_e32 v4, s33, v0
	v_mbcnt_lo_u32_b32 v0, -1, 0
	s_cselect_b64 s[4:5], -1, 0
	v_mbcnt_hi_u32_b32 v0, -1, v0
                                        ; implicit-def: $vgpr13
	s_branch .LBB125_35
.LBB125_33:                             ;   in Loop: Header=BB125_35 Depth=1
	s_or_b64 exec, exec, s[18:19]
	v_add_u32_e32 v1, v2, v1
.LBB125_34:                             ;   in Loop: Header=BB125_35 Depth=1
	s_add_i32 s34, s34, -1
	v_add_u32_e32 v3, v14, v3
	s_cmp_lg_u32 s34, 0
	v_add_u32_e32 v4, 0x100, v4
	s_cbranch_scc0 .LBB125_54
.LBB125_35:                             ; =>This Inner Loop Header: Depth=1
	v_cmp_gt_u64_e32 vcc, s[8:9], v[4:5]
	v_mov_b32_e32 v2, v5
	v_mov_b32_e32 v6, v5
	s_and_saveexec_b64 s[18:19], vcc
	s_cbranch_execz .LBB125_37
; %bb.36:                               ;   in Loop: Header=BB125_35 Depth=1
	v_mov_b32_e32 v6, s12
	v_mov_b32_e32 v7, s13
	v_mad_u64_u32 v[6:7], s[26:27], s20, v4, v[6:7]
	v_mov_b32_e32 v2, v7
	v_mad_u64_u32 v[13:14], s[26:27], s21, v4, v[2:3]
	v_mov_b32_e32 v7, v13
	global_load_ubyte v13, v[6:7], off
	s_waitcnt vmcnt(0)
	v_cmp_gt_u16_sdwa s[26:27], v13, v8 src0_sel:DWORD src1_sel:BYTE_0
	v_cndmask_b32_e64 v2, 0, 1, s[26:27]
	v_cmp_lt_u16_sdwa s[26:27], v13, v8 src0_sel:DWORD src1_sel:BYTE_0
	v_cndmask_b32_e64 v6, 0, 1, s[26:27]
	v_cndmask_b32_e64 v2, v6, v2, s[4:5]
	v_cmp_eq_u16_sdwa s[26:27], v13, v8 src0_sel:DWORD src1_sel:BYTE_0
	v_and_b32_e32 v2, 1, v2
	v_cndmask_b32_e64 v6, 0, 1, s[26:27]
.LBB125_37:                             ;   in Loop: Header=BB125_35 Depth=1
	s_or_b64 exec, exec, s[18:19]
	ds_write_b32 v9, v2
	s_waitcnt vmcnt(0) lgkmcnt(0)
	s_barrier
	s_and_saveexec_b64 s[18:19], s[6:7]
	s_cbranch_execz .LBB125_39
; %bb.38:                               ;   in Loop: Header=BB125_35 Depth=1
	v_add_u32_e32 v7, v10, v11
	ds_read2_b32 v[14:15], v7 offset1:1
	ds_read2_b32 v[16:17], v7 offset0:2 offset1:3
	v_and_b32_e32 v18, 15, v0
	v_cmp_ne_u32_e32 vcc, 0, v18
	s_waitcnt lgkmcnt(1)
	v_add_u32_e32 v15, v15, v14
	s_waitcnt lgkmcnt(0)
	v_add3_u32 v15, v15, v16, v17
	v_bfe_i32 v17, v0, 4, 1
	; wave barrier
	s_nop 0
	v_mov_b32_dpp v16, v15 row_shr:1 row_mask:0xf bank_mask:0xf
	v_cndmask_b32_e32 v16, 0, v16, vcc
	v_add_u32_e32 v15, v16, v15
	v_cmp_lt_u32_e32 vcc, 1, v18
	s_nop 0
	v_mov_b32_dpp v16, v15 row_shr:2 row_mask:0xf bank_mask:0xf
	v_cndmask_b32_e32 v16, 0, v16, vcc
	v_add_u32_e32 v15, v15, v16
	v_cmp_lt_u32_e32 vcc, 3, v18
	;; [unrolled: 5-line block ×4, first 2 shown]
	s_nop 0
	v_mov_b32_dpp v16, v15 row_bcast:15 row_mask:0xf bank_mask:0xf
	v_and_b32_e32 v16, v17, v16
	v_add_u32_e32 v15, v15, v16
	v_and_b32_e32 v17, 64, v0
	s_nop 0
	v_mov_b32_dpp v16, v15 row_bcast:31 row_mask:0xf bank_mask:0xf
	v_cndmask_b32_e32 v16, 0, v16, vcc
	v_add_u32_e32 v15, v15, v16
	v_add_u32_e32 v16, -1, v0
	v_cmp_lt_i32_e32 vcc, v16, v17
	v_cndmask_b32_e32 v16, v16, v0, vcc
	v_lshlrev_b32_e32 v16, 2, v16
	ds_bpermute_b32 v15, v16, v15
	s_waitcnt lgkmcnt(0)
	v_add_u32_e32 v14, v15, v14
	v_cndmask_b32_e64 v16, v14, v2, s[2:3]
	ds_write_b32 v7, v16
	; wave barrier
	ds_read2_b32 v[14:15], v7 offset0:1 offset1:2
	ds_read_b32 v17, v7 offset:12
	s_waitcnt lgkmcnt(1)
	v_add_u32_e32 v14, v14, v16
	v_add_u32_e32 v15, v15, v14
	ds_write2_b32 v7, v14, v15 offset0:1 offset1:2
	s_waitcnt lgkmcnt(1)
	v_add_u32_e32 v14, v17, v15
	ds_write_b32 v7, v14 offset:12
.LBB125_39:                             ;   in Loop: Header=BB125_35 Depth=1
	s_or_b64 exec, exec, s[18:19]
	v_mov_b32_e32 v7, 0
	s_waitcnt lgkmcnt(0)
	s_barrier
	s_and_saveexec_b64 s[18:19], s[0:1]
; %bb.40:                               ;   in Loop: Header=BB125_35 Depth=1
	ds_read_b32 v7, v12
; %bb.41:                               ;   in Loop: Header=BB125_35 Depth=1
	s_or_b64 exec, exec, s[18:19]
	ds_read_b32 v14, v5 offset:1048
	v_cmp_ne_u32_e32 vcc, 0, v2
	s_waitcnt lgkmcnt(0)
	s_barrier
	s_and_saveexec_b64 s[18:19], vcc
	s_cbranch_execz .LBB125_43
; %bb.42:                               ;   in Loop: Header=BB125_35 Depth=1
	v_mov_b32_e32 v16, s15
	v_add_u32_e32 v7, v7, v3
	v_mov_b32_e32 v15, s14
	v_mad_u64_u32 v[15:16], s[26:27], s24, v7, v[15:16]
	v_mad_u64_u32 v[17:18], s[26:27], s16, v7, 0
	v_mov_b32_e32 v2, v16
	v_mad_u64_u32 v[19:20], s[26:27], s25, v7, v[2:3]
	v_mov_b32_e32 v2, v18
	;; [unrolled: 2-line block ×3, first 2 shown]
	global_store_byte v[15:16], v13, off
	v_mov_b32_e32 v18, v20
	v_lshlrev_b64 v[15:16], 3, v[17:18]
	v_mov_b32_e32 v2, s23
	v_add_co_u32_e32 v15, vcc, s22, v15
	v_addc_co_u32_e32 v16, vcc, v2, v16, vcc
	global_store_dwordx2 v[15:16], v[4:5], off
.LBB125_43:                             ;   in Loop: Header=BB125_35 Depth=1
	s_or_b64 exec, exec, s[18:19]
	v_mov_b32_e32 v2, v5
	v_cmp_le_u64_e32 vcc, s[10:11], v[1:2]
	s_cbranch_vccnz .LBB125_34
; %bb.44:                               ;   in Loop: Header=BB125_35 Depth=1
	ds_write_b32 v9, v6
	s_waitcnt vmcnt(0) lgkmcnt(0)
	s_barrier
	s_and_saveexec_b64 s[18:19], s[6:7]
	s_cbranch_execz .LBB125_46
; %bb.45:                               ;   in Loop: Header=BB125_35 Depth=1
	v_add_u32_e32 v2, v10, v11
	ds_read2_b32 v[15:16], v2 offset1:1
	ds_read2_b32 v[17:18], v2 offset0:2 offset1:3
	v_and_b32_e32 v7, 15, v0
	v_cmp_ne_u32_e32 vcc, 0, v7
	s_waitcnt lgkmcnt(1)
	v_add_u32_e32 v16, v16, v15
	s_waitcnt lgkmcnt(0)
	v_add3_u32 v16, v16, v17, v18
	; wave barrier
	s_nop 1
	v_mov_b32_dpp v17, v16 row_shr:1 row_mask:0xf bank_mask:0xf
	v_cndmask_b32_e32 v17, 0, v17, vcc
	v_add_u32_e32 v16, v17, v16
	v_cmp_lt_u32_e32 vcc, 1, v7
	s_nop 0
	v_mov_b32_dpp v17, v16 row_shr:2 row_mask:0xf bank_mask:0xf
	v_cndmask_b32_e32 v17, 0, v17, vcc
	v_add_u32_e32 v16, v16, v17
	v_cmp_lt_u32_e32 vcc, 3, v7
	;; [unrolled: 5-line block ×3, first 2 shown]
	s_nop 0
	v_mov_b32_dpp v17, v16 row_shr:8 row_mask:0xf bank_mask:0xf
	v_cndmask_b32_e32 v7, 0, v17, vcc
	v_add_u32_e32 v7, v16, v7
	v_bfe_i32 v17, v0, 4, 1
	v_cmp_lt_u32_e32 vcc, 31, v0
	v_mov_b32_dpp v16, v7 row_bcast:15 row_mask:0xf bank_mask:0xf
	v_and_b32_e32 v16, v17, v16
	v_add_u32_e32 v7, v7, v16
	v_and_b32_e32 v17, 64, v0
	s_nop 0
	v_mov_b32_dpp v16, v7 row_bcast:31 row_mask:0xf bank_mask:0xf
	v_cndmask_b32_e32 v16, 0, v16, vcc
	v_add_u32_e32 v7, v7, v16
	v_add_u32_e32 v16, -1, v0
	v_cmp_lt_i32_e32 vcc, v16, v17
	v_cndmask_b32_e32 v16, v16, v0, vcc
	v_lshlrev_b32_e32 v16, 2, v16
	ds_bpermute_b32 v7, v16, v7
	s_waitcnt lgkmcnt(0)
	v_add_u32_e32 v7, v7, v15
	v_cndmask_b32_e64 v7, v7, v6, s[2:3]
	ds_write_b32 v2, v7
	; wave barrier
	ds_read2_b32 v[15:16], v2 offset0:1 offset1:2
	ds_read_b32 v17, v2 offset:12
	s_waitcnt lgkmcnt(1)
	v_add_u32_e32 v7, v15, v7
	v_add_u32_e32 v15, v16, v7
	ds_write2_b32 v2, v7, v15 offset0:1 offset1:2
	s_waitcnt lgkmcnt(1)
	v_add_u32_e32 v7, v17, v15
	ds_write_b32 v2, v7 offset:12
.LBB125_46:                             ;   in Loop: Header=BB125_35 Depth=1
	s_or_b64 exec, exec, s[18:19]
	v_mov_b32_e32 v7, 0
	s_waitcnt lgkmcnt(0)
	s_barrier
	s_and_saveexec_b64 s[18:19], s[0:1]
; %bb.47:                               ;   in Loop: Header=BB125_35 Depth=1
	ds_read_b32 v7, v12
; %bb.48:                               ;   in Loop: Header=BB125_35 Depth=1
	s_or_b64 exec, exec, s[18:19]
	ds_read_b32 v2, v5 offset:1048
	v_cmp_ne_u32_e32 vcc, 0, v6
	s_waitcnt lgkmcnt(0)
	s_barrier
	s_and_saveexec_b64 s[18:19], vcc
	s_cbranch_execz .LBB125_33
; %bb.49:                               ;   in Loop: Header=BB125_35 Depth=1
	v_add_u32_e32 v6, v7, v1
	v_mov_b32_e32 v7, v5
	v_cmp_gt_u64_e32 vcc, s[10:11], v[6:7]
	s_and_b64 exec, exec, vcc
	s_cbranch_execz .LBB125_33
; %bb.50:                               ;   in Loop: Header=BB125_35 Depth=1
	v_mov_b32_e32 v16, s15
	v_mov_b32_e32 v15, s14
	v_mad_u64_u32 v[15:16], s[26:27], s24, v6, v[15:16]
	v_mad_u64_u32 v[17:18], s[26:27], s16, v6, 0
	v_mov_b32_e32 v7, v16
	v_mad_u64_u32 v[19:20], s[26:27], s25, v6, v[7:8]
	v_mov_b32_e32 v7, v18
	;; [unrolled: 2-line block ×3, first 2 shown]
	global_store_byte v[15:16], v13, off
	v_mov_b32_e32 v18, v6
	v_lshlrev_b64 v[6:7], 3, v[17:18]
	v_mov_b32_e32 v15, s23
	v_add_co_u32_e32 v6, vcc, s22, v6
	v_addc_co_u32_e32 v7, vcc, v15, v7, vcc
	global_store_dwordx2 v[6:7], v[4:5], off
	s_branch .LBB125_33
.LBB125_51:                             ;   in Loop: Header=BB125_52 Depth=1
	s_add_u32 s24, s24, 4
	s_addc_u32 s25, s25, 0
	s_waitcnt lgkmcnt(0)
	s_add_i32 s51, s23, s51
	s_add_u32 s26, s26, 4
	s_addc_u32 s27, s27, 0
	s_add_i32 s22, s22, 1
	s_cmp_lt_u32 s22, s35
	s_cbranch_scc0 .LBB125_30
.LBB125_52:                             ; =>This Inner Loop Header: Depth=1
	s_load_dword s23, s[24:25], 0x0
	s_cmp_ge_u32 s22, s76
	s_cbranch_scc1 .LBB125_51
; %bb.53:                               ;   in Loop: Header=BB125_52 Depth=1
	s_load_dword s52, s[26:27], 0x0
	s_waitcnt lgkmcnt(0)
	s_add_i32 s53, s23, s53
	s_add_i32 s7, s52, s7
	s_branch .LBB125_51
.LBB125_54:
	s_endpgm
	.section	.rodata,"a",@progbits
	.p2align	6, 0x0
	.amdhsa_kernel _ZN2at6native6mbtopk10gatherTopKIhmLi3EEEvNS_4cuda6detail10TensorInfoIKT_T0_EES8_S8_bjS8_NS5_IS6_S8_EES8_NS5_IlS8_EES8_jjPS6_PjSD_j
		.amdhsa_group_segment_fixed_size 1068
		.amdhsa_private_segment_fixed_size 0
		.amdhsa_kernarg_size 1592
		.amdhsa_user_sgpr_count 6
		.amdhsa_user_sgpr_private_segment_buffer 1
		.amdhsa_user_sgpr_dispatch_ptr 0
		.amdhsa_user_sgpr_queue_ptr 0
		.amdhsa_user_sgpr_kernarg_segment_ptr 1
		.amdhsa_user_sgpr_dispatch_id 0
		.amdhsa_user_sgpr_flat_scratch_init 0
		.amdhsa_user_sgpr_private_segment_size 0
		.amdhsa_uses_dynamic_stack 0
		.amdhsa_system_sgpr_private_segment_wavefront_offset 0
		.amdhsa_system_sgpr_workgroup_id_x 1
		.amdhsa_system_sgpr_workgroup_id_y 1
		.amdhsa_system_sgpr_workgroup_id_z 1
		.amdhsa_system_sgpr_workgroup_info 0
		.amdhsa_system_vgpr_workitem_id 0
		.amdhsa_next_free_vgpr 22
		.amdhsa_next_free_sgpr 77
		.amdhsa_reserve_vcc 1
		.amdhsa_reserve_flat_scratch 0
		.amdhsa_float_round_mode_32 0
		.amdhsa_float_round_mode_16_64 0
		.amdhsa_float_denorm_mode_32 3
		.amdhsa_float_denorm_mode_16_64 3
		.amdhsa_dx10_clamp 1
		.amdhsa_ieee_mode 1
		.amdhsa_fp16_overflow 0
		.amdhsa_exception_fp_ieee_invalid_op 0
		.amdhsa_exception_fp_denorm_src 0
		.amdhsa_exception_fp_ieee_div_zero 0
		.amdhsa_exception_fp_ieee_overflow 0
		.amdhsa_exception_fp_ieee_underflow 0
		.amdhsa_exception_fp_ieee_inexact 0
		.amdhsa_exception_int_div_zero 0
	.end_amdhsa_kernel
	.section	.text._ZN2at6native6mbtopk10gatherTopKIhmLi3EEEvNS_4cuda6detail10TensorInfoIKT_T0_EES8_S8_bjS8_NS5_IS6_S8_EES8_NS5_IlS8_EES8_jjPS6_PjSD_j,"axG",@progbits,_ZN2at6native6mbtopk10gatherTopKIhmLi3EEEvNS_4cuda6detail10TensorInfoIKT_T0_EES8_S8_bjS8_NS5_IS6_S8_EES8_NS5_IlS8_EES8_jjPS6_PjSD_j,comdat
.Lfunc_end125:
	.size	_ZN2at6native6mbtopk10gatherTopKIhmLi3EEEvNS_4cuda6detail10TensorInfoIKT_T0_EES8_S8_bjS8_NS5_IS6_S8_EES8_NS5_IlS8_EES8_jjPS6_PjSD_j, .Lfunc_end125-_ZN2at6native6mbtopk10gatherTopKIhmLi3EEEvNS_4cuda6detail10TensorInfoIKT_T0_EES8_S8_bjS8_NS5_IS6_S8_EES8_NS5_IlS8_EES8_jjPS6_PjSD_j
                                        ; -- End function
	.set _ZN2at6native6mbtopk10gatherTopKIhmLi3EEEvNS_4cuda6detail10TensorInfoIKT_T0_EES8_S8_bjS8_NS5_IS6_S8_EES8_NS5_IlS8_EES8_jjPS6_PjSD_j.num_vgpr, 22
	.set _ZN2at6native6mbtopk10gatherTopKIhmLi3EEEvNS_4cuda6detail10TensorInfoIKT_T0_EES8_S8_bjS8_NS5_IS6_S8_EES8_NS5_IlS8_EES8_jjPS6_PjSD_j.num_agpr, 0
	.set _ZN2at6native6mbtopk10gatherTopKIhmLi3EEEvNS_4cuda6detail10TensorInfoIKT_T0_EES8_S8_bjS8_NS5_IS6_S8_EES8_NS5_IlS8_EES8_jjPS6_PjSD_j.numbered_sgpr, 77
	.set _ZN2at6native6mbtopk10gatherTopKIhmLi3EEEvNS_4cuda6detail10TensorInfoIKT_T0_EES8_S8_bjS8_NS5_IS6_S8_EES8_NS5_IlS8_EES8_jjPS6_PjSD_j.num_named_barrier, 0
	.set _ZN2at6native6mbtopk10gatherTopKIhmLi3EEEvNS_4cuda6detail10TensorInfoIKT_T0_EES8_S8_bjS8_NS5_IS6_S8_EES8_NS5_IlS8_EES8_jjPS6_PjSD_j.private_seg_size, 0
	.set _ZN2at6native6mbtopk10gatherTopKIhmLi3EEEvNS_4cuda6detail10TensorInfoIKT_T0_EES8_S8_bjS8_NS5_IS6_S8_EES8_NS5_IlS8_EES8_jjPS6_PjSD_j.uses_vcc, 1
	.set _ZN2at6native6mbtopk10gatherTopKIhmLi3EEEvNS_4cuda6detail10TensorInfoIKT_T0_EES8_S8_bjS8_NS5_IS6_S8_EES8_NS5_IlS8_EES8_jjPS6_PjSD_j.uses_flat_scratch, 0
	.set _ZN2at6native6mbtopk10gatherTopKIhmLi3EEEvNS_4cuda6detail10TensorInfoIKT_T0_EES8_S8_bjS8_NS5_IS6_S8_EES8_NS5_IlS8_EES8_jjPS6_PjSD_j.has_dyn_sized_stack, 0
	.set _ZN2at6native6mbtopk10gatherTopKIhmLi3EEEvNS_4cuda6detail10TensorInfoIKT_T0_EES8_S8_bjS8_NS5_IS6_S8_EES8_NS5_IlS8_EES8_jjPS6_PjSD_j.has_recursion, 0
	.set _ZN2at6native6mbtopk10gatherTopKIhmLi3EEEvNS_4cuda6detail10TensorInfoIKT_T0_EES8_S8_bjS8_NS5_IS6_S8_EES8_NS5_IlS8_EES8_jjPS6_PjSD_j.has_indirect_call, 0
	.section	.AMDGPU.csdata,"",@progbits
; Kernel info:
; codeLenInByte = 3188
; TotalNumSgprs: 81
; NumVgprs: 22
; ScratchSize: 0
; MemoryBound: 0
; FloatMode: 240
; IeeeMode: 1
; LDSByteSize: 1068 bytes/workgroup (compile time only)
; SGPRBlocks: 10
; VGPRBlocks: 5
; NumSGPRsForWavesPerEU: 81
; NumVGPRsForWavesPerEU: 22
; Occupancy: 9
; WaveLimiterHint : 1
; COMPUTE_PGM_RSRC2:SCRATCH_EN: 0
; COMPUTE_PGM_RSRC2:USER_SGPR: 6
; COMPUTE_PGM_RSRC2:TRAP_HANDLER: 0
; COMPUTE_PGM_RSRC2:TGID_X_EN: 1
; COMPUTE_PGM_RSRC2:TGID_Y_EN: 1
; COMPUTE_PGM_RSRC2:TGID_Z_EN: 1
; COMPUTE_PGM_RSRC2:TIDIG_COMP_CNT: 0
	.section	.text._ZN2at6native6sbtopk10gatherTopKIhmLi3ELb0EEEvNS_4cuda6detail10TensorInfoIKT_T0_EES8_S8_bS8_S8_NS5_IS6_S8_EES8_NS5_IlS8_EES8_PS6_,"axG",@progbits,_ZN2at6native6sbtopk10gatherTopKIhmLi3ELb0EEEvNS_4cuda6detail10TensorInfoIKT_T0_EES8_S8_bS8_S8_NS5_IS6_S8_EES8_NS5_IlS8_EES8_PS6_,comdat
	.protected	_ZN2at6native6sbtopk10gatherTopKIhmLi3ELb0EEEvNS_4cuda6detail10TensorInfoIKT_T0_EES8_S8_bS8_S8_NS5_IS6_S8_EES8_NS5_IlS8_EES8_PS6_ ; -- Begin function _ZN2at6native6sbtopk10gatherTopKIhmLi3ELb0EEEvNS_4cuda6detail10TensorInfoIKT_T0_EES8_S8_bS8_S8_NS5_IS6_S8_EES8_NS5_IlS8_EES8_PS6_
	.globl	_ZN2at6native6sbtopk10gatherTopKIhmLi3ELb0EEEvNS_4cuda6detail10TensorInfoIKT_T0_EES8_S8_bS8_S8_NS5_IS6_S8_EES8_NS5_IlS8_EES8_PS6_
	.p2align	8
	.type	_ZN2at6native6sbtopk10gatherTopKIhmLi3ELb0EEEvNS_4cuda6detail10TensorInfoIKT_T0_EES8_S8_bS8_S8_NS5_IS6_S8_EES8_NS5_IlS8_EES8_PS6_,@function
_ZN2at6native6sbtopk10gatherTopKIhmLi3ELb0EEEvNS_4cuda6detail10TensorInfoIKT_T0_EES8_S8_bS8_S8_NS5_IS6_S8_EES8_NS5_IlS8_EES8_PS6_: ; @_ZN2at6native6sbtopk10gatherTopKIhmLi3ELb0EEEvNS_4cuda6detail10TensorInfoIKT_T0_EES8_S8_bS8_S8_NS5_IS6_S8_EES8_NS5_IlS8_EES8_PS6_
; %bb.0:
	s_load_dwordx2 s[18:19], s[4:5], 0x520
	s_load_dwordx4 s[24:27], s[4:5], 0x1b8
	s_mov_b64 s[34:35], s[4:5]
	s_add_u32 s16, s34, 0x520
	s_addc_u32 s17, s35, 0
	s_waitcnt lgkmcnt(0)
	s_mul_i32 s0, s19, s8
	s_add_i32 s0, s0, s7
	s_mul_i32 s0, s0, s18
	s_add_i32 s36, s0, s6
	s_mov_b32 s37, 0
	v_mov_b32_e32 v1, s36
	v_mov_b32_e32 v2, s37
	v_cmp_le_u64_e32 vcc, s[24:25], v[1:2]
	s_cbranch_vccnz .LBB126_492
; %bb.1:
	s_load_dwordx4 s[0:3], s[34:35], 0x10
	s_mov_b64 s[10:11], 0
	s_mov_b64 s[8:9], 0
	s_waitcnt lgkmcnt(0)
	v_mov_b32_e32 v1, s2
	v_mov_b32_e32 v2, s3
	v_cmp_lt_u64_e32 vcc, s[36:37], v[1:2]
	s_cbranch_vccnz .LBB126_3
; %bb.2:
	v_cvt_f32_u32_e32 v1, s2
	s_sub_i32 s4, 0, s2
	s_mov_b32 s9, 0
	v_rcp_iflag_f32_e32 v1, v1
	v_mul_f32_e32 v1, 0x4f7ffffe, v1
	v_cvt_u32_f32_e32 v1, v1
	v_readfirstlane_b32 s5, v1
	s_mul_i32 s4, s4, s5
	s_mul_hi_u32 s4, s5, s4
	s_add_i32 s5, s5, s4
	s_mul_hi_u32 s4, s36, s5
	s_mul_i32 s7, s4, s2
	s_sub_i32 s7, s36, s7
	s_add_i32 s5, s4, 1
	s_sub_i32 s8, s7, s2
	s_cmp_ge_u32 s7, s2
	s_cselect_b32 s4, s5, s4
	s_cselect_b32 s7, s8, s7
	s_add_i32 s5, s4, 1
	s_cmp_ge_u32 s7, s2
	s_cselect_b32 s8, s5, s4
.LBB126_3:
	s_load_dwordx4 s[12:15], s[34:35], 0x1d8
	v_mov_b32_e32 v2, s1
	v_mov_b32_e32 v1, s0
	v_cmp_lt_u64_e32 vcc, s[8:9], v[1:2]
	s_cbranch_vccnz .LBB126_5
; %bb.4:
	v_cvt_f32_u32_e32 v1, s0
	s_sub_i32 s4, 0, s0
	v_rcp_iflag_f32_e32 v1, v1
	v_mul_f32_e32 v1, 0x4f7ffffe, v1
	v_cvt_u32_f32_e32 v1, v1
	v_readfirstlane_b32 s5, v1
	s_mul_i32 s4, s4, s5
	s_mul_hi_u32 s4, s5, s4
	s_add_i32 s5, s5, s4
	s_mul_hi_u32 s4, s8, s5
	s_mul_i32 s7, s4, s0
	s_sub_i32 s7, s8, s7
	s_add_i32 s5, s4, 1
	s_sub_i32 s10, s7, s0
	s_cmp_ge_u32 s7, s0
	s_cselect_b32 s4, s5, s4
	s_cselect_b32 s7, s10, s7
	s_add_i32 s5, s4, 1
	s_cmp_ge_u32 s7, s0
	s_cselect_b32 s10, s5, s4
.LBB126_5:
	s_waitcnt lgkmcnt(0)
	v_mov_b32_e32 v1, s14
	v_mov_b32_e32 v2, s15
	v_cmp_lt_u64_e32 vcc, s[36:37], v[1:2]
	s_mov_b64 s[22:23], 0
	s_mov_b64 s[20:21], 0
	s_cbranch_vccnz .LBB126_7
; %bb.6:
	v_cvt_f32_u32_e32 v1, s14
	s_sub_i32 s4, 0, s14
	s_mov_b32 s21, 0
	v_rcp_iflag_f32_e32 v1, v1
	v_mul_f32_e32 v1, 0x4f7ffffe, v1
	v_cvt_u32_f32_e32 v1, v1
	v_readfirstlane_b32 s5, v1
	s_mul_i32 s4, s4, s5
	s_mul_hi_u32 s4, s5, s4
	s_add_i32 s5, s5, s4
	s_mul_hi_u32 s4, s36, s5
	s_mul_i32 s7, s4, s14
	s_sub_i32 s7, s36, s7
	s_add_i32 s5, s4, 1
	s_sub_i32 s11, s7, s14
	s_cmp_ge_u32 s7, s14
	s_cselect_b32 s4, s5, s4
	s_cselect_b32 s7, s11, s7
	s_add_i32 s5, s4, 1
	s_cmp_ge_u32 s7, s14
	s_cselect_b32 s20, s5, s4
.LBB126_7:
	s_load_dwordx4 s[28:31], s[34:35], 0x380
	v_mov_b32_e32 v1, s12
	v_mov_b32_e32 v2, s13
	v_cmp_lt_u64_e32 vcc, s[20:21], v[1:2]
	s_cbranch_vccnz .LBB126_9
; %bb.8:
	v_cvt_f32_u32_e32 v1, s12
	s_sub_i32 s4, 0, s12
	v_rcp_iflag_f32_e32 v1, v1
	v_mul_f32_e32 v1, 0x4f7ffffe, v1
	v_cvt_u32_f32_e32 v1, v1
	v_readfirstlane_b32 s5, v1
	s_mul_i32 s4, s4, s5
	s_mul_hi_u32 s4, s5, s4
	s_add_i32 s5, s5, s4
	s_mul_hi_u32 s4, s20, s5
	s_mul_i32 s7, s4, s12
	s_sub_i32 s7, s20, s7
	s_add_i32 s5, s4, 1
	s_sub_i32 s11, s7, s12
	s_cmp_ge_u32 s7, s12
	s_cselect_b32 s4, s5, s4
	s_cselect_b32 s7, s11, s7
	s_add_i32 s5, s4, 1
	s_cmp_ge_u32 s7, s12
	s_cselect_b32 s22, s5, s4
.LBB126_9:
                                        ; implicit-def: $vgpr47 : SGPR spill to VGPR lane
	s_waitcnt lgkmcnt(0)
	v_mov_b32_e32 v1, s30
	v_writelane_b32 v47, s22, 0
	v_writelane_b32 v47, s23, 1
	;; [unrolled: 1-line block ×8, first 2 shown]
	s_load_dwordx2 s[20:21], s[34:35], 0xe0
	s_load_dwordx4 s[12:15], s[34:35], 0xd0
	v_mov_b32_e32 v2, s31
	v_cmp_lt_u64_e32 vcc, s[36:37], v[1:2]
	s_mov_b64 s[4:5], 0
	v_writelane_b32 v47, s4, 8
	s_mov_b64 s[22:23], 0
	v_writelane_b32 v47, s5, 9
	s_cbranch_vccnz .LBB126_11
; %bb.10:
	v_cvt_f32_u32_e32 v1, s30
	s_sub_i32 s4, 0, s30
	s_mov_b32 s23, 0
	v_rcp_iflag_f32_e32 v1, v1
	v_mul_f32_e32 v1, 0x4f7ffffe, v1
	v_cvt_u32_f32_e32 v1, v1
	v_readfirstlane_b32 s5, v1
	s_mul_i32 s4, s4, s5
	s_mul_hi_u32 s4, s5, s4
	s_add_i32 s5, s5, s4
	s_mul_hi_u32 s4, s36, s5
	s_mul_i32 s7, s4, s30
	s_sub_i32 s7, s36, s7
	s_add_i32 s5, s4, 1
	s_sub_i32 s11, s7, s30
	s_cmp_ge_u32 s7, s30
	s_cselect_b32 s4, s5, s4
	s_cselect_b32 s7, s11, s7
	s_add_i32 s5, s4, 1
	s_cmp_ge_u32 s7, s30
	s_cselect_b32 s22, s5, s4
.LBB126_11:
	s_load_dwordx2 s[4:5], s[34:35], 0x450
	s_load_dwordx4 s[40:43], s[34:35], 0x440
	v_mov_b32_e32 v1, s28
	v_mov_b32_e32 v2, s29
	s_waitcnt lgkmcnt(0)
	v_writelane_b32 v47, s4, 10
	v_writelane_b32 v47, s5, 11
	s_load_dwordx2 s[4:5], s[34:35], 0x2a8
	v_writelane_b32 v47, s40, 12
	v_writelane_b32 v47, s41, 13
	;; [unrolled: 1-line block ×4, first 2 shown]
	s_load_dwordx4 s[40:43], s[34:35], 0x298
	s_waitcnt lgkmcnt(0)
	v_writelane_b32 v47, s4, 16
	v_writelane_b32 v47, s5, 17
	s_mov_b64 s[4:5], s[22:23]
	s_load_dwordx2 s[22:23], s[34:35], 0x0
	v_writelane_b32 v47, s40, 18
	v_writelane_b32 v47, s41, 19
	;; [unrolled: 1-line block ×5, first 2 shown]
	v_cmp_lt_u64_e32 vcc, s[4:5], v[1:2]
	v_writelane_b32 v47, s5, 23
	s_cbranch_vccnz .LBB126_13
; %bb.12:
	v_cvt_f32_u32_e32 v1, s28
	s_sub_i32 s4, 0, s28
	v_readlane_b32 s24, v47, 22
	v_readlane_b32 s25, v47, 23
	v_rcp_iflag_f32_e32 v1, v1
	v_mul_f32_e32 v1, 0x4f7ffffe, v1
	v_cvt_u32_f32_e32 v1, v1
	v_readfirstlane_b32 s5, v1
	s_mul_i32 s4, s4, s5
	s_mul_hi_u32 s4, s5, s4
	s_add_i32 s5, s5, s4
	s_mul_hi_u32 s4, s24, s5
	s_mul_i32 s7, s4, s28
	s_sub_i32 s7, s24, s7
	s_add_i32 s5, s4, 1
	s_sub_i32 s11, s7, s28
	s_cmp_ge_u32 s7, s28
	s_cselect_b32 s4, s5, s4
	s_cselect_b32 s7, s11, s7
	s_add_i32 s5, s4, 1
	s_cmp_ge_u32 s7, s28
	s_cselect_b32 s4, s5, s4
	v_writelane_b32 v47, s4, 8
	v_writelane_b32 v47, s5, 9
.LBB126_13:
	s_load_dwordx2 s[4:5], s[34:35], 0x370
	v_writelane_b32 v47, s28, 24
	v_writelane_b32 v47, s29, 25
	;; [unrolled: 1-line block ×4, first 2 shown]
	s_waitcnt lgkmcnt(0)
	v_writelane_b32 v47, s4, 28
	v_writelane_b32 v47, s5, 29
	s_load_dwordx2 s[4:5], s[34:35], 0x1c8
	s_load_dwordx4 s[28:31], s[34:35], 0x1a0
	s_mov_b32 s71, 0
	v_cmp_eq_u32_e64 s[24:25], 0, v0
	s_waitcnt lgkmcnt(0)
	v_writelane_b32 v47, s4, 30
	v_writelane_b32 v47, s5, 31
	s_mov_b64 s[4:5], exec
	v_writelane_b32 v47, s24, 32
	v_writelane_b32 v47, s25, 33
	s_and_b64 s[24:25], s[4:5], s[24:25]
	s_mov_b64 exec, s[24:25]
	s_cbranch_execz .LBB126_15
; %bb.14:
	v_mov_b32_e32 v1, 0
	v_mov_b32_e32 v3, s28
	;; [unrolled: 1-line block ×4, first 2 shown]
	ds_write_b32 v1, v1 offset:5144
	ds_write_b128 v1, v[1:4] offset:5120
.LBB126_15:
	s_or_b64 exec, exec, s[4:5]
	s_mul_i32 s1, s10, s1
	s_mul_hi_u32 s4, s10, s0
	s_add_i32 s4, s4, s1
	s_mul_i32 s0, s10, s0
	s_sub_u32 s0, s8, s0
	s_subb_u32 s1, s9, s4
	s_mul_i32 s4, s0, s15
	s_mul_hi_u32 s5, s0, s14
	s_add_i32 s4, s5, s4
	s_mul_i32 s1, s1, s14
	s_add_i32 s4, s4, s1
	s_mul_i32 s1, s10, s13
	s_mul_hi_u32 s5, s10, s12
	s_mul_i32 s3, s8, s3
	s_mul_hi_u32 s7, s8, s2
	s_add_i32 s5, s5, s1
	s_add_i32 s7, s7, s3
	s_mul_i32 s2, s8, s2
	s_mov_b32 s8, s36
	v_writelane_b32 v47, s8, 34
	s_sub_u32 s2, s36, s2
	v_writelane_b32 v47, s9, 35
	s_subb_u32 s3, 0, s7
	s_mul_i32 s7, s2, s21
	s_mul_hi_u32 s8, s2, s20
	s_add_i32 s7, s8, s7
	s_mul_i32 s3, s3, s20
	s_mul_i32 s1, s10, s12
	s_add_i32 s7, s7, s3
	s_add_u32 s1, s22, s1
	s_mul_i32 s0, s0, s14
	s_addc_u32 s3, s23, s5
	v_writelane_b32 v47, s34, 36
	s_load_dword s5, s[34:35], 0x1b0
	s_add_u32 s0, s1, s0
	s_mul_i32 s2, s2, s20
	s_addc_u32 s1, s3, s4
	v_writelane_b32 v47, s35, 37
	s_add_u32 s34, s0, s2
	s_addc_u32 s35, s1, s7
	v_mbcnt_lo_u32_b32 v1, -1, 0
	s_waitcnt lgkmcnt(0)
	s_bitcmp1_b32 s5, 0
	v_mbcnt_hi_u32_b32 v26, -1, v1
	v_mov_b32_e32 v1, s34
	s_cselect_b64 s[0:1], -1, 0
	v_mov_b32_e32 v2, s35
	v_writelane_b32 v47, s0, 38
	v_mad_u64_u32 v[12:13], s[2:3], s26, v0, v[1:2]
	v_writelane_b32 v47, s1, 39
	s_xor_b64 s[0:1], s[0:1], -1
	v_writelane_b32 v47, s0, 40
	v_cmp_gt_u32_e32 vcc, 64, v0
	v_cmp_gt_i32_e64 s[10:11], 4, v26
	v_writelane_b32 v47, s1, 41
	s_and_b64 s[2:3], vcc, s[10:11]
	v_writelane_b32 v47, s2, 42
	v_mov_b32_e32 v1, 0xc00
	v_mov_b32_e32 v3, v13
	v_writelane_b32 v47, s3, 43
	v_mov_b32_e32 v2, 0
	v_mad_u64_u32 v[4:5], s[2:3], s27, v0, v[3:4]
	v_cmp_gt_u64_e64 s[2:3], s[28:29], v[1:2]
	v_mov_b32_e32 v3, 0
	v_writelane_b32 v47, s2, 44
	v_mov_b32_e32 v1, v3
	v_writelane_b32 v47, s3, 45
	v_cmp_gt_u64_e64 s[2:3], s[28:29], v[0:1]
	v_writelane_b32 v47, s2, 46
	v_writelane_b32 v47, s3, 47
	v_cmp_gt_u32_e64 s[2:3], 2, v0
	v_writelane_b32 v47, s2, 48
	s_barrier
	v_writelane_b32 v47, s3, 49
	s_load_dword s2, s[16:17], 0xc
	v_lshlrev_b32_e32 v2, 2, v26
	v_and_b32_e32 v23, 0x100, v2
	v_lshrrev_b32_e32 v2, 1, v0
	v_and_b32_e32 v2, 0x1e0, v2
	s_waitcnt lgkmcnt(0)
	s_and_b32 s33, s2, 0xffff
	s_bfe_u32 s2, s2, 0xa0006
	s_cmp_gt_u32 s33, 63
	s_cselect_b64 s[4:5], -1, 0
	v_writelane_b32 v47, s4, 50
	s_add_u32 s3, s33, -1
	v_writelane_b32 v47, s5, 51
	s_addc_u32 s4, 0, -1
	v_writelane_b32 v47, s3, 52
	s_add_u32 s3, s3, s28
	v_mov_b32_e32 v13, v4
	v_lshlrev_b64 v[4:5], v26, -1
	v_writelane_b32 v47, s3, 53
	v_or_b32_e32 v27, 0xc00, v2
	v_add_u32_e32 v2, 2, v0
	v_writelane_b32 v47, s4, 54
	s_addc_u32 s3, s4, s29
	v_cmp_gt_u64_e32 vcc, s[28:29], v[2:3]
	v_not_b32_e32 v25, v4
	v_writelane_b32 v47, s2, 55
	s_cmp_lt_u32 s6, s18
	v_mov_b32_e32 v4, s29
	v_not_b32_e32 v24, v5
	v_writelane_b32 v47, s3, 56
	s_cselect_b32 s3, 12, 18
	v_cndmask_b32_e32 v5, 0, v4, vcc
	v_mov_b32_e32 v4, s28
	s_add_u32 s4, s16, s3
	v_cndmask_b32_e32 v2, v2, v4, vcc
	v_not_b32_e32 v4, v0
	s_addc_u32 s5, s17, 0
	v_add_co_u32_e32 v4, vcc, v2, v4
	v_writelane_b32 v47, s4, 57
	v_addc_co_u32_e32 v5, vcc, -1, v5, vcc
	v_writelane_b32 v47, s5, 58
	v_cmp_lt_u64_e64 s[4:5], 3, v[4:5]
	s_add_i32 s3, s2, -1
	v_writelane_b32 v47, s4, 59
	v_writelane_b32 v47, s5, 60
	s_bfe_u32 s4, s33, 0x30006
	s_and_b32 s3, s3, 0xffff
	s_cmp_gt_u32 s3, 6
	s_cselect_b64 s[6:7], -1, 0
	s_and_b32 s80, s2, 0x3f8
	s_cmp_lg_u32 s4, 0
	s_cselect_b64 s[2:3], -1, 0
                                        ; implicit-def: $vgpr46 : SGPR spill to VGPR lane
	v_and_b32_e32 v16, -4, v4
	v_writelane_b32 v46, s2, 0
	v_mov_b32_e32 v17, v5
	v_writelane_b32 v46, s3, 1
	s_mov_b32 s2, 0
	v_writelane_b32 v46, s2, 2
	v_cmp_ne_u64_e64 s[2:3], v[4:5], v[16:17]
	v_writelane_b32 v47, s6, 61
	v_mov_b32_e32 v2, 0xc00
	v_mov_b32_e32 v19, s30
	v_writelane_b32 v46, s2, 3
	v_cmp_eq_u32_e64 s[0:1], 0, v26
	v_lshlrev_b32_e32 v14, 2, v0
	v_mov_b32_e32 v15, v3
	v_add_co_u32_e32 v18, vcc, v16, v0
	s_mov_b32 s74, s26
	s_mov_b32 s79, s27
	;; [unrolled: 1-line block ×7, first 2 shown]
	v_writelane_b32 v47, s7, 62
	v_lshl_or_b32 v29, v26, 3, v2
	s_mov_b64 s[86:87], 0
	s_mov_b32 s17, 0xc0c0004
	v_mov_b32_e32 v30, 0x4f800000
	v_mov_b32_e32 v31, 8
	v_mov_b32_e32 v33, 0
	v_mov_b32_e32 v20, s31
	v_mov_b32_e32 v28, 0
	v_writelane_b32 v46, s3, 4
	v_mov_b32_e32 v32, 0
	v_writelane_b32 v47, s4, 63
                                        ; implicit-def: $sgpr88_sgpr89
                                        ; implicit-def: $sgpr90_sgpr91
                                        ; implicit-def: $sgpr94_sgpr95
                                        ; implicit-def: $sgpr64_sgpr65
                                        ; implicit-def: $sgpr92_sgpr93
                                        ; implicit-def: $sgpr66_sgpr67
                                        ; implicit-def: $sgpr62_sgpr63
                                        ; implicit-def: $sgpr68_sgpr69
                                        ; implicit-def: $sgpr44_sgpr45
                                        ; implicit-def: $sgpr46_sgpr47
	v_writelane_b32 v46, s79, 5
	s_branch .LBB126_18
.LBB126_16:                             ;   in Loop: Header=BB126_18 Depth=1
	s_or_b64 exec, exec, s[4:5]
	s_andn2_b64 s[4:5], s[46:47], exec
	s_and_b64 s[8:9], s[8:9], exec
	v_mov_b32_e32 v20, v5
	s_or_b64 s[46:47], s[4:5], s[8:9]
	s_andn2_b64 s[44:45], s[44:45], exec
	s_andn2_b64 s[68:69], s[68:69], exec
	;; [unrolled: 1-line block ×4, first 2 shown]
	s_orn2_b64 s[6:7], s[6:7], exec
	v_mov_b32_e32 v19, v4
.LBB126_17:                             ;   in Loop: Header=BB126_18 Depth=1
	s_or_b64 exec, exec, s[2:3]
	s_and_b64 s[2:3], exec, s[6:7]
	s_or_b64 s[86:87], s[2:3], s[86:87]
	s_andn2_b64 s[2:3], s[92:93], exec
	s_and_b64 s[4:5], s[46:47], exec
	s_or_b64 s[92:93], s[2:3], s[4:5]
	s_andn2_b64 s[2:3], s[64:65], exec
	s_and_b64 s[4:5], s[44:45], exec
	;; [unrolled: 3-line block ×5, first 2 shown]
	s_or_b64 s[88:89], s[2:3], s[4:5]
	s_andn2_b64 exec, exec, s[86:87]
	s_cbranch_execz .LBB126_488
.LBB126_18:                             ; =>This Loop Header: Depth=1
                                        ;     Child Loop BB126_23 Depth 2
                                        ;     Child Loop BB126_37 Depth 2
	;; [unrolled: 1-line block ×25, first 2 shown]
	ds_read_b128 v[4:7], v3 offset:5120
	s_waitcnt lgkmcnt(0)
	v_readfirstlane_b32 s3, v5
	v_readfirstlane_b32 s2, v4
	s_cmp_lg_u64 s[2:3], 0
	s_cbranch_scc1 .LBB126_50
; %bb.19:                               ;   in Loop: Header=BB126_18 Depth=1
	v_readlane_b32 s2, v47, 44
	v_readlane_b32 s3, v47, 45
	s_and_b64 vcc, exec, s[2:3]
	s_cbranch_vccz .LBB126_31
; %bb.20:                               ;   in Loop: Header=BB126_18 Depth=1
	s_mov_b64 s[2:3], 0xc01
	v_cmp_gt_u64_e32 vcc, s[2:3], v[6:7]
	s_mov_b64 s[2:3], 0
	s_mov_b64 s[6:7], 0
	s_cbranch_vccz .LBB126_32
; %bb.21:                               ;   in Loop: Header=BB126_18 Depth=1
	v_readlane_b32 s4, v47, 57
	v_readlane_b32 s5, v47, 58
	global_load_ubyte v6, v[12:13], off
	v_mov_b32_e32 v5, v1
	s_mov_b64 s[8:9], 0
	v_mov_b32_e32 v4, v0
	s_nop 0
	global_load_ushort v2, v3, s[4:5]
	s_branch .LBB126_23
.LBB126_22:                             ;   in Loop: Header=BB126_23 Depth=2
	s_or_b64 exec, exec, s[4:5]
	s_waitcnt vmcnt(0)
	v_mov_b32_e32 v6, v7
	s_andn2_b64 exec, exec, s[8:9]
	s_cbranch_execz .LBB126_105
.LBB126_23:                             ;   Parent Loop BB126_18 Depth=1
                                        ; =>  This Inner Loop Header: Depth=2
	s_waitcnt vmcnt(0)
	v_add_co_u32_sdwa v4, vcc, v4, v2 dst_sel:DWORD dst_unused:UNUSED_PAD src0_sel:DWORD src1_sel:WORD_0
	v_addc_co_u32_e32 v5, vcc, 0, v5, vcc
	v_cmp_gt_u64_e64 s[6:7], s[28:29], v[4:5]
	v_cmp_le_u64_e32 vcc, s[28:29], v[4:5]
	s_waitcnt lgkmcnt(0)
	v_mov_b32_e32 v8, 0
	v_mov_b32_e32 v7, 0
	s_and_saveexec_b64 s[4:5], s[6:7]
	s_cbranch_execz .LBB126_25
; %bb.24:                               ;   in Loop: Header=BB126_23 Depth=2
	v_mov_b32_e32 v9, s34
	v_mov_b32_e32 v10, s35
	v_mad_u64_u32 v[9:10], s[6:7], v4, s26, v[9:10]
	v_mul_lo_u32 v7, v4, s27
	v_mul_lo_u32 v11, v5, s26
	v_add3_u32 v10, v11, v10, v7
	global_load_ubyte v7, v[9:10], off
.LBB126_25:                             ;   in Loop: Header=BB126_23 Depth=2
	s_or_b64 exec, exec, s[4:5]
	v_and_b32_e32 v9, v6, v32
	v_cmp_eq_u32_sdwa s[10:11], v9, v28 src0_sel:BYTE_0 src1_sel:DWORD
	s_cmp_lg_u64 s[10:11], 0
	s_cselect_b64 s[4:5], -1, 0
	s_and_b64 s[4:5], s[0:1], s[4:5]
	s_and_saveexec_b64 s[12:13], s[4:5]
	s_cbranch_execz .LBB126_29
; %bb.26:                               ;   in Loop: Header=BB126_23 Depth=2
	s_mov_b64 s[14:15], exec
	v_mbcnt_lo_u32_b32 v8, s14, 0
	v_mbcnt_hi_u32_b32 v8, s15, v8
	s_bcnt1_i32_b64 s16, s[10:11]
	v_cmp_eq_u32_e64 s[6:7], 0, v8
                                        ; implicit-def: $vgpr9
	s_and_saveexec_b64 s[4:5], s[6:7]
; %bb.27:                               ;   in Loop: Header=BB126_23 Depth=2
	s_bcnt1_i32_b64 s6, s[14:15]
	s_mul_i32 s6, s16, s6
	v_mov_b32_e32 v9, s6
	ds_add_rtn_u32 v9, v3, v9 offset:5144
; %bb.28:                               ;   in Loop: Header=BB126_23 Depth=2
	s_or_b64 exec, exec, s[4:5]
	s_waitcnt lgkmcnt(0)
	v_readfirstlane_b32 s4, v9
	v_mov_b32_e32 v9, s4
	v_mad_u32_u24 v8, s16, v8, v9
.LBB126_29:                             ;   in Loop: Header=BB126_23 Depth=2
	s_or_b64 exec, exec, s[12:13]
	ds_bpermute_b32 v8, v23, v8
	s_and_b64 s[4:5], exec, vcc
	s_or_b64 s[8:9], s[4:5], s[8:9]
	s_and_saveexec_b64 s[4:5], s[10:11]
	s_cbranch_execz .LBB126_22
; %bb.30:                               ;   in Loop: Header=BB126_23 Depth=2
	v_and_b32_e32 v10, s10, v25
	v_and_b32_e32 v9, s11, v24
	v_bcnt_u32_b32 v10, v10, 0
	v_bcnt_u32_b32 v9, v9, v10
	s_waitcnt lgkmcnt(0)
	v_add_u32_e32 v8, v8, v9
	ds_write_b8 v8, v6
	s_branch .LBB126_22
.LBB126_31:                             ;   in Loop: Header=BB126_18 Depth=1
	s_mov_b64 s[2:3], -1
	s_mov_b64 s[6:7], 0
.LBB126_32:                             ;   in Loop: Header=BB126_18 Depth=1
	s_and_b64 vcc, exec, s[2:3]
	s_cbranch_vccz .LBB126_48
.LBB126_33:                             ;   in Loop: Header=BB126_18 Depth=1
	s_mov_b64 s[2:3], exec
	v_readlane_b32 s4, v47, 46
	v_readlane_b32 s5, v47, 47
	s_and_b64 s[4:5], s[2:3], s[4:5]
	s_mov_b64 exec, s[4:5]
	s_cbranch_execz .LBB126_45
; %bb.34:                               ;   in Loop: Header=BB126_18 Depth=1
	v_readlane_b32 s4, v47, 57
	v_readlane_b32 s5, v47, 58
	s_nop 4
	global_load_ushort v2, v3, s[4:5]
	global_load_ubyte v34, v[12:13], off
	v_mov_b32_e32 v4, v0
	s_waitcnt vmcnt(1)
	v_readfirstlane_b32 s4, v2
	v_add_u32_sdwa v2, v2, v0 dst_sel:DWORD dst_unused:UNUSED_PAD src0_sel:WORD_0 src1_sel:DWORD
	v_cmp_gt_u64_e32 vcc, s[28:29], v[2:3]
	s_and_saveexec_b64 s[8:9], vcc
	s_cbranch_execz .LBB126_44
; %bb.35:                               ;   in Loop: Header=BB126_18 Depth=1
	s_and_b32 s4, s4, 0xffff
	s_cmp_eq_u32 s4, 1
	v_readlane_b32 s10, v47, 59
                                        ; implicit-def: $vgpr4_vgpr5
	s_cselect_b64 s[6:7], -1, 0
	v_readlane_b32 s11, v47, 60
	v_mov_b32_e32 v8, v1
	v_mov_b32_e32 v6, v3
	s_and_b64 s[10:11], s[10:11], s[6:7]
	s_mov_b64 s[12:13], -1
	v_mov_b32_e32 v7, v0
	v_mov_b32_e32 v5, v2
	s_and_saveexec_b64 s[6:7], s[10:11]
	s_cbranch_execz .LBB126_39
; %bb.36:                               ;   in Loop: Header=BB126_18 Depth=1
	v_add_co_u32_e32 v8, vcc, 3, v2
	v_addc_co_u32_e64 v9, s[10:11], 0, 0, vcc
	v_add_co_u32_e32 v6, vcc, 2, v2
	v_addc_co_u32_e64 v7, s[10:11], 0, 0, vcc
	;; [unrolled: 2-line block ×3, first 2 shown]
	v_mov_b32_e32 v22, v17
	v_mov_b32_e32 v11, v9
	s_waitcnt vmcnt(0)
	v_lshlrev_b32_e32 v36, 24, v34
	s_mov_b64 s[10:11], 0
	v_mov_b32_e32 v21, v16
	v_mov_b32_e32 v35, v0
	;; [unrolled: 1-line block ×9, first 2 shown]
.LBB126_37:                             ;   Parent Loop BB126_18 Depth=1
                                        ; =>  This Inner Loop Header: Depth=2
	v_mul_lo_u32 v34, v9, s75
	v_mul_lo_u32 v39, v8, s73
	v_mad_u64_u32 v[37:38], s[12:13], v8, s75, 0
	v_mul_lo_u32 v40, v7, s26
	v_mul_lo_u32 v41, v6, s27
	v_add3_u32 v34, v38, v39, v34
	v_mad_u64_u32 v[38:39], s[12:13], v6, s26, 0
	v_mul_lo_u32 v43, v4, s79
	v_mul_lo_u32 v45, v11, s82
	v_add3_u32 v42, v39, v41, v40
	v_mul_lo_u32 v41, v5, s74
	v_mad_u64_u32 v[39:40], s[12:13], v4, s74, 0
	s_mov_b32 s5, 0xc0c0007
	v_add3_u32 v40, v40, v43, v41
	v_add_co_u32_e32 v39, vcc, s34, v39
	v_mov_b32_e32 v41, s35
	v_addc_co_u32_e32 v40, vcc, v41, v40, vcc
	v_add_co_u32_e32 v41, vcc, s34, v38
	v_mov_b32_e32 v38, s35
	v_addc_co_u32_e32 v42, vcc, v38, v42, vcc
	v_mov_b32_e32 v44, s35
	v_add_co_u32_e32 v37, vcc, s34, v37
	v_mov_b32_e32 v43, s34
	v_addc_co_u32_e32 v38, vcc, v38, v34, vcc
	v_mad_u64_u32 v[43:44], s[12:13], v10, s82, v[43:44]
	v_mul_lo_u32 v34, v10, s78
	v_add_co_u32_e32 v10, vcc, 4, v10
	v_addc_co_u32_e32 v11, vcc, 0, v11, vcc
	v_add3_u32 v44, v45, v44, v34
	global_load_ubyte v34, v[43:44], off
	s_nop 0
	global_load_ubyte v41, v[41:42], off
	s_nop 0
	global_load_ubyte v39, v[39:40], off
	v_add_co_u32_e32 v8, vcc, 4, v8
	global_load_ubyte v37, v[37:38], off
	v_addc_co_u32_e32 v9, vcc, 0, v9, vcc
	v_add_co_u32_e32 v6, vcc, 4, v6
	v_addc_co_u32_e32 v7, vcc, 0, v7, vcc
	v_add_co_u32_e32 v4, vcc, 4, v4
	v_addc_co_u32_e32 v5, vcc, 0, v5, vcc
	v_add_co_u32_e32 v21, vcc, -4, v21
	v_addc_co_u32_e32 v22, vcc, -1, v22, vcc
	v_cmp_eq_u64_e32 vcc, 0, v[21:22]
	s_or_b64 s[10:11], vcc, s[10:11]
	s_waitcnt vmcnt(1)
	v_perm_b32 v40, v39, v41, s17
	v_perm_b32 v36, v36, v39, s5
	s_waitcnt vmcnt(0)
	v_perm_b32 v38, v37, v34, s17
	v_perm_b32 v37, v41, v37, s17
	v_lshl_or_b32 v38, v38, 16, v40
	v_lshl_or_b32 v36, v37, 16, v36
	ds_write_b32 v35, v36
	v_add_u32_e32 v35, 4, v35
	v_mov_b32_e32 v36, v38
	s_andn2_b64 exec, exec, s[10:11]
	s_cbranch_execnz .LBB126_37
; %bb.38:                               ;   in Loop: Header=BB126_18 Depth=1
	s_or_b64 exec, exec, s[10:11]
	v_readlane_b32 s10, v46, 3
	v_add_co_u32_e32 v5, vcc, v2, v16
	v_readlane_b32 s11, v46, 4
	v_addc_co_u32_e32 v6, vcc, 0, v17, vcc
	v_add_co_u32_e32 v4, vcc, -1, v5
	s_orn2_b64 s[12:13], s[10:11], exec
	v_mov_b32_e32 v7, v18
	v_mov_b32_e32 v8, v19
.LBB126_39:                             ;   in Loop: Header=BB126_18 Depth=1
	s_or_b64 exec, exec, s[6:7]
	s_and_saveexec_b64 s[10:11], s[12:13]
	s_cbranch_execz .LBB126_43
; %bb.40:                               ;   in Loop: Header=BB126_18 Depth=1
	s_mov_b64 s[12:13], 0
	s_sub_u32 s5, 0, s4
.LBB126_41:                             ;   Parent Loop BB126_18 Depth=1
                                        ; =>  This Inner Loop Header: Depth=2
	v_mov_b32_e32 v9, v6
	v_mov_b32_e32 v8, v5
	;; [unrolled: 1-line block ×4, first 2 shown]
	v_mad_u64_u32 v[4:5], s[6:7], v8, s26, v[4:5]
	v_mul_lo_u32 v2, v8, s27
	v_mul_lo_u32 v6, v9, s26
	s_waitcnt vmcnt(0)
	ds_write_b8 v7, v34
	v_add3_u32 v5, v6, v5, v2
	global_load_ubyte v2, v[4:5], off
	v_add_co_u32_e32 v5, vcc, s4, v8
	v_addc_co_u32_e32 v6, vcc, 0, v9, vcc
	v_cmp_le_u64_e32 vcc, s[28:29], v[5:6]
	v_mov_b32_e32 v7, v8
	v_add_co_u32_e64 v4, s[6:7], s5, v5
	s_or_b64 s[12:13], vcc, s[12:13]
	v_mov_b32_e32 v8, v9
	s_waitcnt vmcnt(0)
	v_mov_b32_e32 v34, v2
	s_andn2_b64 exec, exec, s[12:13]
	s_cbranch_execnz .LBB126_41
; %bb.42:                               ;   in Loop: Header=BB126_18 Depth=1
	s_or_b64 exec, exec, s[12:13]
	v_mov_b32_e32 v34, v2
.LBB126_43:                             ;   in Loop: Header=BB126_18 Depth=1
	s_or_b64 exec, exec, s[10:11]
.LBB126_44:                             ;   in Loop: Header=BB126_18 Depth=1
	s_or_b64 exec, exec, s[8:9]
	s_waitcnt vmcnt(0)
	ds_write_b8 v4, v34
.LBB126_45:                             ;   in Loop: Header=BB126_18 Depth=1
	s_or_b64 exec, exec, s[2:3]
	s_waitcnt lgkmcnt(0)
	s_barrier
	s_mov_b64 s[2:3], exec
	v_readlane_b32 s4, v47, 32
	v_readlane_b32 s5, v47, 33
	s_and_b64 s[4:5], s[2:3], s[4:5]
	s_mov_b64 exec, s[4:5]
; %bb.46:                               ;   in Loop: Header=BB126_18 Depth=1
	v_mov_b32_e32 v4, s28
	v_mov_b32_e32 v5, s29
	ds_write_b64 v3, v[4:5] offset:5120
; %bb.47:                               ;   in Loop: Header=BB126_18 Depth=1
	s_or_b64 exec, exec, s[2:3]
	s_mov_b64 s[6:7], -1
	s_waitcnt lgkmcnt(0)
	s_barrier
.LBB126_48:                             ;   in Loop: Header=BB126_18 Depth=1
	s_mov_b64 s[2:3], 0
	s_and_b64 vcc, exec, s[6:7]
	s_cbranch_vccz .LBB126_50
; %bb.49:                               ;   in Loop: Header=BB126_18 Depth=1
	ds_read_b64 v[4:5], v3 offset:5120
	s_waitcnt lgkmcnt(0)
	v_readfirstlane_b32 s2, v4
.LBB126_50:                             ;   in Loop: Header=BB126_18 Depth=1
	s_cmp_lt_i32 s2, 1
	s_mov_b64 s[6:7], -1
                                        ; implicit-def: $vgpr10_vgpr11
                                        ; implicit-def: $vgpr6_vgpr7
	s_cbranch_scc0 .LBB126_65
; %bb.51:                               ;   in Loop: Header=BB126_18 Depth=1
	v_readlane_b32 s4, v47, 57
	v_readlane_b32 s5, v47, 58
	s_nop 4
	global_load_ushort v2, v3, s[4:5]
	s_mov_b32 s4, s71
	s_mov_b32 s5, s29
	s_waitcnt vmcnt(0)
	v_readfirstlane_b32 s3, v2
	s_and_b32 s3, 0xffff, s3
	s_lshl_b32 s3, s3, 2
	s_cmp_lg_u64 s[4:5], 0
	s_cbranch_scc0 .LBB126_83
; %bb.52:                               ;   in Loop: Header=BB126_18 Depth=1
	v_cvt_f32_u32_e32 v4, s3
	s_sub_u32 s6, 0, s3
	s_subb_u32 s7, 0, 0
	v_mac_f32_e32 v4, 0, v30
	v_rcp_f32_e32 v4, v4
	v_mul_f32_e32 v4, 0x5f7ffffc, v4
	v_mul_f32_e32 v5, 0x2f800000, v4
	v_trunc_f32_e32 v5, v5
	v_mac_f32_e32 v4, 0xcf800000, v5
	v_cvt_u32_f32_e32 v5, v5
	v_cvt_u32_f32_e32 v4, v4
	v_readfirstlane_b32 s8, v5
	v_readfirstlane_b32 s4, v4
	s_mul_i32 s5, s6, s8
	s_mul_hi_u32 s10, s6, s4
	s_mul_i32 s9, s7, s4
	s_add_i32 s5, s10, s5
	s_mul_i32 s11, s6, s4
	s_add_i32 s5, s5, s9
	s_mul_hi_u32 s10, s4, s11
	s_mul_i32 s12, s4, s5
	s_mul_hi_u32 s9, s4, s5
	s_add_u32 s10, s10, s12
	s_addc_u32 s9, 0, s9
	s_mul_hi_u32 s13, s8, s11
	s_mul_i32 s11, s8, s11
	s_add_u32 s10, s10, s11
	s_mul_hi_u32 s12, s8, s5
	s_addc_u32 s9, s9, s13
	s_addc_u32 s10, s12, 0
	s_mul_i32 s5, s8, s5
	s_add_u32 s5, s9, s5
	s_addc_u32 s9, 0, s10
	s_add_u32 s10, s4, s5
	s_cselect_b64 s[4:5], -1, 0
	s_cmp_lg_u64 s[4:5], 0
	s_addc_u32 s8, s8, s9
	s_mul_i32 s4, s6, s8
	s_mul_hi_u32 s5, s6, s10
	s_add_i32 s4, s5, s4
	s_mul_i32 s7, s7, s10
	s_add_i32 s4, s4, s7
	s_mul_i32 s6, s6, s10
	s_mul_hi_u32 s7, s8, s6
	s_mul_i32 s9, s8, s6
	s_mul_i32 s12, s10, s4
	s_mul_hi_u32 s6, s10, s6
	s_mul_hi_u32 s11, s10, s4
	s_add_u32 s6, s6, s12
	s_addc_u32 s11, 0, s11
	s_add_u32 s6, s6, s9
	s_mul_hi_u32 s5, s8, s4
	s_addc_u32 s6, s11, s7
	s_addc_u32 s5, s5, 0
	s_mul_i32 s4, s8, s4
	s_add_u32 s4, s6, s4
	s_addc_u32 s6, 0, s5
	s_add_u32 s7, s10, s4
	s_cselect_b64 s[4:5], -1, 0
	s_cmp_lg_u64 s[4:5], 0
	s_addc_u32 s4, s8, s6
	s_mul_i32 s6, s28, s4
	s_mul_hi_u32 s8, s28, s7
	s_mul_hi_u32 s5, s28, s4
	s_add_u32 s6, s8, s6
	s_addc_u32 s5, 0, s5
	s_mul_hi_u32 s9, s29, s7
	s_mul_i32 s7, s29, s7
	s_add_u32 s6, s6, s7
	s_mul_hi_u32 s8, s29, s4
	s_addc_u32 s5, s5, s9
	s_addc_u32 s6, s8, 0
	s_mul_i32 s4, s29, s4
	s_add_u32 s4, s5, s4
	s_addc_u32 s5, 0, s6
	s_mul_i32 s5, s3, s5
	s_mul_hi_u32 s6, s3, s4
	s_add_i32 s6, s6, s5
	s_mul_i32 s4, s3, s4
	s_sub_u32 s8, s28, s4
	s_cselect_b64 s[4:5], -1, 0
	s_cmp_lg_u64 s[4:5], 0
	s_subb_u32 s6, s29, s6
	s_sub_u32 s7, s8, s3
	s_cselect_b64 s[4:5], -1, 0
	s_cmp_lg_u64 s[4:5], 0
	s_subb_u32 s9, s6, 0
	;; [unrolled: 4-line block ×3, first 2 shown]
	s_cmp_ge_u32 s7, s3
	s_cselect_b32 s5, -1, 0
	s_cmp_eq_u32 s9, 0
	s_cselect_b32 s5, s5, -1
	s_cmp_lg_u32 s5, 0
	s_cselect_b32 s4, s4, s9
	s_cselect_b32 s5, s10, s7
	s_cmp_ge_u32 s8, s3
	s_cselect_b32 s7, -1, 0
	s_cmp_eq_u32 s6, 0
	s_cselect_b32 s7, s7, -1
	s_cmp_lg_u32 s7, 0
	s_cselect_b32 s7, s4, s6
	s_cselect_b32 s6, s5, s8
	s_cbranch_execnz .LBB126_54
.LBB126_53:                             ;   in Loop: Header=BB126_18 Depth=1
	v_cvt_f32_u32_e32 v4, s3
	s_sub_i32 s4, 0, s3
	v_rcp_iflag_f32_e32 v4, v4
	v_mul_f32_e32 v4, 0x4f7ffffe, v4
	v_cvt_u32_f32_e32 v4, v4
	v_readfirstlane_b32 s5, v4
	s_mul_i32 s4, s4, s5
	s_mul_hi_u32 s4, s5, s4
	s_add_i32 s5, s5, s4
	s_mul_hi_u32 s4, s28, s5
	s_mul_i32 s4, s4, s3
	s_sub_i32 s4, s28, s4
	s_sub_i32 s5, s4, s3
	s_cmp_ge_u32 s4, s3
	s_cselect_b32 s4, s5, s4
	s_sub_i32 s5, s4, s3
	s_cmp_ge_u32 s4, s3
	s_cselect_b32 s70, s5, s4
	s_mov_b64 s[6:7], s[70:71]
.LBB126_54:                             ;   in Loop: Header=BB126_18 Depth=1
	s_sub_u32 s14, s28, s6
	s_subb_u32 s15, s29, s7
	v_cmp_gt_u64_e32 vcc, s[14:15], v[14:15]
	v_mov_b32_e32 v4, 0
	v_mov_b32_e32 v6, 0
	v_mov_b32_e32 v8, 0
	v_mov_b32_e32 v10, 0
	v_mov_b32_e32 v5, 0
	v_mov_b32_e32 v7, 0
	v_mov_b32_e32 v9, 0
	v_mov_b32_e32 v11, 0
	s_and_saveexec_b64 s[16:17], vcc
	s_cbranch_execz .LBB126_58
; %bb.55:                               ;   in Loop: Header=BB126_18 Depth=1
	v_mov_b32_e32 v22, v15
	s_mov_b64 s[36:37], 0
	s_mov_b64 s[38:39], 0
	s_mov_b64 s[40:41], 0
	s_mov_b64 s[42:43], 0
	s_mov_b64 s[48:49], 0
	v_mov_b32_e32 v21, v14
.LBB126_56:                             ;   Parent Loop BB126_18 Depth=1
                                        ; =>  This Inner Loop Header: Depth=2
	v_mov_b32_e32 v4, s34
	v_mov_b32_e32 v5, s35
	v_mad_u64_u32 v[4:5], s[4:5], v21, s26, v[4:5]
	v_mul_lo_u32 v6, v21, s27
	v_mul_lo_u32 v7, v22, s26
	v_mov_b32_e32 v8, s27
	v_mov_b32_e32 v9, s27
	v_add3_u32 v5, v7, v5, v6
	global_load_ubyte v6, v[4:5], off
	v_add_co_u32_e32 v4, vcc, s26, v4
	v_mov_b32_e32 v7, s27
	v_addc_co_u32_e32 v5, vcc, v5, v7, vcc
	global_load_ubyte v7, v[4:5], off
	v_add_co_u32_e32 v4, vcc, s26, v4
	v_addc_co_u32_e32 v5, vcc, v5, v8, vcc
	global_load_ubyte v8, v[4:5], off
	v_add_co_u32_e32 v4, vcc, s26, v4
	v_addc_co_u32_e32 v5, vcc, v5, v9, vcc
	global_load_ubyte v4, v[4:5], off
	s_waitcnt vmcnt(3)
	v_and_b32_e32 v5, v32, v6
	v_cmp_eq_u32_e32 vcc, v5, v28
	s_waitcnt vmcnt(2)
	v_and_b32_e32 v5, v32, v7
	v_cmp_eq_u32_e64 s[6:7], v5, v28
	s_waitcnt vmcnt(1)
	v_and_b32_e32 v5, v32, v8
	v_cmp_eq_u32_e64 s[18:19], v5, v28
	s_waitcnt vmcnt(0)
	v_and_b32_e32 v5, v32, v4
	v_cmp_eq_u32_e64 s[22:23], v5, v28
	v_bfe_u32 v5, v6, s81, 2
	v_bfe_u32 v6, v7, s81, 2
	v_cmp_eq_u32_e64 s[24:25], 0, v5
	v_bfe_u32 v7, v8, s81, 2
	s_and_b64 s[4:5], vcc, s[24:25]
	v_cmp_eq_u32_e64 s[24:25], 0, v6
	v_bfe_u32 v4, v4, s81, 2
	s_and_b64 s[8:9], s[6:7], s[24:25]
	v_cmp_eq_u32_e64 s[24:25], 0, v7
	s_and_b64 s[10:11], s[18:19], s[24:25]
	v_cmp_eq_u32_e64 s[24:25], 0, v4
	v_cndmask_b32_e64 v8, 0, 1, s[4:5]
	s_and_b64 s[12:13], s[22:23], s[24:25]
	v_cmp_ne_u32_e64 s[24:25], 0, v8
	v_cndmask_b32_e64 v8, 0, 1, s[8:9]
	s_bcnt1_i32_b64 s4, s[24:25]
	v_cmp_ne_u32_e64 s[24:25], 0, v8
	v_cndmask_b32_e64 v8, 0, 1, s[10:11]
	s_bcnt1_i32_b64 s5, s[24:25]
	;; [unrolled: 3-line block ×3, first 2 shown]
	v_cmp_ne_u32_e64 s[24:25], 0, v8
	s_bcnt1_i32_b64 s9, s[24:25]
	s_add_u32 s4, s4, s48
	s_addc_u32 s10, 0, s49
	s_add_u32 s4, s4, s5
	s_addc_u32 s5, s10, 0
	;; [unrolled: 2-line block ×3, first 2 shown]
	s_add_u32 s48, s4, s9
	v_cmp_eq_u32_e64 s[24:25], 1, v5
	s_addc_u32 s49, s5, 0
	s_and_b64 s[4:5], vcc, s[24:25]
	v_cmp_eq_u32_e64 s[24:25], 1, v6
	s_and_b64 s[8:9], s[6:7], s[24:25]
	v_cmp_eq_u32_e64 s[24:25], 1, v7
	s_and_b64 s[10:11], s[18:19], s[24:25]
	v_cmp_eq_u32_e64 s[24:25], 1, v4
	v_cndmask_b32_e64 v8, 0, 1, s[4:5]
	s_and_b64 s[12:13], s[22:23], s[24:25]
	v_cmp_ne_u32_e64 s[24:25], 0, v8
	v_cndmask_b32_e64 v8, 0, 1, s[8:9]
	s_bcnt1_i32_b64 s4, s[24:25]
	v_cmp_ne_u32_e64 s[24:25], 0, v8
	v_cndmask_b32_e64 v8, 0, 1, s[10:11]
	s_bcnt1_i32_b64 s5, s[24:25]
	v_cmp_ne_u32_e64 s[24:25], 0, v8
	v_cndmask_b32_e64 v8, 0, 1, s[12:13]
	s_bcnt1_i32_b64 s8, s[24:25]
	v_cmp_ne_u32_e64 s[24:25], 0, v8
	s_bcnt1_i32_b64 s9, s[24:25]
	s_add_u32 s4, s4, s42
	s_addc_u32 s10, 0, s43
	s_add_u32 s4, s4, s5
	s_addc_u32 s5, s10, 0
	;; [unrolled: 2-line block ×3, first 2 shown]
	s_add_u32 s42, s4, s9
	v_cmp_eq_u32_e64 s[24:25], 2, v5
	s_addc_u32 s43, s5, 0
	s_and_b64 s[4:5], vcc, s[24:25]
	v_cmp_eq_u32_e64 s[24:25], 2, v6
	s_and_b64 s[8:9], s[6:7], s[24:25]
	v_cmp_eq_u32_e64 s[24:25], 2, v7
	s_and_b64 s[10:11], s[18:19], s[24:25]
	v_cmp_eq_u32_e64 s[24:25], 2, v4
	v_cndmask_b32_e64 v8, 0, 1, s[4:5]
	s_and_b64 s[12:13], s[22:23], s[24:25]
	v_cmp_ne_u32_e64 s[24:25], 0, v8
	v_cndmask_b32_e64 v8, 0, 1, s[8:9]
	s_bcnt1_i32_b64 s4, s[24:25]
	v_cmp_ne_u32_e64 s[24:25], 0, v8
	v_cndmask_b32_e64 v8, 0, 1, s[10:11]
	s_bcnt1_i32_b64 s5, s[24:25]
	;; [unrolled: 3-line block ×3, first 2 shown]
	v_cmp_ne_u32_e64 s[24:25], 0, v8
	s_bcnt1_i32_b64 s9, s[24:25]
	s_add_u32 s4, s4, s40
	s_addc_u32 s10, 0, s41
	s_add_u32 s4, s4, s5
	s_addc_u32 s5, s10, 0
	;; [unrolled: 2-line block ×3, first 2 shown]
	s_add_u32 s40, s4, s9
	v_cmp_eq_u32_e64 s[24:25], 3, v5
	s_addc_u32 s41, s5, 0
	s_and_b64 s[4:5], vcc, s[24:25]
	v_cmp_eq_u32_e32 vcc, 3, v6
	s_and_b64 s[6:7], s[6:7], vcc
	v_cmp_eq_u32_e32 vcc, 3, v7
	s_and_b64 s[8:9], s[18:19], vcc
	v_cmp_eq_u32_e32 vcc, 3, v4
	v_cndmask_b32_e64 v4, 0, 1, s[4:5]
	s_and_b64 s[10:11], s[22:23], vcc
	v_cmp_ne_u32_e32 vcc, 0, v4
	v_cndmask_b32_e64 v4, 0, 1, s[6:7]
	s_bcnt1_i32_b64 s4, vcc
	v_cmp_ne_u32_e32 vcc, 0, v4
	v_cndmask_b32_e64 v4, 0, 1, s[8:9]
	s_bcnt1_i32_b64 s5, vcc
	;; [unrolled: 3-line block ×3, first 2 shown]
	v_cmp_ne_u32_e32 vcc, 0, v4
	s_bcnt1_i32_b64 s7, vcc
	s_add_u32 s4, s4, s38
	s_addc_u32 s8, 0, s39
	s_add_u32 s4, s4, s5
	s_addc_u32 s5, s8, 0
	s_add_u32 s4, s4, s6
	v_add_co_u32_e32 v21, vcc, s3, v21
	s_addc_u32 s5, s5, 0
	v_addc_co_u32_e32 v22, vcc, 0, v22, vcc
	s_add_u32 s38, s4, s7
	v_cmp_le_u64_e32 vcc, s[14:15], v[21:22]
	s_addc_u32 s39, s5, 0
	v_mov_b32_e32 v4, s48
	v_mov_b32_e32 v6, s42
	;; [unrolled: 1-line block ×4, first 2 shown]
	s_or_b64 s[36:37], vcc, s[36:37]
	v_mov_b32_e32 v5, s49
	v_mov_b32_e32 v7, s43
	;; [unrolled: 1-line block ×4, first 2 shown]
	s_andn2_b64 exec, exec, s[36:37]
	s_cbranch_execnz .LBB126_56
; %bb.57:                               ;   in Loop: Header=BB126_18 Depth=1
	s_or_b64 exec, exec, s[36:37]
.LBB126_58:                             ;   in Loop: Header=BB126_18 Depth=1
	s_or_b64 exec, exec, s[16:17]
	v_mov_b32_e32 v22, s15
	v_add_co_u32_e32 v21, vcc, s14, v0
	v_addc_co_u32_e32 v22, vcc, 0, v22, vcc
	v_cmp_gt_u64_e32 vcc, s[28:29], v[21:22]
	s_and_saveexec_b64 s[8:9], vcc
	s_cbranch_execz .LBB126_64
; %bb.59:                               ;   in Loop: Header=BB126_18 Depth=1
	v_mov_b32_e32 v34, s34
	v_mov_b32_e32 v35, s35
	v_mad_u64_u32 v[34:35], s[4:5], v21, s26, v[34:35]
	v_mul_lo_u32 v36, v21, s27
	v_mul_lo_u32 v37, v22, s26
	s_mov_b64 s[10:11], 0
	v_add3_u32 v35, v37, v35, v36
	global_load_ubyte v35, v[34:35], off
	s_branch .LBB126_61
.LBB126_60:                             ;   in Loop: Header=BB126_61 Depth=2
	s_or_b64 exec, exec, s[4:5]
	s_waitcnt vmcnt(0)
	v_and_b32_e32 v35, 0xff, v35
	s_and_b64 s[4:5], exec, vcc
	v_and_b32_e32 v36, v32, v35
	v_bfe_u32 v35, v35, s81, 2
	s_or_b64 s[10:11], s[4:5], s[10:11]
	v_cmp_eq_u32_e32 vcc, v36, v28
	v_cmp_eq_u32_e64 s[6:7], 0, v35
	s_and_b64 s[4:5], vcc, s[6:7]
	v_cndmask_b32_e64 v36, 0, 1, s[4:5]
	v_cmp_ne_u32_e64 s[6:7], 0, v36
	s_bcnt1_i32_b64 s3, s[6:7]
	v_add_co_u32_e64 v4, s[6:7], s3, v4
	v_addc_co_u32_e64 v5, s[6:7], 0, v5, s[6:7]
	v_cmp_eq_u32_e64 s[6:7], 1, v35
	s_and_b64 s[4:5], vcc, s[6:7]
	v_cndmask_b32_e64 v36, 0, 1, s[4:5]
	v_cmp_ne_u32_e64 s[6:7], 0, v36
	s_bcnt1_i32_b64 s3, s[6:7]
	v_add_co_u32_e64 v6, s[6:7], s3, v6
	v_addc_co_u32_e64 v7, s[6:7], 0, v7, s[6:7]
	;; [unrolled: 7-line block ×3, first 2 shown]
	v_cmp_eq_u32_e64 s[6:7], 3, v35
	s_and_b64 s[4:5], vcc, s[6:7]
	v_cndmask_b32_e64 v35, 0, 1, s[4:5]
	v_cmp_ne_u32_e32 vcc, 0, v35
	s_bcnt1_i32_b64 s3, vcc
	v_add_co_u32_e32 v10, vcc, s3, v10
	v_addc_co_u32_e32 v11, vcc, 0, v11, vcc
	v_mov_b32_e32 v35, v34
	s_andn2_b64 exec, exec, s[10:11]
	s_cbranch_execz .LBB126_63
.LBB126_61:                             ;   Parent Loop BB126_18 Depth=1
                                        ; =>  This Inner Loop Header: Depth=2
	v_add_co_u32_sdwa v21, vcc, v21, v2 dst_sel:DWORD dst_unused:UNUSED_PAD src0_sel:DWORD src1_sel:WORD_0
	v_addc_co_u32_e32 v22, vcc, 0, v22, vcc
	v_cmp_gt_u64_e64 s[6:7], s[28:29], v[21:22]
	v_cmp_le_u64_e32 vcc, s[28:29], v[21:22]
	v_mov_b32_e32 v34, 0
	s_and_saveexec_b64 s[4:5], s[6:7]
	s_cbranch_execz .LBB126_60
; %bb.62:                               ;   in Loop: Header=BB126_61 Depth=2
	v_mov_b32_e32 v37, s35
	v_mov_b32_e32 v36, s34
	v_mad_u64_u32 v[36:37], s[6:7], v21, s26, v[36:37]
	v_mul_lo_u32 v34, v21, s27
	v_mul_lo_u32 v38, v22, s26
	v_add3_u32 v37, v38, v37, v34
	global_load_ubyte v34, v[36:37], off
	s_branch .LBB126_60
.LBB126_63:                             ;   in Loop: Header=BB126_18 Depth=1
	s_or_b64 exec, exec, s[10:11]
.LBB126_64:                             ;   in Loop: Header=BB126_18 Depth=1
	s_or_b64 exec, exec, s[8:9]
	s_mov_b64 s[6:7], 0
.LBB126_65:                             ;   in Loop: Header=BB126_18 Depth=1
	s_and_b64 vcc, exec, s[6:7]
	s_cbranch_vccz .LBB126_75
; %bb.66:                               ;   in Loop: Header=BB126_18 Depth=1
	v_readlane_b32 s4, v47, 57
	v_readlane_b32 s5, v47, 58
	v_mov_b32_e32 v8, 0
	v_mov_b32_e32 v9, 0
	s_nop 2
	global_load_ushort v2, v3, s[4:5]
	s_waitcnt vmcnt(0)
	v_readfirstlane_b32 s3, v2
	s_and_b32 s4, 0xffff, s3
	s_lshl_b32 s3, s4, 2
	v_cvt_f32_u32_e32 v4, s3
	s_sub_i32 s5, 0, s3
	v_rcp_iflag_f32_e32 v6, v4
	v_mov_b32_e32 v4, 0
	v_mov_b32_e32 v5, 0
	v_mul_f32_e32 v6, 0x4f7ffffe, v6
	v_cvt_u32_f32_e32 v10, v6
	v_mov_b32_e32 v6, 0
	v_mov_b32_e32 v7, 0
	v_readfirstlane_b32 s6, v10
	s_mul_i32 s5, s5, s6
	s_mul_hi_u32 s5, s6, s5
	s_add_i32 s6, s6, s5
	s_mul_hi_u32 s5, s2, s6
	s_mul_i32 s6, s5, s3
	s_sub_i32 s6, s2, s6
	s_add_i32 s7, s5, 1
	s_sub_i32 s8, s6, s3
	s_cmp_ge_u32 s6, s3
	s_cselect_b32 s5, s7, s5
	s_cselect_b32 s6, s8, s6
	s_add_i32 s7, s5, 1
	s_cmp_ge_u32 s6, s3
	s_cselect_b32 s5, s7, s5
	s_mul_hi_u32 s15, s4, s5
	s_mul_i32 s14, s4, s5
	s_lshl_b64 s[16:17], s[14:15], 2
	v_cmp_gt_u64_e32 vcc, s[16:17], v[14:15]
	v_mov_b32_e32 v10, 0
	v_mov_b32_e32 v11, 0
	s_and_saveexec_b64 s[36:37], vcc
	s_cbranch_execz .LBB126_70
; %bb.67:                               ;   in Loop: Header=BB126_18 Depth=1
	v_mov_b32_e32 v22, v15
	s_mov_b64 s[38:39], 0
	v_mov_b32_e32 v34, v14
	s_mov_b64 s[40:41], 0
	s_mov_b64 s[42:43], 0
	;; [unrolled: 1-line block ×4, first 2 shown]
	v_mov_b32_e32 v21, v14
.LBB126_68:                             ;   Parent Loop BB126_18 Depth=1
                                        ; =>  This Inner Loop Header: Depth=2
	ds_read_b32 v4, v34
	v_add_u32_e32 v34, s3, v34
	s_waitcnt lgkmcnt(0)
	v_and_b32_e32 v6, 0xff, v4
	v_bfe_u32 v7, v4, 8, 8
	v_and_b32_e32 v8, v32, v6
	v_bfe_u32 v6, v6, s81, 2
	v_lshrrev_b32_e32 v5, 24, v4
	v_bfe_u32 v4, v4, 16, 8
	v_cmp_eq_u32_e32 vcc, v8, v28
	v_and_b32_e32 v8, v32, v7
	v_bfe_u32 v7, v7, s81, 2
	v_cmp_eq_u32_e64 s[24:25], 0, v6
	v_cmp_eq_u32_e64 s[6:7], v8, v28
	v_and_b32_e32 v8, v32, v4
	v_bfe_u32 v4, v4, s81, 2
	s_and_b64 s[8:9], vcc, s[24:25]
	v_cmp_eq_u32_e64 s[24:25], 0, v7
	v_cmp_eq_u32_e64 s[18:19], v8, v28
	v_and_b32_e32 v8, v32, v5
	v_bfe_u32 v5, v5, s81, 2
	s_and_b64 s[10:11], s[6:7], s[24:25]
	v_cmp_eq_u32_e64 s[24:25], 0, v4
	v_cmp_eq_u32_e64 s[22:23], v8, v28
	s_and_b64 s[12:13], s[18:19], s[24:25]
	v_cmp_eq_u32_e64 s[24:25], 0, v5
	v_cndmask_b32_e64 v8, 0, 1, s[8:9]
	s_and_b64 s[20:21], s[22:23], s[24:25]
	v_cmp_ne_u32_e64 s[24:25], 0, v8
	v_cndmask_b32_e64 v8, 0, 1, s[10:11]
	s_bcnt1_i32_b64 s5, s[24:25]
	v_cmp_ne_u32_e64 s[24:25], 0, v8
	v_cndmask_b32_e64 v8, 0, 1, s[12:13]
	s_bcnt1_i32_b64 s8, s[24:25]
	;; [unrolled: 3-line block ×3, first 2 shown]
	v_cmp_ne_u32_e64 s[24:25], 0, v8
	s_bcnt1_i32_b64 s10, s[24:25]
	s_add_u32 s5, s5, s50
	s_addc_u32 s11, 0, s51
	s_add_u32 s5, s5, s8
	s_addc_u32 s8, s11, 0
	;; [unrolled: 2-line block ×3, first 2 shown]
	s_add_u32 s50, s5, s10
	v_cmp_eq_u32_e64 s[24:25], 1, v6
	s_addc_u32 s51, s8, 0
	s_and_b64 s[8:9], vcc, s[24:25]
	v_cmp_eq_u32_e64 s[24:25], 1, v7
	s_and_b64 s[10:11], s[6:7], s[24:25]
	v_cmp_eq_u32_e64 s[24:25], 1, v4
	s_and_b64 s[12:13], s[18:19], s[24:25]
	v_cmp_eq_u32_e64 s[24:25], 1, v5
	v_cndmask_b32_e64 v8, 0, 1, s[8:9]
	s_and_b64 s[20:21], s[22:23], s[24:25]
	v_cmp_ne_u32_e64 s[24:25], 0, v8
	v_cndmask_b32_e64 v8, 0, 1, s[10:11]
	s_bcnt1_i32_b64 s5, s[24:25]
	v_cmp_ne_u32_e64 s[24:25], 0, v8
	v_cndmask_b32_e64 v8, 0, 1, s[12:13]
	s_bcnt1_i32_b64 s8, s[24:25]
	;; [unrolled: 3-line block ×3, first 2 shown]
	v_cmp_ne_u32_e64 s[24:25], 0, v8
	s_bcnt1_i32_b64 s10, s[24:25]
	s_add_u32 s5, s5, s48
	s_addc_u32 s11, 0, s49
	s_add_u32 s5, s5, s8
	s_addc_u32 s8, s11, 0
	;; [unrolled: 2-line block ×3, first 2 shown]
	s_add_u32 s48, s5, s10
	v_cmp_eq_u32_e64 s[24:25], 2, v6
	s_addc_u32 s49, s8, 0
	s_and_b64 s[8:9], vcc, s[24:25]
	v_cmp_eq_u32_e64 s[24:25], 2, v7
	s_and_b64 s[10:11], s[6:7], s[24:25]
	v_cmp_eq_u32_e64 s[24:25], 2, v4
	s_and_b64 s[12:13], s[18:19], s[24:25]
	v_cmp_eq_u32_e64 s[24:25], 2, v5
	v_cndmask_b32_e64 v8, 0, 1, s[8:9]
	s_and_b64 s[20:21], s[22:23], s[24:25]
	v_cmp_ne_u32_e64 s[24:25], 0, v8
	v_cndmask_b32_e64 v8, 0, 1, s[10:11]
	s_bcnt1_i32_b64 s5, s[24:25]
	v_cmp_ne_u32_e64 s[24:25], 0, v8
	v_cndmask_b32_e64 v8, 0, 1, s[12:13]
	s_bcnt1_i32_b64 s8, s[24:25]
	;; [unrolled: 3-line block ×3, first 2 shown]
	v_cmp_ne_u32_e64 s[24:25], 0, v8
	s_bcnt1_i32_b64 s10, s[24:25]
	s_add_u32 s5, s5, s42
	s_addc_u32 s11, 0, s43
	s_add_u32 s5, s5, s8
	s_addc_u32 s8, s11, 0
	;; [unrolled: 2-line block ×3, first 2 shown]
	s_add_u32 s42, s5, s10
	v_cmp_eq_u32_e64 s[24:25], 3, v6
	s_addc_u32 s43, s8, 0
	s_and_b64 s[8:9], vcc, s[24:25]
	v_cmp_eq_u32_e32 vcc, 3, v7
	s_and_b64 s[6:7], s[6:7], vcc
	v_cmp_eq_u32_e32 vcc, 3, v4
	s_and_b64 s[10:11], s[18:19], vcc
	v_cmp_eq_u32_e32 vcc, 3, v5
	v_cndmask_b32_e64 v4, 0, 1, s[8:9]
	s_and_b64 s[12:13], s[22:23], vcc
	v_cmp_ne_u32_e32 vcc, 0, v4
	v_cndmask_b32_e64 v4, 0, 1, s[6:7]
	s_bcnt1_i32_b64 s5, vcc
	v_cmp_ne_u32_e32 vcc, 0, v4
	v_cndmask_b32_e64 v4, 0, 1, s[10:11]
	s_bcnt1_i32_b64 s6, vcc
	;; [unrolled: 3-line block ×3, first 2 shown]
	v_cmp_ne_u32_e32 vcc, 0, v4
	s_bcnt1_i32_b64 s8, vcc
	s_add_u32 s5, s5, s40
	s_addc_u32 s9, 0, s41
	s_add_u32 s5, s5, s6
	s_addc_u32 s6, s9, 0
	s_add_u32 s5, s5, s7
	v_add_co_u32_e32 v21, vcc, s3, v21
	s_addc_u32 s6, s6, 0
	v_addc_co_u32_e32 v22, vcc, 0, v22, vcc
	s_add_u32 s40, s5, s8
	v_cmp_le_u64_e32 vcc, s[16:17], v[21:22]
	s_addc_u32 s41, s6, 0
	v_mov_b32_e32 v4, s50
	v_mov_b32_e32 v6, s48
	;; [unrolled: 1-line block ×4, first 2 shown]
	s_or_b64 s[38:39], vcc, s[38:39]
	v_mov_b32_e32 v5, s51
	v_mov_b32_e32 v7, s49
	;; [unrolled: 1-line block ×4, first 2 shown]
	s_andn2_b64 exec, exec, s[38:39]
	s_cbranch_execnz .LBB126_68
; %bb.69:                               ;   in Loop: Header=BB126_18 Depth=1
	s_or_b64 exec, exec, s[38:39]
.LBB126_70:                             ;   in Loop: Header=BB126_18 Depth=1
	s_or_b64 exec, exec, s[36:37]
	v_mov_b32_e32 v22, s17
	v_add_co_u32_e32 v21, vcc, s16, v0
	s_and_b32 s70, s2, 0x7fffffff
	v_addc_co_u32_e32 v22, vcc, 0, v22, vcc
	v_cmp_gt_u64_e32 vcc, s[70:71], v[21:22]
	s_and_saveexec_b64 s[2:3], vcc
	s_cbranch_execz .LBB126_74
; %bb.71:                               ;   in Loop: Header=BB126_18 Depth=1
	v_lshl_add_u32 v34, s14, 2, v0
	s_mov_b64 s[8:9], 0
.LBB126_72:                             ;   Parent Loop BB126_18 Depth=1
                                        ; =>  This Inner Loop Header: Depth=2
	ds_read_u8 v35, v34
	v_add_u32_e32 v34, s4, v34
	s_waitcnt lgkmcnt(0)
	v_and_b32_e32 v36, v32, v35
	v_bfe_u32 v35, v35, s81, 2
	v_cmp_eq_u32_e32 vcc, v36, v28
	v_cmp_eq_u32_e64 s[6:7], 0, v35
	s_and_b64 s[6:7], vcc, s[6:7]
	v_cndmask_b32_e64 v36, 0, 1, s[6:7]
	v_cmp_ne_u32_e64 s[6:7], 0, v36
	s_bcnt1_i32_b64 s5, s[6:7]
	v_add_co_u32_e64 v4, s[6:7], s5, v4
	v_addc_co_u32_e64 v5, s[6:7], 0, v5, s[6:7]
	v_cmp_eq_u32_e64 s[6:7], 1, v35
	s_and_b64 s[6:7], vcc, s[6:7]
	v_cndmask_b32_e64 v36, 0, 1, s[6:7]
	v_cmp_ne_u32_e64 s[6:7], 0, v36
	s_bcnt1_i32_b64 s5, s[6:7]
	v_add_co_u32_e64 v6, s[6:7], s5, v6
	v_addc_co_u32_e64 v7, s[6:7], 0, v7, s[6:7]
	;; [unrolled: 7-line block ×3, first 2 shown]
	v_cmp_eq_u32_e64 s[6:7], 3, v35
	s_and_b64 s[6:7], vcc, s[6:7]
	v_cndmask_b32_e64 v35, 0, 1, s[6:7]
	v_cmp_ne_u32_e32 vcc, 0, v35
	s_bcnt1_i32_b64 s5, vcc
	v_add_co_u32_e32 v10, vcc, s5, v10
	v_addc_co_u32_e32 v11, vcc, 0, v11, vcc
	v_add_co_u32_sdwa v21, vcc, v21, v2 dst_sel:DWORD dst_unused:UNUSED_PAD src0_sel:DWORD src1_sel:WORD_0
	v_addc_co_u32_e32 v22, vcc, 0, v22, vcc
	v_cmp_le_u64_e32 vcc, s[70:71], v[21:22]
	s_or_b64 s[8:9], vcc, s[8:9]
	s_andn2_b64 exec, exec, s[8:9]
	s_cbranch_execnz .LBB126_72
; %bb.73:                               ;   in Loop: Header=BB126_18 Depth=1
	s_or_b64 exec, exec, s[8:9]
.LBB126_74:                             ;   in Loop: Header=BB126_18 Depth=1
	s_or_b64 exec, exec, s[2:3]
.LBB126_75:                             ;   in Loop: Header=BB126_18 Depth=1
	v_readlane_b32 s2, v46, 2
	s_lshl_b32 s4, s2, 6
	s_and_saveexec_b64 s[2:3], s[0:1]
	s_cbranch_execz .LBB126_77
; %bb.76:                               ;   in Loop: Header=BB126_18 Depth=1
	v_lshl_add_u32 v2, s4, 3, v27
	ds_write_b128 v2, v[4:7]
	ds_write_b128 v2, v[8:11] offset:16
.LBB126_77:                             ;   in Loop: Header=BB126_18 Depth=1
	s_or_b64 exec, exec, s[2:3]
	s_waitcnt lgkmcnt(0)
	s_barrier
	s_mov_b64 s[2:3], exec
	v_readlane_b32 s6, v47, 42
	v_readlane_b32 s7, v47, 43
	s_and_b64 s[6:7], s[2:3], s[6:7]
	s_mov_b64 exec, s[6:7]
	s_cbranch_execz .LBB126_89
; %bb.78:                               ;   in Loop: Header=BB126_18 Depth=1
	v_readlane_b32 s6, v47, 50
	v_mov_b32_e32 v4, 0
	v_readlane_b32 s7, v47, 51
	v_mov_b32_e32 v5, 0
	s_andn2_b64 vcc, exec, s[6:7]
	s_cbranch_vccnz .LBB126_88
; %bb.79:                               ;   in Loop: Header=BB126_18 Depth=1
	v_readlane_b32 s6, v47, 61
	v_readlane_b32 s7, v47, 62
	s_andn2_b64 vcc, exec, s[6:7]
	s_cbranch_vccnz .LBB126_84
; %bb.80:                               ;   in Loop: Header=BB126_18 Depth=1
	v_readlane_b32 s5, v46, 2
	v_mov_b32_e32 v4, 0
	v_lshl_add_u32 v2, s5, 9, v29
	v_mov_b32_e32 v5, 0
	s_mov_b32 s5, 0
.LBB126_81:                             ;   Parent Loop BB126_18 Depth=1
                                        ; =>  This Inner Loop Header: Depth=2
	ds_read2_b64 v[6:9], v2 offset1:4
	s_add_i32 s5, s5, 8
	s_cmp_eq_u32 s80, s5
	s_waitcnt lgkmcnt(0)
	v_add_co_u32_e32 v4, vcc, v6, v4
	v_addc_co_u32_e32 v5, vcc, v7, v5, vcc
	v_add_co_u32_e32 v8, vcc, v8, v4
	v_addc_co_u32_e32 v9, vcc, v9, v5, vcc
	ds_read2_b64 v[4:7], v2 offset0:8 offset1:12
	s_waitcnt lgkmcnt(0)
	v_add_co_u32_e32 v4, vcc, v4, v8
	v_addc_co_u32_e32 v5, vcc, v5, v9, vcc
	v_add_co_u32_e32 v8, vcc, v6, v4
	v_addc_co_u32_e32 v9, vcc, v7, v5, vcc
	ds_read2_b64 v[4:7], v2 offset0:16 offset1:20
	;; [unrolled: 6-line block ×3, first 2 shown]
	v_add_u32_e32 v2, 0x100, v2
	s_waitcnt lgkmcnt(0)
	v_add_co_u32_e32 v4, vcc, v4, v8
	v_addc_co_u32_e32 v5, vcc, v5, v9, vcc
	v_add_co_u32_e32 v4, vcc, v6, v4
	v_addc_co_u32_e32 v5, vcc, v7, v5, vcc
	s_cbranch_scc0 .LBB126_81
; %bb.82:                               ;   in Loop: Header=BB126_18 Depth=1
	s_mov_b32 s5, s80
	s_branch .LBB126_85
.LBB126_83:                             ;   in Loop: Header=BB126_18 Depth=1
                                        ; implicit-def: $sgpr6_sgpr7
	s_branch .LBB126_53
.LBB126_84:                             ;   in Loop: Header=BB126_18 Depth=1
	v_mov_b32_e32 v4, 0
	v_mov_b32_e32 v5, 0
	s_mov_b32 s5, 0
.LBB126_85:                             ;   in Loop: Header=BB126_18 Depth=1
	v_readlane_b32 s6, v46, 0
	v_readlane_b32 s7, v46, 1
	s_andn2_b64 vcc, exec, s[6:7]
	s_cbranch_vccnz .LBB126_88
; %bb.86:                               ;   in Loop: Header=BB126_18 Depth=1
	v_readlane_b32 s6, v46, 2
	s_lshl_b32 s6, s6, 9
	s_lshl_b32 s5, s5, 5
	s_add_i32 s6, s6, s5
	v_add_u32_e32 v2, s6, v29
	v_readlane_b32 s5, v47, 63
.LBB126_87:                             ;   Parent Loop BB126_18 Depth=1
                                        ; =>  This Inner Loop Header: Depth=2
	ds_read_b64 v[6:7], v2
	s_add_i32 s5, s5, -1
	v_add_u32_e32 v2, 32, v2
	s_cmp_lg_u32 s5, 0
	s_waitcnt lgkmcnt(0)
	v_add_co_u32_e32 v4, vcc, v6, v4
	v_addc_co_u32_e32 v5, vcc, v7, v5, vcc
	s_cbranch_scc1 .LBB126_87
.LBB126_88:                             ;   in Loop: Header=BB126_18 Depth=1
	v_add_lshl_u32 v2, s4, v26, 3
	ds_write_b64 v2, v[4:5] offset:3072
.LBB126_89:                             ;   in Loop: Header=BB126_18 Depth=1
	s_or_b64 exec, exec, s[2:3]
	s_lshl_b32 s2, s4, 3
	v_mov_b32_e32 v2, s2
	s_waitcnt lgkmcnt(0)
	s_barrier
	ds_read_b128 v[4:7], v2 offset:3072
	ds_read_b128 v[8:11], v2 offset:3088
	v_readlane_b32 s2, v47, 40
	s_lshl_b32 s83, 3, s81
	v_cmp_eq_u64_e64 s[18:19], 1, v[19:20]
	v_readlane_b32 s3, v47, 41
	s_waitcnt lgkmcnt(1)
	v_readfirstlane_b32 s23, v5
	v_readfirstlane_b32 s22, v4
	v_readfirstlane_b32 s49, v7
	v_readfirstlane_b32 s48, v6
	s_waitcnt lgkmcnt(0)
	v_readfirstlane_b32 s51, v9
	v_readfirstlane_b32 s50, v8
	;; [unrolled: 1-line block ×4, first 2 shown]
	s_not_b32 s72, s83
	s_mov_b64 s[36:37], -1
	s_mov_b64 s[24:25], 0
	s_andn2_b64 vcc, exec, s[2:3]
	s_mov_b64 s[58:59], 0
	s_mov_b64 s[56:57], 0
                                        ; implicit-def: $sgpr14_sgpr15
                                        ; implicit-def: $sgpr2_sgpr3
                                        ; implicit-def: $vgpr4_vgpr5
                                        ; implicit-def: $vgpr2
                                        ; implicit-def: $vgpr9
                                        ; implicit-def: $vgpr8
                                        ; implicit-def: $vgpr10
	s_cbranch_vccnz .LBB126_288
; %bb.90:                               ;   in Loop: Header=BB126_18 Depth=1
	s_cmp_eq_u64 s[22:23], 1
	s_cselect_b64 s[2:3], -1, 0
	s_and_b64 s[6:7], s[2:3], s[18:19]
	s_mov_b64 s[8:9], -1
	v_mov_b32_e32 v9, v28
	v_mov_b32_e32 v8, v32
	;; [unrolled: 1-line block ×3, first 2 shown]
                                        ; implicit-def: $sgpr2_sgpr3
                                        ; implicit-def: $sgpr14_sgpr15
	s_and_saveexec_b64 s[20:21], s[6:7]
	s_cbranch_execz .LBB126_128
; %bb.91:                               ;   in Loop: Header=BB126_18 Depth=1
	ds_read_b64 v[4:5], v3 offset:5120
	s_waitcnt lgkmcnt(0)
	s_barrier
	v_readfirstlane_b32 s10, v4
	v_readfirstlane_b32 s11, v5
	s_mov_b64 s[2:3], exec
	v_readlane_b32 s4, v47, 48
	v_readlane_b32 s5, v47, 49
	s_and_b64 s[4:5], s[2:3], s[4:5]
	s_mov_b64 exec, s[4:5]
; %bb.92:                               ;   in Loop: Header=BB126_18 Depth=1
	ds_write_b8 v0, v3 offset:3072
; %bb.93:                               ;   in Loop: Header=BB126_18 Depth=1
	s_or_b64 exec, exec, s[2:3]
	v_and_b32_e32 v9, s72, v28
	v_or_b32_e32 v8, s83, v32
	s_mov_b64 s[14:15], -1
	s_mov_b64 s[2:3], 0
	s_cmp_eq_u64 s[10:11], 0
	s_mov_b64 s[8:9], 0
	s_waitcnt lgkmcnt(0)
	s_barrier
                                        ; implicit-def: $vgpr10
	s_cbranch_scc1 .LBB126_110
; %bb.94:                               ;   in Loop: Header=BB126_18 Depth=1
	v_readlane_b32 s4, v47, 52
	s_add_u32 s36, s10, s4
	v_readlane_b32 s4, v47, 54
	s_addc_u32 s9, s11, s4
	s_mov_b32 s8, s71
	s_cmp_lg_u64 s[8:9], 0
	s_cbranch_scc0 .LBB126_113
; %bb.95:                               ;   in Loop: Header=BB126_18 Depth=1
	v_cvt_f32_u32_e32 v2, s33
	s_sub_u32 s8, 0, s33
	s_subb_u32 s12, 0, 0
	v_mac_f32_e32 v2, 0, v30
	v_rcp_f32_e32 v2, v2
	v_mul_f32_e32 v2, 0x5f7ffffc, v2
	v_mul_f32_e32 v4, 0x2f800000, v2
	v_trunc_f32_e32 v4, v4
	v_mac_f32_e32 v2, 0xcf800000, v4
	v_cvt_u32_f32_e32 v4, v4
	v_cvt_u32_f32_e32 v2, v2
	v_readfirstlane_b32 s13, v4
	v_readfirstlane_b32 s4, v2
	s_mul_i32 s5, s8, s13
	s_mul_hi_u32 s38, s8, s4
	s_mul_i32 s37, s12, s4
	s_add_i32 s5, s38, s5
	s_mul_i32 s39, s8, s4
	s_add_i32 s5, s5, s37
	s_mul_hi_u32 s38, s4, s39
	s_mul_i32 s40, s4, s5
	s_mul_hi_u32 s37, s4, s5
	s_add_u32 s38, s38, s40
	s_addc_u32 s37, 0, s37
	s_mul_hi_u32 s41, s13, s39
	s_mul_i32 s39, s13, s39
	s_add_u32 s38, s38, s39
	s_mul_hi_u32 s40, s13, s5
	s_addc_u32 s37, s37, s41
	s_addc_u32 s38, s40, 0
	s_mul_i32 s5, s13, s5
	s_add_u32 s5, s37, s5
	s_addc_u32 s37, 0, s38
	s_add_u32 s38, s4, s5
	s_cselect_b64 s[4:5], -1, 0
	s_cmp_lg_u64 s[4:5], 0
	s_addc_u32 s13, s13, s37
	s_mul_i32 s4, s8, s13
	s_mul_hi_u32 s5, s8, s38
	s_add_i32 s4, s5, s4
	s_mul_i32 s12, s12, s38
	s_add_i32 s4, s4, s12
	s_mul_i32 s8, s8, s38
	s_mul_hi_u32 s12, s13, s8
	s_mul_i32 s37, s13, s8
	s_mul_i32 s40, s38, s4
	s_mul_hi_u32 s8, s38, s8
	s_mul_hi_u32 s39, s38, s4
	s_add_u32 s8, s8, s40
	s_addc_u32 s39, 0, s39
	s_add_u32 s8, s8, s37
	s_mul_hi_u32 s5, s13, s4
	s_addc_u32 s8, s39, s12
	s_addc_u32 s5, s5, 0
	s_mul_i32 s4, s13, s4
	s_add_u32 s4, s8, s4
	s_addc_u32 s8, 0, s5
	s_add_u32 s12, s38, s4
	s_cselect_b64 s[4:5], -1, 0
	s_cmp_lg_u64 s[4:5], 0
	s_addc_u32 s4, s13, s8
	s_mul_i32 s8, s36, s4
	s_mul_hi_u32 s13, s36, s12
	s_mul_hi_u32 s5, s36, s4
	s_add_u32 s8, s13, s8
	s_addc_u32 s5, 0, s5
	s_mul_hi_u32 s37, s9, s12
	s_mul_i32 s12, s9, s12
	s_add_u32 s8, s8, s12
	s_mul_hi_u32 s13, s9, s4
	s_addc_u32 s5, s5, s37
	s_addc_u32 s8, s13, 0
	s_mul_i32 s4, s9, s4
	s_add_u32 s4, s5, s4
	s_addc_u32 s5, 0, s8
	s_mul_i32 s5, s33, s5
	s_mul_hi_u32 s8, s33, s4
	s_add_i32 s8, s8, s5
	s_mul_i32 s4, s33, s4
	s_sub_u32 s12, s36, s4
	s_cselect_b64 s[4:5], -1, 0
	s_cmp_lg_u64 s[4:5], 0
	s_subb_u32 s8, s9, s8
	s_sub_u32 s13, s12, s33
	s_cselect_b64 s[4:5], -1, 0
	s_cmp_lg_u64 s[4:5], 0
	s_subb_u32 s37, s8, 0
	;; [unrolled: 4-line block ×3, first 2 shown]
	s_cmp_ge_u32 s13, s33
	s_cselect_b32 s5, -1, 0
	s_cmp_eq_u32 s37, 0
	s_cselect_b32 s5, s5, -1
	s_cmp_lg_u32 s5, 0
	s_cselect_b32 s4, s4, s37
	s_cselect_b32 s5, s38, s13
	s_cmp_ge_u32 s12, s33
	s_cselect_b32 s13, -1, 0
	s_cmp_eq_u32 s8, 0
	s_cselect_b32 s13, s13, -1
	s_cmp_lg_u32 s13, 0
	s_cselect_b32 s13, s4, s8
	s_cselect_b32 s12, s5, s12
	s_cbranch_execnz .LBB126_97
.LBB126_96:                             ;   in Loop: Header=BB126_18 Depth=1
	v_cvt_f32_u32_e32 v2, s33
	s_sub_i32 s4, 0, s33
	v_rcp_iflag_f32_e32 v2, v2
	v_mul_f32_e32 v2, 0x4f7ffffe, v2
	v_cvt_u32_f32_e32 v2, v2
	v_readfirstlane_b32 s5, v2
	s_mul_i32 s4, s4, s5
	s_mul_hi_u32 s4, s5, s4
	s_add_i32 s5, s5, s4
	s_mul_hi_u32 s4, s36, s5
	s_mul_i32 s4, s4, s33
	s_sub_i32 s4, s36, s4
	s_sub_i32 s5, s4, s33
	s_cmp_ge_u32 s4, s33
	s_cselect_b32 s4, s5, s4
	s_sub_i32 s5, s4, s33
	s_cmp_ge_u32 s4, s33
	s_cselect_b32 s70, s5, s4
	s_mov_b64 s[12:13], s[70:71]
.LBB126_97:                             ;   in Loop: Header=BB126_18 Depth=1
	s_sub_u32 s40, s36, s12
	s_subb_u32 s41, s9, s13
	v_cmp_gt_u64_e32 vcc, s[40:41], v[0:1]
	s_mov_b64 s[36:37], 0
	s_mov_b64 s[8:9], 0
                                        ; implicit-def: $vgpr10
	s_and_saveexec_b64 s[38:39], vcc
	s_cbranch_execz .LBB126_109
; %bb.98:                               ;   in Loop: Header=BB126_18 Depth=1
	v_mov_b32_e32 v5, v1
	v_mov_b32_e32 v2, v0
	;; [unrolled: 1-line block ×3, first 2 shown]
                                        ; implicit-def: $sgpr12_sgpr13
	s_branch .LBB126_101
.LBB126_99:                             ;   in Loop: Header=BB126_101 Depth=2
	s_or_b64 exec, exec, s[4:5]
	s_waitcnt lgkmcnt(0)
	s_barrier
	ds_read_u16 v6, v3 offset:3072
	s_mov_b64 s[4:5], -1
	s_waitcnt lgkmcnt(0)
	s_barrier
	v_cmp_ne_u32_sdwa s[42:43], v6, v3 src0_sel:BYTE_0 src1_sel:DWORD
	s_and_b64 vcc, exec, s[42:43]
	s_mov_b64 s[42:43], -1
	s_cbranch_vccz .LBB126_104
.LBB126_100:                            ;   in Loop: Header=BB126_101 Depth=2
	s_and_b64 s[4:5], exec, s[4:5]
	s_or_b64 s[8:9], s[4:5], s[8:9]
	s_andn2_b64 s[4:5], s[12:13], exec
	s_and_b64 s[12:13], s[42:43], exec
	s_or_b64 s[12:13], s[4:5], s[12:13]
	s_andn2_b64 exec, exec, s[8:9]
	s_cbranch_execz .LBB126_108
.LBB126_101:                            ;   Parent Loop BB126_18 Depth=1
                                        ; =>  This Inner Loop Header: Depth=2
	v_cmp_gt_u64_e32 vcc, s[10:11], v[4:5]
	s_and_saveexec_b64 s[4:5], vcc
	s_cbranch_execz .LBB126_99
; %bb.102:                              ;   in Loop: Header=BB126_101 Depth=2
	ds_read_u8 v6, v2
	s_waitcnt lgkmcnt(0)
	v_and_b32_e32 v7, v6, v8
	v_cmp_eq_u32_sdwa s[42:43], v7, v9 src0_sel:BYTE_0 src1_sel:DWORD
	s_and_b64 exec, exec, s[42:43]
	s_cbranch_execz .LBB126_99
; %bb.103:                              ;   in Loop: Header=BB126_101 Depth=2
	v_lshlrev_b16_e32 v6, 8, v6
	v_or_b32_e32 v6, 1, v6
	ds_write_b16 v3, v6 offset:3072
	s_branch .LBB126_99
.LBB126_104:                            ;   in Loop: Header=BB126_101 Depth=2
	v_add_co_u32_e32 v4, vcc, s33, v4
	v_addc_co_u32_e32 v5, vcc, 0, v5, vcc
	v_cmp_le_u64_e32 vcc, s[40:41], v[4:5]
	v_add_u32_e32 v2, s33, v2
	s_mov_b64 s[42:43], 0
	s_orn2_b64 s[4:5], vcc, exec
	s_branch .LBB126_100
.LBB126_105:                            ;   in Loop: Header=BB126_18 Depth=1
	s_or_b64 exec, exec, s[8:9]
	s_waitcnt lgkmcnt(0)
	s_barrier
	s_mov_b64 s[4:5], exec
	v_readlane_b32 s6, v47, 32
	v_readlane_b32 s7, v47, 33
	s_and_b64 s[6:7], s[4:5], s[6:7]
	s_mov_b64 exec, s[6:7]
	s_cbranch_execz .LBB126_107
; %bb.106:                              ;   in Loop: Header=BB126_18 Depth=1
	ds_read_b32 v4, v3 offset:5144
	s_waitcnt lgkmcnt(0)
	v_ashrrev_i32_e32 v5, 31, v4
	ds_write_b64 v3, v[4:5] offset:5120
.LBB126_107:                            ;   in Loop: Header=BB126_18 Depth=1
	s_or_b64 exec, exec, s[4:5]
	s_waitcnt lgkmcnt(0)
	s_barrier
	s_mov_b64 s[6:7], -1
	s_and_b64 vcc, exec, s[2:3]
	s_cbranch_vccnz .LBB126_33
	s_branch .LBB126_48
.LBB126_108:                            ;   in Loop: Header=BB126_18 Depth=1
	s_or_b64 exec, exec, s[8:9]
	v_lshrrev_b32_sdwa v10, v31, v6 dst_sel:DWORD dst_unused:UNUSED_PAD src0_sel:DWORD src1_sel:WORD_0
	s_and_b64 s[8:9], s[12:13], exec
.LBB126_109:                            ;   in Loop: Header=BB126_18 Depth=1
	s_or_b64 exec, exec, s[38:39]
.LBB126_110:                            ;   in Loop: Header=BB126_18 Depth=1
	s_and_b64 vcc, exec, s[36:37]
	s_cbranch_vccz .LBB126_127
; %bb.111:                              ;   in Loop: Header=BB126_18 Depth=1
	v_readlane_b32 s36, v47, 55
	v_readlane_b32 s37, v47, 56
	s_mov_b32 s36, s71
	s_cmp_lg_u64 s[36:37], 0
	v_writelane_b32 v47, s36, 55
	v_writelane_b32 v47, s37, 56
	s_cbranch_scc0 .LBB126_114
; %bb.112:                              ;   in Loop: Header=BB126_18 Depth=1
	v_cvt_f32_u32_e32 v2, s33
	s_sub_u32 s4, 0, s33
	s_subb_u32 s5, 0, 0
	v_mac_f32_e32 v2, 0, v30
	v_rcp_f32_e32 v2, v2
	v_mul_f32_e32 v2, 0x5f7ffffc, v2
	v_mul_f32_e32 v4, 0x2f800000, v2
	v_trunc_f32_e32 v4, v4
	v_mac_f32_e32 v2, 0xcf800000, v4
	v_cvt_u32_f32_e32 v4, v4
	v_cvt_u32_f32_e32 v2, v2
	v_readfirstlane_b32 s10, v4
	v_readfirstlane_b32 s2, v2
	s_mul_i32 s3, s4, s10
	s_mul_hi_u32 s12, s4, s2
	s_mul_i32 s11, s5, s2
	s_add_i32 s3, s12, s3
	s_mul_i32 s13, s4, s2
	s_add_i32 s3, s3, s11
	s_mul_hi_u32 s12, s2, s13
	s_mul_i32 s14, s2, s3
	s_mul_hi_u32 s11, s2, s3
	s_add_u32 s12, s12, s14
	s_addc_u32 s11, 0, s11
	s_mul_hi_u32 s15, s10, s13
	s_mul_i32 s13, s10, s13
	s_add_u32 s12, s12, s13
	s_mul_hi_u32 s14, s10, s3
	s_addc_u32 s11, s11, s15
	s_addc_u32 s12, s14, 0
	s_mul_i32 s3, s10, s3
	s_add_u32 s3, s11, s3
	s_addc_u32 s11, 0, s12
	s_add_u32 s12, s2, s3
	s_cselect_b64 s[2:3], -1, 0
	s_cmp_lg_u64 s[2:3], 0
	s_addc_u32 s10, s10, s11
	s_mul_i32 s2, s4, s10
	s_mul_hi_u32 s3, s4, s12
	s_add_i32 s2, s3, s2
	s_mul_i32 s5, s5, s12
	s_add_i32 s2, s2, s5
	s_mul_i32 s4, s4, s12
	s_mul_hi_u32 s5, s10, s4
	s_mul_i32 s11, s10, s4
	s_mul_i32 s14, s12, s2
	s_mul_hi_u32 s4, s12, s4
	s_mul_hi_u32 s13, s12, s2
	s_add_u32 s4, s4, s14
	s_addc_u32 s13, 0, s13
	s_add_u32 s4, s4, s11
	s_mul_hi_u32 s3, s10, s2
	s_addc_u32 s4, s13, s5
	s_addc_u32 s3, s3, 0
	s_mul_i32 s2, s10, s2
	s_add_u32 s2, s4, s2
	s_addc_u32 s4, 0, s3
	s_add_u32 s5, s12, s2
	s_cselect_b64 s[2:3], -1, 0
	s_cmp_lg_u64 s[2:3], 0
	s_addc_u32 s2, s10, s4
	v_readlane_b32 s13, v47, 53
	s_mul_i32 s4, s13, s2
	s_mul_hi_u32 s10, s13, s5
	s_mul_hi_u32 s3, s13, s2
	s_add_u32 s4, s10, s4
	s_addc_u32 s3, 0, s3
	s_mul_hi_u32 s11, s37, s5
	s_mul_i32 s5, s37, s5
	s_add_u32 s4, s4, s5
	s_mul_hi_u32 s10, s37, s2
	s_addc_u32 s3, s3, s11
	s_addc_u32 s4, s10, 0
	s_mul_i32 s2, s37, s2
	s_add_u32 s2, s3, s2
	s_addc_u32 s3, 0, s4
	s_mul_i32 s3, s33, s3
	s_mul_hi_u32 s4, s33, s2
	s_add_i32 s4, s4, s3
	s_mul_i32 s2, s33, s2
	s_sub_u32 s5, s13, s2
	s_cselect_b64 s[2:3], -1, 0
	s_cmp_lg_u64 s[2:3], 0
	s_subb_u32 s4, s37, s4
	s_sub_u32 s10, s5, s33
	s_cselect_b64 s[2:3], -1, 0
	s_cmp_lg_u64 s[2:3], 0
	s_subb_u32 s11, s4, 0
	s_sub_u32 s12, s10, s33
	s_cselect_b64 s[2:3], -1, 0
	s_cmp_lg_u64 s[2:3], 0
	s_subb_u32 s2, s11, 0
	s_cmp_ge_u32 s10, s33
	s_cselect_b32 s3, -1, 0
	s_cmp_eq_u32 s11, 0
	s_cselect_b32 s3, s3, -1
	s_cmp_lg_u32 s3, 0
	s_cselect_b32 s2, s2, s11
	s_cselect_b32 s10, s12, s10
	s_cmp_ge_u32 s5, s33
	s_cselect_b32 s3, -1, 0
	s_cmp_eq_u32 s4, 0
	s_cselect_b32 s3, s3, -1
	s_cmp_lg_u32 s3, 0
	s_cselect_b32 s3, s2, s4
	s_cselect_b32 s2, s10, s5
	s_mov_b64 s[4:5], 0
	s_branch .LBB126_115
.LBB126_113:                            ;   in Loop: Header=BB126_18 Depth=1
                                        ; implicit-def: $sgpr12_sgpr13
	s_branch .LBB126_96
.LBB126_114:                            ;   in Loop: Header=BB126_18 Depth=1
	s_mov_b64 s[4:5], -1
	v_readlane_b32 s13, v47, 53
                                        ; implicit-def: $sgpr2_sgpr3
.LBB126_115:                            ;   in Loop: Header=BB126_18 Depth=1
	s_andn2_b64 vcc, exec, s[4:5]
	v_readlane_b32 s79, v46, 5
	s_cbranch_vccnz .LBB126_117
; %bb.116:                              ;   in Loop: Header=BB126_18 Depth=1
	v_cvt_f32_u32_e32 v2, s33
	s_sub_i32 s2, 0, s33
	v_rcp_iflag_f32_e32 v2, v2
	v_mul_f32_e32 v2, 0x4f7ffffe, v2
	v_cvt_u32_f32_e32 v2, v2
	v_readfirstlane_b32 s3, v2
	s_mul_i32 s2, s2, s3
	s_mul_hi_u32 s2, s3, s2
	s_add_i32 s3, s3, s2
	s_mul_hi_u32 s2, s13, s3
	s_mul_i32 s2, s2, s33
	s_sub_i32 s2, s13, s2
	s_sub_i32 s3, s2, s33
	s_cmp_ge_u32 s2, s33
	s_cselect_b32 s2, s3, s2
	s_sub_i32 s3, s2, s33
	s_cmp_ge_u32 s2, s33
	s_cselect_b32 s70, s3, s2
	s_mov_b64 s[2:3], s[70:71]
.LBB126_117:                            ;   in Loop: Header=BB126_18 Depth=1
	v_readlane_b32 s4, v47, 55
	s_sub_u32 s10, s13, s2
	v_readlane_b32 s5, v47, 56
	s_subb_u32 s11, s5, s3
	v_cmp_gt_u64_e32 vcc, s[10:11], v[0:1]
                                        ; implicit-def: $vgpr10
	s_and_saveexec_b64 s[2:3], vcc
	s_cbranch_execz .LBB126_126
; %bb.118:                              ;   in Loop: Header=BB126_18 Depth=1
	v_mov_b32_e32 v5, v1
	s_mov_b64 s[14:15], 0
	v_mov_b32_e32 v4, v0
                                        ; implicit-def: $sgpr36_sgpr37
	s_branch .LBB126_121
.LBB126_119:                            ;   in Loop: Header=BB126_121 Depth=2
	s_or_b64 exec, exec, s[12:13]
	s_waitcnt lgkmcnt(0)
	s_barrier
	ds_read_u16 v2, v3 offset:3072
	s_mov_b64 s[4:5], -1
	s_waitcnt lgkmcnt(0)
	s_barrier
	v_cmp_ne_u32_sdwa s[12:13], v2, v3 src0_sel:BYTE_0 src1_sel:DWORD
	s_and_b64 vcc, exec, s[12:13]
	s_mov_b64 s[12:13], -1
	s_cbranch_vccz .LBB126_124
.LBB126_120:                            ;   in Loop: Header=BB126_121 Depth=2
	s_and_b64 s[4:5], exec, s[4:5]
	s_or_b64 s[14:15], s[4:5], s[14:15]
	s_andn2_b64 s[4:5], s[36:37], exec
	s_and_b64 s[12:13], s[12:13], exec
	s_or_b64 s[36:37], s[4:5], s[12:13]
	s_andn2_b64 exec, exec, s[14:15]
	s_cbranch_execz .LBB126_125
.LBB126_121:                            ;   Parent Loop BB126_18 Depth=1
                                        ; =>  This Inner Loop Header: Depth=2
	v_cmp_gt_u64_e32 vcc, s[28:29], v[4:5]
	s_and_saveexec_b64 s[12:13], vcc
	s_cbranch_execz .LBB126_119
; %bb.122:                              ;   in Loop: Header=BB126_121 Depth=2
	v_mov_b32_e32 v6, s34
	v_mov_b32_e32 v7, s35
	v_mad_u64_u32 v[6:7], s[4:5], v4, s26, v[6:7]
	v_mul_lo_u32 v2, v4, s27
	v_mul_lo_u32 v10, v5, s26
	v_add3_u32 v7, v10, v7, v2
	global_load_ubyte v2, v[6:7], off
	s_waitcnt vmcnt(0)
	v_and_b32_e32 v6, v2, v8
	v_cmp_eq_u32_sdwa s[4:5], v6, v9 src0_sel:BYTE_0 src1_sel:DWORD
	s_and_b64 exec, exec, s[4:5]
	s_cbranch_execz .LBB126_119
; %bb.123:                              ;   in Loop: Header=BB126_121 Depth=2
	v_lshlrev_b16_e32 v2, 8, v2
	v_or_b32_e32 v2, 1, v2
	ds_write_b16 v3, v2 offset:3072
	s_branch .LBB126_119
.LBB126_124:                            ;   in Loop: Header=BB126_121 Depth=2
	v_add_co_u32_e32 v4, vcc, s33, v4
	v_addc_co_u32_e32 v5, vcc, 0, v5, vcc
	v_cmp_le_u64_e32 vcc, s[10:11], v[4:5]
	s_mov_b64 s[12:13], 0
	s_orn2_b64 s[4:5], vcc, exec
	s_branch .LBB126_120
.LBB126_125:                            ;   in Loop: Header=BB126_18 Depth=1
	s_or_b64 exec, exec, s[14:15]
	s_andn2_b64 s[4:5], s[8:9], exec
	s_and_b64 s[8:9], s[36:37], exec
	v_lshrrev_b32_sdwa v10, v31, v2 dst_sel:DWORD dst_unused:UNUSED_PAD src0_sel:DWORD src1_sel:WORD_0
	s_or_b64 s[8:9], s[4:5], s[8:9]
.LBB126_126:                            ;   in Loop: Header=BB126_18 Depth=1
	s_or_b64 exec, exec, s[2:3]
	s_mov_b64 s[14:15], 0
	s_mov_b64 s[2:3], -1
.LBB126_127:                            ;   in Loop: Header=BB126_18 Depth=1
	s_orn2_b64 s[8:9], s[8:9], exec
.LBB126_128:                            ;   in Loop: Header=BB126_18 Depth=1
	s_or_b64 exec, exec, s[20:21]
	s_mov_b64 s[36:37], 0
	s_mov_b64 s[58:59], 0
	;; [unrolled: 1-line block ×3, first 2 shown]
                                        ; implicit-def: $vgpr4_vgpr5
                                        ; implicit-def: $vgpr2
	s_and_saveexec_b64 s[38:39], s[8:9]
	s_cbranch_execz .LBB126_287
; %bb.129:                              ;   in Loop: Header=BB126_18 Depth=1
	v_mov_b32_e32 v4, 1
	s_xor_b64 s[4:5], s[6:7], -1
	v_mov_b32_e32 v2, 1
	v_mov_b32_e32 v5, 0
	s_mov_b64 s[10:11], 0
	s_and_saveexec_b64 s[6:7], s[4:5]
	s_cbranch_execz .LBB126_138
; %bb.130:                              ;   in Loop: Header=BB126_18 Depth=1
	v_cmp_ge_u64_e32 vcc, s[22:23], v[19:20]
	s_and_saveexec_b64 s[4:5], vcc
	s_xor_b64 s[8:9], exec, s[4:5]
	s_cbranch_execz .LBB126_135
; %bb.131:                              ;   in Loop: Header=BB126_18 Depth=1
	ds_read_b64 v[4:5], v3 offset:5120
	v_and_b32_e32 v9, s72, v9
	v_or_b32_e32 v8, s83, v8
	s_waitcnt lgkmcnt(0)
	v_cmp_ne_u64_e32 vcc, 0, v[4:5]
	s_cbranch_vccnz .LBB126_135
; %bb.132:                              ;   in Loop: Header=BB126_18 Depth=1
	s_mov_b64 s[4:5], exec
	v_readlane_b32 s10, v47, 32
	v_readlane_b32 s11, v47, 33
	s_and_b64 s[10:11], s[4:5], s[10:11]
	s_mov_b64 exec, s[10:11]
; %bb.133:                              ;   in Loop: Header=BB126_18 Depth=1
	v_mov_b32_e32 v4, s22
	v_mov_b32_e32 v5, s23
	ds_write_b64 v3, v[4:5] offset:5128
; %bb.134:                              ;   in Loop: Header=BB126_18 Depth=1
	s_or_b64 exec, exec, s[4:5]
	s_waitcnt lgkmcnt(0)
	s_barrier
.LBB126_135:                            ;   in Loop: Header=BB126_18 Depth=1
	s_or_saveexec_b64 s[8:9], s[8:9]
	v_mov_b32_e32 v4, v19
	s_mov_b64 s[10:11], 0
	v_mov_b32_e32 v2, 8
	v_mov_b32_e32 v5, v20
	s_xor_b64 exec, exec, s[8:9]
; %bb.136:                              ;   in Loop: Header=BB126_18 Depth=1
	v_subrev_co_u32_e32 v4, vcc, s22, v19
	v_mov_b32_e32 v2, s23
	v_subb_co_u32_e32 v5, vcc, v20, v2, vcc
	v_mov_b32_e32 v2, 0
	s_mov_b64 s[10:11], exec
; %bb.137:                              ;   in Loop: Header=BB126_18 Depth=1
	s_or_b64 exec, exec, s[8:9]
	s_and_b64 s[10:11], s[10:11], exec
.LBB126_138:                            ;   in Loop: Header=BB126_18 Depth=1
	s_or_b64 exec, exec, s[6:7]
	s_mov_b64 s[8:9], -1
                                        ; implicit-def: $sgpr56_sgpr57
                                        ; implicit-def: $sgpr58_sgpr59
	s_and_saveexec_b64 s[4:5], s[10:11]
	s_xor_b64 s[6:7], exec, s[4:5]
	s_cbranch_execz .LBB126_284
; %bb.139:                              ;   in Loop: Header=BB126_18 Depth=1
	s_cmp_eq_u64 s[48:49], 1
	v_cmp_eq_u64_e32 vcc, 1, v[4:5]
	s_cselect_b64 s[4:5], -1, 0
	s_and_b64 s[20:21], s[4:5], vcc
                                        ; implicit-def: $sgpr58_sgpr59
                                        ; implicit-def: $sgpr56_sgpr57
	s_and_saveexec_b64 s[40:41], s[20:21]
	s_cbranch_execz .LBB126_174
; %bb.140:                              ;   in Loop: Header=BB126_18 Depth=1
	ds_read_b64 v[6:7], v3 offset:5120
	s_waitcnt lgkmcnt(0)
	s_barrier
	v_readfirstlane_b32 s10, v6
	v_readfirstlane_b32 s11, v7
	s_mov_b64 s[4:5], exec
	v_readlane_b32 s8, v47, 48
	v_readlane_b32 s9, v47, 49
	s_and_b64 s[8:9], s[4:5], s[8:9]
	s_mov_b64 exec, s[8:9]
; %bb.141:                              ;   in Loop: Header=BB126_18 Depth=1
	ds_write_b8 v0, v3 offset:3072
; %bb.142:                              ;   in Loop: Header=BB126_18 Depth=1
	s_or_b64 exec, exec, s[4:5]
	v_and_b32_e32 v6, s72, v9
	v_lshl_or_b32 v9, 1, s81, v6
	v_or_b32_e32 v8, s83, v8
	s_mov_b64 s[56:57], -1
	s_mov_b64 s[58:59], 0
	s_cmp_eq_u64 s[10:11], 0
	s_mov_b64 s[8:9], 0
	s_mov_b64 s[42:43], -1
	s_waitcnt lgkmcnt(0)
	s_barrier
                                        ; implicit-def: $vgpr10
	s_cbranch_scc1 .LBB126_156
; %bb.143:                              ;   in Loop: Header=BB126_18 Depth=1
	v_readlane_b32 s4, v47, 52
	s_add_u32 s42, s10, s4
	v_readlane_b32 s4, v47, 54
	s_addc_u32 s9, s11, s4
	s_mov_b32 s8, s71
	s_cmp_lg_u64 s[8:9], 0
	s_cbranch_scc0 .LBB126_159
; %bb.144:                              ;   in Loop: Header=BB126_18 Depth=1
	v_cvt_f32_u32_e32 v6, s33
	s_sub_u32 s8, 0, s33
	s_subb_u32 s12, 0, 0
	v_mac_f32_e32 v6, 0, v30
	v_rcp_f32_e32 v6, v6
	v_mul_f32_e32 v6, 0x5f7ffffc, v6
	v_mul_f32_e32 v7, 0x2f800000, v6
	v_trunc_f32_e32 v7, v7
	v_mac_f32_e32 v6, 0xcf800000, v7
	v_cvt_u32_f32_e32 v7, v7
	v_cvt_u32_f32_e32 v6, v6
	v_readfirstlane_b32 s13, v7
	v_readfirstlane_b32 s4, v6
	s_mul_i32 s5, s8, s13
	s_mul_hi_u32 s52, s8, s4
	s_mul_i32 s43, s12, s4
	s_add_i32 s5, s52, s5
	s_mul_i32 s53, s8, s4
	s_add_i32 s5, s5, s43
	s_mul_hi_u32 s52, s4, s53
	s_mul_i32 s54, s4, s5
	s_mul_hi_u32 s43, s4, s5
	s_add_u32 s52, s52, s54
	s_addc_u32 s43, 0, s43
	s_mul_hi_u32 s55, s13, s53
	s_mul_i32 s53, s13, s53
	s_add_u32 s52, s52, s53
	s_mul_hi_u32 s54, s13, s5
	s_addc_u32 s43, s43, s55
	s_addc_u32 s52, s54, 0
	s_mul_i32 s5, s13, s5
	s_add_u32 s5, s43, s5
	s_addc_u32 s43, 0, s52
	s_add_u32 s52, s4, s5
	s_cselect_b64 s[4:5], -1, 0
	s_cmp_lg_u64 s[4:5], 0
	s_addc_u32 s13, s13, s43
	s_mul_i32 s4, s8, s13
	s_mul_hi_u32 s5, s8, s52
	s_add_i32 s4, s5, s4
	s_mul_i32 s12, s12, s52
	s_add_i32 s4, s4, s12
	s_mul_i32 s8, s8, s52
	s_mul_hi_u32 s12, s13, s8
	s_mul_i32 s43, s13, s8
	s_mul_i32 s54, s52, s4
	s_mul_hi_u32 s8, s52, s8
	s_mul_hi_u32 s53, s52, s4
	s_add_u32 s8, s8, s54
	s_addc_u32 s53, 0, s53
	s_add_u32 s8, s8, s43
	s_mul_hi_u32 s5, s13, s4
	s_addc_u32 s8, s53, s12
	s_addc_u32 s5, s5, 0
	s_mul_i32 s4, s13, s4
	s_add_u32 s4, s8, s4
	s_addc_u32 s8, 0, s5
	s_add_u32 s12, s52, s4
	s_cselect_b64 s[4:5], -1, 0
	s_cmp_lg_u64 s[4:5], 0
	s_addc_u32 s4, s13, s8
	s_mul_i32 s8, s42, s4
	s_mul_hi_u32 s13, s42, s12
	s_mul_hi_u32 s5, s42, s4
	s_add_u32 s8, s13, s8
	s_addc_u32 s5, 0, s5
	s_mul_hi_u32 s43, s9, s12
	s_mul_i32 s12, s9, s12
	s_add_u32 s8, s8, s12
	s_mul_hi_u32 s13, s9, s4
	s_addc_u32 s5, s5, s43
	s_addc_u32 s8, s13, 0
	s_mul_i32 s4, s9, s4
	s_add_u32 s4, s5, s4
	s_addc_u32 s5, 0, s8
	s_mul_i32 s5, s33, s5
	s_mul_hi_u32 s8, s33, s4
	s_add_i32 s8, s8, s5
	s_mul_i32 s4, s33, s4
	s_sub_u32 s12, s42, s4
	s_cselect_b64 s[4:5], -1, 0
	s_cmp_lg_u64 s[4:5], 0
	s_subb_u32 s8, s9, s8
	s_sub_u32 s13, s12, s33
	s_cselect_b64 s[4:5], -1, 0
	s_cmp_lg_u64 s[4:5], 0
	s_subb_u32 s43, s8, 0
	;; [unrolled: 4-line block ×3, first 2 shown]
	s_cmp_ge_u32 s13, s33
	s_cselect_b32 s5, -1, 0
	s_cmp_eq_u32 s43, 0
	s_cselect_b32 s5, s5, -1
	s_cmp_lg_u32 s5, 0
	s_cselect_b32 s4, s4, s43
	s_cselect_b32 s5, s52, s13
	s_cmp_ge_u32 s12, s33
	s_cselect_b32 s13, -1, 0
	s_cmp_eq_u32 s8, 0
	s_cselect_b32 s13, s13, -1
	s_cmp_lg_u32 s13, 0
	s_cselect_b32 s13, s4, s8
	s_cselect_b32 s12, s5, s12
	s_cbranch_execnz .LBB126_146
.LBB126_145:                            ;   in Loop: Header=BB126_18 Depth=1
	v_cvt_f32_u32_e32 v6, s33
	s_sub_i32 s4, 0, s33
	v_rcp_iflag_f32_e32 v6, v6
	v_mul_f32_e32 v6, 0x4f7ffffe, v6
	v_cvt_u32_f32_e32 v6, v6
	v_readfirstlane_b32 s5, v6
	s_mul_i32 s4, s4, s5
	s_mul_hi_u32 s4, s5, s4
	s_add_i32 s5, s5, s4
	s_mul_hi_u32 s4, s42, s5
	s_mul_i32 s4, s4, s33
	s_sub_i32 s4, s42, s4
	s_sub_i32 s5, s4, s33
	s_cmp_ge_u32 s4, s33
	s_cselect_b32 s4, s5, s4
	s_sub_i32 s5, s4, s33
	s_cmp_ge_u32 s4, s33
	s_cselect_b32 s70, s5, s4
	s_mov_b64 s[12:13], s[70:71]
.LBB126_146:                            ;   in Loop: Header=BB126_18 Depth=1
	s_sub_u32 s54, s42, s12
	s_subb_u32 s55, s9, s13
	v_cmp_gt_u64_e32 vcc, s[54:55], v[0:1]
	s_mov_b64 s[42:43], 0
	s_mov_b64 s[8:9], 0
                                        ; implicit-def: $vgpr10
	s_and_saveexec_b64 s[52:53], vcc
	s_cbranch_execz .LBB126_155
; %bb.147:                              ;   in Loop: Header=BB126_18 Depth=1
	v_mov_b32_e32 v7, v1
	v_mov_b32_e32 v10, v0
	v_mov_b32_e32 v6, v0
                                        ; implicit-def: $sgpr60_sgpr61
	s_branch .LBB126_150
.LBB126_148:                            ;   in Loop: Header=BB126_150 Depth=2
	s_or_b64 exec, exec, s[12:13]
	s_waitcnt lgkmcnt(0)
	s_barrier
	ds_read_u16 v11, v3 offset:3072
	s_mov_b64 s[4:5], -1
	s_waitcnt lgkmcnt(0)
	s_barrier
	v_cmp_ne_u32_sdwa s[12:13], v11, v3 src0_sel:BYTE_0 src1_sel:DWORD
	s_and_b64 vcc, exec, s[12:13]
	s_mov_b64 s[12:13], -1
	s_cbranch_vccz .LBB126_153
.LBB126_149:                            ;   in Loop: Header=BB126_150 Depth=2
	s_and_b64 s[4:5], exec, s[4:5]
	s_or_b64 s[8:9], s[4:5], s[8:9]
	s_andn2_b64 s[4:5], s[60:61], exec
	s_and_b64 s[12:13], s[12:13], exec
	s_or_b64 s[60:61], s[4:5], s[12:13]
	s_andn2_b64 exec, exec, s[8:9]
	s_cbranch_execz .LBB126_154
.LBB126_150:                            ;   Parent Loop BB126_18 Depth=1
                                        ; =>  This Inner Loop Header: Depth=2
	v_cmp_gt_u64_e32 vcc, s[10:11], v[6:7]
	s_and_saveexec_b64 s[12:13], vcc
	s_cbranch_execz .LBB126_148
; %bb.151:                              ;   in Loop: Header=BB126_150 Depth=2
	ds_read_u8 v11, v10
	s_waitcnt lgkmcnt(0)
	v_and_b32_e32 v21, v11, v8
	v_cmp_eq_u32_sdwa s[4:5], v21, v9 src0_sel:BYTE_0 src1_sel:DWORD
	s_and_b64 exec, exec, s[4:5]
	s_cbranch_execz .LBB126_148
; %bb.152:                              ;   in Loop: Header=BB126_150 Depth=2
	v_lshlrev_b16_e32 v11, 8, v11
	v_or_b32_e32 v11, 1, v11
	ds_write_b16 v3, v11 offset:3072
	s_branch .LBB126_148
.LBB126_153:                            ;   in Loop: Header=BB126_150 Depth=2
	v_add_co_u32_e32 v6, vcc, s33, v6
	v_addc_co_u32_e32 v7, vcc, 0, v7, vcc
	v_cmp_le_u64_e32 vcc, s[54:55], v[6:7]
	v_add_u32_e32 v10, s33, v10
	s_mov_b64 s[12:13], 0
	s_orn2_b64 s[4:5], vcc, exec
	s_branch .LBB126_149
.LBB126_154:                            ;   in Loop: Header=BB126_18 Depth=1
	s_or_b64 exec, exec, s[8:9]
	v_lshrrev_b32_sdwa v10, v31, v11 dst_sel:DWORD dst_unused:UNUSED_PAD src0_sel:DWORD src1_sel:WORD_0
	s_and_b64 s[8:9], s[60:61], exec
.LBB126_155:                            ;   in Loop: Header=BB126_18 Depth=1
	s_or_b64 exec, exec, s[52:53]
.LBB126_156:                            ;   in Loop: Header=BB126_18 Depth=1
	s_and_b64 vcc, exec, s[42:43]
	s_cbranch_vccz .LBB126_173
; %bb.157:                              ;   in Loop: Header=BB126_18 Depth=1
	v_readlane_b32 s54, v47, 55
	v_readlane_b32 s55, v47, 56
	s_mov_b32 s54, s71
	s_cmp_lg_u64 s[54:55], 0
	v_writelane_b32 v47, s54, 55
	v_writelane_b32 v47, s55, 56
	s_cbranch_scc0 .LBB126_160
; %bb.158:                              ;   in Loop: Header=BB126_18 Depth=1
	v_cvt_f32_u32_e32 v6, s33
	s_sub_u32 s10, 0, s33
	s_subb_u32 s11, 0, 0
	v_mac_f32_e32 v6, 0, v30
	v_rcp_f32_e32 v6, v6
	v_mul_f32_e32 v6, 0x5f7ffffc, v6
	v_mul_f32_e32 v7, 0x2f800000, v6
	v_trunc_f32_e32 v7, v7
	v_mac_f32_e32 v6, 0xcf800000, v7
	v_cvt_u32_f32_e32 v7, v7
	v_cvt_u32_f32_e32 v6, v6
	v_readfirstlane_b32 s12, v7
	v_readfirstlane_b32 s4, v6
	s_mul_i32 s5, s10, s12
	s_mul_hi_u32 s42, s10, s4
	s_mul_i32 s13, s11, s4
	s_add_i32 s5, s42, s5
	s_mul_i32 s43, s10, s4
	s_add_i32 s5, s5, s13
	s_mul_hi_u32 s42, s4, s43
	s_mul_i32 s52, s4, s5
	s_mul_hi_u32 s13, s4, s5
	s_add_u32 s42, s42, s52
	s_addc_u32 s13, 0, s13
	s_mul_hi_u32 s53, s12, s43
	s_mul_i32 s43, s12, s43
	s_add_u32 s42, s42, s43
	s_mul_hi_u32 s52, s12, s5
	s_addc_u32 s13, s13, s53
	s_addc_u32 s42, s52, 0
	s_mul_i32 s5, s12, s5
	s_add_u32 s5, s13, s5
	s_addc_u32 s13, 0, s42
	s_add_u32 s42, s4, s5
	s_cselect_b64 s[4:5], -1, 0
	s_cmp_lg_u64 s[4:5], 0
	s_addc_u32 s12, s12, s13
	s_mul_i32 s4, s10, s12
	s_mul_hi_u32 s5, s10, s42
	s_add_i32 s4, s5, s4
	s_mul_i32 s11, s11, s42
	s_add_i32 s4, s4, s11
	s_mul_i32 s10, s10, s42
	s_mul_hi_u32 s11, s12, s10
	s_mul_i32 s13, s12, s10
	s_mul_i32 s52, s42, s4
	s_mul_hi_u32 s10, s42, s10
	s_mul_hi_u32 s43, s42, s4
	s_add_u32 s10, s10, s52
	s_addc_u32 s43, 0, s43
	s_add_u32 s10, s10, s13
	s_mul_hi_u32 s5, s12, s4
	s_addc_u32 s10, s43, s11
	s_addc_u32 s5, s5, 0
	s_mul_i32 s4, s12, s4
	s_add_u32 s4, s10, s4
	s_addc_u32 s10, 0, s5
	s_add_u32 s11, s42, s4
	s_cselect_b64 s[4:5], -1, 0
	s_cmp_lg_u64 s[4:5], 0
	s_addc_u32 s4, s12, s10
	v_readlane_b32 s43, v47, 53
	s_mul_i32 s10, s43, s4
	s_mul_hi_u32 s12, s43, s11
	s_mul_hi_u32 s5, s43, s4
	s_add_u32 s10, s12, s10
	s_addc_u32 s5, 0, s5
	s_mul_hi_u32 s13, s55, s11
	s_mul_i32 s11, s55, s11
	s_add_u32 s10, s10, s11
	s_mul_hi_u32 s12, s55, s4
	s_addc_u32 s5, s5, s13
	s_addc_u32 s10, s12, 0
	s_mul_i32 s4, s55, s4
	s_add_u32 s4, s5, s4
	s_addc_u32 s5, 0, s10
	s_mul_i32 s5, s33, s5
	s_mul_hi_u32 s10, s33, s4
	s_add_i32 s10, s10, s5
	s_mul_i32 s4, s33, s4
	s_sub_u32 s12, s43, s4
	s_cselect_b64 s[4:5], -1, 0
	s_cmp_lg_u64 s[4:5], 0
	s_subb_u32 s10, s55, s10
	s_sub_u32 s11, s12, s33
	s_cselect_b64 s[4:5], -1, 0
	s_cmp_lg_u64 s[4:5], 0
	s_subb_u32 s13, s10, 0
	;; [unrolled: 4-line block ×3, first 2 shown]
	s_cmp_ge_u32 s11, s33
	s_cselect_b32 s5, -1, 0
	s_cmp_eq_u32 s13, 0
	s_cselect_b32 s5, s5, -1
	s_cmp_lg_u32 s5, 0
	s_cselect_b32 s4, s4, s13
	s_cselect_b32 s5, s42, s11
	s_cmp_ge_u32 s12, s33
	s_cselect_b32 s11, -1, 0
	s_cmp_eq_u32 s10, 0
	s_cselect_b32 s11, s11, -1
	s_cmp_lg_u32 s11, 0
	s_cselect_b32 s11, s4, s10
	s_cselect_b32 s10, s5, s12
	s_mov_b64 s[4:5], 0
	s_branch .LBB126_161
.LBB126_159:                            ;   in Loop: Header=BB126_18 Depth=1
                                        ; implicit-def: $sgpr12_sgpr13
	s_branch .LBB126_145
.LBB126_160:                            ;   in Loop: Header=BB126_18 Depth=1
	s_mov_b64 s[4:5], -1
	v_readlane_b32 s43, v47, 53
                                        ; implicit-def: $sgpr10_sgpr11
.LBB126_161:                            ;   in Loop: Header=BB126_18 Depth=1
	s_andn2_b64 vcc, exec, s[4:5]
	v_readlane_b32 s79, v46, 5
	s_cbranch_vccnz .LBB126_163
; %bb.162:                              ;   in Loop: Header=BB126_18 Depth=1
	v_cvt_f32_u32_e32 v6, s33
	s_sub_i32 s4, 0, s33
	v_rcp_iflag_f32_e32 v6, v6
	v_mul_f32_e32 v6, 0x4f7ffffe, v6
	v_cvt_u32_f32_e32 v6, v6
	v_readfirstlane_b32 s5, v6
	s_mul_i32 s4, s4, s5
	s_mul_hi_u32 s4, s5, s4
	s_add_i32 s5, s5, s4
	s_mul_hi_u32 s4, s43, s5
	s_mul_i32 s4, s4, s33
	s_sub_i32 s4, s43, s4
	s_sub_i32 s5, s4, s33
	s_cmp_ge_u32 s4, s33
	s_cselect_b32 s4, s5, s4
	s_sub_i32 s5, s4, s33
	s_cmp_ge_u32 s4, s33
	s_cselect_b32 s70, s5, s4
	s_mov_b64 s[10:11], s[70:71]
.LBB126_163:                            ;   in Loop: Header=BB126_18 Depth=1
	v_readlane_b32 s4, v47, 55
	s_sub_u32 s42, s43, s10
	v_readlane_b32 s5, v47, 56
	s_subb_u32 s43, s5, s11
	v_cmp_gt_u64_e32 vcc, s[42:43], v[0:1]
                                        ; implicit-def: $vgpr10
	s_and_saveexec_b64 s[10:11], vcc
	s_cbranch_execz .LBB126_172
; %bb.164:                              ;   in Loop: Header=BB126_18 Depth=1
	v_mov_b32_e32 v7, v1
	s_mov_b64 s[52:53], 0
	v_mov_b32_e32 v6, v0
                                        ; implicit-def: $sgpr54_sgpr55
	s_branch .LBB126_167
.LBB126_165:                            ;   in Loop: Header=BB126_167 Depth=2
	s_or_b64 exec, exec, s[12:13]
	s_waitcnt lgkmcnt(0)
	s_barrier
	ds_read_u16 v10, v3 offset:3072
	s_mov_b64 s[4:5], -1
	s_waitcnt lgkmcnt(0)
	s_barrier
	v_cmp_eq_u32_sdwa s[12:13], v10, v3 src0_sel:BYTE_0 src1_sel:DWORD
	s_and_b64 vcc, exec, s[12:13]
	s_mov_b64 s[12:13], -1
	s_cbranch_vccnz .LBB126_170
.LBB126_166:                            ;   in Loop: Header=BB126_167 Depth=2
	s_and_b64 s[4:5], exec, s[4:5]
	s_or_b64 s[52:53], s[4:5], s[52:53]
	s_andn2_b64 s[4:5], s[54:55], exec
	s_and_b64 s[12:13], s[12:13], exec
	s_or_b64 s[54:55], s[4:5], s[12:13]
	s_andn2_b64 exec, exec, s[52:53]
	s_cbranch_execz .LBB126_171
.LBB126_167:                            ;   Parent Loop BB126_18 Depth=1
                                        ; =>  This Inner Loop Header: Depth=2
	v_cmp_gt_u64_e32 vcc, s[28:29], v[6:7]
	s_and_saveexec_b64 s[12:13], vcc
	s_cbranch_execz .LBB126_165
; %bb.168:                              ;   in Loop: Header=BB126_167 Depth=2
	v_mov_b32_e32 v10, s34
	v_mov_b32_e32 v11, s35
	v_mad_u64_u32 v[10:11], s[4:5], v6, s26, v[10:11]
	v_mul_lo_u32 v21, v6, s27
	v_mul_lo_u32 v22, v7, s26
	v_add3_u32 v11, v22, v11, v21
	global_load_ubyte v10, v[10:11], off
	s_waitcnt vmcnt(0)
	v_and_b32_e32 v11, v10, v8
	v_cmp_eq_u32_sdwa s[4:5], v11, v9 src0_sel:BYTE_0 src1_sel:DWORD
	s_and_b64 exec, exec, s[4:5]
	s_cbranch_execz .LBB126_165
; %bb.169:                              ;   in Loop: Header=BB126_167 Depth=2
	v_lshlrev_b16_e32 v10, 8, v10
	v_or_b32_e32 v10, 1, v10
	ds_write_b16 v3, v10 offset:3072
	s_branch .LBB126_165
.LBB126_170:                            ;   in Loop: Header=BB126_167 Depth=2
	v_add_co_u32_e32 v6, vcc, s33, v6
	v_addc_co_u32_e32 v7, vcc, 0, v7, vcc
	v_cmp_le_u64_e32 vcc, s[42:43], v[6:7]
	s_mov_b64 s[12:13], 0
	s_orn2_b64 s[4:5], vcc, exec
	s_branch .LBB126_166
.LBB126_171:                            ;   in Loop: Header=BB126_18 Depth=1
	s_or_b64 exec, exec, s[52:53]
	s_andn2_b64 s[4:5], s[8:9], exec
	s_and_b64 s[8:9], s[54:55], exec
	v_lshrrev_b32_sdwa v10, v31, v10 dst_sel:DWORD dst_unused:UNUSED_PAD src0_sel:DWORD src1_sel:WORD_0
	s_or_b64 s[8:9], s[4:5], s[8:9]
.LBB126_172:                            ;   in Loop: Header=BB126_18 Depth=1
	s_or_b64 exec, exec, s[10:11]
	s_mov_b64 s[56:57], 0
	s_mov_b64 s[58:59], -1
.LBB126_173:                            ;   in Loop: Header=BB126_18 Depth=1
	s_orn2_b64 s[8:9], s[8:9], exec
.LBB126_174:                            ;   in Loop: Header=BB126_18 Depth=1
	s_or_b64 exec, exec, s[40:41]
	s_mov_b64 s[10:11], 0
	s_and_saveexec_b64 s[40:41], s[8:9]
	s_cbranch_execz .LBB126_283
; %bb.175:                              ;   in Loop: Header=BB126_18 Depth=1
	v_mov_b32_e32 v6, 1
	s_xor_b64 s[4:5], s[20:21], -1
	v_mov_b32_e32 v2, 1
	v_mov_b32_e32 v7, 0
	s_and_saveexec_b64 s[8:9], s[4:5]
	s_cbranch_execz .LBB126_184
; %bb.176:                              ;   in Loop: Header=BB126_18 Depth=1
	v_cmp_ge_u64_e32 vcc, s[48:49], v[4:5]
	s_and_saveexec_b64 s[4:5], vcc
	s_xor_b64 s[10:11], exec, s[4:5]
	s_cbranch_execz .LBB126_181
; %bb.177:                              ;   in Loop: Header=BB126_18 Depth=1
	ds_read_b64 v[6:7], v3 offset:5120
	v_and_b32_e32 v2, s72, v9
	v_lshl_or_b32 v9, 1, s81, v2
	v_or_b32_e32 v8, s83, v8
	s_waitcnt lgkmcnt(0)
	v_cmp_ne_u64_e32 vcc, 0, v[6:7]
	s_cbranch_vccnz .LBB126_181
; %bb.178:                              ;   in Loop: Header=BB126_18 Depth=1
	s_mov_b64 s[4:5], exec
	v_readlane_b32 s12, v47, 32
	v_readlane_b32 s13, v47, 33
	s_and_b64 s[12:13], s[4:5], s[12:13]
	s_mov_b64 exec, s[12:13]
; %bb.179:                              ;   in Loop: Header=BB126_18 Depth=1
	v_mov_b32_e32 v6, s48
	v_mov_b32_e32 v7, s49
	ds_write_b64 v3, v[6:7] offset:5128
; %bb.180:                              ;   in Loop: Header=BB126_18 Depth=1
	s_or_b64 exec, exec, s[4:5]
	s_waitcnt lgkmcnt(0)
	s_barrier
.LBB126_181:                            ;   in Loop: Header=BB126_18 Depth=1
	s_or_saveexec_b64 s[10:11], s[10:11]
	s_mov_b64 s[12:13], 0
	v_mov_b32_e32 v2, 8
	s_xor_b64 exec, exec, s[10:11]
; %bb.182:                              ;   in Loop: Header=BB126_18 Depth=1
	v_subrev_co_u32_e32 v4, vcc, s48, v4
	v_mov_b32_e32 v2, s49
	v_subb_co_u32_e32 v5, vcc, v5, v2, vcc
	v_mov_b32_e32 v2, 0
	s_mov_b64 s[12:13], exec
; %bb.183:                              ;   in Loop: Header=BB126_18 Depth=1
	s_or_b64 exec, exec, s[10:11]
	v_mov_b32_e32 v7, v5
	s_and_b64 s[10:11], s[12:13], exec
	v_mov_b32_e32 v6, v4
.LBB126_184:                            ;   in Loop: Header=BB126_18 Depth=1
	s_or_b64 exec, exec, s[8:9]
	s_mov_b64 s[8:9], -1
                                        ; implicit-def: $sgpr54_sgpr55
                                        ; implicit-def: $sgpr60_sgpr61
	s_and_saveexec_b64 s[12:13], s[10:11]
	s_cbranch_execz .LBB126_282
; %bb.185:                              ;   in Loop: Header=BB126_18 Depth=1
	s_cmp_eq_u64 s[50:51], 1
	v_cmp_eq_u64_e32 vcc, 1, v[6:7]
	s_cselect_b64 s[4:5], -1, 0
	v_writelane_b32 v46, s12, 6
	s_and_b64 s[42:43], s[4:5], vcc
	v_writelane_b32 v46, s13, 7
                                        ; implicit-def: $sgpr60_sgpr61
                                        ; implicit-def: $sgpr54_sgpr55
	s_and_saveexec_b64 s[20:21], s[42:43]
	s_cbranch_execz .LBB126_220
; %bb.186:                              ;   in Loop: Header=BB126_18 Depth=1
	ds_read_b64 v[4:5], v3 offset:5120
	s_waitcnt lgkmcnt(0)
	s_barrier
	v_readfirstlane_b32 s10, v4
	v_readfirstlane_b32 s11, v5
	s_mov_b64 s[4:5], exec
	v_readlane_b32 s8, v47, 48
	v_readlane_b32 s9, v47, 49
	s_and_b64 s[8:9], s[4:5], s[8:9]
	s_mov_b64 exec, s[8:9]
; %bb.187:                              ;   in Loop: Header=BB126_18 Depth=1
	ds_write_b8 v0, v3 offset:3072
; %bb.188:                              ;   in Loop: Header=BB126_18 Depth=1
	s_or_b64 exec, exec, s[4:5]
	v_and_b32_e32 v4, s72, v9
	v_lshl_or_b32 v9, 2, s81, v4
	v_or_b32_e32 v8, s83, v8
	s_mov_b64 s[54:55], -1
	s_mov_b64 s[60:61], 0
	s_cmp_eq_u64 s[10:11], 0
	s_mov_b64 s[8:9], 0
	s_mov_b64 s[52:53], -1
	s_waitcnt lgkmcnt(0)
	s_barrier
                                        ; implicit-def: $vgpr10
	s_cbranch_scc1 .LBB126_202
; %bb.189:                              ;   in Loop: Header=BB126_18 Depth=1
	v_readlane_b32 s4, v47, 52
	s_add_u32 s52, s10, s4
	v_readlane_b32 s4, v47, 54
	s_addc_u32 s9, s11, s4
	s_mov_b32 s8, s71
	s_cmp_lg_u64 s[8:9], 0
	s_cbranch_scc0 .LBB126_205
; %bb.190:                              ;   in Loop: Header=BB126_18 Depth=1
	v_cvt_f32_u32_e32 v4, s33
	s_sub_u32 s8, 0, s33
	s_subb_u32 s12, 0, 0
	v_mac_f32_e32 v4, 0, v30
	v_rcp_f32_e32 v4, v4
	v_mul_f32_e32 v4, 0x5f7ffffc, v4
	v_mul_f32_e32 v5, 0x2f800000, v4
	v_trunc_f32_e32 v5, v5
	v_mac_f32_e32 v4, 0xcf800000, v5
	v_cvt_u32_f32_e32 v5, v5
	v_cvt_u32_f32_e32 v4, v4
	v_readfirstlane_b32 s13, v5
	v_readfirstlane_b32 s4, v4
	s_mul_i32 s5, s8, s13
	s_mul_hi_u32 s54, s8, s4
	s_mul_i32 s53, s12, s4
	s_add_i32 s5, s54, s5
	s_mul_i32 s55, s8, s4
	s_add_i32 s5, s5, s53
	s_mul_hi_u32 s54, s4, s55
	s_mul_i32 s70, s4, s5
	s_mul_hi_u32 s53, s4, s5
	s_add_u32 s54, s54, s70
	s_addc_u32 s53, 0, s53
	s_mul_hi_u32 s76, s13, s55
	s_mul_i32 s55, s13, s55
	s_add_u32 s54, s54, s55
	s_mul_hi_u32 s70, s13, s5
	s_addc_u32 s53, s53, s76
	s_addc_u32 s54, s70, 0
	s_mul_i32 s5, s13, s5
	s_add_u32 s5, s53, s5
	s_addc_u32 s53, 0, s54
	s_add_u32 s54, s4, s5
	s_cselect_b64 s[4:5], -1, 0
	s_cmp_lg_u64 s[4:5], 0
	s_addc_u32 s13, s13, s53
	s_mul_i32 s4, s8, s13
	s_mul_hi_u32 s5, s8, s54
	s_add_i32 s4, s5, s4
	s_mul_i32 s12, s12, s54
	s_add_i32 s4, s4, s12
	s_mul_i32 s8, s8, s54
	s_mul_hi_u32 s12, s13, s8
	s_mul_i32 s53, s13, s8
	s_mul_i32 s70, s54, s4
	s_mul_hi_u32 s8, s54, s8
	s_mul_hi_u32 s55, s54, s4
	s_add_u32 s8, s8, s70
	s_addc_u32 s55, 0, s55
	s_add_u32 s8, s8, s53
	s_mul_hi_u32 s5, s13, s4
	s_addc_u32 s8, s55, s12
	s_addc_u32 s5, s5, 0
	s_mul_i32 s4, s13, s4
	s_add_u32 s4, s8, s4
	s_addc_u32 s8, 0, s5
	s_add_u32 s12, s54, s4
	s_cselect_b64 s[4:5], -1, 0
	s_cmp_lg_u64 s[4:5], 0
	s_addc_u32 s4, s13, s8
	s_mul_i32 s8, s52, s4
	s_mul_hi_u32 s13, s52, s12
	s_mul_hi_u32 s5, s52, s4
	s_add_u32 s8, s13, s8
	s_addc_u32 s5, 0, s5
	s_mul_hi_u32 s53, s9, s12
	s_mul_i32 s12, s9, s12
	s_add_u32 s8, s8, s12
	s_mul_hi_u32 s13, s9, s4
	s_addc_u32 s5, s5, s53
	s_addc_u32 s8, s13, 0
	s_mul_i32 s4, s9, s4
	s_add_u32 s4, s5, s4
	s_addc_u32 s5, 0, s8
	s_mul_i32 s5, s33, s5
	s_mul_hi_u32 s8, s33, s4
	s_add_i32 s8, s8, s5
	s_mul_i32 s4, s33, s4
	s_sub_u32 s12, s52, s4
	s_cselect_b64 s[4:5], -1, 0
	s_cmp_lg_u64 s[4:5], 0
	s_subb_u32 s8, s9, s8
	s_sub_u32 s13, s12, s33
	s_cselect_b64 s[4:5], -1, 0
	s_cmp_lg_u64 s[4:5], 0
	s_subb_u32 s53, s8, 0
	;; [unrolled: 4-line block ×3, first 2 shown]
	s_cmp_ge_u32 s13, s33
	s_cselect_b32 s5, -1, 0
	s_cmp_eq_u32 s53, 0
	s_cselect_b32 s5, s5, -1
	s_cmp_lg_u32 s5, 0
	s_cselect_b32 s4, s4, s53
	s_cselect_b32 s5, s54, s13
	s_cmp_ge_u32 s12, s33
	s_cselect_b32 s13, -1, 0
	s_cmp_eq_u32 s8, 0
	s_cselect_b32 s13, s13, -1
	s_cmp_lg_u32 s13, 0
	s_cselect_b32 s13, s4, s8
	s_cselect_b32 s12, s5, s12
	s_cbranch_execnz .LBB126_192
.LBB126_191:                            ;   in Loop: Header=BB126_18 Depth=1
	v_cvt_f32_u32_e32 v4, s33
	s_sub_i32 s4, 0, s33
	v_rcp_iflag_f32_e32 v4, v4
	v_mul_f32_e32 v4, 0x4f7ffffe, v4
	v_cvt_u32_f32_e32 v4, v4
	v_readfirstlane_b32 s5, v4
	s_mul_i32 s4, s4, s5
	s_mul_hi_u32 s4, s5, s4
	s_add_i32 s5, s5, s4
	s_mul_hi_u32 s4, s52, s5
	s_mul_i32 s4, s4, s33
	s_sub_i32 s4, s52, s4
	s_sub_i32 s5, s4, s33
	s_cmp_ge_u32 s4, s33
	s_cselect_b32 s4, s5, s4
	s_sub_i32 s5, s4, s33
	s_cmp_ge_u32 s4, s33
	s_cselect_b32 s70, s5, s4
	s_mov_b64 s[12:13], s[70:71]
.LBB126_192:                            ;   in Loop: Header=BB126_18 Depth=1
	s_sub_u32 s76, s52, s12
	s_subb_u32 s77, s9, s13
	v_cmp_gt_u64_e32 vcc, s[76:77], v[0:1]
	s_mov_b64 s[52:53], 0
	s_mov_b64 s[8:9], 0
                                        ; implicit-def: $vgpr10
	s_and_saveexec_b64 s[84:85], vcc
	s_cbranch_execz .LBB126_201
; %bb.193:                              ;   in Loop: Header=BB126_18 Depth=1
	v_mov_b32_e32 v5, v1
	v_mov_b32_e32 v10, v0
	;; [unrolled: 1-line block ×3, first 2 shown]
                                        ; implicit-def: $sgpr12_sgpr13
	s_branch .LBB126_196
.LBB126_194:                            ;   in Loop: Header=BB126_196 Depth=2
	s_or_b64 exec, exec, s[54:55]
	s_waitcnt lgkmcnt(0)
	s_barrier
	ds_read_u16 v11, v3 offset:3072
	s_mov_b64 s[54:55], -1
	s_waitcnt lgkmcnt(0)
	s_barrier
	v_cmp_ne_u32_sdwa s[4:5], v11, v3 src0_sel:BYTE_0 src1_sel:DWORD
	s_and_b64 vcc, exec, s[4:5]
	s_mov_b64 s[4:5], -1
	s_cbranch_vccz .LBB126_199
.LBB126_195:                            ;   in Loop: Header=BB126_196 Depth=2
	s_and_b64 s[54:55], exec, s[54:55]
	s_or_b64 s[8:9], s[54:55], s[8:9]
	s_andn2_b64 s[12:13], s[12:13], exec
	s_and_b64 s[4:5], s[4:5], exec
	s_or_b64 s[12:13], s[12:13], s[4:5]
	s_andn2_b64 exec, exec, s[8:9]
	s_cbranch_execz .LBB126_200
.LBB126_196:                            ;   Parent Loop BB126_18 Depth=1
                                        ; =>  This Inner Loop Header: Depth=2
	v_cmp_gt_u64_e32 vcc, s[10:11], v[4:5]
	s_and_saveexec_b64 s[54:55], vcc
	s_cbranch_execz .LBB126_194
; %bb.197:                              ;   in Loop: Header=BB126_196 Depth=2
	ds_read_u8 v11, v10
	s_waitcnt lgkmcnt(0)
	v_and_b32_e32 v21, v11, v8
	v_cmp_eq_u32_sdwa s[4:5], v21, v9 src0_sel:BYTE_0 src1_sel:DWORD
	s_and_b64 exec, exec, s[4:5]
	s_cbranch_execz .LBB126_194
; %bb.198:                              ;   in Loop: Header=BB126_196 Depth=2
	v_lshlrev_b16_e32 v11, 8, v11
	v_or_b32_e32 v11, 1, v11
	ds_write_b16 v3, v11 offset:3072
	s_branch .LBB126_194
.LBB126_199:                            ;   in Loop: Header=BB126_196 Depth=2
	v_add_co_u32_e32 v4, vcc, s33, v4
	v_addc_co_u32_e32 v5, vcc, 0, v5, vcc
	v_cmp_le_u64_e32 vcc, s[76:77], v[4:5]
	v_add_u32_e32 v10, s33, v10
	s_mov_b64 s[4:5], 0
	s_orn2_b64 s[54:55], vcc, exec
	s_branch .LBB126_195
.LBB126_200:                            ;   in Loop: Header=BB126_18 Depth=1
	s_or_b64 exec, exec, s[8:9]
	v_lshrrev_b32_sdwa v10, v31, v11 dst_sel:DWORD dst_unused:UNUSED_PAD src0_sel:DWORD src1_sel:WORD_0
	s_and_b64 s[8:9], s[12:13], exec
.LBB126_201:                            ;   in Loop: Header=BB126_18 Depth=1
	s_or_b64 exec, exec, s[84:85]
	s_mov_b64 s[54:55], -1
.LBB126_202:                            ;   in Loop: Header=BB126_18 Depth=1
	s_and_b64 vcc, exec, s[52:53]
	s_cbranch_vccz .LBB126_219
; %bb.203:                              ;   in Loop: Header=BB126_18 Depth=1
	v_readlane_b32 s60, v47, 55
	v_readlane_b32 s61, v47, 56
	s_mov_b32 s60, s71
	s_cmp_lg_u64 s[60:61], 0
	v_writelane_b32 v47, s60, 55
	v_writelane_b32 v47, s61, 56
	s_cbranch_scc0 .LBB126_206
; %bb.204:                              ;   in Loop: Header=BB126_18 Depth=1
	v_cvt_f32_u32_e32 v4, s33
	s_sub_u32 s10, 0, s33
	s_subb_u32 s11, 0, 0
	v_mac_f32_e32 v4, 0, v30
	v_rcp_f32_e32 v4, v4
	v_mul_f32_e32 v4, 0x5f7ffffc, v4
	v_mul_f32_e32 v5, 0x2f800000, v4
	v_trunc_f32_e32 v5, v5
	v_mac_f32_e32 v4, 0xcf800000, v5
	v_cvt_u32_f32_e32 v5, v5
	v_cvt_u32_f32_e32 v4, v4
	v_readfirstlane_b32 s12, v5
	v_readfirstlane_b32 s4, v4
	s_mul_i32 s5, s10, s12
	s_mul_hi_u32 s52, s10, s4
	s_mul_i32 s13, s11, s4
	s_add_i32 s5, s52, s5
	s_mul_i32 s53, s10, s4
	s_add_i32 s5, s5, s13
	s_mul_hi_u32 s52, s4, s53
	s_mul_i32 s54, s4, s5
	s_mul_hi_u32 s13, s4, s5
	s_add_u32 s52, s52, s54
	s_addc_u32 s13, 0, s13
	s_mul_hi_u32 s55, s12, s53
	s_mul_i32 s53, s12, s53
	s_add_u32 s52, s52, s53
	s_mul_hi_u32 s54, s12, s5
	s_addc_u32 s13, s13, s55
	s_addc_u32 s52, s54, 0
	s_mul_i32 s5, s12, s5
	s_add_u32 s5, s13, s5
	s_addc_u32 s13, 0, s52
	s_add_u32 s52, s4, s5
	s_cselect_b64 s[4:5], -1, 0
	s_cmp_lg_u64 s[4:5], 0
	s_addc_u32 s12, s12, s13
	s_mul_i32 s4, s10, s12
	s_mul_hi_u32 s5, s10, s52
	s_add_i32 s4, s5, s4
	s_mul_i32 s11, s11, s52
	s_add_i32 s4, s4, s11
	s_mul_i32 s10, s10, s52
	s_mul_hi_u32 s11, s12, s10
	s_mul_i32 s13, s12, s10
	s_mul_i32 s54, s52, s4
	s_mul_hi_u32 s10, s52, s10
	s_mul_hi_u32 s53, s52, s4
	s_add_u32 s10, s10, s54
	s_addc_u32 s53, 0, s53
	s_add_u32 s10, s10, s13
	s_mul_hi_u32 s5, s12, s4
	s_addc_u32 s10, s53, s11
	s_addc_u32 s5, s5, 0
	s_mul_i32 s4, s12, s4
	s_add_u32 s4, s10, s4
	s_addc_u32 s10, 0, s5
	s_add_u32 s11, s52, s4
	s_cselect_b64 s[4:5], -1, 0
	s_cmp_lg_u64 s[4:5], 0
	s_addc_u32 s4, s12, s10
	v_readlane_b32 s53, v47, 53
	s_mul_i32 s10, s53, s4
	s_mul_hi_u32 s12, s53, s11
	s_mul_hi_u32 s5, s53, s4
	s_add_u32 s10, s12, s10
	s_addc_u32 s5, 0, s5
	s_mul_hi_u32 s13, s61, s11
	s_mul_i32 s11, s61, s11
	s_add_u32 s10, s10, s11
	s_mul_hi_u32 s12, s61, s4
	s_addc_u32 s5, s5, s13
	s_addc_u32 s10, s12, 0
	s_mul_i32 s4, s61, s4
	s_add_u32 s4, s5, s4
	s_addc_u32 s5, 0, s10
	s_mul_i32 s5, s33, s5
	s_mul_hi_u32 s10, s33, s4
	s_add_i32 s10, s10, s5
	s_mul_i32 s4, s33, s4
	s_sub_u32 s12, s53, s4
	s_cselect_b64 s[4:5], -1, 0
	s_cmp_lg_u64 s[4:5], 0
	s_subb_u32 s10, s61, s10
	s_sub_u32 s11, s12, s33
	s_cselect_b64 s[4:5], -1, 0
	s_cmp_lg_u64 s[4:5], 0
	s_subb_u32 s13, s10, 0
	;; [unrolled: 4-line block ×3, first 2 shown]
	s_cmp_ge_u32 s11, s33
	s_cselect_b32 s5, -1, 0
	s_cmp_eq_u32 s13, 0
	s_cselect_b32 s5, s5, -1
	s_cmp_lg_u32 s5, 0
	s_cselect_b32 s4, s4, s13
	s_cselect_b32 s5, s52, s11
	s_cmp_ge_u32 s12, s33
	s_cselect_b32 s11, -1, 0
	s_cmp_eq_u32 s10, 0
	s_cselect_b32 s11, s11, -1
	s_cmp_lg_u32 s11, 0
	s_cselect_b32 s11, s4, s10
	s_cselect_b32 s10, s5, s12
	s_mov_b64 s[4:5], 0
	s_branch .LBB126_207
.LBB126_205:                            ;   in Loop: Header=BB126_18 Depth=1
                                        ; implicit-def: $sgpr12_sgpr13
	s_branch .LBB126_191
.LBB126_206:                            ;   in Loop: Header=BB126_18 Depth=1
	s_mov_b64 s[4:5], -1
	v_readlane_b32 s53, v47, 53
                                        ; implicit-def: $sgpr10_sgpr11
.LBB126_207:                            ;   in Loop: Header=BB126_18 Depth=1
	s_andn2_b64 vcc, exec, s[4:5]
	v_readlane_b32 s79, v46, 5
	s_cbranch_vccnz .LBB126_209
; %bb.208:                              ;   in Loop: Header=BB126_18 Depth=1
	v_cvt_f32_u32_e32 v4, s33
	s_sub_i32 s4, 0, s33
	v_rcp_iflag_f32_e32 v4, v4
	v_mul_f32_e32 v4, 0x4f7ffffe, v4
	v_cvt_u32_f32_e32 v4, v4
	v_readfirstlane_b32 s5, v4
	s_mul_i32 s4, s4, s5
	s_mul_hi_u32 s4, s5, s4
	s_add_i32 s5, s5, s4
	s_mul_hi_u32 s4, s53, s5
	s_mul_i32 s4, s4, s33
	s_sub_i32 s4, s53, s4
	s_sub_i32 s5, s4, s33
	s_cmp_ge_u32 s4, s33
	s_cselect_b32 s4, s5, s4
	s_sub_i32 s5, s4, s33
	s_cmp_ge_u32 s4, s33
	s_cselect_b32 s70, s5, s4
	s_mov_b64 s[10:11], s[70:71]
.LBB126_209:                            ;   in Loop: Header=BB126_18 Depth=1
	v_readlane_b32 s4, v47, 55
	s_sub_u32 s52, s53, s10
	v_readlane_b32 s5, v47, 56
	s_subb_u32 s53, s5, s11
	v_cmp_gt_u64_e32 vcc, s[52:53], v[0:1]
                                        ; implicit-def: $vgpr10
	s_and_saveexec_b64 s[10:11], vcc
	s_cbranch_execz .LBB126_218
; %bb.210:                              ;   in Loop: Header=BB126_18 Depth=1
	v_mov_b32_e32 v5, v1
	s_mov_b64 s[54:55], 0
	v_mov_b32_e32 v4, v0
                                        ; implicit-def: $sgpr60_sgpr61
	s_branch .LBB126_213
.LBB126_211:                            ;   in Loop: Header=BB126_213 Depth=2
	s_or_b64 exec, exec, s[12:13]
	s_waitcnt lgkmcnt(0)
	s_barrier
	ds_read_u16 v10, v3 offset:3072
	s_mov_b64 s[4:5], -1
	s_waitcnt lgkmcnt(0)
	s_barrier
	v_cmp_eq_u32_sdwa s[12:13], v10, v3 src0_sel:BYTE_0 src1_sel:DWORD
	s_and_b64 vcc, exec, s[12:13]
	s_mov_b64 s[12:13], -1
	s_cbranch_vccnz .LBB126_216
.LBB126_212:                            ;   in Loop: Header=BB126_213 Depth=2
	s_and_b64 s[4:5], exec, s[4:5]
	s_or_b64 s[54:55], s[4:5], s[54:55]
	s_andn2_b64 s[4:5], s[60:61], exec
	s_and_b64 s[12:13], s[12:13], exec
	s_or_b64 s[60:61], s[4:5], s[12:13]
	s_andn2_b64 exec, exec, s[54:55]
	s_cbranch_execz .LBB126_217
.LBB126_213:                            ;   Parent Loop BB126_18 Depth=1
                                        ; =>  This Inner Loop Header: Depth=2
	v_cmp_gt_u64_e32 vcc, s[28:29], v[4:5]
	s_and_saveexec_b64 s[12:13], vcc
	s_cbranch_execz .LBB126_211
; %bb.214:                              ;   in Loop: Header=BB126_213 Depth=2
	v_mov_b32_e32 v10, s34
	v_mov_b32_e32 v11, s35
	v_mad_u64_u32 v[10:11], s[4:5], v4, s26, v[10:11]
	v_mul_lo_u32 v21, v4, s27
	v_mul_lo_u32 v22, v5, s26
	v_add3_u32 v11, v22, v11, v21
	global_load_ubyte v10, v[10:11], off
	s_waitcnt vmcnt(0)
	v_and_b32_e32 v11, v10, v8
	v_cmp_eq_u32_sdwa s[4:5], v11, v9 src0_sel:BYTE_0 src1_sel:DWORD
	s_and_b64 exec, exec, s[4:5]
	s_cbranch_execz .LBB126_211
; %bb.215:                              ;   in Loop: Header=BB126_213 Depth=2
	v_lshlrev_b16_e32 v10, 8, v10
	v_or_b32_e32 v10, 1, v10
	ds_write_b16 v3, v10 offset:3072
	s_branch .LBB126_211
.LBB126_216:                            ;   in Loop: Header=BB126_213 Depth=2
	v_add_co_u32_e32 v4, vcc, s33, v4
	v_addc_co_u32_e32 v5, vcc, 0, v5, vcc
	v_cmp_le_u64_e32 vcc, s[52:53], v[4:5]
	s_mov_b64 s[12:13], 0
	s_orn2_b64 s[4:5], vcc, exec
	s_branch .LBB126_212
.LBB126_217:                            ;   in Loop: Header=BB126_18 Depth=1
	s_or_b64 exec, exec, s[54:55]
	s_andn2_b64 s[4:5], s[8:9], exec
	s_and_b64 s[8:9], s[60:61], exec
	v_lshrrev_b32_sdwa v10, v31, v10 dst_sel:DWORD dst_unused:UNUSED_PAD src0_sel:DWORD src1_sel:WORD_0
	s_or_b64 s[8:9], s[4:5], s[8:9]
.LBB126_218:                            ;   in Loop: Header=BB126_18 Depth=1
	s_or_b64 exec, exec, s[10:11]
	s_mov_b64 s[54:55], 0
	s_mov_b64 s[60:61], -1
.LBB126_219:                            ;   in Loop: Header=BB126_18 Depth=1
	s_orn2_b64 s[8:9], s[8:9], exec
.LBB126_220:                            ;   in Loop: Header=BB126_18 Depth=1
	s_or_b64 exec, exec, s[20:21]
	s_mov_b64 s[10:11], 0
	s_and_saveexec_b64 s[20:21], s[8:9]
	v_readlane_b32 s12, v46, 6
	v_readlane_b32 s13, v46, 7
	s_cbranch_execz .LBB126_281
; %bb.221:                              ;   in Loop: Header=BB126_18 Depth=1
	v_mov_b32_e32 v4, 1
	s_xor_b64 s[4:5], s[42:43], -1
	v_mov_b32_e32 v2, 1
	v_mov_b32_e32 v5, 0
	s_and_saveexec_b64 s[8:9], s[4:5]
	s_cbranch_execz .LBB126_230
; %bb.222:                              ;   in Loop: Header=BB126_18 Depth=1
	v_cmp_ge_u64_e32 vcc, s[50:51], v[6:7]
	s_and_saveexec_b64 s[4:5], vcc
	s_xor_b64 s[10:11], exec, s[4:5]
	s_cbranch_execz .LBB126_227
; %bb.223:                              ;   in Loop: Header=BB126_18 Depth=1
	ds_read_b64 v[4:5], v3 offset:5120
	v_and_b32_e32 v2, s72, v9
	v_lshl_or_b32 v9, 2, s81, v2
	v_or_b32_e32 v8, s83, v8
	s_waitcnt lgkmcnt(0)
	v_cmp_ne_u64_e32 vcc, 0, v[4:5]
	s_cbranch_vccnz .LBB126_227
; %bb.224:                              ;   in Loop: Header=BB126_18 Depth=1
	s_mov_b64 s[4:5], exec
	v_readlane_b32 s12, v47, 32
	v_readlane_b32 s13, v47, 33
	s_and_b64 s[12:13], s[4:5], s[12:13]
	s_mov_b64 exec, s[12:13]
; %bb.225:                              ;   in Loop: Header=BB126_18 Depth=1
	v_mov_b32_e32 v4, s50
	v_mov_b32_e32 v5, s51
	ds_write_b64 v3, v[4:5] offset:5128
; %bb.226:                              ;   in Loop: Header=BB126_18 Depth=1
	s_or_b64 exec, exec, s[4:5]
	s_waitcnt lgkmcnt(0)
	s_barrier
.LBB126_227:                            ;   in Loop: Header=BB126_18 Depth=1
	s_or_saveexec_b64 s[10:11], s[10:11]
	s_mov_b64 s[12:13], 0
	v_mov_b32_e32 v2, 8
	s_xor_b64 exec, exec, s[10:11]
; %bb.228:                              ;   in Loop: Header=BB126_18 Depth=1
	v_subrev_co_u32_e32 v6, vcc, s50, v6
	v_mov_b32_e32 v2, s51
	v_subb_co_u32_e32 v7, vcc, v7, v2, vcc
	v_mov_b32_e32 v2, 0
	s_mov_b64 s[12:13], exec
; %bb.229:                              ;   in Loop: Header=BB126_18 Depth=1
	s_or_b64 exec, exec, s[10:11]
	s_and_b64 s[10:11], s[12:13], exec
	v_mov_b32_e32 v4, v6
	v_readlane_b32 s12, v46, 6
	v_mov_b32_e32 v5, v7
	v_readlane_b32 s13, v46, 7
.LBB126_230:                            ;   in Loop: Header=BB126_18 Depth=1
	s_or_b64 exec, exec, s[8:9]
	s_mov_b64 s[8:9], -1
                                        ; implicit-def: $sgpr84_sgpr85
                                        ; implicit-def: $sgpr76_sgpr77
	s_and_saveexec_b64 s[42:43], s[10:11]
	s_cbranch_execz .LBB126_280
; %bb.231:                              ;   in Loop: Header=BB126_18 Depth=1
	s_cmp_eq_u64 s[16:17], 1
	v_cmp_eq_u64_e32 vcc, 1, v[4:5]
	v_writelane_b32 v46, s42, 8
	s_cselect_b64 s[4:5], -1, 0
	v_writelane_b32 v46, s43, 9
	s_and_b64 s[4:5], s[4:5], vcc
                                        ; implicit-def: $sgpr84_sgpr85
                                        ; implicit-def: $sgpr76_sgpr77
	s_mov_b64 s[10:11], exec
	v_writelane_b32 v46, s4, 10
	v_writelane_b32 v46, s5, 11
	;; [unrolled: 1-line block ×3, first 2 shown]
	s_and_b64 s[4:5], s[10:11], s[4:5]
	v_writelane_b32 v46, s11, 13
	s_mov_b64 exec, s[4:5]
	s_cbranch_execz .LBB126_268
; %bb.232:                              ;   in Loop: Header=BB126_18 Depth=1
	ds_read_b64 v[6:7], v3 offset:5120
	s_waitcnt lgkmcnt(0)
	s_barrier
	v_readfirstlane_b32 s84, v6
	v_readfirstlane_b32 s85, v7
	s_mov_b64 s[4:5], exec
	v_readlane_b32 s8, v47, 48
	v_readlane_b32 s9, v47, 49
	s_and_b64 s[8:9], s[4:5], s[8:9]
	s_mov_b64 exec, s[8:9]
; %bb.233:                              ;   in Loop: Header=BB126_18 Depth=1
	ds_write_b8 v0, v3 offset:3072
; %bb.234:                              ;   in Loop: Header=BB126_18 Depth=1
	s_or_b64 exec, exec, s[4:5]
	v_or_b32_e32 v9, s83, v9
	v_or_b32_e32 v8, s83, v8
	s_cmp_eq_u64 s[84:85], 0
	s_mov_b64 s[42:43], 0
	s_mov_b64 s[52:53], -1
	s_waitcnt lgkmcnt(0)
	s_barrier
                                        ; implicit-def: $vgpr10
	s_cbranch_scc1 .LBB126_250
; %bb.235:                              ;   in Loop: Header=BB126_18 Depth=1
	v_readlane_b32 s4, v47, 52
	s_add_u32 s10, s84, s4
	v_readlane_b32 s4, v47, 54
	s_addc_u32 s53, s85, s4
	s_mov_b32 s52, s71
	s_cmp_lg_u64 s[52:53], 0
	s_cbranch_scc0 .LBB126_237
; %bb.236:                              ;   in Loop: Header=BB126_18 Depth=1
	v_cvt_f32_u32_e32 v6, s33
	s_sub_u32 s8, 0, s33
	s_subb_u32 s9, 0, 0
	v_mac_f32_e32 v6, 0, v30
	v_rcp_f32_e32 v6, v6
	v_mul_f32_e32 v6, 0x5f7ffffc, v6
	v_mul_f32_e32 v7, 0x2f800000, v6
	v_trunc_f32_e32 v7, v7
	v_mac_f32_e32 v6, 0xcf800000, v7
	v_cvt_u32_f32_e32 v7, v7
	v_cvt_u32_f32_e32 v6, v6
	v_readfirstlane_b32 s11, v7
	v_readfirstlane_b32 s4, v6
	s_mul_i32 s5, s8, s11
	s_mul_hi_u32 s13, s8, s4
	s_mul_i32 s12, s9, s4
	s_add_i32 s5, s13, s5
	s_mul_i32 s42, s8, s4
	s_add_i32 s5, s5, s12
	s_mul_hi_u32 s13, s4, s42
	s_mul_i32 s43, s4, s5
	s_mul_hi_u32 s12, s4, s5
	s_add_u32 s13, s13, s43
	s_addc_u32 s12, 0, s12
	s_mul_hi_u32 s52, s11, s42
	s_mul_i32 s42, s11, s42
	s_add_u32 s13, s13, s42
	s_mul_hi_u32 s43, s11, s5
	s_addc_u32 s12, s12, s52
	s_addc_u32 s13, s43, 0
	s_mul_i32 s5, s11, s5
	s_add_u32 s5, s12, s5
	s_addc_u32 s12, 0, s13
	s_add_u32 s13, s4, s5
	s_cselect_b64 s[4:5], -1, 0
	s_cmp_lg_u64 s[4:5], 0
	s_addc_u32 s11, s11, s12
	s_mul_i32 s4, s8, s11
	s_mul_hi_u32 s5, s8, s13
	s_add_i32 s4, s5, s4
	s_mul_i32 s9, s9, s13
	s_add_i32 s4, s4, s9
	s_mul_i32 s8, s8, s13
	s_mul_hi_u32 s9, s11, s8
	s_mul_i32 s12, s11, s8
	s_mul_i32 s43, s13, s4
	s_mul_hi_u32 s8, s13, s8
	s_mul_hi_u32 s42, s13, s4
	s_add_u32 s8, s8, s43
	s_addc_u32 s42, 0, s42
	s_add_u32 s8, s8, s12
	s_mul_hi_u32 s5, s11, s4
	s_addc_u32 s8, s42, s9
	s_addc_u32 s5, s5, 0
	s_mul_i32 s4, s11, s4
	s_add_u32 s4, s8, s4
	s_addc_u32 s8, 0, s5
	s_add_u32 s9, s13, s4
	s_cselect_b64 s[4:5], -1, 0
	s_cmp_lg_u64 s[4:5], 0
	s_addc_u32 s4, s11, s8
	s_mul_i32 s8, s10, s4
	s_mul_hi_u32 s11, s10, s9
	s_mul_hi_u32 s5, s10, s4
	s_add_u32 s8, s11, s8
	s_addc_u32 s5, 0, s5
	s_mul_hi_u32 s12, s53, s9
	s_mul_i32 s9, s53, s9
	s_add_u32 s8, s8, s9
	s_mul_hi_u32 s11, s53, s4
	s_addc_u32 s5, s5, s12
	s_addc_u32 s8, s11, 0
	s_mul_i32 s4, s53, s4
	s_add_u32 s4, s5, s4
	s_addc_u32 s5, 0, s8
	s_mul_i32 s5, s33, s5
	s_mul_hi_u32 s8, s33, s4
	s_add_i32 s8, s8, s5
	s_mul_i32 s4, s33, s4
	s_sub_u32 s11, s10, s4
	s_cselect_b64 s[4:5], -1, 0
	s_cmp_lg_u64 s[4:5], 0
	s_subb_u32 s8, s53, s8
	s_sub_u32 s9, s11, s33
	s_cselect_b64 s[4:5], -1, 0
	s_cmp_lg_u64 s[4:5], 0
	s_subb_u32 s12, s8, 0
	s_sub_u32 s13, s9, s33
	s_cselect_b64 s[4:5], -1, 0
	s_cmp_lg_u64 s[4:5], 0
	s_subb_u32 s4, s12, 0
	s_cmp_ge_u32 s9, s33
	s_cselect_b32 s5, -1, 0
	s_cmp_eq_u32 s12, 0
	s_cselect_b32 s5, s5, -1
	s_cmp_lg_u32 s5, 0
	s_cselect_b32 s4, s4, s12
	s_cselect_b32 s5, s13, s9
	s_cmp_ge_u32 s11, s33
	s_cselect_b32 s9, -1, 0
	s_cmp_eq_u32 s8, 0
	s_cselect_b32 s9, s9, -1
	s_cmp_lg_u32 s9, 0
	s_cselect_b32 s9, s4, s8
	s_cselect_b32 s8, s5, s11
	s_mov_b64 s[4:5], 0
	s_branch .LBB126_238
.LBB126_237:                            ;   in Loop: Header=BB126_18 Depth=1
	s_mov_b64 s[4:5], -1
                                        ; implicit-def: $sgpr8_sgpr9
.LBB126_238:                            ;   in Loop: Header=BB126_18 Depth=1
	s_andn2_b64 vcc, exec, s[4:5]
	s_cbranch_vccnz .LBB126_240
; %bb.239:                              ;   in Loop: Header=BB126_18 Depth=1
	v_cvt_f32_u32_e32 v6, s33
	s_sub_i32 s4, 0, s33
	v_rcp_iflag_f32_e32 v6, v6
	v_mul_f32_e32 v6, 0x4f7ffffe, v6
	v_cvt_u32_f32_e32 v6, v6
	v_readfirstlane_b32 s5, v6
	s_mul_i32 s4, s4, s5
	s_mul_hi_u32 s4, s5, s4
	s_add_i32 s5, s5, s4
	s_mul_hi_u32 s4, s10, s5
	s_mul_i32 s4, s4, s33
	s_sub_i32 s4, s10, s4
	s_sub_i32 s5, s4, s33
	s_cmp_ge_u32 s4, s33
	s_cselect_b32 s4, s5, s4
	s_sub_i32 s5, s4, s33
	s_cmp_ge_u32 s4, s33
	s_cselect_b32 s70, s5, s4
	s_mov_b64 s[8:9], s[70:71]
.LBB126_240:                            ;   in Loop: Header=BB126_18 Depth=1
	s_sub_u32 s76, s10, s8
	s_subb_u32 s77, s53, s9
	v_cmp_gt_u64_e32 vcc, s[76:77], v[0:1]
	s_mov_b64 s[52:53], 0
	s_mov_b64 s[42:43], 0
                                        ; implicit-def: $vgpr10
	s_and_saveexec_b64 s[8:9], vcc
	s_cbranch_execz .LBB126_249
; %bb.241:                              ;   in Loop: Header=BB126_18 Depth=1
	v_mov_b32_e32 v7, v1
	v_writelane_b32 v46, s54, 14
	s_mov_b64 s[10:11], 0
	v_mov_b32_e32 v10, v0
	v_mov_b32_e32 v6, v0
	v_writelane_b32 v46, s55, 15
                                        ; implicit-def: $sgpr12_sgpr13
	s_branch .LBB126_244
.LBB126_242:                            ;   in Loop: Header=BB126_244 Depth=2
	s_or_b64 exec, exec, s[54:55]
	s_waitcnt lgkmcnt(0)
	s_barrier
	ds_read_u16 v11, v3 offset:3072
	s_mov_b64 s[54:55], -1
	s_waitcnt lgkmcnt(0)
	s_barrier
	v_cmp_ne_u32_sdwa s[4:5], v11, v3 src0_sel:BYTE_0 src1_sel:DWORD
	s_and_b64 vcc, exec, s[4:5]
	s_mov_b64 s[4:5], -1
	s_cbranch_vccz .LBB126_247
.LBB126_243:                            ;   in Loop: Header=BB126_244 Depth=2
	s_and_b64 s[42:43], exec, s[54:55]
	s_or_b64 s[10:11], s[42:43], s[10:11]
	s_andn2_b64 s[12:13], s[12:13], exec
	s_and_b64 s[4:5], s[4:5], exec
	s_or_b64 s[12:13], s[12:13], s[4:5]
	s_andn2_b64 exec, exec, s[10:11]
	s_cbranch_execz .LBB126_248
.LBB126_244:                            ;   Parent Loop BB126_18 Depth=1
                                        ; =>  This Inner Loop Header: Depth=2
	v_cmp_gt_u64_e32 vcc, s[84:85], v[6:7]
	s_and_saveexec_b64 s[54:55], vcc
	s_cbranch_execz .LBB126_242
; %bb.245:                              ;   in Loop: Header=BB126_244 Depth=2
	ds_read_u8 v11, v10
	s_waitcnt lgkmcnt(0)
	v_and_b32_e32 v21, v11, v8
	v_cmp_eq_u32_sdwa s[4:5], v21, v9 src0_sel:BYTE_0 src1_sel:DWORD
	s_and_b64 exec, exec, s[4:5]
	s_cbranch_execz .LBB126_242
; %bb.246:                              ;   in Loop: Header=BB126_244 Depth=2
	v_lshlrev_b16_e32 v11, 8, v11
	v_or_b32_e32 v11, 1, v11
	ds_write_b16 v3, v11 offset:3072
	s_branch .LBB126_242
.LBB126_247:                            ;   in Loop: Header=BB126_244 Depth=2
	v_add_co_u32_e32 v6, vcc, s33, v6
	v_addc_co_u32_e32 v7, vcc, 0, v7, vcc
	v_cmp_le_u64_e32 vcc, s[76:77], v[6:7]
	v_add_u32_e32 v10, s33, v10
	s_mov_b64 s[4:5], 0
	s_orn2_b64 s[54:55], vcc, exec
	s_branch .LBB126_243
.LBB126_248:                            ;   in Loop: Header=BB126_18 Depth=1
	s_or_b64 exec, exec, s[10:11]
	v_readlane_b32 s54, v46, 14
	v_lshrrev_b32_sdwa v10, v31, v11 dst_sel:DWORD dst_unused:UNUSED_PAD src0_sel:DWORD src1_sel:WORD_0
	s_and_b64 s[42:43], s[12:13], exec
	v_readlane_b32 s55, v46, 15
.LBB126_249:                            ;   in Loop: Header=BB126_18 Depth=1
	s_or_b64 exec, exec, s[8:9]
.LBB126_250:                            ;   in Loop: Header=BB126_18 Depth=1
	s_and_b64 vcc, exec, s[52:53]
	s_cbranch_vccz .LBB126_253
; %bb.251:                              ;   in Loop: Header=BB126_18 Depth=1
	v_readlane_b32 s52, v47, 55
	v_readlane_b32 s53, v47, 56
	s_mov_b32 s52, s71
	s_cmp_lg_u64 s[52:53], 0
	v_writelane_b32 v47, s52, 55
	v_writelane_b32 v47, s53, 56
	s_cbranch_scc0 .LBB126_254
; %bb.252:                              ;   in Loop: Header=BB126_18 Depth=1
	v_cvt_f32_u32_e32 v6, s33
	s_sub_u32 s8, 0, s33
	s_subb_u32 s9, 0, 0
	s_mov_b64 s[76:77], s[42:43]
	v_mac_f32_e32 v6, 0, v30
	v_rcp_f32_e32 v6, v6
	v_mul_f32_e32 v6, 0x5f7ffffc, v6
	v_mul_f32_e32 v7, 0x2f800000, v6
	v_trunc_f32_e32 v7, v7
	v_mac_f32_e32 v6, 0xcf800000, v7
	v_cvt_u32_f32_e32 v7, v7
	v_cvt_u32_f32_e32 v6, v6
	v_readfirstlane_b32 s10, v7
	v_readfirstlane_b32 s4, v6
	s_mul_i32 s5, s8, s10
	s_mul_hi_u32 s12, s8, s4
	s_mul_i32 s11, s9, s4
	s_add_i32 s5, s12, s5
	s_mul_i32 s13, s8, s4
	s_add_i32 s5, s5, s11
	s_mul_hi_u32 s12, s4, s13
	s_mul_i32 s42, s4, s5
	s_mul_hi_u32 s11, s4, s5
	s_add_u32 s12, s12, s42
	s_addc_u32 s11, 0, s11
	s_mul_hi_u32 s43, s10, s13
	s_mul_i32 s13, s10, s13
	s_add_u32 s12, s12, s13
	s_mul_hi_u32 s42, s10, s5
	s_addc_u32 s11, s11, s43
	s_addc_u32 s12, s42, 0
	s_mul_i32 s5, s10, s5
	s_add_u32 s5, s11, s5
	s_addc_u32 s11, 0, s12
	s_add_u32 s12, s4, s5
	s_cselect_b64 s[4:5], -1, 0
	s_cmp_lg_u64 s[4:5], 0
	s_addc_u32 s10, s10, s11
	s_mul_i32 s4, s8, s10
	s_mul_hi_u32 s5, s8, s12
	s_add_i32 s4, s5, s4
	s_mul_i32 s9, s9, s12
	s_add_i32 s4, s4, s9
	s_mul_i32 s8, s8, s12
	s_mul_hi_u32 s9, s10, s8
	s_mul_i32 s11, s10, s8
	s_mul_i32 s42, s12, s4
	s_mul_hi_u32 s8, s12, s8
	s_mul_hi_u32 s13, s12, s4
	s_add_u32 s8, s8, s42
	s_addc_u32 s13, 0, s13
	s_add_u32 s8, s8, s11
	s_mul_hi_u32 s5, s10, s4
	s_addc_u32 s8, s13, s9
	s_addc_u32 s5, s5, 0
	s_mul_i32 s4, s10, s4
	s_add_u32 s4, s8, s4
	s_addc_u32 s8, 0, s5
	s_add_u32 s9, s12, s4
	s_cselect_b64 s[4:5], -1, 0
	s_cmp_lg_u64 s[4:5], 0
	s_addc_u32 s4, s10, s8
	v_readlane_b32 s13, v47, 53
	s_mul_i32 s8, s13, s4
	s_mul_hi_u32 s10, s13, s9
	s_mul_hi_u32 s5, s13, s4
	s_add_u32 s8, s10, s8
	s_addc_u32 s5, 0, s5
	s_mul_hi_u32 s11, s53, s9
	s_mul_i32 s9, s53, s9
	s_add_u32 s8, s8, s9
	s_mul_hi_u32 s10, s53, s4
	s_addc_u32 s5, s5, s11
	s_addc_u32 s8, s10, 0
	s_mul_i32 s4, s53, s4
	s_add_u32 s4, s5, s4
	s_addc_u32 s5, 0, s8
	s_mul_i32 s5, s33, s5
	s_mul_hi_u32 s8, s33, s4
	s_add_i32 s8, s8, s5
	s_mul_i32 s4, s33, s4
	s_sub_u32 s10, s13, s4
	s_cselect_b64 s[4:5], -1, 0
	s_cmp_lg_u64 s[4:5], 0
	s_subb_u32 s8, s53, s8
	s_sub_u32 s9, s10, s33
	s_cselect_b64 s[4:5], -1, 0
	s_cmp_lg_u64 s[4:5], 0
	s_subb_u32 s11, s8, 0
	;; [unrolled: 4-line block ×3, first 2 shown]
	s_cmp_ge_u32 s9, s33
	s_cselect_b32 s5, -1, 0
	s_cmp_eq_u32 s11, 0
	s_cselect_b32 s5, s5, -1
	s_cmp_lg_u32 s5, 0
	s_cselect_b32 s4, s4, s11
	s_cselect_b32 s5, s12, s9
	s_cmp_ge_u32 s10, s33
	s_cselect_b32 s9, -1, 0
	s_cmp_eq_u32 s8, 0
	s_cselect_b32 s9, s9, -1
	s_cmp_lg_u32 s9, 0
	s_mov_b64 s[42:43], s[76:77]
	s_cselect_b32 s9, s4, s8
	s_cselect_b32 s8, s5, s10
	s_mov_b64 s[4:5], 0
	s_branch .LBB126_255
.LBB126_253:                            ;   in Loop: Header=BB126_18 Depth=1
	s_mov_b64 s[76:77], -1
	s_mov_b64 s[84:85], 0
	s_branch .LBB126_267
.LBB126_254:                            ;   in Loop: Header=BB126_18 Depth=1
	s_mov_b64 s[4:5], -1
	v_readlane_b32 s13, v47, 53
                                        ; implicit-def: $sgpr8_sgpr9
.LBB126_255:                            ;   in Loop: Header=BB126_18 Depth=1
	s_andn2_b64 vcc, exec, s[4:5]
	v_readlane_b32 s79, v46, 5
	s_cbranch_vccnz .LBB126_257
; %bb.256:                              ;   in Loop: Header=BB126_18 Depth=1
	v_cvt_f32_u32_e32 v6, s33
	s_sub_i32 s4, 0, s33
	v_rcp_iflag_f32_e32 v6, v6
	v_mul_f32_e32 v6, 0x4f7ffffe, v6
	v_cvt_u32_f32_e32 v6, v6
	v_readfirstlane_b32 s5, v6
	s_mul_i32 s4, s4, s5
	s_mul_hi_u32 s4, s5, s4
	s_add_i32 s5, s5, s4
	s_mul_hi_u32 s4, s13, s5
	s_mul_i32 s4, s4, s33
	s_sub_i32 s4, s13, s4
	s_sub_i32 s5, s4, s33
	s_cmp_ge_u32 s4, s33
	s_cselect_b32 s4, s5, s4
	s_sub_i32 s5, s4, s33
	s_cmp_ge_u32 s4, s33
	s_cselect_b32 s70, s5, s4
	s_mov_b64 s[8:9], s[70:71]
.LBB126_257:                            ;   in Loop: Header=BB126_18 Depth=1
	v_readlane_b32 s4, v47, 55
	s_sub_u32 s10, s13, s8
	v_readlane_b32 s5, v47, 56
	s_subb_u32 s11, s5, s9
	v_cmp_gt_u64_e32 vcc, s[10:11], v[0:1]
                                        ; implicit-def: $vgpr10
	s_and_saveexec_b64 s[8:9], vcc
	s_cbranch_execz .LBB126_266
; %bb.258:                              ;   in Loop: Header=BB126_18 Depth=1
	v_mov_b32_e32 v7, v1
	s_mov_b64 s[52:53], 0
	v_mov_b32_e32 v6, v0
                                        ; implicit-def: $sgpr76_sgpr77
	s_branch .LBB126_261
.LBB126_259:                            ;   in Loop: Header=BB126_261 Depth=2
	s_or_b64 exec, exec, s[12:13]
	s_waitcnt lgkmcnt(0)
	s_barrier
	ds_read_u16 v10, v3 offset:3072
	s_mov_b64 s[4:5], -1
	s_waitcnt lgkmcnt(0)
	s_barrier
	v_cmp_eq_u32_sdwa s[12:13], v10, v3 src0_sel:BYTE_0 src1_sel:DWORD
	s_and_b64 vcc, exec, s[12:13]
	s_mov_b64 s[12:13], -1
	s_cbranch_vccnz .LBB126_264
.LBB126_260:                            ;   in Loop: Header=BB126_261 Depth=2
	s_and_b64 s[4:5], exec, s[4:5]
	s_or_b64 s[52:53], s[4:5], s[52:53]
	s_andn2_b64 s[4:5], s[76:77], exec
	s_and_b64 s[12:13], s[12:13], exec
	s_or_b64 s[76:77], s[4:5], s[12:13]
	s_andn2_b64 exec, exec, s[52:53]
	s_cbranch_execz .LBB126_265
.LBB126_261:                            ;   Parent Loop BB126_18 Depth=1
                                        ; =>  This Inner Loop Header: Depth=2
	v_cmp_gt_u64_e32 vcc, s[28:29], v[6:7]
	s_and_saveexec_b64 s[12:13], vcc
	s_cbranch_execz .LBB126_259
; %bb.262:                              ;   in Loop: Header=BB126_261 Depth=2
	v_mov_b32_e32 v10, s34
	v_mov_b32_e32 v11, s35
	v_mad_u64_u32 v[10:11], s[4:5], v6, s26, v[10:11]
	v_mul_lo_u32 v21, v6, s27
	v_mul_lo_u32 v22, v7, s26
	v_add3_u32 v11, v22, v11, v21
	global_load_ubyte v10, v[10:11], off
	s_waitcnt vmcnt(0)
	v_and_b32_e32 v11, v10, v8
	v_cmp_eq_u32_sdwa s[4:5], v11, v9 src0_sel:BYTE_0 src1_sel:DWORD
	s_and_b64 exec, exec, s[4:5]
	s_cbranch_execz .LBB126_259
; %bb.263:                              ;   in Loop: Header=BB126_261 Depth=2
	v_lshlrev_b16_e32 v10, 8, v10
	v_or_b32_e32 v10, 1, v10
	ds_write_b16 v3, v10 offset:3072
	s_branch .LBB126_259
.LBB126_264:                            ;   in Loop: Header=BB126_261 Depth=2
	v_add_co_u32_e32 v6, vcc, s33, v6
	v_addc_co_u32_e32 v7, vcc, 0, v7, vcc
	v_cmp_le_u64_e32 vcc, s[10:11], v[6:7]
	s_mov_b64 s[12:13], 0
	s_orn2_b64 s[4:5], vcc, exec
	s_branch .LBB126_260
.LBB126_265:                            ;   in Loop: Header=BB126_18 Depth=1
	s_or_b64 exec, exec, s[52:53]
	s_andn2_b64 s[4:5], s[42:43], exec
	s_and_b64 s[10:11], s[76:77], exec
	v_lshrrev_b32_sdwa v10, v31, v10 dst_sel:DWORD dst_unused:UNUSED_PAD src0_sel:DWORD src1_sel:WORD_0
	s_or_b64 s[42:43], s[4:5], s[10:11]
.LBB126_266:                            ;   in Loop: Header=BB126_18 Depth=1
	s_or_b64 exec, exec, s[8:9]
	s_mov_b64 s[76:77], 0
	s_mov_b64 s[84:85], -1
.LBB126_267:                            ;   in Loop: Header=BB126_18 Depth=1
	s_orn2_b64 s[8:9], s[42:43], exec
.LBB126_268:                            ;   in Loop: Header=BB126_18 Depth=1
	v_readlane_b32 s4, v46, 12
	v_readlane_b32 s5, v46, 13
	s_or_b64 exec, exec, s[4:5]
	s_mov_b64 s[10:11], 0
	s_and_saveexec_b64 s[52:53], s[8:9]
	v_readlane_b32 s12, v46, 6
	v_readlane_b32 s42, v46, 8
	;; [unrolled: 1-line block ×4, first 2 shown]
	s_cbranch_execz .LBB126_279
; %bb.269:                              ;   in Loop: Header=BB126_18 Depth=1
	v_readlane_b32 s4, v46, 10
	v_readlane_b32 s5, v46, 11
	v_mov_b32_e32 v6, 1
	s_xor_b64 s[4:5], s[4:5], -1
	v_mov_b32_e32 v7, 0
	v_mov_b32_e32 v2, 1
	s_and_saveexec_b64 s[8:9], s[4:5]
	s_cbranch_execz .LBB126_278
; %bb.270:                              ;   in Loop: Header=BB126_18 Depth=1
	v_cmp_ge_u64_e32 vcc, s[16:17], v[4:5]
	s_and_saveexec_b64 s[4:5], vcc
	s_xor_b64 s[10:11], exec, s[4:5]
	s_cbranch_execz .LBB126_275
; %bb.271:                              ;   in Loop: Header=BB126_18 Depth=1
	ds_read_b64 v[6:7], v3 offset:5120
	v_or_b32_e32 v9, s83, v9
	v_or_b32_e32 v8, s83, v8
	s_waitcnt lgkmcnt(0)
	v_cmp_ne_u64_e32 vcc, 0, v[6:7]
	s_cbranch_vccnz .LBB126_275
; %bb.272:                              ;   in Loop: Header=BB126_18 Depth=1
	s_mov_b64 s[4:5], exec
	v_readlane_b32 s12, v47, 32
	v_readlane_b32 s13, v47, 33
	s_and_b64 s[12:13], s[4:5], s[12:13]
	s_mov_b64 exec, s[12:13]
; %bb.273:                              ;   in Loop: Header=BB126_18 Depth=1
	v_mov_b32_e32 v6, s16
	v_mov_b32_e32 v7, s17
	ds_write_b64 v3, v[6:7] offset:5128
; %bb.274:                              ;   in Loop: Header=BB126_18 Depth=1
	s_or_b64 exec, exec, s[4:5]
	s_waitcnt lgkmcnt(0)
	s_barrier
.LBB126_275:                            ;   in Loop: Header=BB126_18 Depth=1
	s_andn2_saveexec_b64 s[10:11], s[10:11]
; %bb.276:                              ;   in Loop: Header=BB126_18 Depth=1
	v_mov_b32_e32 v2, s17
	v_subrev_co_u32_e32 v4, vcc, s16, v4
	v_subb_co_u32_e32 v5, vcc, v5, v2, vcc
; %bb.277:                              ;   in Loop: Header=BB126_18 Depth=1
	s_or_b64 exec, exec, s[10:11]
	v_mov_b32_e32 v7, v5
	v_readlane_b32 s12, v46, 6
	v_readlane_b32 s42, v46, 8
	v_mov_b32_e32 v2, 8
	v_mov_b32_e32 v6, v4
	v_readlane_b32 s13, v46, 7
	v_readlane_b32 s43, v46, 9
.LBB126_278:                            ;   in Loop: Header=BB126_18 Depth=1
	s_or_b64 exec, exec, s[8:9]
	v_mov_b32_e32 v4, v6
	s_mov_b64 s[10:11], exec
	v_mov_b32_e32 v5, v7
.LBB126_279:                            ;   in Loop: Header=BB126_18 Depth=1
	s_or_b64 exec, exec, s[52:53]
	s_orn2_b64 s[8:9], s[10:11], exec
.LBB126_280:                            ;   in Loop: Header=BB126_18 Depth=1
	s_or_b64 exec, exec, s[42:43]
	s_andn2_b64 s[4:5], s[60:61], exec
	s_and_b64 s[10:11], s[84:85], exec
	s_or_b64 s[60:61], s[4:5], s[10:11]
	s_andn2_b64 s[4:5], s[54:55], exec
	s_and_b64 s[10:11], s[76:77], exec
	v_mov_b32_e32 v7, v5
	s_or_b64 s[54:55], s[4:5], s[10:11]
	s_and_b64 s[10:11], s[8:9], exec
	v_mov_b32_e32 v6, v4
.LBB126_281:                            ;   in Loop: Header=BB126_18 Depth=1
	s_or_b64 exec, exec, s[20:21]
	s_orn2_b64 s[8:9], s[10:11], exec
.LBB126_282:                            ;   in Loop: Header=BB126_18 Depth=1
	s_or_b64 exec, exec, s[12:13]
	s_andn2_b64 s[4:5], s[58:59], exec
	s_and_b64 s[10:11], s[60:61], exec
	s_or_b64 s[58:59], s[4:5], s[10:11]
	s_andn2_b64 s[4:5], s[56:57], exec
	s_and_b64 s[10:11], s[54:55], exec
	v_mov_b32_e32 v4, v6
	s_or_b64 s[56:57], s[4:5], s[10:11]
	s_and_b64 s[10:11], s[8:9], exec
	v_mov_b32_e32 v5, v7
.LBB126_283:                            ;   in Loop: Header=BB126_18 Depth=1
	s_or_b64 exec, exec, s[40:41]
	s_orn2_b64 s[8:9], s[10:11], exec
.LBB126_284:                            ;   in Loop: Header=BB126_18 Depth=1
	s_or_b64 exec, exec, s[6:7]
	s_mov_b64 s[6:7], 0
	s_mov_b64 s[10:11], 0
	s_and_saveexec_b64 s[4:5], s[8:9]
	s_xor_b64 s[4:5], exec, s[4:5]
; %bb.285:                              ;   in Loop: Header=BB126_18 Depth=1
	v_cmp_eq_u32_e32 vcc, 8, v2
	v_cmp_ne_u32_e64 s[6:7], 8, v2
	s_and_b64 s[10:11], s[6:7], exec
	s_and_b64 s[6:7], vcc, exec
; %bb.286:                              ;   in Loop: Header=BB126_18 Depth=1
	s_or_b64 exec, exec, s[4:5]
	s_andn2_b64 s[2:3], s[2:3], exec
	s_and_b64 s[4:5], s[58:59], exec
	s_or_b64 s[2:3], s[2:3], s[4:5]
	s_andn2_b64 s[4:5], s[14:15], exec
	s_and_b64 s[8:9], s[56:57], exec
	s_or_b64 s[14:15], s[4:5], s[8:9]
	s_and_b64 s[56:57], s[10:11], exec
	s_and_b64 s[58:59], s[6:7], exec
.LBB126_287:                            ;   in Loop: Header=BB126_18 Depth=1
	s_or_b64 exec, exec, s[38:39]
.LBB126_288:                            ;   in Loop: Header=BB126_18 Depth=1
	s_and_b64 vcc, exec, s[36:37]
	s_cbranch_vccz .LBB126_304
; %bb.289:                              ;   in Loop: Header=BB126_18 Depth=1
	s_cmp_eq_u64 s[16:17], 1
	s_cselect_b64 s[2:3], -1, 0
	s_and_b64 s[6:7], s[2:3], s[18:19]
	s_mov_b64 s[8:9], -1
                                        ; implicit-def: $sgpr18_sgpr19
                                        ; implicit-def: $sgpr24_sgpr25
	s_and_saveexec_b64 s[2:3], s[6:7]
	s_cbranch_execz .LBB126_325
; %bb.290:                              ;   in Loop: Header=BB126_18 Depth=1
	ds_read_b64 v[4:5], v3 offset:5120
	s_waitcnt lgkmcnt(0)
	s_barrier
	v_readfirstlane_b32 s10, v4
	v_readfirstlane_b32 s11, v5
	s_mov_b64 s[4:5], exec
	v_readlane_b32 s8, v47, 48
	v_readlane_b32 s9, v47, 49
	s_and_b64 s[8:9], s[4:5], s[8:9]
	s_mov_b64 exec, s[8:9]
; %bb.291:                              ;   in Loop: Header=BB126_18 Depth=1
	ds_write_b8 v0, v3 offset:3072
; %bb.292:                              ;   in Loop: Header=BB126_18 Depth=1
	s_or_b64 exec, exec, s[4:5]
	v_or_b32_e32 v28, s83, v28
	v_or_b32_e32 v32, s83, v32
	s_mov_b64 s[24:25], -1
	s_mov_b64 s[18:19], 0
	s_cmp_eq_u64 s[10:11], 0
	s_mov_b64 s[8:9], 0
	s_mov_b64 s[14:15], -1
	s_waitcnt lgkmcnt(0)
	s_barrier
                                        ; implicit-def: $vgpr33
	s_cbranch_scc1 .LBB126_307
; %bb.293:                              ;   in Loop: Header=BB126_18 Depth=1
	v_readlane_b32 s4, v47, 52
	s_add_u32 s14, s10, s4
	v_readlane_b32 s4, v47, 54
	s_addc_u32 s9, s11, s4
	s_mov_b32 s8, s71
	s_cmp_lg_u64 s[8:9], 0
	s_cbranch_scc0 .LBB126_310
; %bb.294:                              ;   in Loop: Header=BB126_18 Depth=1
	v_cvt_f32_u32_e32 v2, s33
	s_sub_u32 s8, 0, s33
	s_subb_u32 s12, 0, 0
	v_mac_f32_e32 v2, 0, v30
	v_rcp_f32_e32 v2, v2
	v_mul_f32_e32 v2, 0x5f7ffffc, v2
	v_mul_f32_e32 v4, 0x2f800000, v2
	v_trunc_f32_e32 v4, v4
	v_mac_f32_e32 v2, 0xcf800000, v4
	v_cvt_u32_f32_e32 v4, v4
	v_cvt_u32_f32_e32 v2, v2
	v_readfirstlane_b32 s13, v4
	v_readfirstlane_b32 s4, v2
	s_mul_i32 s5, s8, s13
	s_mul_hi_u32 s20, s8, s4
	s_mul_i32 s15, s12, s4
	s_add_i32 s5, s20, s5
	s_mul_i32 s21, s8, s4
	s_add_i32 s5, s5, s15
	s_mul_hi_u32 s20, s4, s21
	s_mul_i32 s36, s4, s5
	s_mul_hi_u32 s15, s4, s5
	s_add_u32 s20, s20, s36
	s_addc_u32 s15, 0, s15
	s_mul_hi_u32 s37, s13, s21
	s_mul_i32 s21, s13, s21
	s_add_u32 s20, s20, s21
	s_mul_hi_u32 s36, s13, s5
	s_addc_u32 s15, s15, s37
	s_addc_u32 s20, s36, 0
	s_mul_i32 s5, s13, s5
	s_add_u32 s5, s15, s5
	s_addc_u32 s15, 0, s20
	s_add_u32 s20, s4, s5
	s_cselect_b64 s[4:5], -1, 0
	s_cmp_lg_u64 s[4:5], 0
	s_addc_u32 s13, s13, s15
	s_mul_i32 s4, s8, s13
	s_mul_hi_u32 s5, s8, s20
	s_add_i32 s4, s5, s4
	s_mul_i32 s12, s12, s20
	s_add_i32 s4, s4, s12
	s_mul_i32 s8, s8, s20
	s_mul_hi_u32 s12, s13, s8
	s_mul_i32 s15, s13, s8
	s_mul_i32 s36, s20, s4
	s_mul_hi_u32 s8, s20, s8
	s_mul_hi_u32 s21, s20, s4
	s_add_u32 s8, s8, s36
	s_addc_u32 s21, 0, s21
	s_add_u32 s8, s8, s15
	s_mul_hi_u32 s5, s13, s4
	s_addc_u32 s8, s21, s12
	s_addc_u32 s5, s5, 0
	s_mul_i32 s4, s13, s4
	s_add_u32 s4, s8, s4
	s_addc_u32 s8, 0, s5
	s_add_u32 s12, s20, s4
	s_cselect_b64 s[4:5], -1, 0
	s_cmp_lg_u64 s[4:5], 0
	s_addc_u32 s4, s13, s8
	s_mul_i32 s8, s14, s4
	s_mul_hi_u32 s13, s14, s12
	s_mul_hi_u32 s5, s14, s4
	s_add_u32 s8, s13, s8
	s_addc_u32 s5, 0, s5
	s_mul_hi_u32 s15, s9, s12
	s_mul_i32 s12, s9, s12
	s_add_u32 s8, s8, s12
	s_mul_hi_u32 s13, s9, s4
	s_addc_u32 s5, s5, s15
	s_addc_u32 s8, s13, 0
	s_mul_i32 s4, s9, s4
	s_add_u32 s4, s5, s4
	s_addc_u32 s5, 0, s8
	s_mul_i32 s5, s33, s5
	s_mul_hi_u32 s8, s33, s4
	s_add_i32 s8, s8, s5
	s_mul_i32 s4, s33, s4
	s_sub_u32 s12, s14, s4
	s_cselect_b64 s[4:5], -1, 0
	s_cmp_lg_u64 s[4:5], 0
	s_subb_u32 s8, s9, s8
	s_sub_u32 s13, s12, s33
	s_cselect_b64 s[4:5], -1, 0
	s_cmp_lg_u64 s[4:5], 0
	s_subb_u32 s15, s8, 0
	;; [unrolled: 4-line block ×3, first 2 shown]
	s_cmp_ge_u32 s13, s33
	s_cselect_b32 s5, -1, 0
	s_cmp_eq_u32 s15, 0
	s_cselect_b32 s5, s5, -1
	s_cmp_lg_u32 s5, 0
	s_cselect_b32 s4, s4, s15
	s_cselect_b32 s5, s20, s13
	s_cmp_ge_u32 s12, s33
	s_cselect_b32 s13, -1, 0
	s_cmp_eq_u32 s8, 0
	s_cselect_b32 s13, s13, -1
	s_cmp_lg_u32 s13, 0
	s_cselect_b32 s13, s4, s8
	s_cselect_b32 s12, s5, s12
	s_cbranch_execnz .LBB126_296
.LBB126_295:                            ;   in Loop: Header=BB126_18 Depth=1
	v_cvt_f32_u32_e32 v2, s33
	s_sub_i32 s4, 0, s33
	v_rcp_iflag_f32_e32 v2, v2
	v_mul_f32_e32 v2, 0x4f7ffffe, v2
	v_cvt_u32_f32_e32 v2, v2
	v_readfirstlane_b32 s5, v2
	s_mul_i32 s4, s4, s5
	s_mul_hi_u32 s4, s5, s4
	s_add_i32 s5, s5, s4
	s_mul_hi_u32 s4, s14, s5
	s_mul_i32 s4, s4, s33
	s_sub_i32 s4, s14, s4
	s_sub_i32 s5, s4, s33
	s_cmp_ge_u32 s4, s33
	s_cselect_b32 s4, s5, s4
	s_sub_i32 s5, s4, s33
	s_cmp_ge_u32 s4, s33
	s_cselect_b32 s70, s5, s4
	s_mov_b64 s[12:13], s[70:71]
.LBB126_296:                            ;   in Loop: Header=BB126_18 Depth=1
	s_sub_u32 s36, s14, s12
	s_subb_u32 s37, s9, s13
	v_cmp_gt_u64_e32 vcc, s[36:37], v[0:1]
	s_mov_b64 s[14:15], 0
	s_mov_b64 s[8:9], 0
                                        ; implicit-def: $vgpr33
	s_and_saveexec_b64 s[20:21], vcc
	s_cbranch_execz .LBB126_306
; %bb.297:                              ;   in Loop: Header=BB126_18 Depth=1
	v_mov_b32_e32 v5, v1
	v_mov_b32_e32 v2, v0
	v_mov_b32_e32 v4, v0
                                        ; implicit-def: $sgpr38_sgpr39
	s_branch .LBB126_300
.LBB126_298:                            ;   in Loop: Header=BB126_300 Depth=2
	s_or_b64 exec, exec, s[12:13]
	s_waitcnt lgkmcnt(0)
	s_barrier
	ds_read_u16 v6, v3 offset:3072
	s_mov_b64 s[4:5], -1
	s_waitcnt lgkmcnt(0)
	s_barrier
	v_cmp_ne_u32_sdwa s[12:13], v6, v3 src0_sel:BYTE_0 src1_sel:DWORD
	s_and_b64 vcc, exec, s[12:13]
	s_mov_b64 s[12:13], -1
	s_cbranch_vccz .LBB126_303
.LBB126_299:                            ;   in Loop: Header=BB126_300 Depth=2
	s_and_b64 s[4:5], exec, s[4:5]
	s_or_b64 s[8:9], s[4:5], s[8:9]
	s_andn2_b64 s[4:5], s[38:39], exec
	s_and_b64 s[12:13], s[12:13], exec
	s_or_b64 s[38:39], s[4:5], s[12:13]
	s_andn2_b64 exec, exec, s[8:9]
	s_cbranch_execz .LBB126_305
.LBB126_300:                            ;   Parent Loop BB126_18 Depth=1
                                        ; =>  This Inner Loop Header: Depth=2
	v_cmp_gt_u64_e32 vcc, s[10:11], v[4:5]
	s_and_saveexec_b64 s[12:13], vcc
	s_cbranch_execz .LBB126_298
; %bb.301:                              ;   in Loop: Header=BB126_300 Depth=2
	ds_read_u8 v6, v2
	s_waitcnt lgkmcnt(0)
	v_and_b32_e32 v7, v6, v32
	v_cmp_eq_u32_sdwa s[4:5], v7, v28 src0_sel:BYTE_0 src1_sel:DWORD
	s_and_b64 exec, exec, s[4:5]
	s_cbranch_execz .LBB126_298
; %bb.302:                              ;   in Loop: Header=BB126_300 Depth=2
	v_lshlrev_b16_e32 v6, 8, v6
	v_or_b32_e32 v6, 1, v6
	ds_write_b16 v3, v6 offset:3072
	s_branch .LBB126_298
.LBB126_303:                            ;   in Loop: Header=BB126_300 Depth=2
	v_add_co_u32_e32 v4, vcc, s33, v4
	v_addc_co_u32_e32 v5, vcc, 0, v5, vcc
	v_cmp_le_u64_e32 vcc, s[36:37], v[4:5]
	v_add_u32_e32 v2, s33, v2
	s_mov_b64 s[12:13], 0
	s_orn2_b64 s[4:5], vcc, exec
	s_branch .LBB126_299
.LBB126_304:                            ;   in Loop: Header=BB126_18 Depth=1
	s_mov_b64 s[18:19], 0
	v_mov_b32_e32 v28, v9
	v_mov_b32_e32 v32, v8
	;; [unrolled: 1-line block ×3, first 2 shown]
	s_and_saveexec_b64 s[4:5], s[58:59]
	s_cbranch_execnz .LBB126_484
	s_branch .LBB126_485
.LBB126_305:                            ;   in Loop: Header=BB126_18 Depth=1
	s_or_b64 exec, exec, s[8:9]
	v_lshrrev_b32_sdwa v33, v31, v6 dst_sel:DWORD dst_unused:UNUSED_PAD src0_sel:DWORD src1_sel:WORD_0
	s_and_b64 s[8:9], s[38:39], exec
.LBB126_306:                            ;   in Loop: Header=BB126_18 Depth=1
	s_or_b64 exec, exec, s[20:21]
.LBB126_307:                            ;   in Loop: Header=BB126_18 Depth=1
	s_and_b64 vcc, exec, s[14:15]
	s_cbranch_vccz .LBB126_324
; %bb.308:                              ;   in Loop: Header=BB126_18 Depth=1
	v_readlane_b32 s20, v47, 55
	v_readlane_b32 s21, v47, 56
	s_mov_b32 s20, s71
	s_cmp_lg_u64 s[20:21], 0
	v_writelane_b32 v47, s20, 55
	v_writelane_b32 v47, s21, 56
	s_cbranch_scc0 .LBB126_311
; %bb.309:                              ;   in Loop: Header=BB126_18 Depth=1
	v_cvt_f32_u32_e32 v2, s33
	s_sub_u32 s10, 0, s33
	s_subb_u32 s11, 0, 0
	v_mac_f32_e32 v2, 0, v30
	v_rcp_f32_e32 v2, v2
	v_mul_f32_e32 v2, 0x5f7ffffc, v2
	v_mul_f32_e32 v4, 0x2f800000, v2
	v_trunc_f32_e32 v4, v4
	v_mac_f32_e32 v2, 0xcf800000, v4
	v_cvt_u32_f32_e32 v4, v4
	v_cvt_u32_f32_e32 v2, v2
	v_readfirstlane_b32 s12, v4
	v_readfirstlane_b32 s4, v2
	s_mul_i32 s5, s10, s12
	s_mul_hi_u32 s14, s10, s4
	s_mul_i32 s13, s11, s4
	s_add_i32 s5, s14, s5
	s_mul_i32 s15, s10, s4
	s_add_i32 s5, s5, s13
	s_mul_hi_u32 s14, s4, s15
	s_mul_i32 s18, s4, s5
	s_mul_hi_u32 s13, s4, s5
	s_add_u32 s14, s14, s18
	s_addc_u32 s13, 0, s13
	s_mul_hi_u32 s19, s12, s15
	s_mul_i32 s15, s12, s15
	s_add_u32 s14, s14, s15
	s_mul_hi_u32 s18, s12, s5
	s_addc_u32 s13, s13, s19
	s_addc_u32 s14, s18, 0
	s_mul_i32 s5, s12, s5
	s_add_u32 s5, s13, s5
	s_addc_u32 s13, 0, s14
	s_add_u32 s14, s4, s5
	s_cselect_b64 s[4:5], -1, 0
	s_cmp_lg_u64 s[4:5], 0
	s_addc_u32 s12, s12, s13
	s_mul_i32 s4, s10, s12
	s_mul_hi_u32 s5, s10, s14
	s_add_i32 s4, s5, s4
	s_mul_i32 s11, s11, s14
	s_add_i32 s4, s4, s11
	s_mul_i32 s10, s10, s14
	s_mul_hi_u32 s11, s12, s10
	s_mul_i32 s13, s12, s10
	s_mul_i32 s18, s14, s4
	s_mul_hi_u32 s10, s14, s10
	s_mul_hi_u32 s15, s14, s4
	s_add_u32 s10, s10, s18
	s_addc_u32 s15, 0, s15
	s_add_u32 s10, s10, s13
	s_mul_hi_u32 s5, s12, s4
	s_addc_u32 s10, s15, s11
	s_addc_u32 s5, s5, 0
	s_mul_i32 s4, s12, s4
	s_add_u32 s4, s10, s4
	s_addc_u32 s10, 0, s5
	s_add_u32 s11, s14, s4
	s_cselect_b64 s[4:5], -1, 0
	s_cmp_lg_u64 s[4:5], 0
	s_addc_u32 s4, s12, s10
	v_readlane_b32 s15, v47, 53
	s_mul_i32 s10, s15, s4
	s_mul_hi_u32 s12, s15, s11
	s_mul_hi_u32 s5, s15, s4
	s_add_u32 s10, s12, s10
	s_addc_u32 s5, 0, s5
	s_mul_hi_u32 s13, s21, s11
	s_mul_i32 s11, s21, s11
	s_add_u32 s10, s10, s11
	s_mul_hi_u32 s12, s21, s4
	s_addc_u32 s5, s5, s13
	s_addc_u32 s10, s12, 0
	s_mul_i32 s4, s21, s4
	s_add_u32 s4, s5, s4
	s_addc_u32 s5, 0, s10
	s_mul_i32 s5, s33, s5
	s_mul_hi_u32 s10, s33, s4
	s_add_i32 s10, s10, s5
	s_mul_i32 s4, s33, s4
	s_sub_u32 s12, s15, s4
	s_cselect_b64 s[4:5], -1, 0
	s_cmp_lg_u64 s[4:5], 0
	s_subb_u32 s10, s21, s10
	s_sub_u32 s11, s12, s33
	s_cselect_b64 s[4:5], -1, 0
	s_cmp_lg_u64 s[4:5], 0
	s_subb_u32 s13, s10, 0
	;; [unrolled: 4-line block ×3, first 2 shown]
	s_cmp_ge_u32 s11, s33
	s_cselect_b32 s5, -1, 0
	s_cmp_eq_u32 s13, 0
	s_cselect_b32 s5, s5, -1
	s_cmp_lg_u32 s5, 0
	s_cselect_b32 s4, s4, s13
	s_cselect_b32 s5, s14, s11
	s_cmp_ge_u32 s12, s33
	s_cselect_b32 s11, -1, 0
	s_cmp_eq_u32 s10, 0
	s_cselect_b32 s11, s11, -1
	s_cmp_lg_u32 s11, 0
	s_cselect_b32 s11, s4, s10
	s_cselect_b32 s10, s5, s12
	s_mov_b64 s[4:5], 0
	s_branch .LBB126_312
.LBB126_310:                            ;   in Loop: Header=BB126_18 Depth=1
                                        ; implicit-def: $sgpr12_sgpr13
	s_branch .LBB126_295
.LBB126_311:                            ;   in Loop: Header=BB126_18 Depth=1
	s_mov_b64 s[4:5], -1
	v_readlane_b32 s15, v47, 53
                                        ; implicit-def: $sgpr10_sgpr11
.LBB126_312:                            ;   in Loop: Header=BB126_18 Depth=1
	s_andn2_b64 vcc, exec, s[4:5]
	v_readlane_b32 s79, v46, 5
	s_cbranch_vccnz .LBB126_314
; %bb.313:                              ;   in Loop: Header=BB126_18 Depth=1
	v_cvt_f32_u32_e32 v2, s33
	s_sub_i32 s4, 0, s33
	v_rcp_iflag_f32_e32 v2, v2
	v_mul_f32_e32 v2, 0x4f7ffffe, v2
	v_cvt_u32_f32_e32 v2, v2
	v_readfirstlane_b32 s5, v2
	s_mul_i32 s4, s4, s5
	s_mul_hi_u32 s4, s5, s4
	s_add_i32 s5, s5, s4
	s_mul_hi_u32 s4, s15, s5
	s_mul_i32 s4, s4, s33
	s_sub_i32 s4, s15, s4
	s_sub_i32 s5, s4, s33
	s_cmp_ge_u32 s4, s33
	s_cselect_b32 s4, s5, s4
	s_sub_i32 s5, s4, s33
	s_cmp_ge_u32 s4, s33
	s_cselect_b32 s70, s5, s4
	s_mov_b64 s[10:11], s[70:71]
.LBB126_314:                            ;   in Loop: Header=BB126_18 Depth=1
	v_readlane_b32 s4, v47, 55
	s_sub_u32 s14, s15, s10
	v_readlane_b32 s5, v47, 56
	s_subb_u32 s15, s5, s11
	v_cmp_gt_u64_e32 vcc, s[14:15], v[0:1]
                                        ; implicit-def: $vgpr33
	s_and_saveexec_b64 s[10:11], vcc
	s_cbranch_execz .LBB126_323
; %bb.315:                              ;   in Loop: Header=BB126_18 Depth=1
	v_mov_b32_e32 v5, v1
	s_mov_b64 s[18:19], 0
	v_mov_b32_e32 v4, v0
                                        ; implicit-def: $sgpr20_sgpr21
	s_branch .LBB126_318
.LBB126_316:                            ;   in Loop: Header=BB126_318 Depth=2
	s_or_b64 exec, exec, s[12:13]
	s_waitcnt lgkmcnt(0)
	s_barrier
	ds_read_u16 v2, v3 offset:3072
	s_mov_b64 s[4:5], -1
	s_waitcnt lgkmcnt(0)
	s_barrier
	v_cmp_ne_u32_sdwa s[12:13], v2, v3 src0_sel:BYTE_0 src1_sel:DWORD
	s_and_b64 vcc, exec, s[12:13]
	s_mov_b64 s[12:13], -1
	s_cbranch_vccz .LBB126_321
.LBB126_317:                            ;   in Loop: Header=BB126_318 Depth=2
	s_and_b64 s[4:5], exec, s[4:5]
	s_or_b64 s[18:19], s[4:5], s[18:19]
	s_andn2_b64 s[4:5], s[20:21], exec
	s_and_b64 s[12:13], s[12:13], exec
	s_or_b64 s[20:21], s[4:5], s[12:13]
	s_andn2_b64 exec, exec, s[18:19]
	s_cbranch_execz .LBB126_322
.LBB126_318:                            ;   Parent Loop BB126_18 Depth=1
                                        ; =>  This Inner Loop Header: Depth=2
	v_cmp_gt_u64_e32 vcc, s[28:29], v[4:5]
	s_and_saveexec_b64 s[12:13], vcc
	s_cbranch_execz .LBB126_316
; %bb.319:                              ;   in Loop: Header=BB126_318 Depth=2
	v_mov_b32_e32 v6, s34
	v_mov_b32_e32 v7, s35
	v_mad_u64_u32 v[6:7], s[4:5], v4, s26, v[6:7]
	v_mul_lo_u32 v2, v4, s27
	v_mul_lo_u32 v8, v5, s26
	v_add3_u32 v7, v8, v7, v2
	global_load_ubyte v2, v[6:7], off
	s_waitcnt vmcnt(0)
	v_and_b32_e32 v6, v2, v32
	v_cmp_eq_u32_sdwa s[4:5], v6, v28 src0_sel:BYTE_0 src1_sel:DWORD
	s_and_b64 exec, exec, s[4:5]
	s_cbranch_execz .LBB126_316
; %bb.320:                              ;   in Loop: Header=BB126_318 Depth=2
	v_lshlrev_b16_e32 v2, 8, v2
	v_or_b32_e32 v2, 1, v2
	ds_write_b16 v3, v2 offset:3072
	s_branch .LBB126_316
.LBB126_321:                            ;   in Loop: Header=BB126_318 Depth=2
	v_add_co_u32_e32 v4, vcc, s33, v4
	v_addc_co_u32_e32 v5, vcc, 0, v5, vcc
	v_cmp_le_u64_e32 vcc, s[14:15], v[4:5]
	s_mov_b64 s[12:13], 0
	s_orn2_b64 s[4:5], vcc, exec
	s_branch .LBB126_317
.LBB126_322:                            ;   in Loop: Header=BB126_18 Depth=1
	s_or_b64 exec, exec, s[18:19]
	s_andn2_b64 s[4:5], s[8:9], exec
	s_and_b64 s[8:9], s[20:21], exec
	v_lshrrev_b32_sdwa v33, v31, v2 dst_sel:DWORD dst_unused:UNUSED_PAD src0_sel:DWORD src1_sel:WORD_0
	s_or_b64 s[8:9], s[4:5], s[8:9]
.LBB126_323:                            ;   in Loop: Header=BB126_18 Depth=1
	s_or_b64 exec, exec, s[10:11]
	s_mov_b64 s[24:25], 0
	s_mov_b64 s[18:19], -1
.LBB126_324:                            ;   in Loop: Header=BB126_18 Depth=1
	s_orn2_b64 s[8:9], s[8:9], exec
.LBB126_325:                            ;   in Loop: Header=BB126_18 Depth=1
	s_or_b64 exec, exec, s[2:3]
                                        ; implicit-def: $vgpr4_vgpr5
                                        ; implicit-def: $vgpr2
	s_and_saveexec_b64 s[2:3], s[8:9]
	s_cbranch_execz .LBB126_483
; %bb.326:                              ;   in Loop: Header=BB126_18 Depth=1
	v_mov_b32_e32 v4, 1
	s_xor_b64 s[4:5], s[6:7], -1
	v_mov_b32_e32 v2, 1
	v_mov_b32_e32 v5, 0
	s_mov_b64 s[10:11], 0
	s_and_saveexec_b64 s[6:7], s[4:5]
	s_cbranch_execz .LBB126_335
; %bb.327:                              ;   in Loop: Header=BB126_18 Depth=1
	v_cmp_ge_u64_e32 vcc, s[16:17], v[19:20]
	s_and_saveexec_b64 s[4:5], vcc
	s_xor_b64 s[8:9], exec, s[4:5]
	s_cbranch_execz .LBB126_332
; %bb.328:                              ;   in Loop: Header=BB126_18 Depth=1
	ds_read_b64 v[4:5], v3 offset:5120
	v_or_b32_e32 v28, s83, v28
	v_or_b32_e32 v32, s83, v32
	s_waitcnt lgkmcnt(0)
	v_cmp_ne_u64_e32 vcc, 0, v[4:5]
	s_cbranch_vccnz .LBB126_332
; %bb.329:                              ;   in Loop: Header=BB126_18 Depth=1
	s_mov_b64 s[4:5], exec
	v_readlane_b32 s10, v47, 32
	v_readlane_b32 s11, v47, 33
	s_and_b64 s[10:11], s[4:5], s[10:11]
	s_mov_b64 exec, s[10:11]
; %bb.330:                              ;   in Loop: Header=BB126_18 Depth=1
	v_mov_b32_e32 v4, s16
	v_mov_b32_e32 v5, s17
	ds_write_b64 v3, v[4:5] offset:5128
; %bb.331:                              ;   in Loop: Header=BB126_18 Depth=1
	s_or_b64 exec, exec, s[4:5]
	s_waitcnt lgkmcnt(0)
	s_barrier
.LBB126_332:                            ;   in Loop: Header=BB126_18 Depth=1
	s_or_saveexec_b64 s[8:9], s[8:9]
	s_mov_b64 s[10:11], 0
	v_mov_b32_e32 v2, 5
	s_xor_b64 exec, exec, s[8:9]
; %bb.333:                              ;   in Loop: Header=BB126_18 Depth=1
	v_subrev_co_u32_e32 v19, vcc, s16, v19
	v_mov_b32_e32 v2, s17
	v_subb_co_u32_e32 v20, vcc, v20, v2, vcc
	v_mov_b32_e32 v2, 0
	s_mov_b64 s[10:11], exec
; %bb.334:                              ;   in Loop: Header=BB126_18 Depth=1
	s_or_b64 exec, exec, s[8:9]
	v_mov_b32_e32 v4, v19
	s_and_b64 s[10:11], s[10:11], exec
	v_mov_b32_e32 v5, v20
.LBB126_335:                            ;   in Loop: Header=BB126_18 Depth=1
	s_or_b64 exec, exec, s[6:7]
	s_mov_b64 s[8:9], -1
                                        ; implicit-def: $sgpr14_sgpr15
                                        ; implicit-def: $sgpr16_sgpr17
	s_and_saveexec_b64 s[4:5], s[10:11]
	s_xor_b64 s[6:7], exec, s[4:5]
	s_cbranch_execz .LBB126_480
; %bb.336:                              ;   in Loop: Header=BB126_18 Depth=1
	s_cmp_eq_u64 s[50:51], 1
	v_cmp_eq_u64_e32 vcc, 1, v[4:5]
	s_cselect_b64 s[4:5], -1, 0
	s_and_b64 s[20:21], s[4:5], vcc
                                        ; implicit-def: $sgpr16_sgpr17
                                        ; implicit-def: $sgpr14_sgpr15
	s_and_saveexec_b64 s[36:37], s[20:21]
	s_cbranch_execz .LBB126_371
; %bb.337:                              ;   in Loop: Header=BB126_18 Depth=1
	ds_read_b64 v[6:7], v3 offset:5120
	s_waitcnt lgkmcnt(0)
	s_barrier
	v_readfirstlane_b32 s10, v6
	v_readfirstlane_b32 s11, v7
	s_mov_b64 s[4:5], exec
	v_readlane_b32 s8, v47, 48
	v_readlane_b32 s9, v47, 49
	s_and_b64 s[8:9], s[4:5], s[8:9]
	s_mov_b64 exec, s[8:9]
; %bb.338:                              ;   in Loop: Header=BB126_18 Depth=1
	ds_write_b8 v0, v3 offset:3072
; %bb.339:                              ;   in Loop: Header=BB126_18 Depth=1
	s_or_b64 exec, exec, s[4:5]
	v_and_b32_e32 v6, s72, v28
	v_lshl_or_b32 v28, 2, s81, v6
	v_or_b32_e32 v32, s83, v32
	s_mov_b64 s[14:15], -1
	s_mov_b64 s[16:17], 0
	s_cmp_eq_u64 s[10:11], 0
	s_mov_b64 s[8:9], 0
	s_mov_b64 s[38:39], -1
	s_waitcnt lgkmcnt(0)
	s_barrier
                                        ; implicit-def: $vgpr33
	s_cbranch_scc1 .LBB126_353
; %bb.340:                              ;   in Loop: Header=BB126_18 Depth=1
	v_readlane_b32 s4, v47, 52
	s_add_u32 s38, s10, s4
	v_readlane_b32 s4, v47, 54
	s_addc_u32 s9, s11, s4
	s_mov_b32 s8, s71
	s_cmp_lg_u64 s[8:9], 0
	s_cbranch_scc0 .LBB126_356
; %bb.341:                              ;   in Loop: Header=BB126_18 Depth=1
	v_cvt_f32_u32_e32 v6, s33
	s_sub_u32 s8, 0, s33
	s_subb_u32 s12, 0, 0
	v_mac_f32_e32 v6, 0, v30
	v_rcp_f32_e32 v6, v6
	v_mul_f32_e32 v6, 0x5f7ffffc, v6
	v_mul_f32_e32 v7, 0x2f800000, v6
	v_trunc_f32_e32 v7, v7
	v_mac_f32_e32 v6, 0xcf800000, v7
	v_cvt_u32_f32_e32 v7, v7
	v_cvt_u32_f32_e32 v6, v6
	v_readfirstlane_b32 s13, v7
	v_readfirstlane_b32 s4, v6
	s_mul_i32 s5, s8, s13
	s_mul_hi_u32 s40, s8, s4
	s_mul_i32 s39, s12, s4
	s_add_i32 s5, s40, s5
	s_mul_i32 s41, s8, s4
	s_add_i32 s5, s5, s39
	s_mul_hi_u32 s40, s4, s41
	s_mul_i32 s42, s4, s5
	s_mul_hi_u32 s39, s4, s5
	s_add_u32 s40, s40, s42
	s_addc_u32 s39, 0, s39
	s_mul_hi_u32 s43, s13, s41
	s_mul_i32 s41, s13, s41
	s_add_u32 s40, s40, s41
	s_mul_hi_u32 s42, s13, s5
	s_addc_u32 s39, s39, s43
	s_addc_u32 s40, s42, 0
	s_mul_i32 s5, s13, s5
	s_add_u32 s5, s39, s5
	s_addc_u32 s39, 0, s40
	s_add_u32 s40, s4, s5
	s_cselect_b64 s[4:5], -1, 0
	s_cmp_lg_u64 s[4:5], 0
	s_addc_u32 s13, s13, s39
	s_mul_i32 s4, s8, s13
	s_mul_hi_u32 s5, s8, s40
	s_add_i32 s4, s5, s4
	s_mul_i32 s12, s12, s40
	s_add_i32 s4, s4, s12
	s_mul_i32 s8, s8, s40
	s_mul_hi_u32 s12, s13, s8
	s_mul_i32 s39, s13, s8
	s_mul_i32 s42, s40, s4
	s_mul_hi_u32 s8, s40, s8
	s_mul_hi_u32 s41, s40, s4
	s_add_u32 s8, s8, s42
	s_addc_u32 s41, 0, s41
	s_add_u32 s8, s8, s39
	s_mul_hi_u32 s5, s13, s4
	s_addc_u32 s8, s41, s12
	s_addc_u32 s5, s5, 0
	s_mul_i32 s4, s13, s4
	s_add_u32 s4, s8, s4
	s_addc_u32 s8, 0, s5
	s_add_u32 s12, s40, s4
	s_cselect_b64 s[4:5], -1, 0
	s_cmp_lg_u64 s[4:5], 0
	s_addc_u32 s4, s13, s8
	s_mul_i32 s8, s38, s4
	s_mul_hi_u32 s13, s38, s12
	s_mul_hi_u32 s5, s38, s4
	s_add_u32 s8, s13, s8
	s_addc_u32 s5, 0, s5
	s_mul_hi_u32 s39, s9, s12
	s_mul_i32 s12, s9, s12
	s_add_u32 s8, s8, s12
	s_mul_hi_u32 s13, s9, s4
	s_addc_u32 s5, s5, s39
	s_addc_u32 s8, s13, 0
	s_mul_i32 s4, s9, s4
	s_add_u32 s4, s5, s4
	s_addc_u32 s5, 0, s8
	s_mul_i32 s5, s33, s5
	s_mul_hi_u32 s8, s33, s4
	s_add_i32 s8, s8, s5
	s_mul_i32 s4, s33, s4
	s_sub_u32 s12, s38, s4
	s_cselect_b64 s[4:5], -1, 0
	s_cmp_lg_u64 s[4:5], 0
	s_subb_u32 s8, s9, s8
	s_sub_u32 s13, s12, s33
	s_cselect_b64 s[4:5], -1, 0
	s_cmp_lg_u64 s[4:5], 0
	s_subb_u32 s39, s8, 0
	;; [unrolled: 4-line block ×3, first 2 shown]
	s_cmp_ge_u32 s13, s33
	s_cselect_b32 s5, -1, 0
	s_cmp_eq_u32 s39, 0
	s_cselect_b32 s5, s5, -1
	s_cmp_lg_u32 s5, 0
	s_cselect_b32 s4, s4, s39
	s_cselect_b32 s5, s40, s13
	s_cmp_ge_u32 s12, s33
	s_cselect_b32 s13, -1, 0
	s_cmp_eq_u32 s8, 0
	s_cselect_b32 s13, s13, -1
	s_cmp_lg_u32 s13, 0
	s_cselect_b32 s13, s4, s8
	s_cselect_b32 s12, s5, s12
	s_cbranch_execnz .LBB126_343
.LBB126_342:                            ;   in Loop: Header=BB126_18 Depth=1
	v_cvt_f32_u32_e32 v6, s33
	s_sub_i32 s4, 0, s33
	v_rcp_iflag_f32_e32 v6, v6
	v_mul_f32_e32 v6, 0x4f7ffffe, v6
	v_cvt_u32_f32_e32 v6, v6
	v_readfirstlane_b32 s5, v6
	s_mul_i32 s4, s4, s5
	s_mul_hi_u32 s4, s5, s4
	s_add_i32 s5, s5, s4
	s_mul_hi_u32 s4, s38, s5
	s_mul_i32 s4, s4, s33
	s_sub_i32 s4, s38, s4
	s_sub_i32 s5, s4, s33
	s_cmp_ge_u32 s4, s33
	s_cselect_b32 s4, s5, s4
	s_sub_i32 s5, s4, s33
	s_cmp_ge_u32 s4, s33
	s_cselect_b32 s70, s5, s4
	s_mov_b64 s[12:13], s[70:71]
.LBB126_343:                            ;   in Loop: Header=BB126_18 Depth=1
	s_sub_u32 s42, s38, s12
	s_subb_u32 s43, s9, s13
	v_cmp_gt_u64_e32 vcc, s[42:43], v[0:1]
	s_mov_b64 s[38:39], 0
	s_mov_b64 s[8:9], 0
                                        ; implicit-def: $vgpr33
	s_and_saveexec_b64 s[40:41], vcc
	s_cbranch_execz .LBB126_352
; %bb.344:                              ;   in Loop: Header=BB126_18 Depth=1
	v_mov_b32_e32 v7, v1
	v_mov_b32_e32 v8, v0
	;; [unrolled: 1-line block ×3, first 2 shown]
                                        ; implicit-def: $sgpr52_sgpr53
	s_branch .LBB126_347
.LBB126_345:                            ;   in Loop: Header=BB126_347 Depth=2
	s_or_b64 exec, exec, s[12:13]
	s_waitcnt lgkmcnt(0)
	s_barrier
	ds_read_u16 v9, v3 offset:3072
	s_mov_b64 s[4:5], -1
	s_waitcnt lgkmcnt(0)
	s_barrier
	v_cmp_ne_u32_sdwa s[12:13], v9, v3 src0_sel:BYTE_0 src1_sel:DWORD
	s_and_b64 vcc, exec, s[12:13]
	s_mov_b64 s[12:13], -1
	s_cbranch_vccz .LBB126_350
.LBB126_346:                            ;   in Loop: Header=BB126_347 Depth=2
	s_and_b64 s[4:5], exec, s[4:5]
	s_or_b64 s[8:9], s[4:5], s[8:9]
	s_andn2_b64 s[4:5], s[52:53], exec
	s_and_b64 s[12:13], s[12:13], exec
	s_or_b64 s[52:53], s[4:5], s[12:13]
	s_andn2_b64 exec, exec, s[8:9]
	s_cbranch_execz .LBB126_351
.LBB126_347:                            ;   Parent Loop BB126_18 Depth=1
                                        ; =>  This Inner Loop Header: Depth=2
	v_cmp_gt_u64_e32 vcc, s[10:11], v[6:7]
	s_and_saveexec_b64 s[12:13], vcc
	s_cbranch_execz .LBB126_345
; %bb.348:                              ;   in Loop: Header=BB126_347 Depth=2
	ds_read_u8 v9, v8
	s_waitcnt lgkmcnt(0)
	v_and_b32_e32 v10, v9, v32
	v_cmp_eq_u32_sdwa s[4:5], v10, v28 src0_sel:BYTE_0 src1_sel:DWORD
	s_and_b64 exec, exec, s[4:5]
	s_cbranch_execz .LBB126_345
; %bb.349:                              ;   in Loop: Header=BB126_347 Depth=2
	v_lshlrev_b16_e32 v9, 8, v9
	v_or_b32_e32 v9, 1, v9
	ds_write_b16 v3, v9 offset:3072
	s_branch .LBB126_345
.LBB126_350:                            ;   in Loop: Header=BB126_347 Depth=2
	v_add_co_u32_e32 v6, vcc, s33, v6
	v_addc_co_u32_e32 v7, vcc, 0, v7, vcc
	v_cmp_le_u64_e32 vcc, s[42:43], v[6:7]
	v_add_u32_e32 v8, s33, v8
	s_mov_b64 s[12:13], 0
	s_orn2_b64 s[4:5], vcc, exec
	s_branch .LBB126_346
.LBB126_351:                            ;   in Loop: Header=BB126_18 Depth=1
	s_or_b64 exec, exec, s[8:9]
	v_lshrrev_b32_sdwa v33, v31, v9 dst_sel:DWORD dst_unused:UNUSED_PAD src0_sel:DWORD src1_sel:WORD_0
	s_and_b64 s[8:9], s[52:53], exec
.LBB126_352:                            ;   in Loop: Header=BB126_18 Depth=1
	s_or_b64 exec, exec, s[40:41]
.LBB126_353:                            ;   in Loop: Header=BB126_18 Depth=1
	s_and_b64 vcc, exec, s[38:39]
	s_cbranch_vccz .LBB126_370
; %bb.354:                              ;   in Loop: Header=BB126_18 Depth=1
	v_readlane_b32 s38, v47, 55
	v_readlane_b32 s39, v47, 56
	s_mov_b32 s38, s71
	s_cmp_lg_u64 s[38:39], 0
	v_writelane_b32 v47, s38, 55
	v_writelane_b32 v47, s39, 56
	s_cbranch_scc0 .LBB126_357
; %bb.355:                              ;   in Loop: Header=BB126_18 Depth=1
	v_cvt_f32_u32_e32 v6, s33
	s_sub_u32 s10, 0, s33
	s_subb_u32 s11, 0, 0
	v_mac_f32_e32 v6, 0, v30
	v_rcp_f32_e32 v6, v6
	v_mul_f32_e32 v6, 0x5f7ffffc, v6
	v_mul_f32_e32 v7, 0x2f800000, v6
	v_trunc_f32_e32 v7, v7
	v_mac_f32_e32 v6, 0xcf800000, v7
	v_cvt_u32_f32_e32 v7, v7
	v_cvt_u32_f32_e32 v6, v6
	v_readfirstlane_b32 s12, v7
	v_readfirstlane_b32 s4, v6
	s_mul_i32 s5, s10, s12
	s_mul_hi_u32 s14, s10, s4
	s_mul_i32 s13, s11, s4
	s_add_i32 s5, s14, s5
	s_mul_i32 s15, s10, s4
	s_add_i32 s5, s5, s13
	s_mul_hi_u32 s14, s4, s15
	s_mul_i32 s16, s4, s5
	s_mul_hi_u32 s13, s4, s5
	s_add_u32 s14, s14, s16
	s_addc_u32 s13, 0, s13
	s_mul_hi_u32 s17, s12, s15
	s_mul_i32 s15, s12, s15
	s_add_u32 s14, s14, s15
	s_mul_hi_u32 s16, s12, s5
	s_addc_u32 s13, s13, s17
	s_addc_u32 s14, s16, 0
	s_mul_i32 s5, s12, s5
	s_add_u32 s5, s13, s5
	s_addc_u32 s13, 0, s14
	s_add_u32 s14, s4, s5
	s_cselect_b64 s[4:5], -1, 0
	s_cmp_lg_u64 s[4:5], 0
	s_addc_u32 s12, s12, s13
	s_mul_i32 s4, s10, s12
	s_mul_hi_u32 s5, s10, s14
	s_add_i32 s4, s5, s4
	s_mul_i32 s11, s11, s14
	s_add_i32 s4, s4, s11
	s_mul_i32 s10, s10, s14
	s_mul_hi_u32 s11, s12, s10
	s_mul_i32 s13, s12, s10
	s_mul_i32 s16, s14, s4
	s_mul_hi_u32 s10, s14, s10
	s_mul_hi_u32 s15, s14, s4
	s_add_u32 s10, s10, s16
	s_addc_u32 s15, 0, s15
	s_add_u32 s10, s10, s13
	s_mul_hi_u32 s5, s12, s4
	s_addc_u32 s10, s15, s11
	s_addc_u32 s5, s5, 0
	s_mul_i32 s4, s12, s4
	s_add_u32 s4, s10, s4
	s_addc_u32 s10, 0, s5
	s_add_u32 s11, s14, s4
	s_cselect_b64 s[4:5], -1, 0
	s_cmp_lg_u64 s[4:5], 0
	s_addc_u32 s4, s12, s10
	v_readlane_b32 s15, v47, 53
	s_mul_i32 s10, s15, s4
	s_mul_hi_u32 s12, s15, s11
	s_mul_hi_u32 s5, s15, s4
	s_add_u32 s10, s12, s10
	s_addc_u32 s5, 0, s5
	s_mul_hi_u32 s13, s39, s11
	s_mul_i32 s11, s39, s11
	s_add_u32 s10, s10, s11
	s_mul_hi_u32 s12, s39, s4
	s_addc_u32 s5, s5, s13
	s_addc_u32 s10, s12, 0
	s_mul_i32 s4, s39, s4
	s_add_u32 s4, s5, s4
	s_addc_u32 s5, 0, s10
	s_mul_i32 s5, s33, s5
	s_mul_hi_u32 s10, s33, s4
	s_add_i32 s10, s10, s5
	s_mul_i32 s4, s33, s4
	s_sub_u32 s12, s15, s4
	s_cselect_b64 s[4:5], -1, 0
	s_cmp_lg_u64 s[4:5], 0
	s_subb_u32 s10, s39, s10
	s_sub_u32 s11, s12, s33
	s_cselect_b64 s[4:5], -1, 0
	s_cmp_lg_u64 s[4:5], 0
	s_subb_u32 s13, s10, 0
	;; [unrolled: 4-line block ×3, first 2 shown]
	s_cmp_ge_u32 s11, s33
	s_cselect_b32 s5, -1, 0
	s_cmp_eq_u32 s13, 0
	s_cselect_b32 s5, s5, -1
	s_cmp_lg_u32 s5, 0
	s_cselect_b32 s4, s4, s13
	s_cselect_b32 s5, s14, s11
	s_cmp_ge_u32 s12, s33
	s_cselect_b32 s11, -1, 0
	s_cmp_eq_u32 s10, 0
	s_cselect_b32 s11, s11, -1
	s_cmp_lg_u32 s11, 0
	s_cselect_b32 s11, s4, s10
	s_cselect_b32 s10, s5, s12
	s_mov_b64 s[4:5], 0
	s_branch .LBB126_358
.LBB126_356:                            ;   in Loop: Header=BB126_18 Depth=1
                                        ; implicit-def: $sgpr12_sgpr13
	s_branch .LBB126_342
.LBB126_357:                            ;   in Loop: Header=BB126_18 Depth=1
	s_mov_b64 s[4:5], -1
	v_readlane_b32 s15, v47, 53
                                        ; implicit-def: $sgpr10_sgpr11
.LBB126_358:                            ;   in Loop: Header=BB126_18 Depth=1
	s_andn2_b64 vcc, exec, s[4:5]
	v_readlane_b32 s79, v46, 5
	s_cbranch_vccnz .LBB126_360
; %bb.359:                              ;   in Loop: Header=BB126_18 Depth=1
	v_cvt_f32_u32_e32 v6, s33
	s_sub_i32 s4, 0, s33
	v_rcp_iflag_f32_e32 v6, v6
	v_mul_f32_e32 v6, 0x4f7ffffe, v6
	v_cvt_u32_f32_e32 v6, v6
	v_readfirstlane_b32 s5, v6
	s_mul_i32 s4, s4, s5
	s_mul_hi_u32 s4, s5, s4
	s_add_i32 s5, s5, s4
	s_mul_hi_u32 s4, s15, s5
	s_mul_i32 s4, s4, s33
	s_sub_i32 s4, s15, s4
	s_sub_i32 s5, s4, s33
	s_cmp_ge_u32 s4, s33
	s_cselect_b32 s4, s5, s4
	s_sub_i32 s5, s4, s33
	s_cmp_ge_u32 s4, s33
	s_cselect_b32 s70, s5, s4
	s_mov_b64 s[10:11], s[70:71]
.LBB126_360:                            ;   in Loop: Header=BB126_18 Depth=1
	v_readlane_b32 s4, v47, 55
	s_sub_u32 s14, s15, s10
	v_readlane_b32 s5, v47, 56
	s_subb_u32 s15, s5, s11
	v_cmp_gt_u64_e32 vcc, s[14:15], v[0:1]
                                        ; implicit-def: $vgpr33
	s_and_saveexec_b64 s[10:11], vcc
	s_cbranch_execz .LBB126_369
; %bb.361:                              ;   in Loop: Header=BB126_18 Depth=1
	v_mov_b32_e32 v7, v1
	s_mov_b64 s[16:17], 0
	v_mov_b32_e32 v6, v0
                                        ; implicit-def: $sgpr38_sgpr39
	s_branch .LBB126_364
.LBB126_362:                            ;   in Loop: Header=BB126_364 Depth=2
	s_or_b64 exec, exec, s[12:13]
	s_waitcnt lgkmcnt(0)
	s_barrier
	ds_read_u16 v8, v3 offset:3072
	s_mov_b64 s[4:5], -1
	s_waitcnt lgkmcnt(0)
	s_barrier
	v_cmp_eq_u32_sdwa s[12:13], v8, v3 src0_sel:BYTE_0 src1_sel:DWORD
	s_and_b64 vcc, exec, s[12:13]
	s_mov_b64 s[12:13], -1
	s_cbranch_vccnz .LBB126_367
.LBB126_363:                            ;   in Loop: Header=BB126_364 Depth=2
	s_and_b64 s[4:5], exec, s[4:5]
	s_or_b64 s[16:17], s[4:5], s[16:17]
	s_andn2_b64 s[4:5], s[38:39], exec
	s_and_b64 s[12:13], s[12:13], exec
	s_or_b64 s[38:39], s[4:5], s[12:13]
	s_andn2_b64 exec, exec, s[16:17]
	s_cbranch_execz .LBB126_368
.LBB126_364:                            ;   Parent Loop BB126_18 Depth=1
                                        ; =>  This Inner Loop Header: Depth=2
	v_cmp_gt_u64_e32 vcc, s[28:29], v[6:7]
	s_and_saveexec_b64 s[12:13], vcc
	s_cbranch_execz .LBB126_362
; %bb.365:                              ;   in Loop: Header=BB126_364 Depth=2
	v_mov_b32_e32 v8, s34
	v_mov_b32_e32 v9, s35
	v_mad_u64_u32 v[8:9], s[4:5], v6, s26, v[8:9]
	v_mul_lo_u32 v10, v6, s27
	v_mul_lo_u32 v11, v7, s26
	v_add3_u32 v9, v11, v9, v10
	global_load_ubyte v8, v[8:9], off
	s_waitcnt vmcnt(0)
	v_and_b32_e32 v9, v8, v32
	v_cmp_eq_u32_sdwa s[4:5], v9, v28 src0_sel:BYTE_0 src1_sel:DWORD
	s_and_b64 exec, exec, s[4:5]
	s_cbranch_execz .LBB126_362
; %bb.366:                              ;   in Loop: Header=BB126_364 Depth=2
	v_lshlrev_b16_e32 v8, 8, v8
	v_or_b32_e32 v8, 1, v8
	ds_write_b16 v3, v8 offset:3072
	s_branch .LBB126_362
.LBB126_367:                            ;   in Loop: Header=BB126_364 Depth=2
	v_add_co_u32_e32 v6, vcc, s33, v6
	v_addc_co_u32_e32 v7, vcc, 0, v7, vcc
	v_cmp_le_u64_e32 vcc, s[14:15], v[6:7]
	s_mov_b64 s[12:13], 0
	s_orn2_b64 s[4:5], vcc, exec
	s_branch .LBB126_363
.LBB126_368:                            ;   in Loop: Header=BB126_18 Depth=1
	s_or_b64 exec, exec, s[16:17]
	s_andn2_b64 s[4:5], s[8:9], exec
	s_and_b64 s[8:9], s[38:39], exec
	v_lshrrev_b32_sdwa v33, v31, v8 dst_sel:DWORD dst_unused:UNUSED_PAD src0_sel:DWORD src1_sel:WORD_0
	s_or_b64 s[8:9], s[4:5], s[8:9]
.LBB126_369:                            ;   in Loop: Header=BB126_18 Depth=1
	s_or_b64 exec, exec, s[10:11]
	s_mov_b64 s[14:15], 0
	s_mov_b64 s[16:17], -1
.LBB126_370:                            ;   in Loop: Header=BB126_18 Depth=1
	s_orn2_b64 s[8:9], s[8:9], exec
.LBB126_371:                            ;   in Loop: Header=BB126_18 Depth=1
	s_or_b64 exec, exec, s[36:37]
	s_mov_b64 s[10:11], 0
	s_and_saveexec_b64 s[36:37], s[8:9]
	s_cbranch_execz .LBB126_479
; %bb.372:                              ;   in Loop: Header=BB126_18 Depth=1
	v_mov_b32_e32 v6, 1
	s_xor_b64 s[4:5], s[20:21], -1
	v_mov_b32_e32 v2, 1
	v_mov_b32_e32 v7, 0
	s_and_saveexec_b64 s[8:9], s[4:5]
	s_cbranch_execz .LBB126_381
; %bb.373:                              ;   in Loop: Header=BB126_18 Depth=1
	v_cmp_ge_u64_e32 vcc, s[50:51], v[4:5]
	s_and_saveexec_b64 s[4:5], vcc
	s_xor_b64 s[10:11], exec, s[4:5]
	s_cbranch_execz .LBB126_378
; %bb.374:                              ;   in Loop: Header=BB126_18 Depth=1
	ds_read_b64 v[6:7], v3 offset:5120
	v_and_b32_e32 v2, s72, v28
	v_lshl_or_b32 v28, 2, s81, v2
	v_or_b32_e32 v32, s83, v32
	s_waitcnt lgkmcnt(0)
	v_cmp_ne_u64_e32 vcc, 0, v[6:7]
	s_cbranch_vccnz .LBB126_378
; %bb.375:                              ;   in Loop: Header=BB126_18 Depth=1
	s_mov_b64 s[4:5], exec
	v_readlane_b32 s12, v47, 32
	v_readlane_b32 s13, v47, 33
	s_and_b64 s[12:13], s[4:5], s[12:13]
	s_mov_b64 exec, s[12:13]
; %bb.376:                              ;   in Loop: Header=BB126_18 Depth=1
	v_mov_b32_e32 v6, s50
	v_mov_b32_e32 v7, s51
	ds_write_b64 v3, v[6:7] offset:5128
; %bb.377:                              ;   in Loop: Header=BB126_18 Depth=1
	s_or_b64 exec, exec, s[4:5]
	s_waitcnt lgkmcnt(0)
	s_barrier
.LBB126_378:                            ;   in Loop: Header=BB126_18 Depth=1
	s_or_saveexec_b64 s[10:11], s[10:11]
	s_mov_b64 s[12:13], 0
	v_mov_b32_e32 v2, 5
	s_xor_b64 exec, exec, s[10:11]
; %bb.379:                              ;   in Loop: Header=BB126_18 Depth=1
	v_subrev_co_u32_e32 v4, vcc, s50, v4
	v_mov_b32_e32 v2, s51
	v_subb_co_u32_e32 v5, vcc, v5, v2, vcc
	v_mov_b32_e32 v2, 0
	s_mov_b64 s[12:13], exec
; %bb.380:                              ;   in Loop: Header=BB126_18 Depth=1
	s_or_b64 exec, exec, s[10:11]
	v_mov_b32_e32 v7, v5
	s_and_b64 s[10:11], s[12:13], exec
	v_mov_b32_e32 v6, v4
.LBB126_381:                            ;   in Loop: Header=BB126_18 Depth=1
	s_or_b64 exec, exec, s[8:9]
	s_mov_b64 s[8:9], -1
                                        ; implicit-def: $sgpr40_sgpr41
                                        ; implicit-def: $sgpr42_sgpr43
	s_and_saveexec_b64 s[38:39], s[10:11]
	s_cbranch_execz .LBB126_478
; %bb.382:                              ;   in Loop: Header=BB126_18 Depth=1
	s_cmp_eq_u64 s[48:49], 1
	v_cmp_eq_u64_e32 vcc, 1, v[6:7]
	s_cselect_b64 s[4:5], -1, 0
	s_and_b64 s[20:21], s[4:5], vcc
                                        ; implicit-def: $sgpr42_sgpr43
                                        ; implicit-def: $sgpr40_sgpr41
	s_and_saveexec_b64 s[50:51], s[20:21]
	s_cbranch_execz .LBB126_417
; %bb.383:                              ;   in Loop: Header=BB126_18 Depth=1
	ds_read_b64 v[4:5], v3 offset:5120
	s_waitcnt lgkmcnt(0)
	s_barrier
	v_readfirstlane_b32 s10, v4
	v_readfirstlane_b32 s11, v5
	s_mov_b64 s[4:5], exec
	v_readlane_b32 s8, v47, 48
	v_readlane_b32 s9, v47, 49
	s_and_b64 s[8:9], s[4:5], s[8:9]
	s_mov_b64 exec, s[8:9]
; %bb.384:                              ;   in Loop: Header=BB126_18 Depth=1
	ds_write_b8 v0, v3 offset:3072
; %bb.385:                              ;   in Loop: Header=BB126_18 Depth=1
	s_or_b64 exec, exec, s[4:5]
	v_and_b32_e32 v4, s72, v28
	v_lshl_or_b32 v28, 1, s81, v4
	v_or_b32_e32 v32, s83, v32
	s_mov_b64 s[40:41], -1
	s_mov_b64 s[42:43], 0
	s_cmp_eq_u64 s[10:11], 0
	s_mov_b64 s[8:9], 0
	s_mov_b64 s[52:53], -1
	s_waitcnt lgkmcnt(0)
	s_barrier
                                        ; implicit-def: $vgpr33
	s_cbranch_scc1 .LBB126_399
; %bb.386:                              ;   in Loop: Header=BB126_18 Depth=1
	v_readlane_b32 s4, v47, 52
	s_add_u32 s52, s10, s4
	v_readlane_b32 s4, v47, 54
	s_addc_u32 s9, s11, s4
	s_mov_b32 s8, s71
	s_cmp_lg_u64 s[8:9], 0
	s_cbranch_scc0 .LBB126_402
; %bb.387:                              ;   in Loop: Header=BB126_18 Depth=1
	v_cvt_f32_u32_e32 v4, s33
	s_sub_u32 s8, 0, s33
	s_subb_u32 s12, 0, 0
	v_mac_f32_e32 v4, 0, v30
	v_rcp_f32_e32 v4, v4
	v_mul_f32_e32 v4, 0x5f7ffffc, v4
	v_mul_f32_e32 v5, 0x2f800000, v4
	v_trunc_f32_e32 v5, v5
	v_mac_f32_e32 v4, 0xcf800000, v5
	v_cvt_u32_f32_e32 v5, v5
	v_cvt_u32_f32_e32 v4, v4
	v_readfirstlane_b32 s13, v5
	v_readfirstlane_b32 s4, v4
	s_mul_i32 s5, s8, s13
	s_mul_hi_u32 s54, s8, s4
	s_mul_i32 s53, s12, s4
	s_add_i32 s5, s54, s5
	s_mul_i32 s55, s8, s4
	s_add_i32 s5, s5, s53
	s_mul_hi_u32 s54, s4, s55
	s_mul_i32 s60, s4, s5
	s_mul_hi_u32 s53, s4, s5
	s_add_u32 s54, s54, s60
	s_addc_u32 s53, 0, s53
	s_mul_hi_u32 s61, s13, s55
	s_mul_i32 s55, s13, s55
	s_add_u32 s54, s54, s55
	s_mul_hi_u32 s60, s13, s5
	s_addc_u32 s53, s53, s61
	s_addc_u32 s54, s60, 0
	s_mul_i32 s5, s13, s5
	s_add_u32 s5, s53, s5
	s_addc_u32 s53, 0, s54
	s_add_u32 s54, s4, s5
	s_cselect_b64 s[4:5], -1, 0
	s_cmp_lg_u64 s[4:5], 0
	s_addc_u32 s13, s13, s53
	s_mul_i32 s4, s8, s13
	s_mul_hi_u32 s5, s8, s54
	s_add_i32 s4, s5, s4
	s_mul_i32 s12, s12, s54
	s_add_i32 s4, s4, s12
	s_mul_i32 s8, s8, s54
	s_mul_hi_u32 s12, s13, s8
	s_mul_i32 s53, s13, s8
	s_mul_i32 s60, s54, s4
	s_mul_hi_u32 s8, s54, s8
	s_mul_hi_u32 s55, s54, s4
	s_add_u32 s8, s8, s60
	s_addc_u32 s55, 0, s55
	s_add_u32 s8, s8, s53
	s_mul_hi_u32 s5, s13, s4
	s_addc_u32 s8, s55, s12
	s_addc_u32 s5, s5, 0
	s_mul_i32 s4, s13, s4
	s_add_u32 s4, s8, s4
	s_addc_u32 s8, 0, s5
	s_add_u32 s12, s54, s4
	s_cselect_b64 s[4:5], -1, 0
	s_cmp_lg_u64 s[4:5], 0
	s_addc_u32 s4, s13, s8
	s_mul_i32 s8, s52, s4
	s_mul_hi_u32 s13, s52, s12
	s_mul_hi_u32 s5, s52, s4
	s_add_u32 s8, s13, s8
	s_addc_u32 s5, 0, s5
	s_mul_hi_u32 s53, s9, s12
	s_mul_i32 s12, s9, s12
	s_add_u32 s8, s8, s12
	s_mul_hi_u32 s13, s9, s4
	s_addc_u32 s5, s5, s53
	s_addc_u32 s8, s13, 0
	s_mul_i32 s4, s9, s4
	s_add_u32 s4, s5, s4
	s_addc_u32 s5, 0, s8
	s_mul_i32 s5, s33, s5
	s_mul_hi_u32 s8, s33, s4
	s_add_i32 s8, s8, s5
	s_mul_i32 s4, s33, s4
	s_sub_u32 s12, s52, s4
	s_cselect_b64 s[4:5], -1, 0
	s_cmp_lg_u64 s[4:5], 0
	s_subb_u32 s8, s9, s8
	s_sub_u32 s13, s12, s33
	s_cselect_b64 s[4:5], -1, 0
	s_cmp_lg_u64 s[4:5], 0
	s_subb_u32 s53, s8, 0
	;; [unrolled: 4-line block ×3, first 2 shown]
	s_cmp_ge_u32 s13, s33
	s_cselect_b32 s5, -1, 0
	s_cmp_eq_u32 s53, 0
	s_cselect_b32 s5, s5, -1
	s_cmp_lg_u32 s5, 0
	s_cselect_b32 s4, s4, s53
	s_cselect_b32 s5, s54, s13
	s_cmp_ge_u32 s12, s33
	s_cselect_b32 s13, -1, 0
	s_cmp_eq_u32 s8, 0
	s_cselect_b32 s13, s13, -1
	s_cmp_lg_u32 s13, 0
	s_cselect_b32 s13, s4, s8
	s_cselect_b32 s12, s5, s12
	s_cbranch_execnz .LBB126_389
.LBB126_388:                            ;   in Loop: Header=BB126_18 Depth=1
	v_cvt_f32_u32_e32 v4, s33
	s_sub_i32 s4, 0, s33
	v_rcp_iflag_f32_e32 v4, v4
	v_mul_f32_e32 v4, 0x4f7ffffe, v4
	v_cvt_u32_f32_e32 v4, v4
	v_readfirstlane_b32 s5, v4
	s_mul_i32 s4, s4, s5
	s_mul_hi_u32 s4, s5, s4
	s_add_i32 s5, s5, s4
	s_mul_hi_u32 s4, s52, s5
	s_mul_i32 s4, s4, s33
	s_sub_i32 s4, s52, s4
	s_sub_i32 s5, s4, s33
	s_cmp_ge_u32 s4, s33
	s_cselect_b32 s4, s5, s4
	s_sub_i32 s5, s4, s33
	s_cmp_ge_u32 s4, s33
	s_cselect_b32 s70, s5, s4
	s_mov_b64 s[12:13], s[70:71]
.LBB126_389:                            ;   in Loop: Header=BB126_18 Depth=1
	s_sub_u32 s60, s52, s12
	s_subb_u32 s61, s9, s13
	v_cmp_gt_u64_e32 vcc, s[60:61], v[0:1]
	s_mov_b64 s[52:53], 0
	s_mov_b64 s[8:9], 0
                                        ; implicit-def: $vgpr33
	s_and_saveexec_b64 s[54:55], vcc
	s_cbranch_execz .LBB126_398
; %bb.390:                              ;   in Loop: Header=BB126_18 Depth=1
	v_mov_b32_e32 v5, v1
	v_mov_b32_e32 v8, v0
	;; [unrolled: 1-line block ×3, first 2 shown]
                                        ; implicit-def: $sgpr76_sgpr77
	s_branch .LBB126_393
.LBB126_391:                            ;   in Loop: Header=BB126_393 Depth=2
	s_or_b64 exec, exec, s[12:13]
	s_waitcnt lgkmcnt(0)
	s_barrier
	ds_read_u16 v9, v3 offset:3072
	s_mov_b64 s[4:5], -1
	s_waitcnt lgkmcnt(0)
	s_barrier
	v_cmp_ne_u32_sdwa s[12:13], v9, v3 src0_sel:BYTE_0 src1_sel:DWORD
	s_and_b64 vcc, exec, s[12:13]
	s_mov_b64 s[12:13], -1
	s_cbranch_vccz .LBB126_396
.LBB126_392:                            ;   in Loop: Header=BB126_393 Depth=2
	s_and_b64 s[4:5], exec, s[4:5]
	s_or_b64 s[8:9], s[4:5], s[8:9]
	s_andn2_b64 s[4:5], s[76:77], exec
	s_and_b64 s[12:13], s[12:13], exec
	s_or_b64 s[76:77], s[4:5], s[12:13]
	s_andn2_b64 exec, exec, s[8:9]
	s_cbranch_execz .LBB126_397
.LBB126_393:                            ;   Parent Loop BB126_18 Depth=1
                                        ; =>  This Inner Loop Header: Depth=2
	v_cmp_gt_u64_e32 vcc, s[10:11], v[4:5]
	s_and_saveexec_b64 s[12:13], vcc
	s_cbranch_execz .LBB126_391
; %bb.394:                              ;   in Loop: Header=BB126_393 Depth=2
	ds_read_u8 v9, v8
	s_waitcnt lgkmcnt(0)
	v_and_b32_e32 v10, v9, v32
	v_cmp_eq_u32_sdwa s[4:5], v10, v28 src0_sel:BYTE_0 src1_sel:DWORD
	s_and_b64 exec, exec, s[4:5]
	s_cbranch_execz .LBB126_391
; %bb.395:                              ;   in Loop: Header=BB126_393 Depth=2
	v_lshlrev_b16_e32 v9, 8, v9
	v_or_b32_e32 v9, 1, v9
	ds_write_b16 v3, v9 offset:3072
	s_branch .LBB126_391
.LBB126_396:                            ;   in Loop: Header=BB126_393 Depth=2
	v_add_co_u32_e32 v4, vcc, s33, v4
	v_addc_co_u32_e32 v5, vcc, 0, v5, vcc
	v_cmp_le_u64_e32 vcc, s[60:61], v[4:5]
	v_add_u32_e32 v8, s33, v8
	s_mov_b64 s[12:13], 0
	s_orn2_b64 s[4:5], vcc, exec
	s_branch .LBB126_392
.LBB126_397:                            ;   in Loop: Header=BB126_18 Depth=1
	s_or_b64 exec, exec, s[8:9]
	v_lshrrev_b32_sdwa v33, v31, v9 dst_sel:DWORD dst_unused:UNUSED_PAD src0_sel:DWORD src1_sel:WORD_0
	s_and_b64 s[8:9], s[76:77], exec
.LBB126_398:                            ;   in Loop: Header=BB126_18 Depth=1
	s_or_b64 exec, exec, s[54:55]
.LBB126_399:                            ;   in Loop: Header=BB126_18 Depth=1
	s_and_b64 vcc, exec, s[52:53]
	s_cbranch_vccz .LBB126_416
; %bb.400:                              ;   in Loop: Header=BB126_18 Depth=1
	v_readlane_b32 s52, v47, 55
	v_readlane_b32 s53, v47, 56
	s_mov_b32 s52, s71
	s_cmp_lg_u64 s[52:53], 0
	v_writelane_b32 v47, s52, 55
	v_writelane_b32 v47, s53, 56
	s_cbranch_scc0 .LBB126_403
; %bb.401:                              ;   in Loop: Header=BB126_18 Depth=1
	v_cvt_f32_u32_e32 v4, s33
	s_sub_u32 s10, 0, s33
	s_subb_u32 s11, 0, 0
	v_mac_f32_e32 v4, 0, v30
	v_rcp_f32_e32 v4, v4
	v_mul_f32_e32 v4, 0x5f7ffffc, v4
	v_mul_f32_e32 v5, 0x2f800000, v4
	v_trunc_f32_e32 v5, v5
	v_mac_f32_e32 v4, 0xcf800000, v5
	v_cvt_u32_f32_e32 v5, v5
	v_cvt_u32_f32_e32 v4, v4
	v_readfirstlane_b32 s12, v5
	v_readfirstlane_b32 s4, v4
	s_mul_i32 s5, s10, s12
	s_mul_hi_u32 s40, s10, s4
	s_mul_i32 s13, s11, s4
	s_add_i32 s5, s40, s5
	s_mul_i32 s41, s10, s4
	s_add_i32 s5, s5, s13
	s_mul_hi_u32 s40, s4, s41
	s_mul_i32 s42, s4, s5
	s_mul_hi_u32 s13, s4, s5
	s_add_u32 s40, s40, s42
	s_addc_u32 s13, 0, s13
	s_mul_hi_u32 s43, s12, s41
	s_mul_i32 s41, s12, s41
	s_add_u32 s40, s40, s41
	s_mul_hi_u32 s42, s12, s5
	s_addc_u32 s13, s13, s43
	s_addc_u32 s40, s42, 0
	s_mul_i32 s5, s12, s5
	s_add_u32 s5, s13, s5
	s_addc_u32 s13, 0, s40
	s_add_u32 s40, s4, s5
	s_cselect_b64 s[4:5], -1, 0
	s_cmp_lg_u64 s[4:5], 0
	s_addc_u32 s12, s12, s13
	s_mul_i32 s4, s10, s12
	s_mul_hi_u32 s5, s10, s40
	s_add_i32 s4, s5, s4
	s_mul_i32 s11, s11, s40
	s_add_i32 s4, s4, s11
	s_mul_i32 s10, s10, s40
	s_mul_hi_u32 s11, s12, s10
	s_mul_i32 s13, s12, s10
	s_mul_i32 s42, s40, s4
	s_mul_hi_u32 s10, s40, s10
	s_mul_hi_u32 s41, s40, s4
	s_add_u32 s10, s10, s42
	s_addc_u32 s41, 0, s41
	s_add_u32 s10, s10, s13
	s_mul_hi_u32 s5, s12, s4
	s_addc_u32 s10, s41, s11
	s_addc_u32 s5, s5, 0
	s_mul_i32 s4, s12, s4
	s_add_u32 s4, s10, s4
	s_addc_u32 s10, 0, s5
	s_add_u32 s11, s40, s4
	s_cselect_b64 s[4:5], -1, 0
	s_cmp_lg_u64 s[4:5], 0
	s_addc_u32 s4, s12, s10
	v_readlane_b32 s41, v47, 53
	s_mul_i32 s10, s41, s4
	s_mul_hi_u32 s12, s41, s11
	s_mul_hi_u32 s5, s41, s4
	s_add_u32 s10, s12, s10
	s_addc_u32 s5, 0, s5
	s_mul_hi_u32 s13, s53, s11
	s_mul_i32 s11, s53, s11
	s_add_u32 s10, s10, s11
	s_mul_hi_u32 s12, s53, s4
	s_addc_u32 s5, s5, s13
	s_addc_u32 s10, s12, 0
	s_mul_i32 s4, s53, s4
	s_add_u32 s4, s5, s4
	s_addc_u32 s5, 0, s10
	s_mul_i32 s5, s33, s5
	s_mul_hi_u32 s10, s33, s4
	s_add_i32 s10, s10, s5
	s_mul_i32 s4, s33, s4
	s_sub_u32 s12, s41, s4
	s_cselect_b64 s[4:5], -1, 0
	s_cmp_lg_u64 s[4:5], 0
	s_subb_u32 s10, s53, s10
	s_sub_u32 s11, s12, s33
	s_cselect_b64 s[4:5], -1, 0
	s_cmp_lg_u64 s[4:5], 0
	s_subb_u32 s13, s10, 0
	;; [unrolled: 4-line block ×3, first 2 shown]
	s_cmp_ge_u32 s11, s33
	s_cselect_b32 s5, -1, 0
	s_cmp_eq_u32 s13, 0
	s_cselect_b32 s5, s5, -1
	s_cmp_lg_u32 s5, 0
	s_cselect_b32 s4, s4, s13
	s_cselect_b32 s5, s40, s11
	s_cmp_ge_u32 s12, s33
	s_cselect_b32 s11, -1, 0
	s_cmp_eq_u32 s10, 0
	s_cselect_b32 s11, s11, -1
	s_cmp_lg_u32 s11, 0
	s_cselect_b32 s11, s4, s10
	s_cselect_b32 s10, s5, s12
	s_mov_b64 s[4:5], 0
	s_branch .LBB126_404
.LBB126_402:                            ;   in Loop: Header=BB126_18 Depth=1
                                        ; implicit-def: $sgpr12_sgpr13
	s_branch .LBB126_388
.LBB126_403:                            ;   in Loop: Header=BB126_18 Depth=1
	s_mov_b64 s[4:5], -1
	v_readlane_b32 s41, v47, 53
                                        ; implicit-def: $sgpr10_sgpr11
.LBB126_404:                            ;   in Loop: Header=BB126_18 Depth=1
	s_andn2_b64 vcc, exec, s[4:5]
	v_readlane_b32 s79, v46, 5
	s_cbranch_vccnz .LBB126_406
; %bb.405:                              ;   in Loop: Header=BB126_18 Depth=1
	v_cvt_f32_u32_e32 v4, s33
	s_sub_i32 s4, 0, s33
	v_rcp_iflag_f32_e32 v4, v4
	v_mul_f32_e32 v4, 0x4f7ffffe, v4
	v_cvt_u32_f32_e32 v4, v4
	v_readfirstlane_b32 s5, v4
	s_mul_i32 s4, s4, s5
	s_mul_hi_u32 s4, s5, s4
	s_add_i32 s5, s5, s4
	s_mul_hi_u32 s4, s41, s5
	s_mul_i32 s4, s4, s33
	s_sub_i32 s4, s41, s4
	s_sub_i32 s5, s4, s33
	s_cmp_ge_u32 s4, s33
	s_cselect_b32 s4, s5, s4
	s_sub_i32 s5, s4, s33
	s_cmp_ge_u32 s4, s33
	s_cselect_b32 s70, s5, s4
	s_mov_b64 s[10:11], s[70:71]
.LBB126_406:                            ;   in Loop: Header=BB126_18 Depth=1
	v_readlane_b32 s4, v47, 55
	s_sub_u32 s40, s41, s10
	v_readlane_b32 s5, v47, 56
	s_subb_u32 s41, s5, s11
	v_cmp_gt_u64_e32 vcc, s[40:41], v[0:1]
                                        ; implicit-def: $vgpr33
	s_and_saveexec_b64 s[10:11], vcc
	s_cbranch_execz .LBB126_415
; %bb.407:                              ;   in Loop: Header=BB126_18 Depth=1
	v_mov_b32_e32 v5, v1
	s_mov_b64 s[42:43], 0
	v_mov_b32_e32 v4, v0
                                        ; implicit-def: $sgpr52_sgpr53
	s_branch .LBB126_410
.LBB126_408:                            ;   in Loop: Header=BB126_410 Depth=2
	s_or_b64 exec, exec, s[12:13]
	s_waitcnt lgkmcnt(0)
	s_barrier
	ds_read_u16 v8, v3 offset:3072
	s_mov_b64 s[4:5], -1
	s_waitcnt lgkmcnt(0)
	s_barrier
	v_cmp_eq_u32_sdwa s[12:13], v8, v3 src0_sel:BYTE_0 src1_sel:DWORD
	s_and_b64 vcc, exec, s[12:13]
	s_mov_b64 s[12:13], -1
	s_cbranch_vccnz .LBB126_413
.LBB126_409:                            ;   in Loop: Header=BB126_410 Depth=2
	s_and_b64 s[4:5], exec, s[4:5]
	s_or_b64 s[42:43], s[4:5], s[42:43]
	s_andn2_b64 s[4:5], s[52:53], exec
	s_and_b64 s[12:13], s[12:13], exec
	s_or_b64 s[52:53], s[4:5], s[12:13]
	s_andn2_b64 exec, exec, s[42:43]
	s_cbranch_execz .LBB126_414
.LBB126_410:                            ;   Parent Loop BB126_18 Depth=1
                                        ; =>  This Inner Loop Header: Depth=2
	v_cmp_gt_u64_e32 vcc, s[28:29], v[4:5]
	s_and_saveexec_b64 s[12:13], vcc
	s_cbranch_execz .LBB126_408
; %bb.411:                              ;   in Loop: Header=BB126_410 Depth=2
	v_mov_b32_e32 v8, s34
	v_mov_b32_e32 v9, s35
	v_mad_u64_u32 v[8:9], s[4:5], v4, s26, v[8:9]
	v_mul_lo_u32 v10, v4, s27
	v_mul_lo_u32 v11, v5, s26
	v_add3_u32 v9, v11, v9, v10
	global_load_ubyte v8, v[8:9], off
	s_waitcnt vmcnt(0)
	v_and_b32_e32 v9, v8, v32
	v_cmp_eq_u32_sdwa s[4:5], v9, v28 src0_sel:BYTE_0 src1_sel:DWORD
	s_and_b64 exec, exec, s[4:5]
	s_cbranch_execz .LBB126_408
; %bb.412:                              ;   in Loop: Header=BB126_410 Depth=2
	v_lshlrev_b16_e32 v8, 8, v8
	v_or_b32_e32 v8, 1, v8
	ds_write_b16 v3, v8 offset:3072
	s_branch .LBB126_408
.LBB126_413:                            ;   in Loop: Header=BB126_410 Depth=2
	v_add_co_u32_e32 v4, vcc, s33, v4
	v_addc_co_u32_e32 v5, vcc, 0, v5, vcc
	v_cmp_le_u64_e32 vcc, s[40:41], v[4:5]
	s_mov_b64 s[12:13], 0
	s_orn2_b64 s[4:5], vcc, exec
	s_branch .LBB126_409
.LBB126_414:                            ;   in Loop: Header=BB126_18 Depth=1
	s_or_b64 exec, exec, s[42:43]
	s_andn2_b64 s[4:5], s[8:9], exec
	s_and_b64 s[8:9], s[52:53], exec
	v_lshrrev_b32_sdwa v33, v31, v8 dst_sel:DWORD dst_unused:UNUSED_PAD src0_sel:DWORD src1_sel:WORD_0
	s_or_b64 s[8:9], s[4:5], s[8:9]
.LBB126_415:                            ;   in Loop: Header=BB126_18 Depth=1
	s_or_b64 exec, exec, s[10:11]
	s_mov_b64 s[40:41], 0
	s_mov_b64 s[42:43], -1
.LBB126_416:                            ;   in Loop: Header=BB126_18 Depth=1
	s_orn2_b64 s[8:9], s[8:9], exec
.LBB126_417:                            ;   in Loop: Header=BB126_18 Depth=1
	s_or_b64 exec, exec, s[50:51]
	s_mov_b64 s[10:11], 0
	s_and_saveexec_b64 s[50:51], s[8:9]
	s_cbranch_execz .LBB126_477
; %bb.418:                              ;   in Loop: Header=BB126_18 Depth=1
	v_mov_b32_e32 v4, 1
	s_xor_b64 s[4:5], s[20:21], -1
	v_mov_b32_e32 v2, 1
	v_mov_b32_e32 v5, 0
	s_and_saveexec_b64 s[8:9], s[4:5]
	s_cbranch_execz .LBB126_427
; %bb.419:                              ;   in Loop: Header=BB126_18 Depth=1
	v_cmp_ge_u64_e32 vcc, s[48:49], v[6:7]
	s_and_saveexec_b64 s[4:5], vcc
	s_xor_b64 s[10:11], exec, s[4:5]
	s_cbranch_execz .LBB126_424
; %bb.420:                              ;   in Loop: Header=BB126_18 Depth=1
	ds_read_b64 v[4:5], v3 offset:5120
	v_and_b32_e32 v2, s72, v28
	v_lshl_or_b32 v28, 1, s81, v2
	v_or_b32_e32 v32, s83, v32
	s_waitcnt lgkmcnt(0)
	v_cmp_ne_u64_e32 vcc, 0, v[4:5]
	s_cbranch_vccnz .LBB126_424
; %bb.421:                              ;   in Loop: Header=BB126_18 Depth=1
	s_mov_b64 s[4:5], exec
	v_readlane_b32 s12, v47, 32
	v_readlane_b32 s13, v47, 33
	s_and_b64 s[12:13], s[4:5], s[12:13]
	s_mov_b64 exec, s[12:13]
; %bb.422:                              ;   in Loop: Header=BB126_18 Depth=1
	v_mov_b32_e32 v4, s48
	v_mov_b32_e32 v5, s49
	ds_write_b64 v3, v[4:5] offset:5128
; %bb.423:                              ;   in Loop: Header=BB126_18 Depth=1
	s_or_b64 exec, exec, s[4:5]
	s_waitcnt lgkmcnt(0)
	s_barrier
.LBB126_424:                            ;   in Loop: Header=BB126_18 Depth=1
	s_or_saveexec_b64 s[10:11], s[10:11]
	s_mov_b64 s[12:13], 0
	v_mov_b32_e32 v2, 5
	s_xor_b64 exec, exec, s[10:11]
; %bb.425:                              ;   in Loop: Header=BB126_18 Depth=1
	v_subrev_co_u32_e32 v6, vcc, s48, v6
	v_mov_b32_e32 v2, s49
	v_subb_co_u32_e32 v7, vcc, v7, v2, vcc
	v_mov_b32_e32 v2, 0
	s_mov_b64 s[12:13], exec
; %bb.426:                              ;   in Loop: Header=BB126_18 Depth=1
	s_or_b64 exec, exec, s[10:11]
	v_mov_b32_e32 v4, v6
	s_and_b64 s[10:11], s[12:13], exec
	v_mov_b32_e32 v5, v7
.LBB126_427:                            ;   in Loop: Header=BB126_18 Depth=1
	s_or_b64 exec, exec, s[8:9]
	s_mov_b64 s[8:9], -1
                                        ; implicit-def: $sgpr54_sgpr55
                                        ; implicit-def: $sgpr60_sgpr61
	s_and_saveexec_b64 s[20:21], s[10:11]
	s_cbranch_execz .LBB126_476
; %bb.428:                              ;   in Loop: Header=BB126_18 Depth=1
	s_cmp_eq_u64 s[22:23], 1
	v_cmp_eq_u64_e32 vcc, 1, v[4:5]
	s_cselect_b64 s[4:5], -1, 0
	s_mov_b64 s[10:11], -1
	s_and_b64 s[4:5], s[4:5], vcc
                                        ; implicit-def: $sgpr54_sgpr55
                                        ; implicit-def: $sgpr60_sgpr61
	s_mov_b64 s[8:9], exec
	v_writelane_b32 v46, s4, 6
	v_writelane_b32 v46, s5, 7
	s_and_b64 s[4:5], s[8:9], s[4:5]
	s_mov_b64 exec, s[4:5]
	s_cbranch_execz .LBB126_464
; %bb.429:                              ;   in Loop: Header=BB126_18 Depth=1
	ds_read_b64 v[6:7], v3 offset:5120
	v_writelane_b32 v46, s8, 8
	v_writelane_b32 v46, s9, 9
	s_waitcnt lgkmcnt(0)
	s_barrier
	v_readfirstlane_b32 s10, v6
	v_readfirstlane_b32 s11, v7
	s_mov_b64 s[4:5], exec
	v_readlane_b32 s8, v47, 48
	v_readlane_b32 s9, v47, 49
	s_and_b64 s[8:9], s[4:5], s[8:9]
	s_mov_b64 exec, s[8:9]
; %bb.430:                              ;   in Loop: Header=BB126_18 Depth=1
	ds_write_b8 v0, v3 offset:3072
; %bb.431:                              ;   in Loop: Header=BB126_18 Depth=1
	s_or_b64 exec, exec, s[4:5]
	v_and_b32_e32 v28, s72, v28
	v_or_b32_e32 v32, s83, v32
	s_mov_b64 s[60:61], -1
	s_mov_b64 s[54:55], 0
	s_cmp_eq_u64 s[10:11], 0
	s_mov_b64 s[8:9], 0
	s_mov_b64 s[52:53], -1
	s_waitcnt lgkmcnt(0)
	s_barrier
                                        ; implicit-def: $vgpr33
	s_cbranch_scc1 .LBB126_447
; %bb.432:                              ;   in Loop: Header=BB126_18 Depth=1
	v_readlane_b32 s4, v47, 52
	s_add_u32 s48, s10, s4
	v_readlane_b32 s4, v47, 54
	s_addc_u32 s9, s11, s4
	s_mov_b32 s8, s71
	s_cmp_lg_u64 s[8:9], 0
	s_cbranch_scc0 .LBB126_434
; %bb.433:                              ;   in Loop: Header=BB126_18 Depth=1
	v_cvt_f32_u32_e32 v6, s33
	s_sub_u32 s8, 0, s33
	s_subb_u32 s12, 0, 0
	v_mac_f32_e32 v6, 0, v30
	v_rcp_f32_e32 v6, v6
	v_mul_f32_e32 v6, 0x5f7ffffc, v6
	v_mul_f32_e32 v7, 0x2f800000, v6
	v_trunc_f32_e32 v7, v7
	v_mac_f32_e32 v6, 0xcf800000, v7
	v_cvt_u32_f32_e32 v7, v7
	v_cvt_u32_f32_e32 v6, v6
	v_readfirstlane_b32 s13, v7
	v_readfirstlane_b32 s4, v6
	s_mul_i32 s5, s8, s13
	s_mul_hi_u32 s52, s8, s4
	s_mul_i32 s49, s12, s4
	s_add_i32 s5, s52, s5
	s_mul_i32 s53, s8, s4
	s_add_i32 s5, s5, s49
	s_mul_hi_u32 s52, s4, s53
	s_mul_i32 s70, s4, s5
	s_mul_hi_u32 s49, s4, s5
	s_add_u32 s52, s52, s70
	s_addc_u32 s49, 0, s49
	s_mul_hi_u32 s76, s13, s53
	s_mul_i32 s53, s13, s53
	s_add_u32 s52, s52, s53
	s_mul_hi_u32 s70, s13, s5
	s_addc_u32 s49, s49, s76
	s_addc_u32 s52, s70, 0
	s_mul_i32 s5, s13, s5
	s_add_u32 s5, s49, s5
	s_addc_u32 s49, 0, s52
	s_add_u32 s52, s4, s5
	s_cselect_b64 s[4:5], -1, 0
	s_cmp_lg_u64 s[4:5], 0
	s_addc_u32 s13, s13, s49
	s_mul_i32 s4, s8, s13
	s_mul_hi_u32 s5, s8, s52
	s_add_i32 s4, s5, s4
	s_mul_i32 s12, s12, s52
	s_add_i32 s4, s4, s12
	s_mul_i32 s8, s8, s52
	s_mul_hi_u32 s12, s13, s8
	s_mul_i32 s49, s13, s8
	s_mul_i32 s70, s52, s4
	s_mul_hi_u32 s8, s52, s8
	s_mul_hi_u32 s53, s52, s4
	s_add_u32 s8, s8, s70
	s_addc_u32 s53, 0, s53
	s_add_u32 s8, s8, s49
	s_mul_hi_u32 s5, s13, s4
	s_addc_u32 s8, s53, s12
	s_addc_u32 s5, s5, 0
	s_mul_i32 s4, s13, s4
	s_add_u32 s4, s8, s4
	s_addc_u32 s8, 0, s5
	s_add_u32 s12, s52, s4
	s_cselect_b64 s[4:5], -1, 0
	s_cmp_lg_u64 s[4:5], 0
	s_addc_u32 s4, s13, s8
	s_mul_i32 s8, s48, s4
	s_mul_hi_u32 s13, s48, s12
	s_mul_hi_u32 s5, s48, s4
	s_add_u32 s8, s13, s8
	s_addc_u32 s5, 0, s5
	s_mul_hi_u32 s49, s9, s12
	s_mul_i32 s12, s9, s12
	s_add_u32 s8, s8, s12
	s_mul_hi_u32 s13, s9, s4
	s_addc_u32 s5, s5, s49
	s_addc_u32 s8, s13, 0
	s_mul_i32 s4, s9, s4
	s_add_u32 s4, s5, s4
	s_addc_u32 s5, 0, s8
	s_mul_i32 s5, s33, s5
	s_mul_hi_u32 s8, s33, s4
	s_add_i32 s8, s8, s5
	s_mul_i32 s4, s33, s4
	s_sub_u32 s12, s48, s4
	s_cselect_b64 s[4:5], -1, 0
	s_cmp_lg_u64 s[4:5], 0
	s_subb_u32 s8, s9, s8
	s_sub_u32 s13, s12, s33
	s_cselect_b64 s[4:5], -1, 0
	s_cmp_lg_u64 s[4:5], 0
	s_subb_u32 s49, s8, 0
	;; [unrolled: 4-line block ×3, first 2 shown]
	s_cmp_ge_u32 s13, s33
	s_cselect_b32 s5, -1, 0
	s_cmp_eq_u32 s49, 0
	s_cselect_b32 s5, s5, -1
	s_cmp_lg_u32 s5, 0
	s_cselect_b32 s4, s4, s49
	s_cselect_b32 s5, s52, s13
	s_cmp_ge_u32 s12, s33
	s_cselect_b32 s13, -1, 0
	s_cmp_eq_u32 s8, 0
	s_cselect_b32 s13, s13, -1
	s_cmp_lg_u32 s13, 0
	s_cselect_b32 s13, s4, s8
	s_cselect_b32 s12, s5, s12
	s_mov_b64 s[4:5], 0
	s_branch .LBB126_435
.LBB126_434:                            ;   in Loop: Header=BB126_18 Depth=1
	s_mov_b64 s[4:5], -1
                                        ; implicit-def: $sgpr12_sgpr13
.LBB126_435:                            ;   in Loop: Header=BB126_18 Depth=1
	s_andn2_b64 vcc, exec, s[4:5]
	s_cbranch_vccnz .LBB126_437
; %bb.436:                              ;   in Loop: Header=BB126_18 Depth=1
	v_cvt_f32_u32_e32 v6, s33
	s_sub_i32 s4, 0, s33
	v_rcp_iflag_f32_e32 v6, v6
	v_mul_f32_e32 v6, 0x4f7ffffe, v6
	v_cvt_u32_f32_e32 v6, v6
	v_readfirstlane_b32 s5, v6
	s_mul_i32 s4, s4, s5
	s_mul_hi_u32 s4, s5, s4
	s_add_i32 s5, s5, s4
	s_mul_hi_u32 s4, s48, s5
	s_mul_i32 s4, s4, s33
	s_sub_i32 s4, s48, s4
	s_sub_i32 s5, s4, s33
	s_cmp_ge_u32 s4, s33
	s_cselect_b32 s4, s5, s4
	s_sub_i32 s5, s4, s33
	s_cmp_ge_u32 s4, s33
	s_cselect_b32 s70, s5, s4
	s_mov_b64 s[12:13], s[70:71]
.LBB126_437:                            ;   in Loop: Header=BB126_18 Depth=1
	s_sub_u32 s48, s48, s12
	s_subb_u32 s49, s9, s13
	v_cmp_gt_u64_e32 vcc, s[48:49], v[0:1]
	s_mov_b64 s[52:53], 0
	s_mov_b64 s[8:9], 0
                                        ; implicit-def: $vgpr33
	s_and_saveexec_b64 s[84:85], vcc
	s_cbranch_execz .LBB126_446
; %bb.438:                              ;   in Loop: Header=BB126_18 Depth=1
	v_mov_b32_e32 v7, v1
	v_mov_b32_e32 v8, v0
	;; [unrolled: 1-line block ×3, first 2 shown]
                                        ; implicit-def: $sgpr76_sgpr77
	s_branch .LBB126_441
.LBB126_439:                            ;   in Loop: Header=BB126_441 Depth=2
	s_or_b64 exec, exec, s[12:13]
	s_waitcnt lgkmcnt(0)
	s_barrier
	ds_read_u16 v9, v3 offset:3072
	s_mov_b64 s[4:5], -1
	s_waitcnt lgkmcnt(0)
	s_barrier
	v_cmp_ne_u32_sdwa s[12:13], v9, v3 src0_sel:BYTE_0 src1_sel:DWORD
	s_and_b64 vcc, exec, s[12:13]
	s_mov_b64 s[12:13], -1
	s_cbranch_vccz .LBB126_444
.LBB126_440:                            ;   in Loop: Header=BB126_441 Depth=2
	s_and_b64 s[4:5], exec, s[4:5]
	s_or_b64 s[8:9], s[4:5], s[8:9]
	s_andn2_b64 s[4:5], s[76:77], exec
	s_and_b64 s[12:13], s[12:13], exec
	s_or_b64 s[76:77], s[4:5], s[12:13]
	s_andn2_b64 exec, exec, s[8:9]
	s_cbranch_execz .LBB126_445
.LBB126_441:                            ;   Parent Loop BB126_18 Depth=1
                                        ; =>  This Inner Loop Header: Depth=2
	v_cmp_gt_u64_e32 vcc, s[10:11], v[6:7]
	s_and_saveexec_b64 s[12:13], vcc
	s_cbranch_execz .LBB126_439
; %bb.442:                              ;   in Loop: Header=BB126_441 Depth=2
	ds_read_u8 v9, v8
	s_waitcnt lgkmcnt(0)
	v_and_b32_e32 v10, v9, v32
	v_cmp_eq_u32_sdwa s[4:5], v10, v28 src0_sel:BYTE_0 src1_sel:DWORD
	s_and_b64 exec, exec, s[4:5]
	s_cbranch_execz .LBB126_439
; %bb.443:                              ;   in Loop: Header=BB126_441 Depth=2
	v_lshlrev_b16_e32 v9, 8, v9
	v_or_b32_e32 v9, 1, v9
	ds_write_b16 v3, v9 offset:3072
	s_branch .LBB126_439
.LBB126_444:                            ;   in Loop: Header=BB126_441 Depth=2
	v_add_co_u32_e32 v6, vcc, s33, v6
	v_addc_co_u32_e32 v7, vcc, 0, v7, vcc
	v_cmp_le_u64_e32 vcc, s[48:49], v[6:7]
	v_add_u32_e32 v8, s33, v8
	s_mov_b64 s[12:13], 0
	s_orn2_b64 s[4:5], vcc, exec
	s_branch .LBB126_440
.LBB126_445:                            ;   in Loop: Header=BB126_18 Depth=1
	s_or_b64 exec, exec, s[8:9]
	v_lshrrev_b32_sdwa v33, v31, v9 dst_sel:DWORD dst_unused:UNUSED_PAD src0_sel:DWORD src1_sel:WORD_0
	s_and_b64 s[8:9], s[76:77], exec
.LBB126_446:                            ;   in Loop: Header=BB126_18 Depth=1
	s_or_b64 exec, exec, s[84:85]
.LBB126_447:                            ;   in Loop: Header=BB126_18 Depth=1
	s_and_b64 vcc, exec, s[52:53]
	s_cbranch_vccz .LBB126_463
; %bb.448:                              ;   in Loop: Header=BB126_18 Depth=1
	v_readlane_b32 s54, v47, 55
	v_readlane_b32 s55, v47, 56
	s_mov_b32 s54, s71
	s_cmp_lg_u64 s[54:55], 0
	v_writelane_b32 v47, s54, 55
	v_writelane_b32 v47, s55, 56
	s_cbranch_scc0 .LBB126_450
; %bb.449:                              ;   in Loop: Header=BB126_18 Depth=1
	v_cvt_f32_u32_e32 v6, s33
	s_sub_u32 s10, 0, s33
	s_subb_u32 s11, 0, 0
	v_mac_f32_e32 v6, 0, v30
	v_rcp_f32_e32 v6, v6
	v_mul_f32_e32 v6, 0x5f7ffffc, v6
	v_mul_f32_e32 v7, 0x2f800000, v6
	v_trunc_f32_e32 v7, v7
	v_mac_f32_e32 v6, 0xcf800000, v7
	v_cvt_u32_f32_e32 v7, v7
	v_cvt_u32_f32_e32 v6, v6
	v_readfirstlane_b32 s12, v7
	v_readfirstlane_b32 s4, v6
	s_mul_i32 s5, s10, s12
	s_mul_hi_u32 s48, s10, s4
	s_mul_i32 s13, s11, s4
	s_add_i32 s5, s48, s5
	s_mul_i32 s49, s10, s4
	s_add_i32 s5, s5, s13
	s_mul_hi_u32 s48, s4, s49
	s_mul_i32 s52, s4, s5
	s_mul_hi_u32 s13, s4, s5
	s_add_u32 s48, s48, s52
	s_addc_u32 s13, 0, s13
	s_mul_hi_u32 s53, s12, s49
	s_mul_i32 s49, s12, s49
	s_add_u32 s48, s48, s49
	s_mul_hi_u32 s52, s12, s5
	s_addc_u32 s13, s13, s53
	s_addc_u32 s48, s52, 0
	s_mul_i32 s5, s12, s5
	s_add_u32 s5, s13, s5
	s_addc_u32 s13, 0, s48
	s_add_u32 s48, s4, s5
	s_cselect_b64 s[4:5], -1, 0
	s_cmp_lg_u64 s[4:5], 0
	s_addc_u32 s12, s12, s13
	s_mul_i32 s4, s10, s12
	s_mul_hi_u32 s5, s10, s48
	s_add_i32 s4, s5, s4
	s_mul_i32 s11, s11, s48
	s_add_i32 s4, s4, s11
	s_mul_i32 s10, s10, s48
	s_mul_hi_u32 s11, s12, s10
	s_mul_i32 s13, s12, s10
	s_mul_i32 s52, s48, s4
	s_mul_hi_u32 s10, s48, s10
	s_mul_hi_u32 s49, s48, s4
	s_add_u32 s10, s10, s52
	s_addc_u32 s49, 0, s49
	s_add_u32 s10, s10, s13
	s_mul_hi_u32 s5, s12, s4
	s_addc_u32 s10, s49, s11
	s_addc_u32 s5, s5, 0
	s_mul_i32 s4, s12, s4
	s_add_u32 s4, s10, s4
	s_addc_u32 s10, 0, s5
	s_add_u32 s11, s48, s4
	s_cselect_b64 s[4:5], -1, 0
	s_cmp_lg_u64 s[4:5], 0
	s_addc_u32 s4, s12, s10
	v_readlane_b32 s49, v47, 53
	s_mul_i32 s10, s49, s4
	s_mul_hi_u32 s12, s49, s11
	s_mul_hi_u32 s5, s49, s4
	s_add_u32 s10, s12, s10
	s_addc_u32 s5, 0, s5
	s_mul_hi_u32 s13, s55, s11
	s_mul_i32 s11, s55, s11
	s_add_u32 s10, s10, s11
	s_mul_hi_u32 s12, s55, s4
	s_addc_u32 s5, s5, s13
	s_addc_u32 s10, s12, 0
	s_mul_i32 s4, s55, s4
	s_add_u32 s4, s5, s4
	s_addc_u32 s5, 0, s10
	s_mul_i32 s5, s33, s5
	s_mul_hi_u32 s10, s33, s4
	s_add_i32 s10, s10, s5
	s_mul_i32 s4, s33, s4
	s_sub_u32 s12, s49, s4
	s_cselect_b64 s[4:5], -1, 0
	s_cmp_lg_u64 s[4:5], 0
	s_subb_u32 s10, s55, s10
	s_sub_u32 s11, s12, s33
	s_cselect_b64 s[4:5], -1, 0
	s_cmp_lg_u64 s[4:5], 0
	s_subb_u32 s13, s10, 0
	;; [unrolled: 4-line block ×3, first 2 shown]
	s_cmp_ge_u32 s11, s33
	s_cselect_b32 s5, -1, 0
	s_cmp_eq_u32 s13, 0
	s_cselect_b32 s5, s5, -1
	s_cmp_lg_u32 s5, 0
	s_cselect_b32 s4, s4, s13
	s_cselect_b32 s5, s48, s11
	s_cmp_ge_u32 s12, s33
	s_cselect_b32 s11, -1, 0
	s_cmp_eq_u32 s10, 0
	s_cselect_b32 s11, s11, -1
	s_cmp_lg_u32 s11, 0
	s_cselect_b32 s11, s4, s10
	s_cselect_b32 s10, s5, s12
	s_mov_b64 s[4:5], 0
	s_branch .LBB126_451
.LBB126_450:                            ;   in Loop: Header=BB126_18 Depth=1
	s_mov_b64 s[4:5], -1
	v_readlane_b32 s49, v47, 53
                                        ; implicit-def: $sgpr10_sgpr11
.LBB126_451:                            ;   in Loop: Header=BB126_18 Depth=1
	s_andn2_b64 vcc, exec, s[4:5]
	v_readlane_b32 s79, v46, 5
	s_cbranch_vccnz .LBB126_453
; %bb.452:                              ;   in Loop: Header=BB126_18 Depth=1
	v_cvt_f32_u32_e32 v6, s33
	s_sub_i32 s4, 0, s33
	v_rcp_iflag_f32_e32 v6, v6
	v_mul_f32_e32 v6, 0x4f7ffffe, v6
	v_cvt_u32_f32_e32 v6, v6
	v_readfirstlane_b32 s5, v6
	s_mul_i32 s4, s4, s5
	s_mul_hi_u32 s4, s5, s4
	s_add_i32 s5, s5, s4
	s_mul_hi_u32 s4, s49, s5
	s_mul_i32 s4, s4, s33
	s_sub_i32 s4, s49, s4
	s_sub_i32 s5, s4, s33
	s_cmp_ge_u32 s4, s33
	s_cselect_b32 s4, s5, s4
	s_sub_i32 s5, s4, s33
	s_cmp_ge_u32 s4, s33
	s_cselect_b32 s70, s5, s4
	s_mov_b64 s[10:11], s[70:71]
.LBB126_453:                            ;   in Loop: Header=BB126_18 Depth=1
	v_readlane_b32 s4, v47, 55
	s_sub_u32 s48, s49, s10
	v_readlane_b32 s5, v47, 56
	s_subb_u32 s49, s5, s11
	v_cmp_gt_u64_e32 vcc, s[48:49], v[0:1]
                                        ; implicit-def: $vgpr33
	s_and_saveexec_b64 s[10:11], vcc
	s_cbranch_execz .LBB126_462
; %bb.454:                              ;   in Loop: Header=BB126_18 Depth=1
	v_mov_b32_e32 v7, v1
	s_mov_b64 s[52:53], 0
	v_mov_b32_e32 v6, v0
                                        ; implicit-def: $sgpr60_sgpr61
	s_branch .LBB126_457
.LBB126_455:                            ;   in Loop: Header=BB126_457 Depth=2
	s_or_b64 exec, exec, s[12:13]
	s_waitcnt lgkmcnt(0)
	s_barrier
	ds_read_u16 v8, v3 offset:3072
	s_mov_b64 s[4:5], -1
	s_waitcnt lgkmcnt(0)
	s_barrier
	v_cmp_eq_u32_sdwa s[12:13], v8, v3 src0_sel:BYTE_0 src1_sel:DWORD
	s_and_b64 vcc, exec, s[12:13]
	s_mov_b64 s[12:13], -1
	s_cbranch_vccnz .LBB126_460
.LBB126_456:                            ;   in Loop: Header=BB126_457 Depth=2
	s_and_b64 s[4:5], exec, s[4:5]
	s_or_b64 s[52:53], s[4:5], s[52:53]
	s_andn2_b64 s[4:5], s[60:61], exec
	s_and_b64 s[12:13], s[12:13], exec
	s_or_b64 s[60:61], s[4:5], s[12:13]
	s_andn2_b64 exec, exec, s[52:53]
	s_cbranch_execz .LBB126_461
.LBB126_457:                            ;   Parent Loop BB126_18 Depth=1
                                        ; =>  This Inner Loop Header: Depth=2
	v_cmp_gt_u64_e32 vcc, s[28:29], v[6:7]
	s_and_saveexec_b64 s[12:13], vcc
	s_cbranch_execz .LBB126_455
; %bb.458:                              ;   in Loop: Header=BB126_457 Depth=2
	v_mov_b32_e32 v8, s34
	v_mov_b32_e32 v9, s35
	v_mad_u64_u32 v[8:9], s[4:5], v6, s26, v[8:9]
	v_mul_lo_u32 v10, v6, s27
	v_mul_lo_u32 v11, v7, s26
	v_add3_u32 v9, v11, v9, v10
	global_load_ubyte v8, v[8:9], off
	s_waitcnt vmcnt(0)
	v_and_b32_e32 v9, v8, v32
	v_cmp_eq_u32_sdwa s[4:5], v9, v28 src0_sel:BYTE_0 src1_sel:DWORD
	s_and_b64 exec, exec, s[4:5]
	s_cbranch_execz .LBB126_455
; %bb.459:                              ;   in Loop: Header=BB126_457 Depth=2
	v_lshlrev_b16_e32 v8, 8, v8
	v_or_b32_e32 v8, 1, v8
	ds_write_b16 v3, v8 offset:3072
	s_branch .LBB126_455
.LBB126_460:                            ;   in Loop: Header=BB126_457 Depth=2
	v_add_co_u32_e32 v6, vcc, s33, v6
	v_addc_co_u32_e32 v7, vcc, 0, v7, vcc
	v_cmp_le_u64_e32 vcc, s[48:49], v[6:7]
	s_mov_b64 s[12:13], 0
	s_orn2_b64 s[4:5], vcc, exec
	s_branch .LBB126_456
.LBB126_461:                            ;   in Loop: Header=BB126_18 Depth=1
	s_or_b64 exec, exec, s[52:53]
	s_andn2_b64 s[4:5], s[8:9], exec
	s_and_b64 s[8:9], s[60:61], exec
	v_lshrrev_b32_sdwa v33, v31, v8 dst_sel:DWORD dst_unused:UNUSED_PAD src0_sel:DWORD src1_sel:WORD_0
	s_or_b64 s[8:9], s[4:5], s[8:9]
.LBB126_462:                            ;   in Loop: Header=BB126_18 Depth=1
	s_or_b64 exec, exec, s[10:11]
	s_mov_b64 s[60:61], 0
	s_mov_b64 s[54:55], -1
.LBB126_463:                            ;   in Loop: Header=BB126_18 Depth=1
	s_orn2_b64 s[10:11], s[8:9], exec
	v_readlane_b32 s8, v46, 8
	v_readlane_b32 s9, v46, 9
.LBB126_464:                            ;   in Loop: Header=BB126_18 Depth=1
	s_or_b64 exec, exec, s[8:9]
	s_mov_b64 s[12:13], 0
	s_and_saveexec_b64 s[8:9], s[10:11]
	s_cbranch_execz .LBB126_475
; %bb.465:                              ;   in Loop: Header=BB126_18 Depth=1
	v_readlane_b32 s4, v46, 6
	v_readlane_b32 s5, v46, 7
	v_mov_b32_e32 v6, 1
	s_xor_b64 s[4:5], s[4:5], -1
	v_mov_b32_e32 v7, 0
	v_mov_b32_e32 v2, 1
	s_and_saveexec_b64 s[10:11], s[4:5]
	s_cbranch_execz .LBB126_474
; %bb.466:                              ;   in Loop: Header=BB126_18 Depth=1
	v_cmp_ge_u64_e32 vcc, s[22:23], v[4:5]
	s_and_saveexec_b64 s[4:5], vcc
	s_xor_b64 s[12:13], exec, s[4:5]
	s_cbranch_execz .LBB126_471
; %bb.467:                              ;   in Loop: Header=BB126_18 Depth=1
	ds_read_b64 v[6:7], v3 offset:5120
	v_and_b32_e32 v28, s72, v28
	v_or_b32_e32 v32, s83, v32
	s_waitcnt lgkmcnt(0)
	v_cmp_ne_u64_e32 vcc, 0, v[6:7]
	s_cbranch_vccnz .LBB126_471
; %bb.468:                              ;   in Loop: Header=BB126_18 Depth=1
	s_mov_b64 s[4:5], exec
	v_readlane_b32 s48, v47, 32
	v_readlane_b32 s49, v47, 33
	s_and_b64 s[48:49], s[4:5], s[48:49]
	s_mov_b64 exec, s[48:49]
; %bb.469:                              ;   in Loop: Header=BB126_18 Depth=1
	v_mov_b32_e32 v6, s22
	v_mov_b32_e32 v7, s23
	ds_write_b64 v3, v[6:7] offset:5128
; %bb.470:                              ;   in Loop: Header=BB126_18 Depth=1
	s_or_b64 exec, exec, s[4:5]
	s_waitcnt lgkmcnt(0)
	s_barrier
.LBB126_471:                            ;   in Loop: Header=BB126_18 Depth=1
	s_andn2_saveexec_b64 s[12:13], s[12:13]
; %bb.472:                              ;   in Loop: Header=BB126_18 Depth=1
	v_mov_b32_e32 v2, s23
	v_subrev_co_u32_e32 v4, vcc, s22, v4
	v_subb_co_u32_e32 v5, vcc, v5, v2, vcc
; %bb.473:                              ;   in Loop: Header=BB126_18 Depth=1
	s_or_b64 exec, exec, s[12:13]
	v_mov_b32_e32 v7, v5
	v_mov_b32_e32 v2, 5
	;; [unrolled: 1-line block ×3, first 2 shown]
.LBB126_474:                            ;   in Loop: Header=BB126_18 Depth=1
	s_or_b64 exec, exec, s[10:11]
	v_mov_b32_e32 v4, v6
	s_mov_b64 s[12:13], exec
	v_mov_b32_e32 v5, v7
.LBB126_475:                            ;   in Loop: Header=BB126_18 Depth=1
	s_or_b64 exec, exec, s[8:9]
	s_orn2_b64 s[8:9], s[12:13], exec
.LBB126_476:                            ;   in Loop: Header=BB126_18 Depth=1
	s_or_b64 exec, exec, s[20:21]
	s_andn2_b64 s[4:5], s[42:43], exec
	s_and_b64 s[10:11], s[54:55], exec
	s_or_b64 s[42:43], s[4:5], s[10:11]
	s_andn2_b64 s[4:5], s[40:41], exec
	s_and_b64 s[10:11], s[60:61], exec
	v_mov_b32_e32 v7, v5
	s_or_b64 s[40:41], s[4:5], s[10:11]
	s_and_b64 s[10:11], s[8:9], exec
	v_mov_b32_e32 v6, v4
.LBB126_477:                            ;   in Loop: Header=BB126_18 Depth=1
	s_or_b64 exec, exec, s[50:51]
	s_orn2_b64 s[8:9], s[10:11], exec
.LBB126_478:                            ;   in Loop: Header=BB126_18 Depth=1
	s_or_b64 exec, exec, s[38:39]
	s_andn2_b64 s[4:5], s[16:17], exec
	s_and_b64 s[10:11], s[42:43], exec
	s_or_b64 s[16:17], s[4:5], s[10:11]
	s_andn2_b64 s[4:5], s[14:15], exec
	s_and_b64 s[10:11], s[40:41], exec
	v_mov_b32_e32 v4, v6
	s_or_b64 s[14:15], s[4:5], s[10:11]
	s_and_b64 s[10:11], s[8:9], exec
	v_mov_b32_e32 v5, v7
.LBB126_479:                            ;   in Loop: Header=BB126_18 Depth=1
	s_or_b64 exec, exec, s[36:37]
	s_orn2_b64 s[8:9], s[10:11], exec
.LBB126_480:                            ;   in Loop: Header=BB126_18 Depth=1
	s_or_b64 exec, exec, s[6:7]
	s_mov_b64 s[6:7], s[58:59]
	s_mov_b64 s[10:11], s[56:57]
	s_and_saveexec_b64 s[4:5], s[8:9]
; %bb.481:                              ;   in Loop: Header=BB126_18 Depth=1
	v_cmp_ne_u32_e64 s[6:7], 5, v2
	v_cmp_eq_u32_e32 vcc, 5, v2
	s_andn2_b64 s[8:9], s[56:57], exec
	s_and_b64 s[6:7], s[6:7], exec
	s_or_b64 s[10:11], s[8:9], s[6:7]
	s_andn2_b64 s[6:7], s[58:59], exec
	s_and_b64 s[8:9], vcc, exec
	s_or_b64 s[6:7], s[6:7], s[8:9]
; %bb.482:                              ;   in Loop: Header=BB126_18 Depth=1
	s_or_b64 exec, exec, s[4:5]
	s_andn2_b64 s[4:5], s[18:19], exec
	s_and_b64 s[8:9], s[16:17], exec
	s_or_b64 s[18:19], s[4:5], s[8:9]
	s_andn2_b64 s[4:5], s[24:25], exec
	s_and_b64 s[8:9], s[14:15], exec
	s_or_b64 s[24:25], s[4:5], s[8:9]
	;; [unrolled: 3-line block ×4, first 2 shown]
.LBB126_483:                            ;   in Loop: Header=BB126_18 Depth=1
	s_or_b64 exec, exec, s[2:3]
	s_mov_b64 s[14:15], 0
	s_mov_b64 s[2:3], 0
	s_and_saveexec_b64 s[4:5], s[58:59]
.LBB126_484:                            ;   in Loop: Header=BB126_18 Depth=1
	v_mov_b32_e32 v2, 0
	s_or_b64 s[56:57], s[56:57], exec
.LBB126_485:                            ;   in Loop: Header=BB126_18 Depth=1
	s_or_b64 exec, exec, s[4:5]
	s_andn2_b64 s[4:5], s[44:45], exec
	s_and_b64 s[8:9], s[18:19], exec
	s_or_b64 s[44:45], s[4:5], s[8:9]
	s_andn2_b64 s[4:5], s[68:69], exec
	s_and_b64 s[8:9], s[24:25], exec
	s_or_b64 s[68:69], s[4:5], s[8:9]
	s_andn2_b64 s[4:5], s[62:63], exec
	s_and_b64 s[2:3], s[2:3], exec
	s_or_b64 s[62:63], s[4:5], s[2:3]
	s_andn2_b64 s[2:3], s[66:67], exec
	s_and_b64 s[4:5], s[14:15], exec
	v_mov_b32_e32 v20, v5
	s_mov_b64 s[6:7], -1
	s_andn2_b64 s[46:47], s[46:47], exec
	s_or_b64 s[66:67], s[2:3], s[4:5]
	v_mov_b32_e32 v19, v4
	s_and_saveexec_b64 s[2:3], s[56:57]
	s_xor_b64 s[2:3], exec, s[2:3]
	s_mov_b32 s17, 0xc0c0004
	s_cbranch_execz .LBB126_17
; %bb.486:                              ;   in Loop: Header=BB126_18 Depth=1
	v_cmp_eq_u32_e32 vcc, 0, v2
	s_mov_b64 s[8:9], -1
	s_and_saveexec_b64 s[4:5], vcc
	s_cbranch_execz .LBB126_16
; %bb.487:                              ;   in Loop: Header=BB126_18 Depth=1
	v_readlane_b32 s6, v46, 2
	s_xor_b32 s6, s6, 1
	s_add_i32 s10, s81, -2
	s_cmp_eq_u32 s81, 0
	v_writelane_b32 v46, s6, 2
	s_cselect_b64 s[6:7], -1, 0
	s_xor_b64 s[8:9], exec, -1
	s_orn2_b64 s[6:7], s[6:7], exec
	s_mov_b32 s81, s10
	s_branch .LBB126_16
.LBB126_488:
	s_or_b64 exec, exec, s[86:87]
	s_xor_b64 s[6:7], s[64:65], -1
	s_xor_b64 s[14:15], s[94:95], -1
	;; [unrolled: 1-line block ×5, first 2 shown]
	s_mov_b64 s[8:9], 0
	s_and_saveexec_b64 s[12:13], s[10:11]
	s_xor_b64 s[10:11], exec, s[12:13]
	s_cbranch_execnz .LBB126_493
; %bb.489:
	s_andn2_saveexec_b64 s[0:1], s[10:11]
	s_cbranch_execnz .LBB126_512
.LBB126_490:
	s_or_b64 exec, exec, s[0:1]
	s_and_saveexec_b64 s[0:1], s[8:9]
.LBB126_491:
	; divergent unreachable
.LBB126_492:
	s_endpgm
.LBB126_493:
	s_and_saveexec_b64 s[12:13], s[4:5]
	s_xor_b64 s[12:13], exec, s[12:13]
	s_cbranch_execz .LBB126_510
; %bb.494:
	s_and_saveexec_b64 s[4:5], s[14:15]
	s_xor_b64 s[14:15], exec, s[4:5]
	s_cbranch_execz .LBB126_508
; %bb.495:
	;; [unrolled: 4-line block ×3, first 2 shown]
	s_and_saveexec_b64 s[4:5], s[2:3]
	s_xor_b64 s[2:3], exec, s[4:5]
; %bb.497:
	v_mov_b32_e32 v33, v28
; %bb.498:
	s_or_b64 exec, exec, s[2:3]
	s_mov_b64 s[2:3], exec
	v_readlane_b32 s4, v47, 32
	v_readlane_b32 s5, v47, 33
	v_readlane_b32 s52, v47, 38
	s_and_b64 s[4:5], s[2:3], s[4:5]
	v_readlane_b32 s22, v47, 34
	v_readlane_b32 s53, v47, 39
	;; [unrolled: 1-line block ×3, first 2 shown]
	s_mov_b64 exec, s[4:5]
; %bb.499:
	v_mov_b32_e32 v2, 0
	v_mov_b32_e32 v3, v2
	ds_write_b64 v2, v[2:3] offset:5136
; %bb.500:
	s_or_b64 exec, exec, s[2:3]
	v_mov_b32_e32 v14, 0
	s_waitcnt lgkmcnt(0)
	s_barrier
	s_mov_b64 s[2:3], exec
	v_readlane_b32 s4, v47, 46
	v_readlane_b32 s5, v47, 47
	s_and_b64 s[4:5], s[2:3], s[4:5]
	s_mov_b64 exec, s[4:5]
	s_cbranch_execz .LBB126_502
; %bb.501:
	global_load_ubyte v14, v[12:13], off
.LBB126_502:
	s_or_b64 exec, exec, s[2:3]
	v_readlane_b32 s40, v47, 24
	s_add_u32 s2, s28, 63
	v_readlane_b32 s42, v47, 26
	v_readlane_b32 s43, v47, 27
	;; [unrolled: 1-line block ×3, first 2 shown]
	s_addc_u32 s9, s29, 0
	s_and_b32 s8, s2, 0xffffffc0
	s_mul_i32 s2, s44, s43
	s_mul_hi_u32 s3, s44, s42
	s_add_i32 s3, s3, s2
	s_mul_i32 s2, s44, s42
	v_readlane_b32 s6, v47, 10
	s_sub_u32 s2, s22, s2
	v_readlane_b32 s7, v47, 11
	s_subb_u32 s3, 0, s3
	s_mul_i32 s4, s2, s7
	s_mul_hi_u32 s5, s2, s6
	s_add_i32 s4, s5, s4
	s_mul_i32 s3, s3, s6
	s_add_i32 s3, s4, s3
	v_readlane_b32 s36, v47, 4
	v_readlane_b32 s4, v47, 0
	v_readlane_b32 s37, v47, 5
	v_readlane_b32 s5, v47, 1
	s_mov_b32 s42, s4
	s_mul_i32 s4, s4, s37
	s_mul_hi_u32 s5, s42, s36
	s_add_i32 s5, s5, s4
	s_mul_i32 s4, s42, s36
	v_readlane_b32 s24, v47, 2
	v_readlane_b32 s48, v47, 18
	v_readlane_b32 s25, v47, 3
	s_sub_u32 s4, s24, s4
	v_readlane_b32 s50, v47, 20
	v_readlane_b32 s51, v47, 21
	s_mul_i32 s2, s2, s6
	s_subb_u32 s5, s25, s5
	s_mul_i32 s6, s4, s51
	s_mul_hi_u32 s7, s4, s50
	v_readlane_b32 s49, v47, 19
	s_add_i32 s6, s7, s6
	s_mul_i32 s5, s5, s50
	v_readlane_b32 s38, v47, 6
	v_readlane_b32 s39, v47, 7
	s_add_i32 s18, s6, s5
	s_mul_i32 s19, s4, s50
	s_mul_i32 s4, s42, s49
	s_mul_hi_u32 s5, s42, s48
	s_add_i32 s20, s5, s4
	s_mul_i32 s4, s24, s39
	s_mul_hi_u32 s5, s24, s38
	s_add_i32 s5, s5, s4
	s_mul_i32 s4, s24, s38
	v_readlane_b32 s24, v47, 16
	s_sub_u32 s4, s22, s4
	v_readlane_b32 s25, v47, 17
	s_subb_u32 s5, 0, s5
	s_mul_i32 s6, s4, s25
	s_mul_hi_u32 s7, s4, s24
	s_add_i32 s6, s7, s6
	s_mul_i32 s5, s5, s24
	s_add_i32 s22, s6, s5
	s_mul_i32 s23, s4, s24
	v_readlane_b32 s4, v47, 8
	v_readlane_b32 s41, v47, 25
	;; [unrolled: 1-line block ×3, first 2 shown]
	s_mov_b32 s24, s4
	s_mul_i32 s4, s4, s41
	s_mul_hi_u32 s5, s24, s40
	s_add_i32 s5, s5, s4
	s_mul_i32 s4, s24, s40
	v_readlane_b32 s36, v47, 12
	v_readlane_b32 s45, v47, 23
	s_sub_u32 s4, s44, s4
	v_readlane_b32 s38, v47, 14
	v_readlane_b32 s39, v47, 15
	s_subb_u32 s5, s45, s5
	s_mul_i32 s6, s4, s39
	s_mul_hi_u32 s7, s4, s38
	v_readlane_b32 s37, v47, 13
	s_add_i32 s6, s7, s6
	s_mul_i32 s5, s5, s38
	s_add_i32 s5, s6, s5
	s_mul_i32 s6, s24, s37
	s_mul_hi_u32 s7, s24, s36
	s_mul_i32 s21, s42, s48
	s_add_i32 s7, s7, s6
	s_mul_i32 s6, s24, s36
	v_readlane_b32 s24, v47, 30
	v_readlane_b32 s25, v47, 31
	s_add_u32 s21, s24, s21
	s_addc_u32 s20, s25, s20
	s_add_u32 s19, s21, s19
	s_addc_u32 s20, s20, s18
	;; [unrolled: 2-line block ×3, first 2 shown]
	s_lshl_b64 s[6:7], s[6:7], 3
	v_readlane_b32 s20, v47, 28
	s_mul_i32 s4, s4, s38
	v_readlane_b32 s21, v47, 29
	s_add_u32 s6, s20, s6
	s_addc_u32 s7, s21, s7
	s_lshl_b64 s[4:5], s[4:5], 3
	s_add_u32 s4, s6, s4
	s_addc_u32 s5, s7, s5
	s_lshl_b64 s[2:3], s[2:3], 3
	s_add_u32 s48, s4, s2
	s_addc_u32 s49, s5, s3
	v_readlane_b32 s2, v47, 36
	v_readlane_b32 s3, v47, 37
	s_load_dwordx2 s[20:21], s[2:3], 0x368
	s_load_dwordx2 s[22:23], s[2:3], 0x510
	v_cmp_gt_u64_e32 vcc, s[8:9], v[0:1]
	s_mov_b64 s[36:37], -1
	s_mov_b64 s[2:3], 0
	s_mov_b64 s[4:5], 0
	s_and_saveexec_b64 s[24:25], vcc
	s_cbranch_execnz .LBB126_513
; %bb.503:
	s_or_b64 exec, exec, s[24:25]
	s_and_saveexec_b64 s[6:7], s[36:37]
	s_cbranch_execnz .LBB126_528
.LBB126_504:
	s_or_b64 exec, exec, s[6:7]
	s_and_saveexec_b64 s[0:1], s[4:5]
	s_xor_b64 s[0:1], exec, s[0:1]
	s_cbranch_execnz .LBB126_551
.LBB126_505:
	s_or_b64 exec, exec, s[0:1]
	s_and_b64 s[8:9], s[2:3], exec
.LBB126_506:
	s_andn2_saveexec_b64 s[0:1], s[16:17]
	s_cbranch_execnz .LBB126_553
.LBB126_507:
	s_or_b64 exec, exec, s[0:1]
	s_and_b64 s[8:9], s[8:9], exec
.LBB126_508:
	s_andn2_saveexec_b64 s[0:1], s[14:15]
	s_cbranch_execnz .LBB126_552
.LBB126_509:
	s_or_b64 exec, exec, s[0:1]
	s_and_b64 s[8:9], s[8:9], exec
.LBB126_510:
	s_andn2_saveexec_b64 s[0:1], s[12:13]
	s_cbranch_execnz .LBB126_547
.LBB126_511:
	s_or_b64 exec, exec, s[0:1]
	s_and_b64 s[8:9], s[8:9], exec
	s_andn2_saveexec_b64 s[0:1], s[10:11]
	s_cbranch_execz .LBB126_490
.LBB126_512:
	s_or_b64 s[8:9], s[8:9], exec
	s_trap 2
	s_or_b64 exec, exec, s[0:1]
	s_and_saveexec_b64 s[0:1], s[8:9]
	s_cbranch_execnz .LBB126_491
	s_branch .LBB126_492
.LBB126_513:
	v_mov_b32_e32 v9, v1
	s_mov_b64 s[36:37], 0
	v_mov_b32_e32 v3, 0
	v_mov_b32_e32 v8, v0
                                        ; implicit-def: $sgpr38_sgpr39
                                        ; implicit-def: $vgpr6_vgpr7
	s_branch .LBB126_515
.LBB126_514:                            ;   in Loop: Header=BB126_515 Depth=1
	s_or_b64 exec, exec, s[42:43]
	s_xor_b64 s[4:5], s[40:41], -1
	s_and_b64 s[6:7], exec, s[6:7]
	s_or_b64 s[36:37], s[6:7], s[36:37]
	s_andn2_b64 s[6:7], s[38:39], exec
	s_and_b64 s[4:5], s[4:5], exec
	v_mov_b32_e32 v9, v5
	s_or_b64 s[38:39], s[6:7], s[4:5]
	v_mov_b32_e32 v14, v15
	v_mov_b32_e32 v8, v4
	s_andn2_b64 exec, exec, s[36:37]
	s_cbranch_execz .LBB126_527
.LBB126_515:                            ; =>This Inner Loop Header: Depth=1
	v_add_co_u32_e64 v4, s[4:5], s33, v8
	v_addc_co_u32_e64 v5, s[4:5], 0, v9, s[4:5]
	v_cmp_gt_u64_e64 s[4:5], s[28:29], v[4:5]
	v_mov_b32_e32 v15, 0
	s_and_saveexec_b64 s[6:7], s[4:5]
	s_cbranch_execz .LBB126_517
; %bb.516:                              ;   in Loop: Header=BB126_515 Depth=1
	v_mov_b32_e32 v10, s34
	v_mov_b32_e32 v11, s35
	v_mad_u64_u32 v[10:11], s[4:5], v4, s26, v[10:11]
	v_mul_lo_u32 v2, v4, s27
	v_mul_lo_u32 v15, v5, s26
	v_add3_u32 v11, v15, v11, v2
	global_load_ubyte v15, v[10:11], off
.LBB126_517:                            ;   in Loop: Header=BB126_515 Depth=1
	s_or_b64 exec, exec, s[6:7]
	s_waitcnt vmcnt(0)
	v_cmp_gt_u16_sdwa s[6:7], v14, v33 src0_sel:BYTE_0 src1_sel:BYTE_0
	v_cndmask_b32_e64 v2, 0, 1, s[6:7]
	v_cmp_lt_u16_sdwa s[6:7], v14, v33 src0_sel:BYTE_0 src1_sel:BYTE_0
	v_cndmask_b32_e64 v10, 0, 1, s[6:7]
	v_cndmask_b32_e64 v2, v10, v2, s[52:53]
	v_cmp_gt_u64_e64 s[4:5], s[28:29], v[8:9]
	v_and_b32_e32 v2, 1, v2
	v_cmp_eq_u32_e64 s[6:7], 1, v2
	s_and_b64 s[40:41], s[4:5], s[6:7]
	v_cndmask_b32_e64 v2, 0, 1, s[40:41]
	v_cmp_ne_u32_e64 s[4:5], 0, v2
	s_cmp_lg_u64 s[4:5], 0
	s_cselect_b64 s[6:7], -1, 0
	s_and_b64 s[6:7], s[0:1], s[6:7]
	s_and_saveexec_b64 s[42:43], s[6:7]
	s_cbranch_execz .LBB126_521
; %bb.518:                              ;   in Loop: Header=BB126_515 Depth=1
	s_mov_b64 s[46:47], exec
	v_mbcnt_lo_u32_b32 v2, s46, 0
	v_mbcnt_hi_u32_b32 v10, s47, v2
	s_bcnt1_i32_b64 s50, s[4:5]
	v_cmp_eq_u32_e64 s[6:7], 0, v10
                                        ; implicit-def: $vgpr6_vgpr7
	s_and_saveexec_b64 s[44:45], s[6:7]
	s_cbranch_execz .LBB126_520
; %bb.519:                              ;   in Loop: Header=BB126_515 Depth=1
	s_bcnt1_i32_b64 s6, s[46:47]
	s_mul_i32 s6, s50, s6
	v_mov_b32_e32 v2, s6
	s_waitcnt lgkmcnt(0)
	ds_add_rtn_u64 v[6:7], v3, v[2:3] offset:5136
.LBB126_520:                            ;   in Loop: Header=BB126_515 Depth=1
	s_or_b64 exec, exec, s[44:45]
	s_waitcnt lgkmcnt(0)
	v_readfirstlane_b32 s6, v7
	v_readfirstlane_b32 s7, v6
	v_mov_b32_e32 v6, s7
	v_mov_b32_e32 v7, s6
	v_mad_u64_u32 v[6:7], s[6:7], s50, v10, v[6:7]
.LBB126_521:                            ;   in Loop: Header=BB126_515 Depth=1
	s_or_b64 exec, exec, s[42:43]
	s_waitcnt lgkmcnt(0)
	ds_bpermute_b32 v6, v23, v6
	ds_bpermute_b32 v7, v23, v7
	s_mov_b64 s[6:7], -1
	s_mov_b64 s[44:45], -1
	s_and_saveexec_b64 s[42:43], s[40:41]
	s_cbranch_execz .LBB126_525
; %bb.522:                              ;   in Loop: Header=BB126_515 Depth=1
	v_and_b32_e32 v10, s4, v25
	v_and_b32_e32 v2, s5, v24
	v_bcnt_u32_b32 v10, v10, 0
	v_bcnt_u32_b32 v2, v2, v10
	s_waitcnt lgkmcnt(0)
	v_add_co_u32_e64 v10, s[4:5], v6, v2
	v_addc_co_u32_e64 v11, s[4:5], 0, v7, s[4:5]
	v_cmp_gt_u64_e64 s[4:5], s[30:31], v[10:11]
	s_mov_b64 s[40:41], 0
	s_and_saveexec_b64 s[44:45], s[4:5]
; %bb.523:                              ;   in Loop: Header=BB126_515 Depth=1
	v_mov_b32_e32 v18, s18
	v_mul_lo_u32 v2, v11, s22
	v_mul_lo_u32 v20, v10, s23
	v_mad_u64_u32 v[16:17], s[4:5], v10, s22, 0
	v_mov_b32_e32 v19, s19
	v_mad_u64_u32 v[18:19], s[4:5], v10, s20, v[18:19]
	v_mul_lo_u32 v10, v10, s21
	v_mul_lo_u32 v11, v11, s20
	v_add3_u32 v17, v17, v20, v2
	v_mov_b32_e32 v2, s49
	s_mov_b64 s[40:41], exec
	v_add3_u32 v19, v11, v19, v10
	v_lshlrev_b64 v[10:11], 3, v[16:17]
	global_store_byte v[18:19], v14, off
	v_add_co_u32_e64 v10, s[4:5], s48, v10
	v_addc_co_u32_e64 v11, s[4:5], v2, v11, s[4:5]
	global_store_dwordx2 v[10:11], v[8:9], off
; %bb.524:                              ;   in Loop: Header=BB126_515 Depth=1
	s_or_b64 exec, exec, s[44:45]
	s_orn2_b64 s[44:45], s[40:41], exec
.LBB126_525:                            ;   in Loop: Header=BB126_515 Depth=1
	s_or_b64 exec, exec, s[42:43]
	s_mov_b64 s[40:41], -1
	s_and_saveexec_b64 s[42:43], s[44:45]
	s_cbranch_execz .LBB126_514
; %bb.526:                              ;   in Loop: Header=BB126_515 Depth=1
	v_cmp_le_u64_e64 s[4:5], s[8:9], v[4:5]
	s_xor_b64 s[40:41], exec, -1
	s_orn2_b64 s[6:7], s[4:5], exec
	s_branch .LBB126_514
.LBB126_527:
	s_or_b64 exec, exec, s[36:37]
	s_mov_b64 s[4:5], exec
	s_orn2_b64 s[36:37], s[38:39], exec
	s_or_b64 exec, exec, s[24:25]
	s_and_saveexec_b64 s[6:7], s[36:37]
	s_cbranch_execz .LBB126_504
.LBB126_528:
	v_mov_b32_e32 v2, 0
	s_waitcnt vmcnt(0) lgkmcnt(0)
	s_barrier
	s_mov_b64 s[2:3], exec
	v_readlane_b32 s24, v47, 46
	v_readlane_b32 s25, v47, 47
	s_and_b64 s[24:25], s[2:3], s[24:25]
	s_mov_b64 exec, s[24:25]
	s_cbranch_execz .LBB126_530
; %bb.529:
	global_load_ubyte v2, v[12:13], off
.LBB126_530:
	s_or_b64 exec, exec, s[2:3]
	s_mov_b64 s[2:3], 0
	s_and_saveexec_b64 s[24:25], vcc
	s_cbranch_execz .LBB126_550
; %bb.531:
	s_mov_b64 s[36:37], 0
	v_mov_b32_e32 v3, 0
                                        ; implicit-def: $sgpr38_sgpr39
                                        ; implicit-def: $vgpr6_vgpr7
	s_branch .LBB126_534
.LBB126_532:                            ;   in Loop: Header=BB126_534 Depth=1
	s_or_b64 exec, exec, s[42:43]
	s_orn2_b64 s[44:45], s[46:47], exec
	s_orn2_b64 s[42:43], s[40:41], exec
.LBB126_533:                            ;   in Loop: Header=BB126_534 Depth=1
	s_or_b64 exec, exec, s[2:3]
	s_xor_b64 s[2:3], s[44:45], -1
	s_and_b64 s[40:41], exec, s[42:43]
	s_or_b64 s[36:37], s[40:41], s[36:37]
	s_andn2_b64 s[38:39], s[38:39], exec
	s_and_b64 s[2:3], s[2:3], exec
	v_mov_b32_e32 v0, v4
	s_or_b64 s[38:39], s[38:39], s[2:3]
	v_mov_b32_e32 v1, v5
	v_mov_b32_e32 v2, v10
	s_andn2_b64 exec, exec, s[36:37]
	s_cbranch_execz .LBB126_548
.LBB126_534:                            ; =>This Inner Loop Header: Depth=1
	v_add_co_u32_e32 v4, vcc, s33, v0
	v_addc_co_u32_e32 v5, vcc, 0, v1, vcc
	v_cmp_gt_u64_e32 vcc, s[28:29], v[4:5]
	v_mov_b32_e32 v10, 0
	s_and_saveexec_b64 s[2:3], vcc
	s_cbranch_execz .LBB126_536
; %bb.535:                              ;   in Loop: Header=BB126_534 Depth=1
	v_mov_b32_e32 v8, s34
	v_mov_b32_e32 v9, s35
	v_mad_u64_u32 v[8:9], s[40:41], v4, s26, v[8:9]
	v_mul_lo_u32 v10, v4, s27
	v_mul_lo_u32 v11, v5, s26
	v_add3_u32 v9, v11, v9, v10
	global_load_ubyte v10, v[8:9], off
.LBB126_536:                            ;   in Loop: Header=BB126_534 Depth=1
	s_or_b64 exec, exec, s[2:3]
	v_cmp_gt_u64_e32 vcc, s[28:29], v[0:1]
	s_waitcnt vmcnt(0)
	v_cmp_eq_u16_sdwa s[2:3], v2, v33 src0_sel:BYTE_0 src1_sel:BYTE_0
	s_and_b64 s[40:41], vcc, s[2:3]
	v_cndmask_b32_e64 v2, 0, 1, s[40:41]
	v_cmp_ne_u32_e32 vcc, 0, v2
	s_cmp_lg_u64 vcc, 0
	s_cselect_b64 s[2:3], -1, 0
	s_and_b64 s[2:3], s[0:1], s[2:3]
	s_and_saveexec_b64 s[42:43], s[2:3]
	s_cbranch_execz .LBB126_540
; %bb.537:                              ;   in Loop: Header=BB126_534 Depth=1
	s_mov_b64 s[46:47], exec
	v_mbcnt_lo_u32_b32 v2, s46, 0
	v_mbcnt_hi_u32_b32 v8, s47, v2
	s_bcnt1_i32_b64 s50, vcc
	v_cmp_eq_u32_e64 s[2:3], 0, v8
                                        ; implicit-def: $vgpr6_vgpr7
	s_and_saveexec_b64 s[44:45], s[2:3]
; %bb.538:                              ;   in Loop: Header=BB126_534 Depth=1
	s_bcnt1_i32_b64 s2, s[46:47]
	s_mul_i32 s2, s50, s2
	v_mov_b32_e32 v2, s2
	ds_add_rtn_u64 v[6:7], v3, v[2:3] offset:5136
; %bb.539:                              ;   in Loop: Header=BB126_534 Depth=1
	s_or_b64 exec, exec, s[44:45]
	s_waitcnt lgkmcnt(0)
	v_readfirstlane_b32 s2, v7
	v_readfirstlane_b32 s3, v6
	v_mov_b32_e32 v6, s3
	v_mov_b32_e32 v7, s2
	v_mad_u64_u32 v[6:7], s[2:3], s50, v8, v[6:7]
.LBB126_540:                            ;   in Loop: Header=BB126_534 Depth=1
	s_or_b64 exec, exec, s[42:43]
	ds_bpermute_b32 v6, v23, v6
	ds_bpermute_b32 v7, v23, v7
	s_cmp_eq_u64 vcc, 0
	s_cselect_b64 s[44:45], -1, 0
	s_mov_b64 s[42:43], -1
	s_waitcnt lgkmcnt(0)
	v_cmp_gt_u64_e64 s[2:3], s[30:31], v[6:7]
	s_or_b64 s[46:47], s[44:45], s[2:3]
	s_mov_b64 s[44:45], -1
	s_and_saveexec_b64 s[2:3], s[46:47]
	s_cbranch_execz .LBB126_533
; %bb.541:                              ;   in Loop: Header=BB126_534 Depth=1
	v_and_b32_e32 v8, vcc_lo, v25
	v_and_b32_e32 v2, vcc_hi, v24
	v_bcnt_u32_b32 v8, v8, 0
	v_bcnt_u32_b32 v2, v2, v8
	v_mov_b32_e32 v9, s31
	v_sub_co_u32_e32 v8, vcc, s30, v6
	v_subb_co_u32_e32 v9, vcc, v9, v7, vcc
	v_cmp_gt_u64_e32 vcc, v[8:9], v[2:3]
	s_mov_b64 s[46:47], -1
	s_and_b64 s[50:51], s[40:41], vcc
	s_mov_b64 s[40:41], -1
	s_and_saveexec_b64 s[42:43], s[50:51]
	s_cbranch_execz .LBB126_545
; %bb.542:                              ;   in Loop: Header=BB126_534 Depth=1
	v_add_co_u32_e32 v8, vcc, v6, v2
	v_addc_co_u32_e32 v9, vcc, 0, v7, vcc
	v_cmp_gt_u64_e32 vcc, s[30:31], v[8:9]
	s_mov_b64 s[44:45], 0
	s_and_saveexec_b64 s[46:47], vcc
; %bb.543:                              ;   in Loop: Header=BB126_534 Depth=1
	v_mov_b32_e32 v13, s18
	v_mul_lo_u32 v2, v9, s22
	v_mul_lo_u32 v15, v8, s23
	v_mad_u64_u32 v[11:12], s[50:51], v8, s22, 0
	v_mov_b32_e32 v14, s19
	v_mad_u64_u32 v[13:14], s[50:51], v8, s20, v[13:14]
	v_mul_lo_u32 v8, v8, s21
	v_mul_lo_u32 v9, v9, s20
	v_add3_u32 v12, v12, v15, v2
	v_mov_b32_e32 v2, s49
	s_mov_b64 s[44:45], exec
	v_add3_u32 v14, v9, v14, v8
	v_lshlrev_b64 v[8:9], 3, v[11:12]
	global_store_byte v[13:14], v33, off
	v_add_co_u32_e32 v8, vcc, s48, v8
	v_addc_co_u32_e32 v9, vcc, v2, v9, vcc
	global_store_dwordx2 v[8:9], v[0:1], off
; %bb.544:                              ;   in Loop: Header=BB126_534 Depth=1
	s_or_b64 exec, exec, s[46:47]
	s_xor_b64 s[46:47], exec, -1
	s_orn2_b64 s[44:45], s[44:45], exec
.LBB126_545:                            ;   in Loop: Header=BB126_534 Depth=1
	s_or_b64 exec, exec, s[42:43]
	s_and_saveexec_b64 s[42:43], s[44:45]
	s_cbranch_execz .LBB126_532
; %bb.546:                              ;   in Loop: Header=BB126_534 Depth=1
	v_cmp_le_u64_e32 vcc, s[8:9], v[4:5]
	s_or_b64 s[46:47], s[46:47], exec
	s_orn2_b64 s[40:41], vcc, exec
	s_branch .LBB126_532
.LBB126_547:
	s_or_b64 s[8:9], s[8:9], exec
	s_trap 2
	s_branch .LBB126_511
.LBB126_548:
	s_or_b64 exec, exec, s[36:37]
	s_mov_b64 s[0:1], 0
	s_and_saveexec_b64 s[2:3], s[38:39]
	s_xor_b64 s[2:3], exec, s[2:3]
	s_cbranch_execnz .LBB126_554
.LBB126_549:
	s_or_b64 exec, exec, s[2:3]
	s_and_b64 s[2:3], s[0:1], exec
.LBB126_550:
	s_or_b64 exec, exec, s[24:25]
	s_and_b64 s[2:3], s[2:3], exec
	s_andn2_b64 s[4:5], s[4:5], exec
	s_or_b64 exec, exec, s[6:7]
	s_and_saveexec_b64 s[0:1], s[4:5]
	s_xor_b64 s[0:1], exec, s[0:1]
	s_cbranch_execz .LBB126_505
.LBB126_551:
	s_trap 2
	s_or_b64 s[2:3], s[2:3], exec
	s_branch .LBB126_505
.LBB126_552:
	s_or_b64 s[8:9], s[8:9], exec
	s_trap 2
	s_branch .LBB126_509
.LBB126_553:
	s_trap 2
	s_or_b64 s[8:9], s[8:9], exec
	s_branch .LBB126_507
.LBB126_554:
	s_mov_b64 s[0:1], exec
	s_trap 2
	s_branch .LBB126_549
	.section	.rodata,"a",@progbits
	.p2align	6, 0x0
	.amdhsa_kernel _ZN2at6native6sbtopk10gatherTopKIhmLi3ELb0EEEvNS_4cuda6detail10TensorInfoIKT_T0_EES8_S8_bS8_S8_NS5_IS6_S8_EES8_NS5_IlS8_EES8_PS6_
		.amdhsa_group_segment_fixed_size 5152
		.amdhsa_private_segment_fixed_size 0
		.amdhsa_kernarg_size 1568
		.amdhsa_user_sgpr_count 6
		.amdhsa_user_sgpr_private_segment_buffer 1
		.amdhsa_user_sgpr_dispatch_ptr 0
		.amdhsa_user_sgpr_queue_ptr 0
		.amdhsa_user_sgpr_kernarg_segment_ptr 1
		.amdhsa_user_sgpr_dispatch_id 0
		.amdhsa_user_sgpr_flat_scratch_init 0
		.amdhsa_user_sgpr_private_segment_size 0
		.amdhsa_uses_dynamic_stack 0
		.amdhsa_system_sgpr_private_segment_wavefront_offset 0
		.amdhsa_system_sgpr_workgroup_id_x 1
		.amdhsa_system_sgpr_workgroup_id_y 1
		.amdhsa_system_sgpr_workgroup_id_z 1
		.amdhsa_system_sgpr_workgroup_info 0
		.amdhsa_system_vgpr_workitem_id 0
		.amdhsa_next_free_vgpr 48
		.amdhsa_next_free_sgpr 96
		.amdhsa_reserve_vcc 1
		.amdhsa_reserve_flat_scratch 0
		.amdhsa_float_round_mode_32 0
		.amdhsa_float_round_mode_16_64 0
		.amdhsa_float_denorm_mode_32 3
		.amdhsa_float_denorm_mode_16_64 3
		.amdhsa_dx10_clamp 1
		.amdhsa_ieee_mode 1
		.amdhsa_fp16_overflow 0
		.amdhsa_exception_fp_ieee_invalid_op 0
		.amdhsa_exception_fp_denorm_src 0
		.amdhsa_exception_fp_ieee_div_zero 0
		.amdhsa_exception_fp_ieee_overflow 0
		.amdhsa_exception_fp_ieee_underflow 0
		.amdhsa_exception_fp_ieee_inexact 0
		.amdhsa_exception_int_div_zero 0
	.end_amdhsa_kernel
	.section	.text._ZN2at6native6sbtopk10gatherTopKIhmLi3ELb0EEEvNS_4cuda6detail10TensorInfoIKT_T0_EES8_S8_bS8_S8_NS5_IS6_S8_EES8_NS5_IlS8_EES8_PS6_,"axG",@progbits,_ZN2at6native6sbtopk10gatherTopKIhmLi3ELb0EEEvNS_4cuda6detail10TensorInfoIKT_T0_EES8_S8_bS8_S8_NS5_IS6_S8_EES8_NS5_IlS8_EES8_PS6_,comdat
.Lfunc_end126:
	.size	_ZN2at6native6sbtopk10gatherTopKIhmLi3ELb0EEEvNS_4cuda6detail10TensorInfoIKT_T0_EES8_S8_bS8_S8_NS5_IS6_S8_EES8_NS5_IlS8_EES8_PS6_, .Lfunc_end126-_ZN2at6native6sbtopk10gatherTopKIhmLi3ELb0EEEvNS_4cuda6detail10TensorInfoIKT_T0_EES8_S8_bS8_S8_NS5_IS6_S8_EES8_NS5_IlS8_EES8_PS6_
                                        ; -- End function
	.set _ZN2at6native6sbtopk10gatherTopKIhmLi3ELb0EEEvNS_4cuda6detail10TensorInfoIKT_T0_EES8_S8_bS8_S8_NS5_IS6_S8_EES8_NS5_IlS8_EES8_PS6_.num_vgpr, 48
	.set _ZN2at6native6sbtopk10gatherTopKIhmLi3ELb0EEEvNS_4cuda6detail10TensorInfoIKT_T0_EES8_S8_bS8_S8_NS5_IS6_S8_EES8_NS5_IlS8_EES8_PS6_.num_agpr, 0
	.set _ZN2at6native6sbtopk10gatherTopKIhmLi3ELb0EEEvNS_4cuda6detail10TensorInfoIKT_T0_EES8_S8_bS8_S8_NS5_IS6_S8_EES8_NS5_IlS8_EES8_PS6_.numbered_sgpr, 96
	.set _ZN2at6native6sbtopk10gatherTopKIhmLi3ELb0EEEvNS_4cuda6detail10TensorInfoIKT_T0_EES8_S8_bS8_S8_NS5_IS6_S8_EES8_NS5_IlS8_EES8_PS6_.num_named_barrier, 0
	.set _ZN2at6native6sbtopk10gatherTopKIhmLi3ELb0EEEvNS_4cuda6detail10TensorInfoIKT_T0_EES8_S8_bS8_S8_NS5_IS6_S8_EES8_NS5_IlS8_EES8_PS6_.private_seg_size, 0
	.set _ZN2at6native6sbtopk10gatherTopKIhmLi3ELb0EEEvNS_4cuda6detail10TensorInfoIKT_T0_EES8_S8_bS8_S8_NS5_IS6_S8_EES8_NS5_IlS8_EES8_PS6_.uses_vcc, 1
	.set _ZN2at6native6sbtopk10gatherTopKIhmLi3ELb0EEEvNS_4cuda6detail10TensorInfoIKT_T0_EES8_S8_bS8_S8_NS5_IS6_S8_EES8_NS5_IlS8_EES8_PS6_.uses_flat_scratch, 0
	.set _ZN2at6native6sbtopk10gatherTopKIhmLi3ELb0EEEvNS_4cuda6detail10TensorInfoIKT_T0_EES8_S8_bS8_S8_NS5_IS6_S8_EES8_NS5_IlS8_EES8_PS6_.has_dyn_sized_stack, 0
	.set _ZN2at6native6sbtopk10gatherTopKIhmLi3ELb0EEEvNS_4cuda6detail10TensorInfoIKT_T0_EES8_S8_bS8_S8_NS5_IS6_S8_EES8_NS5_IlS8_EES8_PS6_.has_recursion, 0
	.set _ZN2at6native6sbtopk10gatherTopKIhmLi3ELb0EEEvNS_4cuda6detail10TensorInfoIKT_T0_EES8_S8_bS8_S8_NS5_IS6_S8_EES8_NS5_IlS8_EES8_PS6_.has_indirect_call, 0
	.section	.AMDGPU.csdata,"",@progbits
; Kernel info:
; codeLenInByte = 27220
; TotalNumSgprs: 100
; NumVgprs: 48
; ScratchSize: 0
; MemoryBound: 0
; FloatMode: 240
; IeeeMode: 1
; LDSByteSize: 5152 bytes/workgroup (compile time only)
; SGPRBlocks: 12
; VGPRBlocks: 11
; NumSGPRsForWavesPerEU: 100
; NumVGPRsForWavesPerEU: 48
; Occupancy: 5
; WaveLimiterHint : 1
; COMPUTE_PGM_RSRC2:SCRATCH_EN: 0
; COMPUTE_PGM_RSRC2:USER_SGPR: 6
; COMPUTE_PGM_RSRC2:TRAP_HANDLER: 0
; COMPUTE_PGM_RSRC2:TGID_X_EN: 1
; COMPUTE_PGM_RSRC2:TGID_Y_EN: 1
; COMPUTE_PGM_RSRC2:TGID_Z_EN: 1
; COMPUTE_PGM_RSRC2:TIDIG_COMP_CNT: 0
	.section	.text._ZN2at6native6mbtopk23computeBlockDigitCountsIhmjLin1EEEvNS_4cuda6detail10TensorInfoIKT_T0_EEjPjjS8_iijT1_PSB_Ps,"axG",@progbits,_ZN2at6native6mbtopk23computeBlockDigitCountsIhmjLin1EEEvNS_4cuda6detail10TensorInfoIKT_T0_EEjPjjS8_iijT1_PSB_Ps,comdat
	.protected	_ZN2at6native6mbtopk23computeBlockDigitCountsIhmjLin1EEEvNS_4cuda6detail10TensorInfoIKT_T0_EEjPjjS8_iijT1_PSB_Ps ; -- Begin function _ZN2at6native6mbtopk23computeBlockDigitCountsIhmjLin1EEEvNS_4cuda6detail10TensorInfoIKT_T0_EEjPjjS8_iijT1_PSB_Ps
	.globl	_ZN2at6native6mbtopk23computeBlockDigitCountsIhmjLin1EEEvNS_4cuda6detail10TensorInfoIKT_T0_EEjPjjS8_iijT1_PSB_Ps
	.p2align	8
	.type	_ZN2at6native6mbtopk23computeBlockDigitCountsIhmjLin1EEEvNS_4cuda6detail10TensorInfoIKT_T0_EEjPjjS8_iijT1_PSB_Ps,@function
_ZN2at6native6mbtopk23computeBlockDigitCountsIhmjLin1EEEvNS_4cuda6detail10TensorInfoIKT_T0_EEjPjjS8_iijT1_PSB_Ps: ; @_ZN2at6native6mbtopk23computeBlockDigitCountsIhmjLin1EEEvNS_4cuda6detail10TensorInfoIKT_T0_EEjPjjS8_iijT1_PSB_Ps
; %bb.0:
	s_load_dwordx4 s[0:3], s[4:5], 0x1c0
	s_load_dword s9, s[4:5], 0x1b0
	s_load_dwordx2 s[10:11], s[4:5], 0x1e0
	s_waitcnt lgkmcnt(0)
	v_cvt_f32_u32_e32 v1, s2
	s_mul_i32 s8, s11, s8
	s_add_i32 s7, s8, s7
	v_rcp_iflag_f32_e32 v1, v1
	s_mul_i32 s24, s7, s10
	s_sub_i32 s11, 0, s2
	s_add_i32 s24, s24, s6
	v_mul_f32_e32 v1, 0x4f7ffffe, v1
	v_cvt_u32_f32_e32 v1, v1
	v_readfirstlane_b32 s6, v1
	s_mul_i32 s11, s11, s6
	s_mul_hi_u32 s7, s6, s11
	s_add_i32 s6, s6, s7
	s_mul_hi_u32 s6, s24, s6
	s_mul_i32 s7, s6, s2
	s_sub_i32 s7, s24, s7
	s_add_i32 s8, s6, 1
	s_sub_i32 s10, s7, s2
	s_cmp_ge_u32 s7, s2
	s_cselect_b32 s6, s8, s6
	s_cselect_b32 s7, s10, s7
	s_add_i32 s8, s6, 1
	s_cmp_ge_u32 s7, s2
	s_cselect_b32 s6, s8, s6
	s_cmp_ge_u32 s6, s9
	s_mov_b32 s7, 0
	s_cbranch_scc1 .LBB127_34
; %bb.1:
	s_load_dwordx4 s[8:11], s[4:5], 0x1d0
	s_load_dword s14, s[4:5], 0x198
	s_lshl_b64 s[12:13], s[6:7], 2
	s_mov_b64 s[20:21], s[6:7]
	s_waitcnt lgkmcnt(0)
	s_add_u32 s12, s8, s12
	s_addc_u32 s13, s9, s13
	s_cmp_lt_i32 s14, 2
	s_mov_b64 s[8:9], 0
	s_cbranch_scc1 .LBB127_7
; %bb.2:
	s_add_i32 s16, s14, -1
	s_mov_b32 s17, 0
	s_add_i32 s7, s14, 1
	s_lshl_b64 s[8:9], s[16:17], 3
	s_add_u32 s8, s4, s8
	s_addc_u32 s9, s5, s9
	s_add_u32 s18, s8, 8
	s_addc_u32 s19, s9, 0
	s_mov_b64 s[8:9], 0
.LBB127_3:                              ; =>This Inner Loop Header: Depth=1
	s_load_dwordx2 s[22:23], s[18:19], 0x0
	s_mov_b64 s[14:15], 0
	s_waitcnt lgkmcnt(0)
	v_mov_b32_e32 v1, s22
	v_mov_b32_e32 v2, s23
	v_cmp_lt_u64_e32 vcc, s[20:21], v[1:2]
	s_cbranch_vccnz .LBB127_5
; %bb.4:                                ;   in Loop: Header=BB127_3 Depth=1
	v_cvt_f32_u32_e32 v1, s22
	s_sub_i32 s14, 0, s22
	v_rcp_iflag_f32_e32 v1, v1
	v_mul_f32_e32 v1, 0x4f7ffffe, v1
	v_cvt_u32_f32_e32 v1, v1
	v_readfirstlane_b32 s15, v1
	s_mul_i32 s14, s14, s15
	s_mul_hi_u32 s14, s15, s14
	s_add_i32 s15, s15, s14
	s_mul_hi_u32 s14, s20, s15
	s_mul_i32 s16, s14, s22
	s_sub_i32 s16, s20, s16
	s_add_i32 s15, s14, 1
	s_sub_i32 s25, s16, s22
	s_cmp_ge_u32 s16, s22
	s_cselect_b32 s14, s15, s14
	s_cselect_b32 s16, s25, s16
	s_add_i32 s15, s14, 1
	s_cmp_ge_u32 s16, s22
	s_cselect_b32 s16, s15, s14
	s_mov_b64 s[14:15], s[16:17]
.LBB127_5:                              ;   in Loop: Header=BB127_3 Depth=1
	s_load_dwordx2 s[26:27], s[18:19], 0xc8
	s_mul_i32 s16, s14, s23
	s_mul_hi_u32 s23, s14, s22
	s_add_i32 s23, s23, s16
	s_mul_i32 s16, s14, s22
	s_sub_u32 s16, s20, s16
	s_subb_u32 s20, s21, s23
	s_waitcnt lgkmcnt(0)
	s_mul_i32 s20, s26, s20
	s_mul_hi_u32 s21, s26, s16
	s_add_i32 s20, s21, s20
	s_mul_i32 s21, s27, s16
	s_add_i32 s20, s20, s21
	s_mul_i32 s16, s26, s16
	s_add_u32 s8, s16, s8
	s_addc_u32 s9, s20, s9
	s_add_i32 s7, s7, -1
	s_add_u32 s18, s18, -8
	s_addc_u32 s19, s19, -1
	s_cmp_gt_u32 s7, 2
	s_cbranch_scc0 .LBB127_8
; %bb.6:                                ;   in Loop: Header=BB127_3 Depth=1
	s_mov_b64 s[20:21], s[14:15]
	s_branch .LBB127_3
.LBB127_7:
	s_mov_b64 s[14:15], s[20:21]
.LBB127_8:
	s_load_dword s15, s[12:13], 0x0
	s_movk_i32 s7, 0x100
	v_cmp_gt_u32_e32 vcc, s7, v0
	v_lshlrev_b32_e32 v1, 2, v0
	s_and_saveexec_b64 s[12:13], vcc
; %bb.9:
	v_mov_b32_e32 v2, 0
	ds_write_b32 v1, v2
; %bb.10:
	s_or_b64 exec, exec, s[12:13]
	s_load_dword s12, s[4:5], 0x1a0
	s_mul_i32 s6, s6, s2
	s_sub_i32 s6, s24, s6
	s_add_i32 s16, s6, 1
	s_mul_i32 s6, s1, s6
	s_lshl_b32 s13, s6, 8
	s_waitcnt lgkmcnt(0)
	s_sub_i32 s6, s12, s13
	s_add_u32 s6, s6, 0xff
	s_addc_u32 s7, 0, 0
	s_lshr_b64 s[6:7], s[6:7], 8
	s_cmp_lt_u32 s16, s2
	s_cselect_b32 s17, s1, s6
	s_cmp_lt_i32 s17, 1
	s_mov_b32 s16, 0
	s_barrier
	s_cbranch_scc1 .LBB127_32
; %bb.11:
	s_load_dwordx2 s[18:19], s[4:5], 0xd0
	s_load_dwordx2 s[6:7], s[4:5], 0x1b8
	s_load_dwordx2 s[20:21], s[4:5], 0x0
	s_waitcnt lgkmcnt(0)
	s_mul_i32 s1, s19, s14
	s_mul_hi_u32 s2, s18, s14
	s_mul_i32 s4, s18, s14
	s_add_i32 s2, s2, s1
	s_add_u32 s1, s20, s4
	s_addc_u32 s2, s21, s2
	s_add_u32 s4, s1, s8
	s_addc_u32 s5, s2, s9
	s_and_b32 s2, s0, 0xff
	s_cmp_lt_u32 s17, 4
	s_cbranch_scc1 .LBB127_26
; %bb.12:
	s_and_b32 s16, s17, 0x7ffffffc
	v_add_u32_e32 v2, s13, v0
	s_mov_b32 s14, 0
	v_mov_b32_e32 v3, 1
	s_branch .LBB127_14
.LBB127_13:                             ;   in Loop: Header=BB127_14 Depth=1
	s_or_b64 exec, exec, s[8:9]
	s_add_i32 s14, s14, 4
	s_cmp_eq_u32 s16, s14
	v_add_u32_e32 v2, 0x400, v2
	s_cbranch_scc1 .LBB127_26
.LBB127_14:                             ; =>This Inner Loop Header: Depth=1
	v_cmp_gt_u32_e64 s[0:1], s12, v2
	s_and_saveexec_b64 s[8:9], s[0:1]
	s_cbranch_execz .LBB127_17
; %bb.15:                               ;   in Loop: Header=BB127_14 Depth=1
	v_mov_b32_e32 v4, s4
	v_mov_b32_e32 v5, s5
	v_mad_u64_u32 v[4:5], s[0:1], s6, v2, v[4:5]
	v_mad_u64_u32 v[5:6], s[0:1], s7, v2, v[5:6]
	global_load_ubyte v4, v[4:5], off
	s_waitcnt vmcnt(0)
	v_xor_b32_e32 v5, s15, v4
	v_and_b32_e32 v5, s3, v5
	v_cmp_eq_u32_e64 s[0:1], 0, v5
	s_and_b64 exec, exec, s[0:1]
; %bb.16:                               ;   in Loop: Header=BB127_14 Depth=1
	v_lshrrev_b32_e32 v4, s2, v4
	v_lshlrev_b32_e32 v4, 2, v4
	ds_add_u32 v4, v3
.LBB127_17:                             ;   in Loop: Header=BB127_14 Depth=1
	s_or_b64 exec, exec, s[8:9]
	v_add_u32_e32 v4, 0x100, v2
	v_cmp_gt_u32_e64 s[0:1], s12, v4
	s_and_saveexec_b64 s[8:9], s[0:1]
	s_cbranch_execz .LBB127_20
; %bb.18:                               ;   in Loop: Header=BB127_14 Depth=1
	v_mov_b32_e32 v6, s5
	v_mov_b32_e32 v5, s4
	v_mad_u64_u32 v[5:6], s[0:1], s6, v4, v[5:6]
	v_mad_u64_u32 v[6:7], s[0:1], s7, v4, v[6:7]
	global_load_ubyte v4, v[5:6], off
	s_waitcnt vmcnt(0)
	v_xor_b32_e32 v5, s15, v4
	v_and_b32_e32 v5, s3, v5
	v_cmp_eq_u32_e64 s[0:1], 0, v5
	s_and_b64 exec, exec, s[0:1]
; %bb.19:                               ;   in Loop: Header=BB127_14 Depth=1
	v_lshrrev_b32_e32 v4, s2, v4
	v_lshlrev_b32_e32 v4, 2, v4
	ds_add_u32 v4, v3
.LBB127_20:                             ;   in Loop: Header=BB127_14 Depth=1
	s_or_b64 exec, exec, s[8:9]
	v_add_u32_e32 v4, 0x200, v2
	;; [unrolled: 21-line block ×3, first 2 shown]
	v_cmp_gt_u32_e64 s[0:1], s12, v4
	s_and_saveexec_b64 s[8:9], s[0:1]
	s_cbranch_execz .LBB127_13
; %bb.24:                               ;   in Loop: Header=BB127_14 Depth=1
	v_mov_b32_e32 v6, s5
	v_mov_b32_e32 v5, s4
	v_mad_u64_u32 v[5:6], s[0:1], s6, v4, v[5:6]
	v_mad_u64_u32 v[6:7], s[0:1], s7, v4, v[6:7]
	global_load_ubyte v4, v[5:6], off
	s_waitcnt vmcnt(0)
	v_xor_b32_e32 v5, s15, v4
	v_and_b32_e32 v5, s3, v5
	v_cmp_eq_u32_e64 s[0:1], 0, v5
	s_and_b64 exec, exec, s[0:1]
	s_cbranch_execz .LBB127_13
; %bb.25:                               ;   in Loop: Header=BB127_14 Depth=1
	v_lshrrev_b32_e32 v4, s2, v4
	v_lshlrev_b32_e32 v4, 2, v4
	ds_add_u32 v4, v3
	s_branch .LBB127_13
.LBB127_26:
	s_and_b32 s14, s17, 3
	s_cmp_eq_u32 s14, 0
	s_cbranch_scc1 .LBB127_32
; %bb.27:
	s_lshl_b32 s0, s16, 8
	s_add_i32 s0, s0, s13
	v_add_u32_e32 v2, s0, v0
	v_mov_b32_e32 v3, 1
	s_branch .LBB127_29
.LBB127_28:                             ;   in Loop: Header=BB127_29 Depth=1
	s_or_b64 exec, exec, s[8:9]
	s_add_i32 s14, s14, -1
	s_cmp_lg_u32 s14, 0
	v_add_u32_e32 v2, 0x100, v2
	s_cbranch_scc0 .LBB127_32
.LBB127_29:                             ; =>This Inner Loop Header: Depth=1
	v_cmp_gt_u32_e64 s[0:1], s12, v2
	s_and_saveexec_b64 s[8:9], s[0:1]
	s_cbranch_execz .LBB127_28
; %bb.30:                               ;   in Loop: Header=BB127_29 Depth=1
	v_mov_b32_e32 v4, s4
	v_mov_b32_e32 v5, s5
	v_mad_u64_u32 v[4:5], s[0:1], s6, v2, v[4:5]
	v_mad_u64_u32 v[5:6], s[0:1], s7, v2, v[5:6]
	global_load_ubyte v4, v[4:5], off
	s_waitcnt vmcnt(0)
	v_xor_b32_e32 v5, s15, v4
	v_and_b32_e32 v5, s3, v5
	v_cmp_eq_u32_e64 s[0:1], 0, v5
	s_and_b64 exec, exec, s[0:1]
	s_cbranch_execz .LBB127_28
; %bb.31:                               ;   in Loop: Header=BB127_29 Depth=1
	v_lshrrev_b32_e32 v4, s2, v4
	v_lshlrev_b32_e32 v4, 2, v4
	ds_add_u32 v4, v3
	s_branch .LBB127_28
.LBB127_32:
	s_waitcnt lgkmcnt(0)
	s_barrier
	s_and_saveexec_b64 s[0:1], vcc
	s_cbranch_execz .LBB127_34
; %bb.33:
	v_lshl_or_b32 v2, s24, 8, v0
	v_mov_b32_e32 v3, 0
	ds_read_b32 v5, v1
	v_lshlrev_b64 v[2:3], 1, v[2:3]
	v_mov_b32_e32 v4, s11
	v_add_co_u32_e32 v0, vcc, s10, v2
	v_addc_co_u32_e32 v1, vcc, v4, v3, vcc
	s_waitcnt lgkmcnt(0)
	global_store_short v[0:1], v5, off
.LBB127_34:
	s_endpgm
	.section	.rodata,"a",@progbits
	.p2align	6, 0x0
	.amdhsa_kernel _ZN2at6native6mbtopk23computeBlockDigitCountsIhmjLin1EEEvNS_4cuda6detail10TensorInfoIKT_T0_EEjPjjS8_iijT1_PSB_Ps
		.amdhsa_group_segment_fixed_size 1024
		.amdhsa_private_segment_fixed_size 0
		.amdhsa_kernarg_size 736
		.amdhsa_user_sgpr_count 6
		.amdhsa_user_sgpr_private_segment_buffer 1
		.amdhsa_user_sgpr_dispatch_ptr 0
		.amdhsa_user_sgpr_queue_ptr 0
		.amdhsa_user_sgpr_kernarg_segment_ptr 1
		.amdhsa_user_sgpr_dispatch_id 0
		.amdhsa_user_sgpr_flat_scratch_init 0
		.amdhsa_user_sgpr_private_segment_size 0
		.amdhsa_uses_dynamic_stack 0
		.amdhsa_system_sgpr_private_segment_wavefront_offset 0
		.amdhsa_system_sgpr_workgroup_id_x 1
		.amdhsa_system_sgpr_workgroup_id_y 1
		.amdhsa_system_sgpr_workgroup_id_z 1
		.amdhsa_system_sgpr_workgroup_info 0
		.amdhsa_system_vgpr_workitem_id 0
		.amdhsa_next_free_vgpr 8
		.amdhsa_next_free_sgpr 28
		.amdhsa_reserve_vcc 1
		.amdhsa_reserve_flat_scratch 0
		.amdhsa_float_round_mode_32 0
		.amdhsa_float_round_mode_16_64 0
		.amdhsa_float_denorm_mode_32 3
		.amdhsa_float_denorm_mode_16_64 3
		.amdhsa_dx10_clamp 1
		.amdhsa_ieee_mode 1
		.amdhsa_fp16_overflow 0
		.amdhsa_exception_fp_ieee_invalid_op 0
		.amdhsa_exception_fp_denorm_src 0
		.amdhsa_exception_fp_ieee_div_zero 0
		.amdhsa_exception_fp_ieee_overflow 0
		.amdhsa_exception_fp_ieee_underflow 0
		.amdhsa_exception_fp_ieee_inexact 0
		.amdhsa_exception_int_div_zero 0
	.end_amdhsa_kernel
	.section	.text._ZN2at6native6mbtopk23computeBlockDigitCountsIhmjLin1EEEvNS_4cuda6detail10TensorInfoIKT_T0_EEjPjjS8_iijT1_PSB_Ps,"axG",@progbits,_ZN2at6native6mbtopk23computeBlockDigitCountsIhmjLin1EEEvNS_4cuda6detail10TensorInfoIKT_T0_EEjPjjS8_iijT1_PSB_Ps,comdat
.Lfunc_end127:
	.size	_ZN2at6native6mbtopk23computeBlockDigitCountsIhmjLin1EEEvNS_4cuda6detail10TensorInfoIKT_T0_EEjPjjS8_iijT1_PSB_Ps, .Lfunc_end127-_ZN2at6native6mbtopk23computeBlockDigitCountsIhmjLin1EEEvNS_4cuda6detail10TensorInfoIKT_T0_EEjPjjS8_iijT1_PSB_Ps
                                        ; -- End function
	.set _ZN2at6native6mbtopk23computeBlockDigitCountsIhmjLin1EEEvNS_4cuda6detail10TensorInfoIKT_T0_EEjPjjS8_iijT1_PSB_Ps.num_vgpr, 8
	.set _ZN2at6native6mbtopk23computeBlockDigitCountsIhmjLin1EEEvNS_4cuda6detail10TensorInfoIKT_T0_EEjPjjS8_iijT1_PSB_Ps.num_agpr, 0
	.set _ZN2at6native6mbtopk23computeBlockDigitCountsIhmjLin1EEEvNS_4cuda6detail10TensorInfoIKT_T0_EEjPjjS8_iijT1_PSB_Ps.numbered_sgpr, 28
	.set _ZN2at6native6mbtopk23computeBlockDigitCountsIhmjLin1EEEvNS_4cuda6detail10TensorInfoIKT_T0_EEjPjjS8_iijT1_PSB_Ps.num_named_barrier, 0
	.set _ZN2at6native6mbtopk23computeBlockDigitCountsIhmjLin1EEEvNS_4cuda6detail10TensorInfoIKT_T0_EEjPjjS8_iijT1_PSB_Ps.private_seg_size, 0
	.set _ZN2at6native6mbtopk23computeBlockDigitCountsIhmjLin1EEEvNS_4cuda6detail10TensorInfoIKT_T0_EEjPjjS8_iijT1_PSB_Ps.uses_vcc, 1
	.set _ZN2at6native6mbtopk23computeBlockDigitCountsIhmjLin1EEEvNS_4cuda6detail10TensorInfoIKT_T0_EEjPjjS8_iijT1_PSB_Ps.uses_flat_scratch, 0
	.set _ZN2at6native6mbtopk23computeBlockDigitCountsIhmjLin1EEEvNS_4cuda6detail10TensorInfoIKT_T0_EEjPjjS8_iijT1_PSB_Ps.has_dyn_sized_stack, 0
	.set _ZN2at6native6mbtopk23computeBlockDigitCountsIhmjLin1EEEvNS_4cuda6detail10TensorInfoIKT_T0_EEjPjjS8_iijT1_PSB_Ps.has_recursion, 0
	.set _ZN2at6native6mbtopk23computeBlockDigitCountsIhmjLin1EEEvNS_4cuda6detail10TensorInfoIKT_T0_EEjPjjS8_iijT1_PSB_Ps.has_indirect_call, 0
	.section	.AMDGPU.csdata,"",@progbits
; Kernel info:
; codeLenInByte = 1304
; TotalNumSgprs: 32
; NumVgprs: 8
; ScratchSize: 0
; MemoryBound: 0
; FloatMode: 240
; IeeeMode: 1
; LDSByteSize: 1024 bytes/workgroup (compile time only)
; SGPRBlocks: 3
; VGPRBlocks: 1
; NumSGPRsForWavesPerEU: 32
; NumVGPRsForWavesPerEU: 8
; Occupancy: 10
; WaveLimiterHint : 0
; COMPUTE_PGM_RSRC2:SCRATCH_EN: 0
; COMPUTE_PGM_RSRC2:USER_SGPR: 6
; COMPUTE_PGM_RSRC2:TRAP_HANDLER: 0
; COMPUTE_PGM_RSRC2:TGID_X_EN: 1
; COMPUTE_PGM_RSRC2:TGID_Y_EN: 1
; COMPUTE_PGM_RSRC2:TGID_Z_EN: 1
; COMPUTE_PGM_RSRC2:TIDIG_COMP_CNT: 0
	.section	.text._ZN2at6native6mbtopk10gatherTopKIhmLin1EEEvNS_4cuda6detail10TensorInfoIKT_T0_EES8_S8_bjS8_NS5_IS6_S8_EES8_NS5_IlS8_EES8_jjPS6_PjSD_j,"axG",@progbits,_ZN2at6native6mbtopk10gatherTopKIhmLin1EEEvNS_4cuda6detail10TensorInfoIKT_T0_EES8_S8_bjS8_NS5_IS6_S8_EES8_NS5_IlS8_EES8_jjPS6_PjSD_j,comdat
	.protected	_ZN2at6native6mbtopk10gatherTopKIhmLin1EEEvNS_4cuda6detail10TensorInfoIKT_T0_EES8_S8_bjS8_NS5_IS6_S8_EES8_NS5_IlS8_EES8_jjPS6_PjSD_j ; -- Begin function _ZN2at6native6mbtopk10gatherTopKIhmLin1EEEvNS_4cuda6detail10TensorInfoIKT_T0_EES8_S8_bjS8_NS5_IS6_S8_EES8_NS5_IlS8_EES8_jjPS6_PjSD_j
	.globl	_ZN2at6native6mbtopk10gatherTopKIhmLin1EEEvNS_4cuda6detail10TensorInfoIKT_T0_EES8_S8_bjS8_NS5_IS6_S8_EES8_NS5_IlS8_EES8_jjPS6_PjSD_j
	.p2align	8
	.type	_ZN2at6native6mbtopk10gatherTopKIhmLin1EEEvNS_4cuda6detail10TensorInfoIKT_T0_EES8_S8_bjS8_NS5_IS6_S8_EES8_NS5_IlS8_EES8_jjPS6_PjSD_j,@function
_ZN2at6native6mbtopk10gatherTopKIhmLin1EEEvNS_4cuda6detail10TensorInfoIKT_T0_EES8_S8_bjS8_NS5_IS6_S8_EES8_NS5_IlS8_EES8_jjPS6_PjSD_j: ; @_ZN2at6native6mbtopk10gatherTopKIhmLin1EEEvNS_4cuda6detail10TensorInfoIKT_T0_EES8_S8_bjS8_NS5_IS6_S8_EES8_NS5_IlS8_EES8_jjPS6_PjSD_j
; %bb.0:
	s_load_dwordx2 s[0:1], s[4:5], 0x538
	s_load_dword s3, s[4:5], 0x530
	s_waitcnt lgkmcnt(0)
	s_mul_i32 s1, s1, s8
	s_add_i32 s1, s1, s7
	s_mul_i32 s2, s1, s0
	s_add_i32 s2, s2, s6
	s_cmp_ge_u32 s2, s3
	s_cbranch_scc1 .LBB128_61
; %bb.1:
	s_load_dwordx2 s[20:21], s[4:5], 0x510
	s_load_dwordx4 s[8:11], s[4:5], 0x1a0
	s_mov_b32 s1, 0
	s_waitcnt lgkmcnt(0)
	v_cvt_f32_u32_e32 v1, s21
	s_sub_i32 s0, 0, s21
	s_lshl_b32 s3, s20, 8
	v_rcp_iflag_f32_e32 v1, v1
	v_mul_f32_e32 v1, 0x4f7ffffe, v1
	v_cvt_u32_f32_e32 v1, v1
	v_readfirstlane_b32 s6, v1
	s_mul_i32 s0, s0, s6
	s_mul_hi_u32 s0, s6, s0
	s_add_i32 s6, s6, s0
	s_mul_hi_u32 s0, s2, s6
	s_mul_i32 s6, s0, s21
	s_sub_i32 s6, s2, s6
	s_add_i32 s7, s0, 1
	s_sub_i32 s12, s6, s21
	s_cmp_ge_u32 s6, s21
	s_cselect_b32 s0, s7, s0
	s_cselect_b32 s6, s12, s6
	s_add_i32 s7, s0, 1
	s_cmp_ge_u32 s6, s21
	s_cselect_b32 s0, s7, s0
	s_mul_i32 s6, s0, s21
	s_sub_i32 s54, s2, s6
	s_add_i32 s2, s54, 1
	s_cmp_lt_u32 s2, s21
	s_mul_i32 s33, s54, s3
	s_cbranch_scc1 .LBB128_3
; %bb.2:
	s_sub_u32 s2, s8, s33
	s_subb_u32 s3, s9, 0
	s_add_u32 s2, s2, 0xff
	s_addc_u32 s3, s3, 0
	s_ashr_i32 s7, s3, 31
	s_lshr_b32 s7, s7, 24
	s_add_u32 s2, s2, s7
	s_addc_u32 s3, s3, 0
	s_lshr_b64 s[2:3], s[2:3], 8
	s_mov_b32 s20, s2
.LBB128_3:
	s_load_dword s2, s[4:5], 0x198
	s_mov_b64 s[22:23], 0
	s_mov_b64 s[24:25], s[0:1]
	s_waitcnt lgkmcnt(0)
	s_cmp_lt_i32 s2, 2
	s_cbranch_scc1 .LBB128_9
; %bb.4:
	s_add_i32 s7, s2, 1
	s_add_i32 s2, s2, -1
	s_mov_b32 s3, 0
	s_lshl_b64 s[12:13], s[2:3], 3
	s_add_u32 s2, s4, s12
	s_addc_u32 s13, s5, s13
	s_add_u32 s12, s2, 8
	s_addc_u32 s13, s13, 0
	s_mov_b64 s[14:15], s[0:1]
.LBB128_5:                              ; =>This Inner Loop Header: Depth=1
	s_load_dwordx2 s[16:17], s[12:13], 0x0
	s_mov_b64 s[24:25], 0
	s_waitcnt lgkmcnt(0)
	v_mov_b32_e32 v1, s16
	v_mov_b32_e32 v2, s17
	v_cmp_lt_u64_e32 vcc, s[14:15], v[1:2]
	s_cbranch_vccnz .LBB128_7
; %bb.6:                                ;   in Loop: Header=BB128_5 Depth=1
	v_cvt_f32_u32_e32 v1, s16
	s_sub_i32 s2, 0, s16
	v_rcp_iflag_f32_e32 v1, v1
	v_mul_f32_e32 v1, 0x4f7ffffe, v1
	v_cvt_u32_f32_e32 v1, v1
	v_readfirstlane_b32 s18, v1
	s_mul_i32 s2, s2, s18
	s_mul_hi_u32 s2, s18, s2
	s_add_i32 s18, s18, s2
	s_mul_hi_u32 s2, s14, s18
	s_mul_i32 s19, s2, s16
	s_sub_i32 s19, s14, s19
	s_add_i32 s18, s2, 1
	s_sub_i32 s24, s19, s16
	s_cmp_ge_u32 s19, s16
	s_cselect_b32 s2, s18, s2
	s_cselect_b32 s19, s24, s19
	s_add_i32 s18, s2, 1
	s_cmp_ge_u32 s19, s16
	s_cselect_b32 s2, s18, s2
	s_mov_b64 s[24:25], s[2:3]
.LBB128_7:                              ;   in Loop: Header=BB128_5 Depth=1
	s_load_dwordx2 s[18:19], s[12:13], 0xc8
	s_mul_i32 s2, s24, s17
	s_mul_hi_u32 s17, s24, s16
	s_add_i32 s17, s17, s2
	s_mul_i32 s2, s24, s16
	s_sub_u32 s2, s14, s2
	s_subb_u32 s14, s15, s17
	s_waitcnt lgkmcnt(0)
	s_mul_i32 s14, s18, s14
	s_mul_hi_u32 s15, s18, s2
	s_add_i32 s14, s15, s14
	s_mul_i32 s15, s19, s2
	s_add_i32 s14, s14, s15
	s_mul_i32 s2, s18, s2
	s_add_u32 s22, s2, s22
	s_addc_u32 s23, s14, s23
	s_add_i32 s7, s7, -1
	s_add_u32 s12, s12, -8
	s_addc_u32 s13, s13, -1
	s_cmp_gt_u32 s7, 2
	s_cbranch_scc0 .LBB128_9
; %bb.8:                                ;   in Loop: Header=BB128_5 Depth=1
	s_mov_b64 s[14:15], s[24:25]
	s_branch .LBB128_5
.LBB128_9:
	s_load_dword s12, s[4:5], 0x358
	s_load_dwordx2 s[26:27], s[4:5], 0xd0
	s_add_u32 s2, s4, 0x1c0
	s_addc_u32 s3, s5, 0
	s_mov_b64 s[28:29], 0
	s_waitcnt lgkmcnt(0)
	s_cmp_lt_i32 s12, 2
	s_mov_b64 s[30:31], s[0:1]
	s_cbranch_scc1 .LBB128_15
; %bb.10:
	s_add_i32 s7, s12, 1
	s_add_i32 s12, s12, -1
	s_mov_b32 s13, 0
	s_lshl_b64 s[14:15], s[12:13], 3
	s_add_u32 s12, s2, s14
	s_addc_u32 s15, s3, s15
	s_add_u32 s14, s12, 8
	s_addc_u32 s15, s15, 0
	s_mov_b64 s[16:17], s[0:1]
.LBB128_11:                             ; =>This Inner Loop Header: Depth=1
	s_load_dwordx2 s[18:19], s[14:15], 0x0
	s_mov_b64 s[30:31], 0
	s_waitcnt lgkmcnt(0)
	v_mov_b32_e32 v1, s18
	v_mov_b32_e32 v2, s19
	v_cmp_lt_u64_e32 vcc, s[16:17], v[1:2]
	s_cbranch_vccnz .LBB128_13
; %bb.12:                               ;   in Loop: Header=BB128_11 Depth=1
	v_cvt_f32_u32_e32 v1, s18
	s_sub_i32 s12, 0, s18
	v_rcp_iflag_f32_e32 v1, v1
	v_mul_f32_e32 v1, 0x4f7ffffe, v1
	v_cvt_u32_f32_e32 v1, v1
	v_readfirstlane_b32 s25, v1
	s_mul_i32 s12, s12, s25
	s_mul_hi_u32 s12, s25, s12
	s_add_i32 s25, s25, s12
	s_mul_hi_u32 s12, s16, s25
	s_mul_i32 s30, s12, s18
	s_sub_i32 s30, s16, s30
	s_add_i32 s25, s12, 1
	s_sub_i32 s31, s30, s18
	s_cmp_ge_u32 s30, s18
	s_cselect_b32 s12, s25, s12
	s_cselect_b32 s30, s31, s30
	s_add_i32 s25, s12, 1
	s_cmp_ge_u32 s30, s18
	s_cselect_b32 s12, s25, s12
	s_mov_b64 s[30:31], s[12:13]
.LBB128_13:                             ;   in Loop: Header=BB128_11 Depth=1
	s_load_dwordx2 s[34:35], s[14:15], 0xc8
	s_mul_i32 s12, s30, s19
	s_mul_hi_u32 s19, s30, s18
	s_add_i32 s19, s19, s12
	s_mul_i32 s12, s30, s18
	s_sub_u32 s12, s16, s12
	s_subb_u32 s16, s17, s19
	s_waitcnt lgkmcnt(0)
	s_mul_i32 s16, s34, s16
	s_mul_hi_u32 s17, s34, s12
	s_add_i32 s16, s17, s16
	s_mul_i32 s17, s35, s12
	s_add_i32 s16, s16, s17
	s_mul_i32 s12, s34, s12
	s_add_u32 s28, s12, s28
	s_addc_u32 s29, s16, s29
	s_add_i32 s7, s7, -1
	s_add_u32 s14, s14, -8
	s_addc_u32 s15, s15, -1
	s_cmp_gt_u32 s7, 2
	s_cbranch_scc0 .LBB128_15
; %bb.14:                               ;   in Loop: Header=BB128_11 Depth=1
	s_mov_b64 s[16:17], s[30:31]
	s_branch .LBB128_11
.LBB128_15:
	s_load_dword s14, s[4:5], 0x500
	s_load_dwordx2 s[36:37], s[2:3], 0xd0
	s_add_u32 s12, s4, 0x368
	s_addc_u32 s13, s5, 0
	s_mov_b64 s[34:35], 0
	s_waitcnt lgkmcnt(0)
	s_cmp_lt_i32 s14, 2
	s_cbranch_scc1 .LBB128_21
; %bb.16:
	s_add_i32 s2, s14, -1
	s_mov_b32 s3, 0
	s_add_i32 s7, s14, 1
	s_lshl_b64 s[14:15], s[2:3], 3
	s_add_u32 s2, s12, s14
	s_addc_u32 s13, s13, s15
	s_add_u32 s12, s2, 8
	s_addc_u32 s13, s13, 0
	s_mov_b64 s[14:15], s[0:1]
.LBB128_17:                             ; =>This Inner Loop Header: Depth=1
	s_load_dwordx2 s[16:17], s[12:13], 0x0
	s_mov_b64 s[38:39], 0
	s_waitcnt lgkmcnt(0)
	v_mov_b32_e32 v1, s16
	v_mov_b32_e32 v2, s17
	v_cmp_lt_u64_e32 vcc, s[14:15], v[1:2]
	s_cbranch_vccnz .LBB128_19
; %bb.18:                               ;   in Loop: Header=BB128_17 Depth=1
	v_cvt_f32_u32_e32 v1, s16
	s_sub_i32 s1, 0, s16
	v_rcp_iflag_f32_e32 v1, v1
	v_mul_f32_e32 v1, 0x4f7ffffe, v1
	v_cvt_u32_f32_e32 v1, v1
	v_readfirstlane_b32 s2, v1
	s_mul_i32 s1, s1, s2
	s_mul_hi_u32 s1, s2, s1
	s_add_i32 s2, s2, s1
	s_mul_hi_u32 s1, s14, s2
	s_mul_i32 s18, s1, s16
	s_sub_i32 s18, s14, s18
	s_add_i32 s2, s1, 1
	s_sub_i32 s19, s18, s16
	s_cmp_ge_u32 s18, s16
	s_cselect_b32 s1, s2, s1
	s_cselect_b32 s18, s19, s18
	s_add_i32 s2, s1, 1
	s_cmp_ge_u32 s18, s16
	s_cselect_b32 s2, s2, s1
	s_mov_b64 s[38:39], s[2:3]
.LBB128_19:                             ;   in Loop: Header=BB128_17 Depth=1
	s_load_dwordx2 s[18:19], s[12:13], 0xc8
	s_mul_i32 s1, s38, s17
	s_mul_hi_u32 s2, s38, s16
	s_add_i32 s2, s2, s1
	s_mul_i32 s1, s38, s16
	s_sub_u32 s1, s14, s1
	s_subb_u32 s2, s15, s2
	s_waitcnt lgkmcnt(0)
	s_mul_i32 s2, s18, s2
	s_mul_hi_u32 s14, s18, s1
	s_add_i32 s2, s14, s2
	s_mul_i32 s14, s19, s1
	s_add_i32 s2, s2, s14
	s_mul_i32 s1, s18, s1
	s_add_u32 s34, s1, s34
	s_addc_u32 s35, s2, s35
	s_add_i32 s7, s7, -1
	s_add_u32 s12, s12, -8
	s_addc_u32 s13, s13, -1
	s_cmp_gt_u32 s7, 2
	s_cbranch_scc0 .LBB128_22
; %bb.20:                               ;   in Loop: Header=BB128_17 Depth=1
	s_mov_b64 s[14:15], s[38:39]
	s_branch .LBB128_17
.LBB128_21:
	s_mov_b64 s[38:39], s[0:1]
.LBB128_22:
	s_load_dwordx4 s[12:15], s[4:5], 0x518
	v_mov_b32_e32 v1, 0
	s_mov_b32 s7, 0
	v_cmp_eq_u32_e64 s[2:3], 0, v0
	s_waitcnt lgkmcnt(0)
	s_add_u32 s0, s12, s0
	s_addc_u32 s1, s13, 0
	global_load_ubyte v8, v1, s[0:1]
	s_load_dwordx2 s[44:45], s[4:5], 0x438
	s_load_dwordx2 s[12:13], s[4:5], 0x0
	;; [unrolled: 1-line block ×4, first 2 shown]
	v_cmp_ne_u32_e64 s[0:1], 0, v0
	s_and_saveexec_b64 s[46:47], s[2:3]
	s_cbranch_execz .LBB128_38
; %bb.23:
	s_load_dwordx2 s[48:49], s[4:5], 0x528
	s_lshl_b64 s[50:51], s[6:7], 2
	s_add_u32 s16, s14, s50
	s_addc_u32 s17, s15, s51
	s_mov_b32 s6, 0
	s_waitcnt lgkmcnt(0)
	s_add_u32 s18, s48, s50
	s_addc_u32 s19, s49, s51
	s_mov_b32 s25, 0
	s_cmp_lt_u32 s21, 4
	s_cbranch_scc1 .LBB128_35
; %bb.24:
	s_mov_b32 s31, 0
.LBB128_25:                             ; =>This Inner Loop Header: Depth=1
	s_add_u32 s52, s14, s50
	s_addc_u32 s53, s15, s51
	s_load_dwordx4 s[16:19], s[52:53], 0x0
	s_add_u32 s52, s48, s50
	s_addc_u32 s53, s49, s51
	s_cmp_ge_u32 s31, s54
	s_cbranch_scc0 .LBB128_32
; %bb.26:                               ;   in Loop: Header=BB128_25 Depth=1
	s_add_i32 s39, s31, 1
	s_cmp_ge_u32 s39, s54
	s_cbranch_scc0 .LBB128_33
.LBB128_27:                             ;   in Loop: Header=BB128_25 Depth=1
	s_add_i32 s39, s39, 1
	s_cmp_ge_u32 s39, s54
	s_cbranch_scc0 .LBB128_34
.LBB128_28:                             ;   in Loop: Header=BB128_25 Depth=1
	s_add_i32 s39, s39, 1
	s_cmp_ge_u32 s39, s54
	s_cbranch_scc1 .LBB128_30
.LBB128_29:                             ;   in Loop: Header=BB128_25 Depth=1
	s_load_dword s52, s[52:53], 0xc
	s_waitcnt lgkmcnt(0)
	s_add_i32 s7, s7, s19
	s_add_i32 s6, s52, s6
.LBB128_30:                             ;   in Loop: Header=BB128_25 Depth=1
	s_waitcnt lgkmcnt(0)
	s_add_i32 s16, s16, s25
	s_add_i32 s16, s16, s17
	;; [unrolled: 1-line block ×4, first 2 shown]
	s_add_u32 s14, s14, 16
	s_addc_u32 s15, s15, 0
	s_add_u32 s48, s48, 16
	s_addc_u32 s49, s49, 0
	s_add_i32 s52, s39, 4
	s_add_u32 s18, s48, s50
	s_addc_u32 s19, s49, s51
	s_add_u32 s16, s14, s50
	s_addc_u32 s17, s15, s51
	s_add_i32 s39, s39, 1
	s_cmp_ge_u32 s52, s21
	s_cbranch_scc1 .LBB128_36
; %bb.31:                               ;   in Loop: Header=BB128_25 Depth=1
	s_mov_b32 s31, s39
	s_branch .LBB128_25
.LBB128_32:                             ;   in Loop: Header=BB128_25 Depth=1
	s_load_dword s39, s[52:53], 0x0
	s_waitcnt lgkmcnt(0)
	s_add_i32 s7, s16, s7
	s_add_i32 s6, s39, s6
	;; [unrolled: 1-line block ×3, first 2 shown]
	s_cmp_ge_u32 s39, s54
	s_cbranch_scc1 .LBB128_27
.LBB128_33:                             ;   in Loop: Header=BB128_25 Depth=1
	s_load_dword s55, s[52:53], 0x4
	s_waitcnt lgkmcnt(0)
	s_add_i32 s7, s7, s17
	s_add_i32 s6, s55, s6
	;; [unrolled: 1-line block ×3, first 2 shown]
	s_cmp_ge_u32 s39, s54
	s_cbranch_scc1 .LBB128_28
.LBB128_34:                             ;   in Loop: Header=BB128_25 Depth=1
	s_load_dword s55, s[52:53], 0x8
	s_waitcnt lgkmcnt(0)
	s_add_i32 s7, s7, s18
	s_add_i32 s6, s55, s6
	;; [unrolled: 1-line block ×3, first 2 shown]
	s_cmp_ge_u32 s39, s54
	s_cbranch_scc0 .LBB128_29
	s_branch .LBB128_30
.LBB128_35:
	s_mov_b32 s14, 0
	s_cmp_ge_u32 s14, s21
	s_cbranch_scc0 .LBB128_59
	s_branch .LBB128_37
.LBB128_36:
	s_add_i32 s14, s31, 4
	s_cmp_ge_u32 s14, s21
	s_cbranch_scc0 .LBB128_59
.LBB128_37:
	v_mov_b32_e32 v1, s6
	v_mov_b32_e32 v2, s25
	;; [unrolled: 1-line block ×4, first 2 shown]
	ds_write_b96 v4, v[1:3] offset:1056
.LBB128_38:
	s_or_b64 exec, exec, s[46:47]
	s_cmp_eq_u32 s20, 0
	s_waitcnt vmcnt(0) lgkmcnt(0)
	s_barrier
	s_cbranch_scc1 .LBB128_61
; %bb.39:
	s_mul_i32 s6, s37, s30
	s_mul_hi_u32 s7, s36, s30
	s_add_i32 s14, s7, s6
	s_mul_i32 s6, s27, s24
	s_mul_hi_u32 s7, s26, s24
	s_add_i32 s16, s7, s6
	s_mul_i32 s6, s45, s38
	s_mul_hi_u32 s7, s44, s38
	s_mul_i32 s17, s26, s24
	s_add_i32 s7, s7, s6
	s_add_u32 s12, s12, s17
	s_addc_u32 s13, s13, s16
	s_add_u32 s12, s12, s22
	s_mul_i32 s15, s36, s30
	s_addc_u32 s13, s13, s23
	v_mov_b32_e32 v5, 0
	s_add_u32 s15, s42, s15
	ds_read_b96 v[1:3], v5 offset:1056
	s_addc_u32 s16, s43, s14
	s_mul_i32 s6, s44, s38
	s_add_u32 s14, s15, s28
	s_addc_u32 s15, s16, s29
	s_lshl_b64 s[6:7], s[6:7], 3
	s_add_u32 s16, s40, s6
	s_addc_u32 s17, s41, s7
	s_lshl_b64 s[6:7], s[34:35], 3
	s_waitcnt lgkmcnt(0)
	v_add_u32_e32 v1, v1, v2
	v_lshrrev_b32_e32 v2, 3, v0
	s_add_u32 s21, s16, s6
	s_load_dword s6, s[4:5], 0x1b0
	v_and_b32_e32 v2, 28, v2
	s_addc_u32 s26, s17, s7
	s_load_dwordx2 s[16:17], s[4:5], 0x1b8
	s_load_dwordx2 s[18:19], s[4:5], 0x360
	;; [unrolled: 1-line block ×3, first 2 shown]
	v_lshl_add_u32 v9, v0, 2, v2
	v_lshrrev_b32_e32 v2, 1, v0
	v_and_b32_e32 v10, 0x7c, v2
	v_add_u32_e32 v2, -1, v0
	v_lshrrev_b32_e32 v4, 3, v2
	v_and_b32_e32 v4, 0x1ffffffc, v4
	s_waitcnt lgkmcnt(0)
	s_bitcmp1_b32 s6, 0
	v_cmp_gt_u32_e64 s[6:7], 64, v0
	v_lshlrev_b32_e32 v11, 4, v0
	v_lshl_add_u32 v12, v2, 2, v4
	v_add_u32_e32 v4, s33, v0
	v_mbcnt_lo_u32_b32 v0, -1, 0
	s_cselect_b64 s[4:5], -1, 0
	v_mbcnt_hi_u32_b32 v0, -1, v0
                                        ; implicit-def: $vgpr13
	s_branch .LBB128_42
.LBB128_40:                             ;   in Loop: Header=BB128_42 Depth=1
	s_or_b64 exec, exec, s[24:25]
	v_add_u32_e32 v1, v2, v1
.LBB128_41:                             ;   in Loop: Header=BB128_42 Depth=1
	s_add_i32 s20, s20, -1
	v_add_u32_e32 v3, v14, v3
	s_cmp_lg_u32 s20, 0
	v_add_u32_e32 v4, 0x100, v4
	s_cbranch_scc0 .LBB128_61
.LBB128_42:                             ; =>This Inner Loop Header: Depth=1
	v_cmp_gt_u64_e32 vcc, s[8:9], v[4:5]
	v_mov_b32_e32 v2, v5
	v_mov_b32_e32 v6, v5
	s_and_saveexec_b64 s[24:25], vcc
	s_cbranch_execz .LBB128_44
; %bb.43:                               ;   in Loop: Header=BB128_42 Depth=1
	v_mov_b32_e32 v6, s12
	v_mov_b32_e32 v7, s13
	v_mad_u64_u32 v[6:7], s[28:29], s16, v4, v[6:7]
	v_mov_b32_e32 v2, v7
	v_mad_u64_u32 v[13:14], s[28:29], s17, v4, v[2:3]
	v_mov_b32_e32 v7, v13
	global_load_ubyte v13, v[6:7], off
	s_waitcnt vmcnt(0)
	v_cmp_gt_u16_sdwa s[28:29], v13, v8 src0_sel:DWORD src1_sel:BYTE_0
	v_cndmask_b32_e64 v2, 0, 1, s[28:29]
	v_cmp_lt_u16_sdwa s[28:29], v13, v8 src0_sel:DWORD src1_sel:BYTE_0
	v_cndmask_b32_e64 v6, 0, 1, s[28:29]
	v_cndmask_b32_e64 v2, v6, v2, s[4:5]
	v_cmp_eq_u16_sdwa s[28:29], v13, v8 src0_sel:DWORD src1_sel:BYTE_0
	v_and_b32_e32 v2, 1, v2
	v_cndmask_b32_e64 v6, 0, 1, s[28:29]
.LBB128_44:                             ;   in Loop: Header=BB128_42 Depth=1
	s_or_b64 exec, exec, s[24:25]
	ds_write_b32 v9, v2
	s_waitcnt vmcnt(0) lgkmcnt(0)
	s_barrier
	s_and_saveexec_b64 s[24:25], s[6:7]
	s_cbranch_execz .LBB128_46
; %bb.45:                               ;   in Loop: Header=BB128_42 Depth=1
	v_add_u32_e32 v7, v10, v11
	ds_read2_b32 v[14:15], v7 offset1:1
	ds_read2_b32 v[16:17], v7 offset0:2 offset1:3
	v_and_b32_e32 v18, 15, v0
	v_cmp_ne_u32_e32 vcc, 0, v18
	s_waitcnt lgkmcnt(1)
	v_add_u32_e32 v15, v15, v14
	s_waitcnt lgkmcnt(0)
	v_add3_u32 v15, v15, v16, v17
	v_bfe_i32 v17, v0, 4, 1
	; wave barrier
	s_nop 0
	v_mov_b32_dpp v16, v15 row_shr:1 row_mask:0xf bank_mask:0xf
	v_cndmask_b32_e32 v16, 0, v16, vcc
	v_add_u32_e32 v15, v16, v15
	v_cmp_lt_u32_e32 vcc, 1, v18
	s_nop 0
	v_mov_b32_dpp v16, v15 row_shr:2 row_mask:0xf bank_mask:0xf
	v_cndmask_b32_e32 v16, 0, v16, vcc
	v_add_u32_e32 v15, v15, v16
	v_cmp_lt_u32_e32 vcc, 3, v18
	;; [unrolled: 5-line block ×4, first 2 shown]
	s_nop 0
	v_mov_b32_dpp v16, v15 row_bcast:15 row_mask:0xf bank_mask:0xf
	v_and_b32_e32 v16, v17, v16
	v_add_u32_e32 v15, v15, v16
	v_and_b32_e32 v17, 64, v0
	s_nop 0
	v_mov_b32_dpp v16, v15 row_bcast:31 row_mask:0xf bank_mask:0xf
	v_cndmask_b32_e32 v16, 0, v16, vcc
	v_add_u32_e32 v15, v15, v16
	v_add_u32_e32 v16, -1, v0
	v_cmp_lt_i32_e32 vcc, v16, v17
	v_cndmask_b32_e32 v16, v16, v0, vcc
	v_lshlrev_b32_e32 v16, 2, v16
	ds_bpermute_b32 v15, v16, v15
	s_waitcnt lgkmcnt(0)
	v_add_u32_e32 v14, v15, v14
	v_cndmask_b32_e64 v16, v14, v2, s[2:3]
	ds_write_b32 v7, v16
	; wave barrier
	ds_read2_b32 v[14:15], v7 offset0:1 offset1:2
	ds_read_b32 v17, v7 offset:12
	s_waitcnt lgkmcnt(1)
	v_add_u32_e32 v14, v14, v16
	v_add_u32_e32 v15, v15, v14
	ds_write2_b32 v7, v14, v15 offset0:1 offset1:2
	s_waitcnt lgkmcnt(1)
	v_add_u32_e32 v14, v17, v15
	ds_write_b32 v7, v14 offset:12
.LBB128_46:                             ;   in Loop: Header=BB128_42 Depth=1
	s_or_b64 exec, exec, s[24:25]
	v_mov_b32_e32 v7, 0
	s_waitcnt lgkmcnt(0)
	s_barrier
	s_and_saveexec_b64 s[24:25], s[0:1]
; %bb.47:                               ;   in Loop: Header=BB128_42 Depth=1
	ds_read_b32 v7, v12
; %bb.48:                               ;   in Loop: Header=BB128_42 Depth=1
	s_or_b64 exec, exec, s[24:25]
	ds_read_b32 v14, v5 offset:1048
	v_cmp_ne_u32_e32 vcc, 0, v2
	s_waitcnt lgkmcnt(0)
	s_barrier
	s_and_saveexec_b64 s[24:25], vcc
	s_cbranch_execz .LBB128_50
; %bb.49:                               ;   in Loop: Header=BB128_42 Depth=1
	v_mov_b32_e32 v16, s15
	v_add_u32_e32 v7, v7, v3
	v_mov_b32_e32 v15, s14
	v_mad_u64_u32 v[15:16], s[28:29], s18, v7, v[15:16]
	v_mad_u64_u32 v[17:18], s[28:29], s22, v7, 0
	v_mov_b32_e32 v2, v16
	v_mad_u64_u32 v[19:20], s[28:29], s19, v7, v[2:3]
	v_mov_b32_e32 v2, v18
	;; [unrolled: 2-line block ×3, first 2 shown]
	global_store_byte v[15:16], v13, off
	v_mov_b32_e32 v18, v20
	v_lshlrev_b64 v[15:16], 3, v[17:18]
	v_mov_b32_e32 v2, s26
	v_add_co_u32_e32 v15, vcc, s21, v15
	v_addc_co_u32_e32 v16, vcc, v2, v16, vcc
	global_store_dwordx2 v[15:16], v[4:5], off
.LBB128_50:                             ;   in Loop: Header=BB128_42 Depth=1
	s_or_b64 exec, exec, s[24:25]
	v_mov_b32_e32 v2, v5
	v_cmp_le_u64_e32 vcc, s[10:11], v[1:2]
	s_cbranch_vccnz .LBB128_41
; %bb.51:                               ;   in Loop: Header=BB128_42 Depth=1
	ds_write_b32 v9, v6
	s_waitcnt vmcnt(0) lgkmcnt(0)
	s_barrier
	s_and_saveexec_b64 s[24:25], s[6:7]
	s_cbranch_execz .LBB128_53
; %bb.52:                               ;   in Loop: Header=BB128_42 Depth=1
	v_add_u32_e32 v2, v10, v11
	ds_read2_b32 v[15:16], v2 offset1:1
	ds_read2_b32 v[17:18], v2 offset0:2 offset1:3
	v_and_b32_e32 v7, 15, v0
	v_cmp_ne_u32_e32 vcc, 0, v7
	s_waitcnt lgkmcnt(1)
	v_add_u32_e32 v16, v16, v15
	s_waitcnt lgkmcnt(0)
	v_add3_u32 v16, v16, v17, v18
	; wave barrier
	s_nop 1
	v_mov_b32_dpp v17, v16 row_shr:1 row_mask:0xf bank_mask:0xf
	v_cndmask_b32_e32 v17, 0, v17, vcc
	v_add_u32_e32 v16, v17, v16
	v_cmp_lt_u32_e32 vcc, 1, v7
	s_nop 0
	v_mov_b32_dpp v17, v16 row_shr:2 row_mask:0xf bank_mask:0xf
	v_cndmask_b32_e32 v17, 0, v17, vcc
	v_add_u32_e32 v16, v16, v17
	v_cmp_lt_u32_e32 vcc, 3, v7
	;; [unrolled: 5-line block ×3, first 2 shown]
	s_nop 0
	v_mov_b32_dpp v17, v16 row_shr:8 row_mask:0xf bank_mask:0xf
	v_cndmask_b32_e32 v7, 0, v17, vcc
	v_add_u32_e32 v7, v16, v7
	v_bfe_i32 v17, v0, 4, 1
	v_cmp_lt_u32_e32 vcc, 31, v0
	v_mov_b32_dpp v16, v7 row_bcast:15 row_mask:0xf bank_mask:0xf
	v_and_b32_e32 v16, v17, v16
	v_add_u32_e32 v7, v7, v16
	v_and_b32_e32 v17, 64, v0
	s_nop 0
	v_mov_b32_dpp v16, v7 row_bcast:31 row_mask:0xf bank_mask:0xf
	v_cndmask_b32_e32 v16, 0, v16, vcc
	v_add_u32_e32 v7, v7, v16
	v_add_u32_e32 v16, -1, v0
	v_cmp_lt_i32_e32 vcc, v16, v17
	v_cndmask_b32_e32 v16, v16, v0, vcc
	v_lshlrev_b32_e32 v16, 2, v16
	ds_bpermute_b32 v7, v16, v7
	s_waitcnt lgkmcnt(0)
	v_add_u32_e32 v7, v7, v15
	v_cndmask_b32_e64 v7, v7, v6, s[2:3]
	ds_write_b32 v2, v7
	; wave barrier
	ds_read2_b32 v[15:16], v2 offset0:1 offset1:2
	ds_read_b32 v17, v2 offset:12
	s_waitcnt lgkmcnt(1)
	v_add_u32_e32 v7, v15, v7
	v_add_u32_e32 v15, v16, v7
	ds_write2_b32 v2, v7, v15 offset0:1 offset1:2
	s_waitcnt lgkmcnt(1)
	v_add_u32_e32 v7, v17, v15
	ds_write_b32 v2, v7 offset:12
.LBB128_53:                             ;   in Loop: Header=BB128_42 Depth=1
	s_or_b64 exec, exec, s[24:25]
	v_mov_b32_e32 v7, 0
	s_waitcnt lgkmcnt(0)
	s_barrier
	s_and_saveexec_b64 s[24:25], s[0:1]
; %bb.54:                               ;   in Loop: Header=BB128_42 Depth=1
	ds_read_b32 v7, v12
; %bb.55:                               ;   in Loop: Header=BB128_42 Depth=1
	s_or_b64 exec, exec, s[24:25]
	ds_read_b32 v2, v5 offset:1048
	v_cmp_ne_u32_e32 vcc, 0, v6
	s_waitcnt lgkmcnt(0)
	s_barrier
	s_and_saveexec_b64 s[24:25], vcc
	s_cbranch_execz .LBB128_40
; %bb.56:                               ;   in Loop: Header=BB128_42 Depth=1
	v_add_u32_e32 v6, v7, v1
	v_mov_b32_e32 v7, v5
	v_cmp_gt_u64_e32 vcc, s[10:11], v[6:7]
	s_and_b64 exec, exec, vcc
	s_cbranch_execz .LBB128_40
; %bb.57:                               ;   in Loop: Header=BB128_42 Depth=1
	v_mov_b32_e32 v16, s15
	v_mov_b32_e32 v15, s14
	v_mad_u64_u32 v[15:16], s[28:29], s18, v6, v[15:16]
	v_mad_u64_u32 v[17:18], s[28:29], s22, v6, 0
	v_mov_b32_e32 v7, v16
	v_mad_u64_u32 v[19:20], s[28:29], s19, v6, v[7:8]
	v_mov_b32_e32 v7, v18
	;; [unrolled: 2-line block ×3, first 2 shown]
	global_store_byte v[15:16], v13, off
	v_mov_b32_e32 v18, v6
	v_lshlrev_b64 v[6:7], 3, v[17:18]
	v_mov_b32_e32 v15, s26
	v_add_co_u32_e32 v6, vcc, s21, v6
	v_addc_co_u32_e32 v7, vcc, v15, v7, vcc
	global_store_dwordx2 v[6:7], v[4:5], off
	s_branch .LBB128_40
.LBB128_58:                             ;   in Loop: Header=BB128_59 Depth=1
	s_add_u32 s16, s16, 4
	s_addc_u32 s17, s17, 0
	s_waitcnt lgkmcnt(0)
	s_add_i32 s25, s15, s25
	s_add_u32 s18, s18, 4
	s_addc_u32 s19, s19, 0
	s_add_i32 s14, s14, 1
	s_cmp_lt_u32 s14, s21
	s_cbranch_scc0 .LBB128_37
.LBB128_59:                             ; =>This Inner Loop Header: Depth=1
	s_load_dword s15, s[16:17], 0x0
	s_cmp_ge_u32 s14, s54
	s_cbranch_scc1 .LBB128_58
; %bb.60:                               ;   in Loop: Header=BB128_59 Depth=1
	s_load_dword s31, s[18:19], 0x0
	s_waitcnt lgkmcnt(0)
	s_add_i32 s7, s15, s7
	s_add_i32 s6, s31, s6
	s_branch .LBB128_58
.LBB128_61:
	s_endpgm
	.section	.rodata,"a",@progbits
	.p2align	6, 0x0
	.amdhsa_kernel _ZN2at6native6mbtopk10gatherTopKIhmLin1EEEvNS_4cuda6detail10TensorInfoIKT_T0_EES8_S8_bjS8_NS5_IS6_S8_EES8_NS5_IlS8_EES8_jjPS6_PjSD_j
		.amdhsa_group_segment_fixed_size 1068
		.amdhsa_private_segment_fixed_size 0
		.amdhsa_kernarg_size 1592
		.amdhsa_user_sgpr_count 6
		.amdhsa_user_sgpr_private_segment_buffer 1
		.amdhsa_user_sgpr_dispatch_ptr 0
		.amdhsa_user_sgpr_queue_ptr 0
		.amdhsa_user_sgpr_kernarg_segment_ptr 1
		.amdhsa_user_sgpr_dispatch_id 0
		.amdhsa_user_sgpr_flat_scratch_init 0
		.amdhsa_user_sgpr_private_segment_size 0
		.amdhsa_uses_dynamic_stack 0
		.amdhsa_system_sgpr_private_segment_wavefront_offset 0
		.amdhsa_system_sgpr_workgroup_id_x 1
		.amdhsa_system_sgpr_workgroup_id_y 1
		.amdhsa_system_sgpr_workgroup_id_z 1
		.amdhsa_system_sgpr_workgroup_info 0
		.amdhsa_system_vgpr_workitem_id 0
		.amdhsa_next_free_vgpr 22
		.amdhsa_next_free_sgpr 56
		.amdhsa_reserve_vcc 1
		.amdhsa_reserve_flat_scratch 0
		.amdhsa_float_round_mode_32 0
		.amdhsa_float_round_mode_16_64 0
		.amdhsa_float_denorm_mode_32 3
		.amdhsa_float_denorm_mode_16_64 3
		.amdhsa_dx10_clamp 1
		.amdhsa_ieee_mode 1
		.amdhsa_fp16_overflow 0
		.amdhsa_exception_fp_ieee_invalid_op 0
		.amdhsa_exception_fp_denorm_src 0
		.amdhsa_exception_fp_ieee_div_zero 0
		.amdhsa_exception_fp_ieee_overflow 0
		.amdhsa_exception_fp_ieee_underflow 0
		.amdhsa_exception_fp_ieee_inexact 0
		.amdhsa_exception_int_div_zero 0
	.end_amdhsa_kernel
	.section	.text._ZN2at6native6mbtopk10gatherTopKIhmLin1EEEvNS_4cuda6detail10TensorInfoIKT_T0_EES8_S8_bjS8_NS5_IS6_S8_EES8_NS5_IlS8_EES8_jjPS6_PjSD_j,"axG",@progbits,_ZN2at6native6mbtopk10gatherTopKIhmLin1EEEvNS_4cuda6detail10TensorInfoIKT_T0_EES8_S8_bjS8_NS5_IS6_S8_EES8_NS5_IlS8_EES8_jjPS6_PjSD_j,comdat
.Lfunc_end128:
	.size	_ZN2at6native6mbtopk10gatherTopKIhmLin1EEEvNS_4cuda6detail10TensorInfoIKT_T0_EES8_S8_bjS8_NS5_IS6_S8_EES8_NS5_IlS8_EES8_jjPS6_PjSD_j, .Lfunc_end128-_ZN2at6native6mbtopk10gatherTopKIhmLin1EEEvNS_4cuda6detail10TensorInfoIKT_T0_EES8_S8_bjS8_NS5_IS6_S8_EES8_NS5_IlS8_EES8_jjPS6_PjSD_j
                                        ; -- End function
	.set _ZN2at6native6mbtopk10gatherTopKIhmLin1EEEvNS_4cuda6detail10TensorInfoIKT_T0_EES8_S8_bjS8_NS5_IS6_S8_EES8_NS5_IlS8_EES8_jjPS6_PjSD_j.num_vgpr, 22
	.set _ZN2at6native6mbtopk10gatherTopKIhmLin1EEEvNS_4cuda6detail10TensorInfoIKT_T0_EES8_S8_bjS8_NS5_IS6_S8_EES8_NS5_IlS8_EES8_jjPS6_PjSD_j.num_agpr, 0
	.set _ZN2at6native6mbtopk10gatherTopKIhmLin1EEEvNS_4cuda6detail10TensorInfoIKT_T0_EES8_S8_bjS8_NS5_IS6_S8_EES8_NS5_IlS8_EES8_jjPS6_PjSD_j.numbered_sgpr, 56
	.set _ZN2at6native6mbtopk10gatherTopKIhmLin1EEEvNS_4cuda6detail10TensorInfoIKT_T0_EES8_S8_bjS8_NS5_IS6_S8_EES8_NS5_IlS8_EES8_jjPS6_PjSD_j.num_named_barrier, 0
	.set _ZN2at6native6mbtopk10gatherTopKIhmLin1EEEvNS_4cuda6detail10TensorInfoIKT_T0_EES8_S8_bjS8_NS5_IS6_S8_EES8_NS5_IlS8_EES8_jjPS6_PjSD_j.private_seg_size, 0
	.set _ZN2at6native6mbtopk10gatherTopKIhmLin1EEEvNS_4cuda6detail10TensorInfoIKT_T0_EES8_S8_bjS8_NS5_IS6_S8_EES8_NS5_IlS8_EES8_jjPS6_PjSD_j.uses_vcc, 1
	.set _ZN2at6native6mbtopk10gatherTopKIhmLin1EEEvNS_4cuda6detail10TensorInfoIKT_T0_EES8_S8_bjS8_NS5_IS6_S8_EES8_NS5_IlS8_EES8_jjPS6_PjSD_j.uses_flat_scratch, 0
	.set _ZN2at6native6mbtopk10gatherTopKIhmLin1EEEvNS_4cuda6detail10TensorInfoIKT_T0_EES8_S8_bjS8_NS5_IS6_S8_EES8_NS5_IlS8_EES8_jjPS6_PjSD_j.has_dyn_sized_stack, 0
	.set _ZN2at6native6mbtopk10gatherTopKIhmLin1EEEvNS_4cuda6detail10TensorInfoIKT_T0_EES8_S8_bjS8_NS5_IS6_S8_EES8_NS5_IlS8_EES8_jjPS6_PjSD_j.has_recursion, 0
	.set _ZN2at6native6mbtopk10gatherTopKIhmLin1EEEvNS_4cuda6detail10TensorInfoIKT_T0_EES8_S8_bjS8_NS5_IS6_S8_EES8_NS5_IlS8_EES8_jjPS6_PjSD_j.has_indirect_call, 0
	.section	.AMDGPU.csdata,"",@progbits
; Kernel info:
; codeLenInByte = 3064
; TotalNumSgprs: 60
; NumVgprs: 22
; ScratchSize: 0
; MemoryBound: 0
; FloatMode: 240
; IeeeMode: 1
; LDSByteSize: 1068 bytes/workgroup (compile time only)
; SGPRBlocks: 7
; VGPRBlocks: 5
; NumSGPRsForWavesPerEU: 60
; NumVGPRsForWavesPerEU: 22
; Occupancy: 10
; WaveLimiterHint : 1
; COMPUTE_PGM_RSRC2:SCRATCH_EN: 0
; COMPUTE_PGM_RSRC2:USER_SGPR: 6
; COMPUTE_PGM_RSRC2:TRAP_HANDLER: 0
; COMPUTE_PGM_RSRC2:TGID_X_EN: 1
; COMPUTE_PGM_RSRC2:TGID_Y_EN: 1
; COMPUTE_PGM_RSRC2:TGID_Z_EN: 1
; COMPUTE_PGM_RSRC2:TIDIG_COMP_CNT: 0
	.section	.text._ZN2at6native6sbtopk10gatherTopKIhmLin1ELb0EEEvNS_4cuda6detail10TensorInfoIKT_T0_EES8_S8_bS8_S8_NS5_IS6_S8_EES8_NS5_IlS8_EES8_PS6_,"axG",@progbits,_ZN2at6native6sbtopk10gatherTopKIhmLin1ELb0EEEvNS_4cuda6detail10TensorInfoIKT_T0_EES8_S8_bS8_S8_NS5_IS6_S8_EES8_NS5_IlS8_EES8_PS6_,comdat
	.protected	_ZN2at6native6sbtopk10gatherTopKIhmLin1ELb0EEEvNS_4cuda6detail10TensorInfoIKT_T0_EES8_S8_bS8_S8_NS5_IS6_S8_EES8_NS5_IlS8_EES8_PS6_ ; -- Begin function _ZN2at6native6sbtopk10gatherTopKIhmLin1ELb0EEEvNS_4cuda6detail10TensorInfoIKT_T0_EES8_S8_bS8_S8_NS5_IS6_S8_EES8_NS5_IlS8_EES8_PS6_
	.globl	_ZN2at6native6sbtopk10gatherTopKIhmLin1ELb0EEEvNS_4cuda6detail10TensorInfoIKT_T0_EES8_S8_bS8_S8_NS5_IS6_S8_EES8_NS5_IlS8_EES8_PS6_
	.p2align	8
	.type	_ZN2at6native6sbtopk10gatherTopKIhmLin1ELb0EEEvNS_4cuda6detail10TensorInfoIKT_T0_EES8_S8_bS8_S8_NS5_IS6_S8_EES8_NS5_IlS8_EES8_PS6_,@function
_ZN2at6native6sbtopk10gatherTopKIhmLin1ELb0EEEvNS_4cuda6detail10TensorInfoIKT_T0_EES8_S8_bS8_S8_NS5_IS6_S8_EES8_NS5_IlS8_EES8_PS6_: ; @_ZN2at6native6sbtopk10gatherTopKIhmLin1ELb0EEEvNS_4cuda6detail10TensorInfoIKT_T0_EES8_S8_bS8_S8_NS5_IS6_S8_EES8_NS5_IlS8_EES8_PS6_
; %bb.0:
	s_load_dwordx2 s[12:13], s[4:5], 0x520
	s_load_dwordx4 s[24:27], s[4:5], 0x1b8
	s_mov_b64 s[38:39], s[4:5]
	s_add_u32 s10, s38, 0x520
	s_addc_u32 s11, s39, 0
	s_waitcnt lgkmcnt(0)
	s_mul_i32 s0, s13, s8
	s_add_i32 s0, s0, s7
	s_mul_i32 s0, s0, s12
	s_mov_b32 s1, 0
	s_add_i32 s0, s0, s6
	v_mov_b32_e32 v2, s1
	v_mov_b32_e32 v1, s0
	v_cmp_le_u64_e32 vcc, s[24:25], v[1:2]
	s_cbranch_vccnz .LBB129_499
; %bb.1:
	s_load_dword s4, s[38:39], 0x198
	s_mov_b64 s[2:3], 0
	s_mov_b64 s[8:9], s[0:1]
	s_waitcnt lgkmcnt(0)
	s_cmp_lt_i32 s4, 2
	s_cbranch_scc1 .LBB129_9
; %bb.2:
	s_add_i32 s7, s4, 1
	s_add_i32 s2, s4, -1
	s_mov_b32 s4, 0
	s_mov_b32 s3, s4
	s_lshl_b64 s[2:3], s[2:3], 3
	s_add_u32 s2, s38, s2
	s_addc_u32 s3, s39, s3
	s_add_u32 s14, s2, 8
	s_addc_u32 s15, s3, 0
	s_mov_b64 s[2:3], 0
	s_mov_b64 s[16:17], s[0:1]
.LBB129_3:                              ; =>This Inner Loop Header: Depth=1
	s_load_dwordx2 s[18:19], s[14:15], 0x0
	s_waitcnt lgkmcnt(0)
	s_or_b64 s[8:9], s[16:17], s[18:19]
	s_mov_b32 s5, s9
	s_cmp_lg_u64 s[4:5], 0
	s_cbranch_scc0 .LBB129_8
; %bb.4:                                ;   in Loop: Header=BB129_3 Depth=1
	v_cvt_f32_u32_e32 v1, s18
	v_cvt_f32_u32_e32 v2, s19
	s_sub_u32 s5, 0, s18
	s_subb_u32 s13, 0, s19
	v_mac_f32_e32 v1, 0x4f800000, v2
	v_rcp_f32_e32 v1, v1
	v_mul_f32_e32 v1, 0x5f7ffffc, v1
	v_mul_f32_e32 v2, 0x2f800000, v1
	v_trunc_f32_e32 v2, v2
	v_mac_f32_e32 v1, 0xcf800000, v2
	v_cvt_u32_f32_e32 v2, v2
	v_cvt_u32_f32_e32 v1, v1
	v_readfirstlane_b32 s20, v2
	v_readfirstlane_b32 s8, v1
	s_mul_i32 s9, s5, s20
	s_mul_hi_u32 s22, s5, s8
	s_mul_i32 s21, s13, s8
	s_add_i32 s9, s22, s9
	s_mul_i32 s23, s5, s8
	s_add_i32 s9, s9, s21
	s_mul_i32 s22, s8, s9
	s_mul_hi_u32 s24, s8, s23
	s_mul_hi_u32 s21, s8, s9
	s_add_u32 s22, s24, s22
	s_addc_u32 s21, 0, s21
	s_mul_hi_u32 s25, s20, s23
	s_mul_i32 s23, s20, s23
	s_add_u32 s22, s22, s23
	s_mul_hi_u32 s24, s20, s9
	s_addc_u32 s21, s21, s25
	s_addc_u32 s22, s24, 0
	s_mul_i32 s9, s20, s9
	s_add_u32 s9, s21, s9
	s_addc_u32 s21, 0, s22
	s_add_u32 s22, s8, s9
	s_cselect_b64 s[8:9], -1, 0
	s_cmp_lg_u64 s[8:9], 0
	s_addc_u32 s20, s20, s21
	s_mul_i32 s8, s5, s20
	s_mul_hi_u32 s9, s5, s22
	s_add_i32 s8, s9, s8
	s_mul_i32 s13, s13, s22
	s_add_i32 s8, s8, s13
	s_mul_i32 s5, s5, s22
	s_mul_hi_u32 s13, s20, s5
	s_mul_i32 s21, s20, s5
	s_mul_i32 s24, s22, s8
	s_mul_hi_u32 s5, s22, s5
	s_mul_hi_u32 s23, s22, s8
	s_add_u32 s5, s5, s24
	s_addc_u32 s23, 0, s23
	s_add_u32 s5, s5, s21
	s_mul_hi_u32 s9, s20, s8
	s_addc_u32 s5, s23, s13
	s_addc_u32 s9, s9, 0
	s_mul_i32 s8, s20, s8
	s_add_u32 s5, s5, s8
	s_addc_u32 s13, 0, s9
	s_add_u32 s5, s22, s5
	s_cselect_b64 s[8:9], -1, 0
	s_cmp_lg_u64 s[8:9], 0
	s_addc_u32 s8, s20, s13
	s_mul_i32 s13, s16, s8
	s_mul_hi_u32 s20, s16, s5
	s_mul_hi_u32 s9, s16, s8
	s_add_u32 s13, s20, s13
	s_addc_u32 s9, 0, s9
	s_mul_hi_u32 s21, s17, s5
	s_mul_i32 s5, s17, s5
	s_add_u32 s5, s13, s5
	s_mul_hi_u32 s20, s17, s8
	s_addc_u32 s5, s9, s21
	s_addc_u32 s9, s20, 0
	s_mul_i32 s8, s17, s8
	s_add_u32 s5, s5, s8
	s_addc_u32 s13, 0, s9
	s_mul_i32 s8, s18, s13
	s_mul_hi_u32 s9, s18, s5
	s_add_i32 s8, s9, s8
	s_mul_i32 s9, s19, s5
	s_add_i32 s22, s8, s9
	s_sub_i32 s20, s17, s22
	s_mul_i32 s8, s18, s5
	s_sub_u32 s23, s16, s8
	s_cselect_b64 s[8:9], -1, 0
	s_cmp_lg_u64 s[8:9], 0
	s_subb_u32 s24, s20, s19
	s_sub_u32 s25, s23, s18
	s_cselect_b64 s[20:21], -1, 0
	s_cmp_lg_u64 s[20:21], 0
	s_subb_u32 s20, s24, 0
	s_cmp_ge_u32 s20, s19
	s_cselect_b32 s21, -1, 0
	s_cmp_ge_u32 s25, s18
	s_cselect_b32 s24, -1, 0
	s_cmp_eq_u32 s20, s19
	s_cselect_b32 s20, s24, s21
	s_add_u32 s21, s5, 1
	s_addc_u32 s24, s13, 0
	s_add_u32 s25, s5, 2
	s_addc_u32 s28, s13, 0
	s_cmp_lg_u32 s20, 0
	s_cselect_b32 s20, s25, s21
	s_cselect_b32 s21, s28, s24
	s_cmp_lg_u64 s[8:9], 0
	s_subb_u32 s8, s17, s22
	s_cmp_ge_u32 s8, s19
	s_cselect_b32 s9, -1, 0
	s_cmp_ge_u32 s23, s18
	s_cselect_b32 s22, -1, 0
	s_cmp_eq_u32 s8, s19
	s_cselect_b32 s8, s22, s9
	s_cmp_lg_u32 s8, 0
	s_cselect_b32 s9, s21, s13
	s_cselect_b32 s8, s20, s5
	s_cbranch_execnz .LBB129_6
.LBB129_5:                              ;   in Loop: Header=BB129_3 Depth=1
	v_cvt_f32_u32_e32 v1, s18
	s_sub_i32 s5, 0, s18
	v_rcp_iflag_f32_e32 v1, v1
	v_mul_f32_e32 v1, 0x4f7ffffe, v1
	v_cvt_u32_f32_e32 v1, v1
	v_readfirstlane_b32 s8, v1
	s_mul_i32 s5, s5, s8
	s_mul_hi_u32 s5, s8, s5
	s_add_i32 s8, s8, s5
	s_mul_hi_u32 s5, s16, s8
	s_mul_i32 s9, s5, s18
	s_sub_i32 s9, s16, s9
	s_add_i32 s8, s5, 1
	s_sub_i32 s13, s9, s18
	s_cmp_ge_u32 s9, s18
	s_cselect_b32 s5, s8, s5
	s_cselect_b32 s9, s13, s9
	s_add_i32 s8, s5, 1
	s_cmp_ge_u32 s9, s18
	s_cselect_b32 s8, s8, s5
	s_mov_b32 s9, s4
.LBB129_6:                              ;   in Loop: Header=BB129_3 Depth=1
	s_mul_i32 s5, s8, s19
	s_mul_hi_u32 s13, s8, s18
	s_load_dwordx2 s[20:21], s[14:15], 0xc8
	s_add_i32 s5, s13, s5
	s_mul_i32 s13, s9, s18
	s_add_i32 s5, s5, s13
	s_mul_i32 s13, s8, s18
	s_sub_u32 s13, s16, s13
	s_subb_u32 s5, s17, s5
	s_waitcnt lgkmcnt(0)
	s_mul_i32 s5, s20, s5
	s_mul_hi_u32 s16, s20, s13
	s_add_i32 s5, s16, s5
	s_mul_i32 s16, s21, s13
	s_add_i32 s5, s5, s16
	s_mul_i32 s13, s20, s13
	s_add_u32 s2, s13, s2
	s_addc_u32 s3, s5, s3
	s_add_i32 s7, s7, -1
	s_add_u32 s14, s14, -8
	s_addc_u32 s15, s15, -1
	s_cmp_gt_u32 s7, 2
	s_cbranch_scc0 .LBB129_9
; %bb.7:                                ;   in Loop: Header=BB129_3 Depth=1
	s_mov_b64 s[16:17], s[8:9]
	s_branch .LBB129_3
.LBB129_8:                              ;   in Loop: Header=BB129_3 Depth=1
                                        ; implicit-def: $sgpr8_sgpr9
	s_branch .LBB129_5
.LBB129_9:
	s_load_dword s13, s[38:39], 0x360
	s_load_dwordx2 s[14:15], s[38:39], 0xd0
	s_add_u32 s4, s38, 0x1c8
	s_addc_u32 s5, s39, 0
	s_mov_b64 s[34:35], 0
	s_waitcnt lgkmcnt(0)
	s_cmp_lt_i32 s13, 2
	s_mov_b64 s[36:37], s[0:1]
	s_cbranch_scc1 .LBB129_17
; %bb.10:
	s_mov_b32 s16, 0
	s_add_i32 s18, s13, -1
	s_mov_b32 s19, s16
	s_add_i32 s7, s13, 1
	s_lshl_b64 s[18:19], s[18:19], 3
	s_add_u32 s13, s4, s18
	s_addc_u32 s17, s5, s19
	s_add_u32 s18, s13, 8
	s_addc_u32 s19, s17, 0
	s_mov_b64 s[20:21], s[0:1]
.LBB129_11:                             ; =>This Inner Loop Header: Depth=1
	s_load_dwordx2 s[22:23], s[18:19], 0x0
	s_waitcnt lgkmcnt(0)
	s_or_b64 s[24:25], s[20:21], s[22:23]
	s_mov_b32 s17, s25
	s_cmp_lg_u64 s[16:17], 0
	s_cbranch_scc0 .LBB129_16
; %bb.12:                               ;   in Loop: Header=BB129_11 Depth=1
	v_cvt_f32_u32_e32 v1, s22
	v_cvt_f32_u32_e32 v2, s23
	s_sub_u32 s13, 0, s22
	s_subb_u32 s17, 0, s23
	v_mac_f32_e32 v1, 0x4f800000, v2
	v_rcp_f32_e32 v1, v1
	v_mul_f32_e32 v1, 0x5f7ffffc, v1
	v_mul_f32_e32 v2, 0x2f800000, v1
	v_trunc_f32_e32 v2, v2
	v_mac_f32_e32 v1, 0xcf800000, v2
	v_cvt_u32_f32_e32 v2, v2
	v_cvt_u32_f32_e32 v1, v1
	v_readfirstlane_b32 s28, v2
	v_readfirstlane_b32 s24, v1
	s_mul_i32 s25, s13, s28
	s_mul_hi_u32 s30, s13, s24
	s_mul_i32 s29, s17, s24
	s_add_i32 s25, s30, s25
	s_mul_i32 s31, s13, s24
	s_add_i32 s25, s25, s29
	s_mul_i32 s30, s24, s25
	s_mul_hi_u32 s33, s24, s31
	s_mul_hi_u32 s29, s24, s25
	s_add_u32 s30, s33, s30
	s_addc_u32 s29, 0, s29
	s_mul_hi_u32 s36, s28, s31
	s_mul_i32 s31, s28, s31
	s_add_u32 s30, s30, s31
	s_mul_hi_u32 s33, s28, s25
	s_addc_u32 s29, s29, s36
	s_addc_u32 s30, s33, 0
	s_mul_i32 s25, s28, s25
	s_add_u32 s25, s29, s25
	s_addc_u32 s29, 0, s30
	s_add_u32 s30, s24, s25
	s_cselect_b64 s[24:25], -1, 0
	s_cmp_lg_u64 s[24:25], 0
	s_addc_u32 s28, s28, s29
	s_mul_i32 s24, s13, s28
	s_mul_hi_u32 s25, s13, s30
	s_add_i32 s24, s25, s24
	s_mul_i32 s17, s17, s30
	s_add_i32 s24, s24, s17
	s_mul_i32 s13, s13, s30
	s_mul_hi_u32 s25, s28, s13
	s_mul_i32 s29, s28, s13
	s_mul_i32 s33, s30, s24
	s_mul_hi_u32 s13, s30, s13
	s_mul_hi_u32 s31, s30, s24
	s_add_u32 s13, s13, s33
	s_addc_u32 s31, 0, s31
	s_add_u32 s13, s13, s29
	s_mul_hi_u32 s17, s28, s24
	s_addc_u32 s13, s31, s25
	s_addc_u32 s17, s17, 0
	s_mul_i32 s24, s28, s24
	s_add_u32 s13, s13, s24
	s_addc_u32 s17, 0, s17
	s_add_u32 s13, s30, s13
	s_cselect_b64 s[24:25], -1, 0
	s_cmp_lg_u64 s[24:25], 0
	s_addc_u32 s17, s28, s17
	s_mul_i32 s25, s20, s17
	s_mul_hi_u32 s28, s20, s13
	s_mul_hi_u32 s24, s20, s17
	s_add_u32 s25, s28, s25
	s_addc_u32 s24, 0, s24
	s_mul_hi_u32 s29, s21, s13
	s_mul_i32 s13, s21, s13
	s_add_u32 s13, s25, s13
	s_mul_hi_u32 s28, s21, s17
	s_addc_u32 s13, s24, s29
	s_addc_u32 s24, s28, 0
	s_mul_i32 s17, s21, s17
	s_add_u32 s13, s13, s17
	s_addc_u32 s17, 0, s24
	s_mul_i32 s24, s22, s17
	s_mul_hi_u32 s25, s22, s13
	s_add_i32 s24, s25, s24
	s_mul_i32 s25, s23, s13
	s_add_i32 s30, s24, s25
	s_sub_i32 s28, s21, s30
	s_mul_i32 s24, s22, s13
	s_sub_u32 s31, s20, s24
	s_cselect_b64 s[24:25], -1, 0
	s_cmp_lg_u64 s[24:25], 0
	s_subb_u32 s33, s28, s23
	s_sub_u32 s36, s31, s22
	s_cselect_b64 s[28:29], -1, 0
	s_cmp_lg_u64 s[28:29], 0
	s_subb_u32 s28, s33, 0
	s_cmp_ge_u32 s28, s23
	s_cselect_b32 s29, -1, 0
	s_cmp_ge_u32 s36, s22
	s_cselect_b32 s33, -1, 0
	s_cmp_eq_u32 s28, s23
	s_cselect_b32 s28, s33, s29
	s_add_u32 s29, s13, 1
	s_addc_u32 s33, s17, 0
	s_add_u32 s36, s13, 2
	s_addc_u32 s37, s17, 0
	s_cmp_lg_u32 s28, 0
	s_cselect_b32 s28, s36, s29
	s_cselect_b32 s29, s37, s33
	s_cmp_lg_u64 s[24:25], 0
	s_subb_u32 s24, s21, s30
	s_cmp_ge_u32 s24, s23
	s_cselect_b32 s25, -1, 0
	s_cmp_ge_u32 s31, s22
	s_cselect_b32 s30, -1, 0
	s_cmp_eq_u32 s24, s23
	s_cselect_b32 s24, s30, s25
	s_cmp_lg_u32 s24, 0
	s_cselect_b32 s37, s29, s17
	s_cselect_b32 s36, s28, s13
	s_cbranch_execnz .LBB129_14
.LBB129_13:                             ;   in Loop: Header=BB129_11 Depth=1
	v_cvt_f32_u32_e32 v1, s22
	s_sub_i32 s13, 0, s22
	s_mov_b32 s37, s16
	v_rcp_iflag_f32_e32 v1, v1
	v_mul_f32_e32 v1, 0x4f7ffffe, v1
	v_cvt_u32_f32_e32 v1, v1
	v_readfirstlane_b32 s17, v1
	s_mul_i32 s13, s13, s17
	s_mul_hi_u32 s13, s17, s13
	s_add_i32 s17, s17, s13
	s_mul_hi_u32 s13, s20, s17
	s_mul_i32 s24, s13, s22
	s_sub_i32 s24, s20, s24
	s_add_i32 s17, s13, 1
	s_sub_i32 s25, s24, s22
	s_cmp_ge_u32 s24, s22
	s_cselect_b32 s13, s17, s13
	s_cselect_b32 s24, s25, s24
	s_add_i32 s17, s13, 1
	s_cmp_ge_u32 s24, s22
	s_cselect_b32 s36, s17, s13
.LBB129_14:                             ;   in Loop: Header=BB129_11 Depth=1
	s_mul_i32 s13, s36, s23
	s_mul_hi_u32 s17, s36, s22
	s_load_dwordx2 s[24:25], s[18:19], 0xc8
	s_add_i32 s13, s17, s13
	s_mul_i32 s17, s37, s22
	s_add_i32 s13, s13, s17
	s_mul_i32 s17, s36, s22
	s_sub_u32 s17, s20, s17
	s_subb_u32 s13, s21, s13
	s_waitcnt lgkmcnt(0)
	s_mul_i32 s13, s24, s13
	s_mul_hi_u32 s20, s24, s17
	s_add_i32 s13, s20, s13
	s_mul_i32 s20, s25, s17
	s_add_i32 s13, s13, s20
	s_mul_i32 s17, s24, s17
	s_add_u32 s34, s17, s34
	s_addc_u32 s35, s13, s35
	s_add_i32 s7, s7, -1
	s_add_u32 s18, s18, -8
	s_addc_u32 s19, s19, -1
	s_cmp_gt_u32 s7, 2
	s_cbranch_scc0 .LBB129_17
; %bb.15:                               ;   in Loop: Header=BB129_11 Depth=1
	s_mov_b64 s[20:21], s[36:37]
	s_branch .LBB129_11
.LBB129_16:                             ;   in Loop: Header=BB129_11 Depth=1
                                        ; implicit-def: $sgpr36_sgpr37
	s_branch .LBB129_13
.LBB129_17:
	s_load_dword s16, s[38:39], 0x508
	s_load_dwordx2 s[18:19], s[4:5], 0xd0
                                        ; kill: killed $sgpr4 killed $sgpr5
	s_add_u32 s5, s38, 0x370
                                        ; implicit-def: $vgpr57 : SGPR spill to VGPR lane
	s_addc_u32 s13, s39, 0
	s_mov_b64 s[42:43], 0
	s_waitcnt lgkmcnt(0)
	s_cmp_lt_i32 s16, 2
	v_writelane_b32 v57, s18, 0
	v_writelane_b32 v57, s19, 1
	s_cbranch_scc1 .LBB129_25
; %bb.18:
	s_mov_b32 s4, 0
	s_add_i32 s7, s16, 1
	s_add_i32 s16, s16, -1
	s_mov_b32 s17, s4
	s_lshl_b64 s[16:17], s[16:17], 3
	s_add_u32 s5, s5, s16
	s_addc_u32 s13, s13, s17
	s_add_u32 s16, s5, 8
	s_addc_u32 s17, s13, 0
.LBB129_19:                             ; =>This Inner Loop Header: Depth=1
	s_load_dwordx2 s[18:19], s[16:17], 0x0
	s_waitcnt lgkmcnt(0)
	s_or_b64 s[20:21], s[0:1], s[18:19]
	s_mov_b32 s5, s21
	s_cmp_lg_u64 s[4:5], 0
	s_cbranch_scc0 .LBB129_24
; %bb.20:                               ;   in Loop: Header=BB129_19 Depth=1
	v_cvt_f32_u32_e32 v1, s18
	v_cvt_f32_u32_e32 v2, s19
	s_sub_u32 s5, 0, s18
	s_subb_u32 s13, 0, s19
	v_mac_f32_e32 v1, 0x4f800000, v2
	v_rcp_f32_e32 v1, v1
	v_mul_f32_e32 v1, 0x5f7ffffc, v1
	v_mul_f32_e32 v2, 0x2f800000, v1
	v_trunc_f32_e32 v2, v2
	v_mac_f32_e32 v1, 0xcf800000, v2
	v_cvt_u32_f32_e32 v2, v2
	v_cvt_u32_f32_e32 v1, v1
	v_readfirstlane_b32 s22, v2
	v_readfirstlane_b32 s20, v1
	s_mul_i32 s21, s5, s22
	s_mul_hi_u32 s24, s5, s20
	s_mul_i32 s23, s13, s20
	s_add_i32 s21, s24, s21
	s_mul_i32 s25, s5, s20
	s_add_i32 s21, s21, s23
	s_mul_i32 s24, s20, s21
	s_mul_hi_u32 s28, s20, s25
	s_mul_hi_u32 s23, s20, s21
	s_add_u32 s24, s28, s24
	s_addc_u32 s23, 0, s23
	s_mul_hi_u32 s29, s22, s25
	s_mul_i32 s25, s22, s25
	s_add_u32 s24, s24, s25
	s_mul_hi_u32 s28, s22, s21
	s_addc_u32 s23, s23, s29
	s_addc_u32 s24, s28, 0
	s_mul_i32 s21, s22, s21
	s_add_u32 s21, s23, s21
	s_addc_u32 s23, 0, s24
	s_add_u32 s24, s20, s21
	s_cselect_b64 s[20:21], -1, 0
	s_cmp_lg_u64 s[20:21], 0
	s_addc_u32 s22, s22, s23
	s_mul_i32 s20, s5, s22
	s_mul_hi_u32 s21, s5, s24
	s_add_i32 s20, s21, s20
	s_mul_i32 s13, s13, s24
	s_add_i32 s20, s20, s13
	s_mul_i32 s5, s5, s24
	s_mul_hi_u32 s21, s22, s5
	s_mul_i32 s23, s22, s5
	s_mul_i32 s28, s24, s20
	s_mul_hi_u32 s5, s24, s5
	s_mul_hi_u32 s25, s24, s20
	s_add_u32 s5, s5, s28
	s_addc_u32 s25, 0, s25
	s_add_u32 s5, s5, s23
	s_mul_hi_u32 s13, s22, s20
	s_addc_u32 s5, s25, s21
	s_addc_u32 s13, s13, 0
	s_mul_i32 s20, s22, s20
	s_add_u32 s5, s5, s20
	s_addc_u32 s13, 0, s13
	s_add_u32 s5, s24, s5
	s_cselect_b64 s[20:21], -1, 0
	s_cmp_lg_u64 s[20:21], 0
	s_addc_u32 s13, s22, s13
	s_mul_i32 s21, s0, s13
	s_mul_hi_u32 s22, s0, s5
	s_mul_hi_u32 s20, s0, s13
	s_add_u32 s21, s22, s21
	s_addc_u32 s20, 0, s20
	s_mul_hi_u32 s23, s1, s5
	s_mul_i32 s5, s1, s5
	s_add_u32 s5, s21, s5
	s_mul_hi_u32 s22, s1, s13
	s_addc_u32 s5, s20, s23
	s_addc_u32 s20, s22, 0
	s_mul_i32 s13, s1, s13
	s_add_u32 s5, s5, s13
	s_addc_u32 s13, 0, s20
	s_mul_i32 s20, s18, s13
	s_mul_hi_u32 s21, s18, s5
	s_add_i32 s20, s21, s20
	s_mul_i32 s21, s19, s5
	s_add_i32 s24, s20, s21
	s_sub_i32 s22, s1, s24
	s_mul_i32 s20, s18, s5
	s_sub_u32 s25, s0, s20
	s_cselect_b64 s[20:21], -1, 0
	s_cmp_lg_u64 s[20:21], 0
	s_subb_u32 s28, s22, s19
	s_sub_u32 s29, s25, s18
	s_cselect_b64 s[22:23], -1, 0
	s_cmp_lg_u64 s[22:23], 0
	s_subb_u32 s22, s28, 0
	s_cmp_ge_u32 s22, s19
	s_cselect_b32 s23, -1, 0
	s_cmp_ge_u32 s29, s18
	s_cselect_b32 s28, -1, 0
	s_cmp_eq_u32 s22, s19
	s_cselect_b32 s22, s28, s23
	s_add_u32 s23, s5, 1
	s_addc_u32 s28, s13, 0
	s_add_u32 s29, s5, 2
	s_addc_u32 s30, s13, 0
	s_cmp_lg_u32 s22, 0
	s_cselect_b32 s22, s29, s23
	s_cselect_b32 s23, s30, s28
	s_cmp_lg_u64 s[20:21], 0
	s_subb_u32 s20, s1, s24
	s_cmp_ge_u32 s20, s19
	s_cselect_b32 s21, -1, 0
	s_cmp_ge_u32 s25, s18
	s_cselect_b32 s24, -1, 0
	s_cmp_eq_u32 s20, s19
	s_cselect_b32 s20, s24, s21
	s_cmp_lg_u32 s20, 0
	s_cselect_b32 s45, s23, s13
	s_cselect_b32 s44, s22, s5
	s_cbranch_execnz .LBB129_22
.LBB129_21:                             ;   in Loop: Header=BB129_19 Depth=1
	v_cvt_f32_u32_e32 v1, s18
	s_sub_i32 s5, 0, s18
	s_mov_b32 s45, s4
	v_rcp_iflag_f32_e32 v1, v1
	v_mul_f32_e32 v1, 0x4f7ffffe, v1
	v_cvt_u32_f32_e32 v1, v1
	v_readfirstlane_b32 s13, v1
	s_mul_i32 s5, s5, s13
	s_mul_hi_u32 s5, s13, s5
	s_add_i32 s13, s13, s5
	s_mul_hi_u32 s5, s0, s13
	s_mul_i32 s20, s5, s18
	s_sub_i32 s20, s0, s20
	s_add_i32 s13, s5, 1
	s_sub_i32 s21, s20, s18
	s_cmp_ge_u32 s20, s18
	s_cselect_b32 s5, s13, s5
	s_cselect_b32 s20, s21, s20
	s_add_i32 s13, s5, 1
	s_cmp_ge_u32 s20, s18
	s_cselect_b32 s44, s13, s5
.LBB129_22:                             ;   in Loop: Header=BB129_19 Depth=1
	s_mul_i32 s5, s44, s19
	s_mul_hi_u32 s13, s44, s18
	s_load_dwordx2 s[20:21], s[16:17], 0xc8
	s_add_i32 s5, s13, s5
	s_mul_i32 s13, s45, s18
	s_add_i32 s5, s5, s13
	s_mul_i32 s13, s44, s18
	s_sub_u32 s0, s0, s13
	s_subb_u32 s1, s1, s5
	s_waitcnt lgkmcnt(0)
	s_mul_i32 s1, s20, s1
	s_mul_hi_u32 s5, s20, s0
	s_add_i32 s1, s5, s1
	s_mul_i32 s5, s21, s0
	s_add_i32 s1, s1, s5
	s_mul_i32 s0, s20, s0
	s_add_u32 s42, s0, s42
	s_addc_u32 s43, s1, s43
	s_add_i32 s7, s7, -1
	s_add_u32 s16, s16, -8
	s_addc_u32 s17, s17, -1
	s_cmp_gt_u32 s7, 2
	s_cbranch_scc0 .LBB129_26
; %bb.23:                               ;   in Loop: Header=BB129_19 Depth=1
	s_mov_b64 s[0:1], s[44:45]
	s_branch .LBB129_19
.LBB129_24:                             ;   in Loop: Header=BB129_19 Depth=1
                                        ; implicit-def: $sgpr44_sgpr45
	s_branch .LBB129_21
.LBB129_25:
	s_mov_b64 s[44:45], s[0:1]
.LBB129_26:
	s_load_dwordx4 s[28:31], s[38:39], 0x1a0
	s_load_dwordx2 s[16:17], s[38:39], 0x0
	s_load_dwordx2 s[0:1], s[38:39], 0x440
	s_mov_b32 s53, 0
	v_cmp_eq_u32_e64 s[4:5], 0, v0
	s_waitcnt lgkmcnt(0)
	v_writelane_b32 v57, s0, 2
	v_writelane_b32 v57, s1, 3
	s_load_dwordx2 s[0:1], s[38:39], 0x1c8
	s_waitcnt lgkmcnt(0)
	v_writelane_b32 v57, s0, 4
	v_writelane_b32 v57, s1, 5
	s_load_dwordx2 s[0:1], s[38:39], 0x370
	s_waitcnt lgkmcnt(0)
	v_writelane_b32 v57, s0, 6
	v_writelane_b32 v57, s1, 7
	s_mov_b64 s[0:1], exec
	v_writelane_b32 v57, s4, 8
	v_writelane_b32 v57, s5, 9
	s_and_b64 s[4:5], s[0:1], s[4:5]
	s_mov_b64 exec, s[4:5]
	s_cbranch_execz .LBB129_28
; %bb.27:
	v_mov_b32_e32 v1, 0
	v_mov_b32_e32 v3, s28
	;; [unrolled: 1-line block ×4, first 2 shown]
	ds_write_b32 v1, v1 offset:5144
	ds_write_b128 v1, v[1:4] offset:5120
.LBB129_28:
	s_or_b64 exec, exec, s[0:1]
	s_mul_i32 s0, s14, s9
	s_mul_hi_u32 s1, s14, s8
	s_add_i32 s0, s1, s0
	s_mul_i32 s1, s15, s8
	s_add_i32 s7, s0, s1
	s_mul_i32 s8, s14, s8
	v_writelane_b32 v57, s38, 10
	s_load_dword s0, s[38:39], 0x1b0
	s_add_u32 s1, s16, s8
	s_addc_u32 s4, s17, s7
	s_add_u32 s54, s1, s2
	s_addc_u32 s55, s4, s3
	s_waitcnt lgkmcnt(0)
	s_bitcmp1_b32 s0, 0
	v_writelane_b32 v57, s39, 11
	s_cselect_b64 s[0:1], -1, 0
	v_writelane_b32 v57, s0, 12
	v_writelane_b32 v57, s1, 13
	s_xor_b64 s[0:1], s[0:1], -1
	v_writelane_b32 v57, s0, 14
	v_mbcnt_lo_u32_b32 v1, -1, 0
	v_writelane_b32 v57, s1, 15
	v_mbcnt_hi_u32_b32 v35, -1, v1
	v_mad_u64_u32 v[4:5], s[0:1], s26, v0, 0
	v_cmp_gt_u32_e32 vcc, 64, v0
	v_cmp_gt_i32_e64 s[0:1], 4, v35
	v_mov_b32_e32 v6, 0xc00
	s_and_b64 s[0:1], vcc, s[0:1]
	v_mov_b32_e32 v7, 0
	v_writelane_b32 v57, s0, 16
	v_writelane_b32 v57, s1, 17
	v_cmp_gt_u64_e64 s[0:1], s[28:29], v[6:7]
	v_writelane_b32 v57, s0, 18
	s_barrier
	v_writelane_b32 v57, s1, 19
	s_load_dword s0, s[10:11], 0xc
	v_mov_b32_e32 v1, v5
	v_mad_u64_u32 v[1:2], s[4:5], s27, v0, v[1:2]
	v_mov_b32_e32 v2, s55
	s_waitcnt lgkmcnt(0)
	s_and_b32 s33, s0, 0xffff
	s_bfe_u32 s0, s0, 0xa0006
	s_cmp_gt_u32 s33, 63
	s_cselect_b64 s[4:5], -1, 0
	v_writelane_b32 v57, s4, 20
	s_add_u32 s1, s33, -1
	v_writelane_b32 v57, s5, 21
	s_addc_u32 s4, 0, -1
	v_add_co_u32_e32 v12, vcc, s54, v4
	v_writelane_b32 v57, s1, 22
	s_add_u32 s1, s1, s28
	v_mov_b32_e32 v3, 0
	v_addc_co_u32_e32 v13, vcc, v2, v1, vcc
	v_writelane_b32 v57, s1, 23
	v_add_u32_e32 v2, 2, v0
	v_writelane_b32 v57, s4, 24
	s_addc_u32 s1, s4, s29
	v_cmp_gt_u64_e32 vcc, s[28:29], v[2:3]
	v_writelane_b32 v57, s0, 25
	s_cmp_lt_u32 s6, s12
	v_mov_b32_e32 v6, s29
	v_writelane_b32 v57, s1, 26
	s_cselect_b32 s1, 12, 18
	v_cndmask_b32_e32 v7, 0, v6, vcc
	v_mov_b32_e32 v6, s28
	s_add_u32 s4, s10, s1
	v_cndmask_b32_e32 v2, v2, v6, vcc
	v_not_b32_e32 v6, v0
	s_addc_u32 s5, s11, 0
	v_add_co_u32_e32 v6, vcc, v2, v6
	v_writelane_b32 v57, s4, 27
	v_addc_co_u32_e32 v7, vcc, -1, v7, vcc
	v_writelane_b32 v57, s5, 28
	v_cmp_lt_u64_e64 s[4:5], 3, v[6:7]
	v_and_b32_e32 v16, -4, v6
	v_writelane_b32 v57, s4, 29
	v_mov_b32_e32 v17, v7
	v_writelane_b32 v57, s5, 30
	v_cmp_ne_u64_e64 s[4:5], v[6:7], v[16:17]
	s_add_i32 s1, s0, -1
	v_writelane_b32 v57, s4, 31
	v_writelane_b32 v57, s5, 32
	s_bfe_u32 s4, s33, 0x30006
	s_and_b32 s1, s1, 0xffff
	s_cmp_gt_u32 s1, 6
	s_cselect_b64 s[10:11], -1, 0
	v_writelane_b32 v57, s10, 33
	s_and_b32 s62, s0, 0x3f8
	v_writelane_b32 v57, s11, 34
	s_cmp_lg_u32 s4, 0
	v_lshlrev_b32_e32 v14, 2, v0
	v_writelane_b32 v57, s4, 35
	s_cselect_b64 s[0:1], -1, 0
	v_writelane_b32 v57, s0, 36
	v_or_b32_e32 v6, 3, v14
	v_writelane_b32 v57, s1, 37
	s_add_u32 s2, s2, s8
	v_mad_u64_u32 v[18:19], s[0:1], s26, v6, 0
	s_addc_u32 s0, s3, s7
	v_writelane_b32 v57, s2, 38
	s_add_u32 s2, s16, s2
	v_writelane_b32 v57, s16, 39
	v_writelane_b32 v57, s17, 40
	v_or_b32_e32 v11, 2, v14
	v_writelane_b32 v57, s0, 41
	s_addc_u32 s3, s17, s0
	v_mov_b32_e32 v2, v19
	v_mad_u64_u32 v[19:20], s[0:1], s26, v11, 0
	v_mov_b32_e32 v9, s26
	v_mad_u64_u32 v[6:7], s[0:1], s27, v6, v[2:3]
	v_mov_b32_e32 v2, s3
	v_writelane_b32 v57, s2, 42
	v_add_co_u32_e32 v21, vcc, s2, v4
	v_mov_b32_e32 v10, s27
	v_mov_b32_e32 v5, v1
	v_addc_co_u32_e32 v22, vcc, v2, v1, vcc
	v_mov_b32_e32 v1, v20
	v_mad_u64_u32 v[23:24], s[0:1], s26, v14, v[9:10]
	v_mad_u64_u32 v[1:2], s[0:1], s27, v11, v[1:2]
	v_lshlrev_b64 v[7:8], v35, -1
	v_mov_b32_e32 v2, v24
	v_not_b32_e32 v32, v8
	v_mad_u64_u32 v[8:9], s[0:1], s27, v14, v[2:3]
	v_mov_b32_e32 v37, v1
	v_mov_b32_e32 v1, v3
	v_cmp_gt_u64_e64 s[0:1], s[28:29], v[0:1]
	v_writelane_b32 v57, s3, 43
	v_writelane_b32 v57, s0, 44
	;; [unrolled: 1-line block ×3, first 2 shown]
	v_cmp_gt_u32_e64 s[0:1], 2, v0
	v_writelane_b32 v57, s0, 46
	v_writelane_b32 v57, s1, 47
	s_lshl_b64 s[0:1], s[26:27], 2
	v_writelane_b32 v57, s0, 48
	v_writelane_b32 v57, s1, 49
	s_mul_i32 s0, s27, s33
	s_mul_hi_u32 s1, s26, s33
	s_add_i32 s59, s1, s0
	s_mov_b32 s0, 0
	v_writelane_b32 v57, s0, 50
	s_mov_b32 s15, s26
	v_writelane_b32 v57, s59, 51
	v_lshlrev_b32_e32 v2, 2, v35
	s_mov_b32 s20, s27
	v_writelane_b32 v57, s15, 52
	v_and_b32_e32 v34, 0x100, v2
	v_lshrrev_b32_e32 v2, 1, v0
	s_mov_b32 s21, s26
	v_writelane_b32 v57, s20, 53
	v_and_b32_e32 v2, 0x1e0, v2
	s_mov_b32 s22, s27
	v_writelane_b32 v57, s21, 54
	v_or_b32_e32 v39, 0xc00, v2
	s_mov_b32 s23, s26
	v_lshlrev_b64 v[24:25], 2, v[4:5]
	v_mov_b32_e32 v2, 0xc00
	v_mov_b32_e32 v26, s30
	v_writelane_b32 v57, s22, 55
	v_not_b32_e32 v33, v7
	v_mov_b32_e32 v36, v6
	v_mov_b32_e32 v38, v8
	v_cmp_eq_u32_e64 s[64:65], 0, v35
	v_mov_b32_e32 v15, v3
	s_mov_b32 s24, s27
	s_mov_b32 s63, 6
	v_lshl_or_b32 v40, v35, 3, v2
	s_mul_i32 s58, s26, s33
	s_mov_b64 s[74:75], 0
	s_mov_b32 s52, 0xc0c0004
	v_mov_b32_e32 v42, 0x4f800000
	v_mov_b32_e32 v43, 8
	;; [unrolled: 1-line block ×3, first 2 shown]
	v_add_co_u32_e32 v20, vcc, v16, v0
	v_mov_b32_e32 v27, s31
	v_mov_b32_e32 v41, 0
	;; [unrolled: 1-line block ×3, first 2 shown]
	v_writelane_b32 v57, s23, 56
                                        ; implicit-def: $sgpr76_sgpr77
                                        ; implicit-def: $sgpr78_sgpr79
                                        ; implicit-def: $sgpr82_sgpr83
                                        ; implicit-def: $sgpr84_sgpr85
                                        ; implicit-def: $sgpr80_sgpr81
                                        ; implicit-def: $sgpr86_sgpr87
                                        ; implicit-def: $sgpr88_sgpr89
                                        ; implicit-def: $sgpr90_sgpr91
                                        ; implicit-def: $sgpr92_sgpr93
                                        ; implicit-def: $sgpr94_sgpr95
	v_writelane_b32 v57, s24, 57
	s_branch .LBB129_31
.LBB129_29:                             ;   in Loop: Header=BB129_31 Depth=1
	s_or_b64 exec, exec, s[8:9]
	s_andn2_b64 s[0:1], s[94:95], exec
	s_and_b64 s[6:7], s[6:7], exec
	v_mov_b32_e32 v27, v5
	s_or_b64 s[94:95], s[0:1], s[6:7]
	s_andn2_b64 s[92:93], s[92:93], exec
	s_andn2_b64 s[90:91], s[90:91], exec
	;; [unrolled: 1-line block ×4, first 2 shown]
	s_orn2_b64 s[4:5], s[4:5], exec
	v_mov_b32_e32 v26, v4
.LBB129_30:                             ;   in Loop: Header=BB129_31 Depth=1
	s_or_b64 exec, exec, s[2:3]
	s_and_b64 s[0:1], exec, s[4:5]
	s_or_b64 s[74:75], s[0:1], s[74:75]
	s_andn2_b64 s[0:1], s[80:81], exec
	s_and_b64 s[2:3], s[94:95], exec
	s_or_b64 s[80:81], s[0:1], s[2:3]
	s_andn2_b64 s[0:1], s[84:85], exec
	s_and_b64 s[2:3], s[92:93], exec
	;; [unrolled: 3-line block ×5, first 2 shown]
	s_or_b64 s[76:77], s[0:1], s[2:3]
	s_andn2_b64 exec, exec, s[74:75]
	s_cbranch_execz .LBB129_495
.LBB129_31:                             ; =>This Loop Header: Depth=1
                                        ;     Child Loop BB129_36 Depth 2
                                        ;     Child Loop BB129_50 Depth 2
	;; [unrolled: 1-line block ×25, first 2 shown]
	ds_read_b128 v[4:7], v3 offset:5120
	s_waitcnt lgkmcnt(0)
	v_readfirstlane_b32 s3, v5
	v_readfirstlane_b32 s2, v4
	s_cmp_lg_u64 s[2:3], 0
	s_cbranch_scc1 .LBB129_63
; %bb.32:                               ;   in Loop: Header=BB129_31 Depth=1
	v_readlane_b32 s0, v57, 18
	v_readlane_b32 s1, v57, 19
	s_and_b64 vcc, exec, s[0:1]
	s_cbranch_vccz .LBB129_44
; %bb.33:                               ;   in Loop: Header=BB129_31 Depth=1
	s_mov_b64 s[0:1], 0xc01
	v_cmp_gt_u64_e32 vcc, s[0:1], v[6:7]
	s_mov_b64 s[2:3], 0
	s_mov_b64 s[4:5], 0
	s_cbranch_vccz .LBB129_45
; %bb.34:                               ;   in Loop: Header=BB129_31 Depth=1
	v_readlane_b32 s0, v57, 27
	v_readlane_b32 s1, v57, 28
	global_load_ubyte v8, v[12:13], off
	s_mov_b64 s[6:7], 0
	s_nop 2
	global_load_ushort v6, v3, s[0:1]
	s_waitcnt vmcnt(0)
	v_and_b32_e32 v2, 0xffff, v6
	v_add_co_u32_e32 v7, vcc, v0, v2
	v_addc_co_u32_e64 v4, s[0:1], 0, 0, vcc
	v_readlane_b32 s0, v57, 42
	v_readlane_b32 s1, v57, 43
	v_mul_lo_u32 v9, s26, v4
	v_mov_b32_e32 v5, s1
	v_mov_b32_e32 v4, s0
	v_mul_lo_u32 v10, s27, v7
	v_mad_u64_u32 v[4:5], s[0:1], s26, v7, v[4:5]
	v_readfirstlane_b32 s0, v6
	s_and_b32 s1, 0xffff, s0
	s_mul_i32 s0, s27, s1
	s_mul_hi_u32 s4, s26, s1
	v_mov_b32_e32 v7, v1
	v_add3_u32 v5, v10, v5, v9
	s_add_i32 s0, s4, s0
	s_mul_i32 s1, s26, s1
	v_mov_b32_e32 v6, v0
	s_branch .LBB129_36
.LBB129_35:                             ;   in Loop: Header=BB129_36 Depth=2
	s_or_b64 exec, exec, s[8:9]
	v_mov_b32_e32 v8, s0
	v_add_co_u32_e32 v4, vcc, s1, v4
	v_addc_co_u32_e32 v5, vcc, v5, v8, vcc
	s_waitcnt vmcnt(0)
	v_mov_b32_e32 v8, v9
	s_andn2_b64 exec, exec, s[6:7]
	s_cbranch_execz .LBB129_118
.LBB129_36:                             ;   Parent Loop BB129_31 Depth=1
                                        ; =>  This Inner Loop Header: Depth=2
	v_add_co_u32_e32 v6, vcc, v6, v2
	v_addc_co_u32_e32 v7, vcc, 0, v7, vcc
	v_cmp_gt_u64_e64 s[18:19], s[28:29], v[6:7]
	v_cmp_le_u64_e32 vcc, s[28:29], v[6:7]
	s_waitcnt lgkmcnt(0)
	v_mov_b32_e32 v10, 0
	v_mov_b32_e32 v9, 0
	s_and_saveexec_b64 s[4:5], s[18:19]
	s_cbranch_execz .LBB129_38
; %bb.37:                               ;   in Loop: Header=BB129_36 Depth=2
	global_load_ubyte v9, v[4:5], off
.LBB129_38:                             ;   in Loop: Header=BB129_36 Depth=2
	s_or_b64 exec, exec, s[4:5]
	v_and_b32_e32 v11, v8, v44
	v_cmp_eq_u32_sdwa s[4:5], v11, v41 src0_sel:BYTE_0 src1_sel:DWORD
	s_cmp_lg_u64 s[4:5], 0
	s_cselect_b64 s[8:9], -1, 0
	s_and_b64 s[10:11], s[64:65], s[8:9]
	s_and_saveexec_b64 s[8:9], s[10:11]
	s_cbranch_execz .LBB129_42
; %bb.39:                               ;   in Loop: Header=BB129_36 Depth=2
	s_mov_b64 s[12:13], exec
	v_mbcnt_lo_u32_b32 v10, s12, 0
	v_mbcnt_hi_u32_b32 v10, s13, v10
	s_bcnt1_i32_b64 s14, s[4:5]
	v_cmp_eq_u32_e64 s[18:19], 0, v10
                                        ; implicit-def: $vgpr11
	s_and_saveexec_b64 s[10:11], s[18:19]
; %bb.40:                               ;   in Loop: Header=BB129_36 Depth=2
	s_bcnt1_i32_b64 s12, s[12:13]
	s_mul_i32 s12, s14, s12
	v_mov_b32_e32 v11, s12
	ds_add_rtn_u32 v11, v3, v11 offset:5144
; %bb.41:                               ;   in Loop: Header=BB129_36 Depth=2
	s_or_b64 exec, exec, s[10:11]
	s_waitcnt lgkmcnt(0)
	v_readfirstlane_b32 s10, v11
	v_mov_b32_e32 v11, s10
	v_mad_u32_u24 v10, s14, v10, v11
.LBB129_42:                             ;   in Loop: Header=BB129_36 Depth=2
	s_or_b64 exec, exec, s[8:9]
	ds_bpermute_b32 v10, v34, v10
	s_and_b64 s[8:9], exec, vcc
	s_or_b64 s[6:7], s[8:9], s[6:7]
	s_and_saveexec_b64 s[8:9], s[4:5]
	s_cbranch_execz .LBB129_35
; %bb.43:                               ;   in Loop: Header=BB129_36 Depth=2
	v_and_b32_e32 v28, s4, v33
	v_and_b32_e32 v11, s5, v32
	v_bcnt_u32_b32 v28, v28, 0
	v_bcnt_u32_b32 v11, v11, v28
	s_waitcnt lgkmcnt(0)
	v_add_u32_e32 v10, v10, v11
	ds_write_b8 v10, v8
	s_branch .LBB129_35
.LBB129_44:                             ;   in Loop: Header=BB129_31 Depth=1
	s_mov_b64 s[2:3], -1
	s_mov_b64 s[4:5], 0
.LBB129_45:                             ;   in Loop: Header=BB129_31 Depth=1
	s_and_b64 vcc, exec, s[2:3]
	s_cbranch_vccz .LBB129_61
.LBB129_46:                             ;   in Loop: Header=BB129_31 Depth=1
	s_mov_b64 s[2:3], exec
	v_readlane_b32 s0, v57, 44
	v_readlane_b32 s1, v57, 45
	s_and_b64 s[0:1], s[2:3], s[0:1]
	s_mov_b64 exec, s[0:1]
	s_cbranch_execz .LBB129_58
; %bb.47:                               ;   in Loop: Header=BB129_31 Depth=1
	v_readlane_b32 s0, v57, 27
	v_readlane_b32 s1, v57, 28
	s_nop 4
	global_load_ushort v2, v3, s[0:1]
	global_load_ubyte v30, v[12:13], off
	v_mov_b32_e32 v8, v0
	s_waitcnt vmcnt(1)
	v_readfirstlane_b32 s0, v2
	v_add_u32_sdwa v2, v2, v0 dst_sel:DWORD dst_unused:UNUSED_PAD src0_sel:WORD_0 src1_sel:DWORD
	v_cmp_gt_u64_e32 vcc, s[28:29], v[2:3]
	s_and_saveexec_b64 s[6:7], vcc
	s_cbranch_execz .LBB129_57
; %bb.48:                               ;   in Loop: Header=BB129_31 Depth=1
	s_and_b32 s0, s0, 0xffff
	s_cmp_eq_u32 s0, 1
	v_readlane_b32 s8, v57, 29
                                        ; implicit-def: $vgpr8_vgpr9
	s_cselect_b64 s[4:5], -1, 0
	v_readlane_b32 s9, v57, 30
	v_mov_b32_e32 v10, v1
	v_mov_b32_e32 v5, v3
	s_and_b64 s[10:11], s[8:9], s[4:5]
	s_mov_b64 s[4:5], -1
	v_mov_b32_e32 v9, v0
	v_mov_b32_e32 v4, v2
	s_and_saveexec_b64 s[8:9], s[10:11]
	s_cbranch_execz .LBB129_52
; %bb.49:                               ;   in Loop: Header=BB129_31 Depth=1
	v_add_co_u32_e32 v8, vcc, 3, v2
	v_addc_co_u32_e64 v9, s[4:5], 0, 0, vcc
	v_add_co_u32_e32 v6, vcc, 2, v2
	v_addc_co_u32_e64 v7, s[4:5], 0, 0, vcc
	;; [unrolled: 2-line block ×3, first 2 shown]
	v_mov_b32_e32 v29, v17
	v_mov_b32_e32 v11, v9
	s_waitcnt vmcnt(0)
	v_lshlrev_b32_e32 v46, 24, v30
	s_mov_b64 s[10:11], 0
	v_mov_b32_e32 v28, v16
	v_mov_b32_e32 v31, v0
	;; [unrolled: 1-line block ×9, first 2 shown]
.LBB129_50:                             ;   Parent Loop BB129_31 Depth=1
                                        ; =>  This Inner Loop Header: Depth=2
	v_mul_lo_u32 v30, v9, s21
	v_mul_lo_u32 v49, v8, s22
	v_mad_u64_u32 v[47:48], s[4:5], v8, s21, 0
	v_mul_lo_u32 v50, v7, s26
	v_mul_lo_u32 v51, v6, s27
	v_add3_u32 v30, v48, v49, v30
	v_mad_u64_u32 v[48:49], s[4:5], v6, s26, 0
	v_mul_lo_u32 v53, v4, s20
	v_mul_lo_u32 v55, v11, s23
	v_add3_u32 v52, v49, v51, v50
	v_mul_lo_u32 v51, v5, s15
	v_mad_u64_u32 v[49:50], s[4:5], v4, s15, 0
	s_mov_b32 s1, 0xc0c0007
	v_add3_u32 v50, v50, v53, v51
	v_add_co_u32_e32 v49, vcc, s54, v49
	v_mov_b32_e32 v53, s55
	v_addc_co_u32_e32 v50, vcc, v53, v50, vcc
	v_add_co_u32_e32 v51, vcc, s54, v48
	v_addc_co_u32_e32 v52, vcc, v53, v52, vcc
	v_add_co_u32_e32 v47, vcc, s54, v47
	v_addc_co_u32_e32 v48, vcc, v53, v30, vcc
	v_mov_b32_e32 v53, s54
	v_mov_b32_e32 v54, s55
	v_mad_u64_u32 v[53:54], s[4:5], v10, s23, v[53:54]
	v_mul_lo_u32 v30, v10, s24
	v_add_co_u32_e32 v10, vcc, 4, v10
	v_addc_co_u32_e32 v11, vcc, 0, v11, vcc
	v_add3_u32 v54, v55, v54, v30
	global_load_ubyte v30, v[53:54], off
	s_nop 0
	global_load_ubyte v51, v[51:52], off
	s_nop 0
	global_load_ubyte v49, v[49:50], off
	v_add_co_u32_e32 v8, vcc, 4, v8
	global_load_ubyte v47, v[47:48], off
	v_addc_co_u32_e32 v9, vcc, 0, v9, vcc
	v_add_co_u32_e32 v6, vcc, 4, v6
	v_addc_co_u32_e32 v7, vcc, 0, v7, vcc
	v_add_co_u32_e32 v4, vcc, 4, v4
	v_addc_co_u32_e32 v5, vcc, 0, v5, vcc
	v_add_co_u32_e32 v28, vcc, -4, v28
	v_addc_co_u32_e32 v29, vcc, -1, v29, vcc
	v_cmp_eq_u64_e32 vcc, 0, v[28:29]
	s_or_b64 s[10:11], vcc, s[10:11]
	s_waitcnt vmcnt(1)
	v_perm_b32 v50, v49, v51, s52
	v_perm_b32 v46, v46, v49, s1
	s_waitcnt vmcnt(0)
	v_perm_b32 v48, v47, v30, s52
	v_perm_b32 v47, v51, v47, s52
	v_lshl_or_b32 v48, v48, 16, v50
	v_lshl_or_b32 v46, v47, 16, v46
	ds_write_b32 v31, v46
	v_add_u32_e32 v31, 4, v31
	v_mov_b32_e32 v46, v48
	s_andn2_b64 exec, exec, s[10:11]
	s_cbranch_execnz .LBB129_50
; %bb.51:                               ;   in Loop: Header=BB129_31 Depth=1
	s_or_b64 exec, exec, s[10:11]
	v_readlane_b32 s4, v57, 31
	v_add_co_u32_e32 v4, vcc, v2, v16
	v_readlane_b32 s5, v57, 32
	v_addc_co_u32_e32 v5, vcc, 0, v17, vcc
	v_add_co_u32_e32 v8, vcc, -1, v4
	s_orn2_b64 s[4:5], s[4:5], exec
	v_mov_b32_e32 v9, v20
	v_mov_b32_e32 v10, v21
.LBB129_52:                             ;   in Loop: Header=BB129_31 Depth=1
	s_or_b64 exec, exec, s[8:9]
	s_and_saveexec_b64 s[8:9], s[4:5]
	s_cbranch_execz .LBB129_56
; %bb.53:                               ;   in Loop: Header=BB129_31 Depth=1
	v_readlane_b32 s4, v57, 42
	v_readlane_b32 s5, v57, 43
	v_mov_b32_e32 v7, s5
	v_mov_b32_e32 v6, s4
	v_mad_u64_u32 v[6:7], s[4:5], s26, v4, v[6:7]
	v_mul_lo_u32 v2, s26, v5
	v_mul_lo_u32 v8, s27, v4
	s_mul_i32 s10, s27, s0
	s_mul_hi_u32 s11, s26, s0
	s_mov_b64 s[4:5], 0
	s_sub_u32 s1, 0, s0
	v_add3_u32 v7, v8, v7, v2
	s_add_i32 s10, s11, s10
.LBB129_54:                             ;   Parent Loop BB129_31 Depth=1
                                        ; =>  This Inner Loop Header: Depth=2
	global_load_ubyte v2, v[6:7], off
	v_mov_b32_e32 v11, v5
	v_mov_b32_e32 v10, v4
	v_add_co_u32_e32 v4, vcc, s0, v10
	v_addc_co_u32_e32 v5, vcc, 0, v11, vcc
	s_mul_i32 s11, s26, s0
	v_add_co_u32_e32 v6, vcc, s11, v6
	v_mov_b32_e32 v8, s10
	v_addc_co_u32_e32 v7, vcc, v7, v8, vcc
	v_cmp_le_u64_e32 vcc, s[28:29], v[4:5]
	s_waitcnt vmcnt(1)
	ds_write_b8 v9, v30
	v_add_co_u32_e64 v8, s[18:19], s1, v4
	s_or_b64 s[4:5], vcc, s[4:5]
	v_mov_b32_e32 v9, v10
	v_mov_b32_e32 v10, v11
	s_waitcnt vmcnt(0)
	v_mov_b32_e32 v30, v2
	s_andn2_b64 exec, exec, s[4:5]
	s_cbranch_execnz .LBB129_54
; %bb.55:                               ;   in Loop: Header=BB129_31 Depth=1
	s_or_b64 exec, exec, s[4:5]
	v_mov_b32_e32 v30, v2
.LBB129_56:                             ;   in Loop: Header=BB129_31 Depth=1
	s_or_b64 exec, exec, s[8:9]
.LBB129_57:                             ;   in Loop: Header=BB129_31 Depth=1
	s_or_b64 exec, exec, s[6:7]
	s_waitcnt vmcnt(0)
	ds_write_b8 v8, v30
.LBB129_58:                             ;   in Loop: Header=BB129_31 Depth=1
	s_or_b64 exec, exec, s[2:3]
	s_waitcnt lgkmcnt(0)
	s_barrier
	s_mov_b64 s[2:3], exec
	v_readlane_b32 s0, v57, 8
	v_readlane_b32 s1, v57, 9
	s_and_b64 s[0:1], s[2:3], s[0:1]
	s_mov_b64 exec, s[0:1]
; %bb.59:                               ;   in Loop: Header=BB129_31 Depth=1
	v_mov_b32_e32 v4, s28
	v_mov_b32_e32 v5, s29
	ds_write_b64 v3, v[4:5] offset:5120
; %bb.60:                               ;   in Loop: Header=BB129_31 Depth=1
	s_or_b64 exec, exec, s[2:3]
	s_waitcnt lgkmcnt(0)
	s_barrier
	s_mov_b64 s[4:5], -1
.LBB129_61:                             ;   in Loop: Header=BB129_31 Depth=1
	s_mov_b64 s[2:3], 0
	s_and_b64 vcc, exec, s[4:5]
	s_cbranch_vccz .LBB129_63
; %bb.62:                               ;   in Loop: Header=BB129_31 Depth=1
	ds_read_b64 v[4:5], v3 offset:5120
	s_waitcnt lgkmcnt(0)
	v_readfirstlane_b32 s2, v4
.LBB129_63:                             ;   in Loop: Header=BB129_31 Depth=1
	s_cmp_lt_i32 s2, 1
	s_mov_b64 s[4:5], -1
                                        ; implicit-def: $vgpr10_vgpr11
                                        ; implicit-def: $vgpr6_vgpr7
	s_cbranch_scc0 .LBB129_78
; %bb.64:                               ;   in Loop: Header=BB129_31 Depth=1
	v_readlane_b32 s0, v57, 27
	v_readlane_b32 s1, v57, 28
	s_mov_b32 s4, s53
	s_mov_b32 s5, s29
	s_nop 2
	global_load_ushort v2, v3, s[0:1]
	s_waitcnt vmcnt(0)
	v_readfirstlane_b32 s0, v2
	s_and_b32 s0, 0xffff, s0
	s_lshl_b32 s0, s0, 2
	s_cmp_lg_u64 s[4:5], 0
	s_cbranch_scc0 .LBB129_96
; %bb.65:                               ;   in Loop: Header=BB129_31 Depth=1
	v_cvt_f32_u32_e32 v4, s0
	s_sub_u32 s1, 0, s0
	s_subb_u32 s3, 0, 0
	v_mac_f32_e32 v4, 0, v42
	v_rcp_f32_e32 v4, v4
	v_mul_f32_e32 v4, 0x5f7ffffc, v4
	v_mul_f32_e32 v5, 0x2f800000, v4
	v_trunc_f32_e32 v5, v5
	v_mac_f32_e32 v4, 0xcf800000, v5
	v_cvt_u32_f32_e32 v5, v5
	v_cvt_u32_f32_e32 v4, v4
	v_readfirstlane_b32 s6, v5
	v_readfirstlane_b32 s4, v4
	s_mul_i32 s5, s1, s6
	s_mul_hi_u32 s8, s1, s4
	s_mul_i32 s7, s3, s4
	s_add_i32 s5, s8, s5
	s_mul_i32 s9, s1, s4
	s_add_i32 s5, s5, s7
	s_mul_hi_u32 s8, s4, s9
	s_mul_i32 s10, s4, s5
	s_mul_hi_u32 s7, s4, s5
	s_add_u32 s8, s8, s10
	s_addc_u32 s7, 0, s7
	s_mul_hi_u32 s11, s6, s9
	s_mul_i32 s9, s6, s9
	s_add_u32 s8, s8, s9
	s_mul_hi_u32 s10, s6, s5
	s_addc_u32 s7, s7, s11
	s_addc_u32 s8, s10, 0
	s_mul_i32 s5, s6, s5
	s_add_u32 s5, s7, s5
	s_addc_u32 s7, 0, s8
	s_add_u32 s8, s4, s5
	s_cselect_b64 s[4:5], -1, 0
	s_cmp_lg_u64 s[4:5], 0
	s_addc_u32 s6, s6, s7
	s_mul_i32 s4, s1, s6
	s_mul_hi_u32 s5, s1, s8
	s_add_i32 s4, s5, s4
	s_mul_i32 s3, s3, s8
	s_add_i32 s4, s4, s3
	s_mul_i32 s1, s1, s8
	s_mul_hi_u32 s5, s6, s1
	s_mul_i32 s7, s6, s1
	s_mul_i32 s10, s8, s4
	s_mul_hi_u32 s1, s8, s1
	s_mul_hi_u32 s9, s8, s4
	s_add_u32 s1, s1, s10
	s_addc_u32 s9, 0, s9
	s_add_u32 s1, s1, s7
	s_mul_hi_u32 s3, s6, s4
	s_addc_u32 s1, s9, s5
	s_addc_u32 s3, s3, 0
	s_mul_i32 s4, s6, s4
	s_add_u32 s1, s1, s4
	s_addc_u32 s3, 0, s3
	s_add_u32 s1, s8, s1
	s_cselect_b64 s[4:5], -1, 0
	s_cmp_lg_u64 s[4:5], 0
	s_addc_u32 s3, s6, s3
	s_mul_i32 s5, s28, s3
	s_mul_hi_u32 s6, s28, s1
	s_mul_hi_u32 s4, s28, s3
	s_add_u32 s5, s6, s5
	s_addc_u32 s4, 0, s4
	s_mul_hi_u32 s7, s29, s1
	s_mul_i32 s1, s29, s1
	s_add_u32 s1, s5, s1
	s_mul_hi_u32 s6, s29, s3
	s_addc_u32 s1, s4, s7
	s_addc_u32 s4, s6, 0
	s_mul_i32 s3, s29, s3
	s_add_u32 s1, s1, s3
	s_addc_u32 s3, 0, s4
	s_mul_i32 s3, s0, s3
	s_mul_hi_u32 s4, s0, s1
	s_add_i32 s3, s4, s3
	s_mul_i32 s1, s0, s1
	s_sub_u32 s1, s28, s1
	s_cselect_b64 s[4:5], -1, 0
	s_cmp_lg_u64 s[4:5], 0
	s_subb_u32 s3, s29, s3
	s_sub_u32 s6, s1, s0
	s_cselect_b64 s[4:5], -1, 0
	s_cmp_lg_u64 s[4:5], 0
	s_subb_u32 s7, s3, 0
	;; [unrolled: 4-line block ×3, first 2 shown]
	s_cmp_ge_u32 s6, s0
	s_cselect_b32 s5, -1, 0
	s_cmp_eq_u32 s7, 0
	s_cselect_b32 s5, s5, -1
	s_cmp_lg_u32 s5, 0
	s_cselect_b32 s4, s4, s7
	s_cselect_b32 s6, s8, s6
	s_cmp_ge_u32 s1, s0
	s_cselect_b32 s5, -1, 0
	s_cmp_eq_u32 s3, 0
	s_cselect_b32 s5, s5, -1
	s_cmp_lg_u32 s5, 0
	s_cselect_b32 s5, s4, s3
	s_cselect_b32 s4, s6, s1
	s_cbranch_execnz .LBB129_67
.LBB129_66:                             ;   in Loop: Header=BB129_31 Depth=1
	v_cvt_f32_u32_e32 v4, s0
	s_sub_i32 s1, 0, s0
	v_rcp_iflag_f32_e32 v4, v4
	v_mul_f32_e32 v4, 0x4f7ffffe, v4
	v_cvt_u32_f32_e32 v4, v4
	v_readfirstlane_b32 s3, v4
	s_mul_i32 s1, s1, s3
	s_mul_hi_u32 s1, s3, s1
	s_add_i32 s3, s3, s1
	s_mul_hi_u32 s1, s28, s3
	s_mul_i32 s1, s1, s0
	s_sub_i32 s1, s28, s1
	s_sub_i32 s3, s1, s0
	s_cmp_ge_u32 s1, s0
	s_cselect_b32 s1, s3, s1
	s_sub_i32 s3, s1, s0
	s_cmp_ge_u32 s1, s0
	s_cselect_b32 s52, s3, s1
	s_mov_b64 s[4:5], s[52:53]
	s_mov_b32 s52, 0xc0c0004
.LBB129_67:                             ;   in Loop: Header=BB129_31 Depth=1
	s_sub_u32 s6, s28, s4
	s_subb_u32 s7, s29, s5
	v_cmp_gt_u64_e32 vcc, s[6:7], v[14:15]
	v_mov_b32_e32 v4, 0
	v_mov_b32_e32 v6, 0
	;; [unrolled: 1-line block ×4, first 2 shown]
	v_and_b32_e32 v2, 0xffff, v2
	v_mov_b32_e32 v5, 0
	v_mov_b32_e32 v7, 0
	;; [unrolled: 1-line block ×4, first 2 shown]
	s_and_saveexec_b64 s[8:9], vcc
	s_cbranch_execz .LBB129_71
; %bb.68:                               ;   in Loop: Header=BB129_31 Depth=1
	v_readlane_b32 s4, v57, 48
	v_readlane_b32 s5, v57, 49
	v_mul_lo_u32 v4, s5, v2
	v_mul_hi_u32 v5, s4, v2
	v_mul_lo_u32 v46, s4, v2
	v_mov_b32_e32 v28, s54
	v_mov_b32_e32 v31, v15
	s_mov_b64 s[12:13], 0
	v_add_u32_e32 v47, v5, v4
	v_mov_b32_e32 v29, s55
	s_mov_b64 s[14:15], 0
	s_mov_b64 s[38:39], 0
	;; [unrolled: 1-line block ×4, first 2 shown]
	v_mov_b32_e32 v30, v14
.LBB129_69:                             ;   Parent Loop BB129_31 Depth=1
                                        ; =>  This Inner Loop Header: Depth=2
	v_add_co_u32_e32 v4, vcc, v28, v24
	v_addc_co_u32_e32 v5, vcc, v29, v25, vcc
	global_load_ubyte v6, v[4:5], off
	v_add_co_u32_e32 v4, vcc, v28, v23
	v_addc_co_u32_e32 v5, vcc, v29, v38, vcc
	global_load_ubyte v7, v[4:5], off
	;; [unrolled: 3-line block ×4, first 2 shown]
	s_waitcnt vmcnt(3)
	v_and_b32_e32 v5, v44, v6
	v_cmp_eq_u32_e32 vcc, v5, v41
	s_waitcnt vmcnt(2)
	v_and_b32_e32 v5, v44, v7
	v_cmp_eq_u32_e64 s[18:19], v5, v41
	s_waitcnt vmcnt(1)
	v_and_b32_e32 v5, v44, v8
	v_cmp_eq_u32_e64 s[20:21], v5, v41
	s_waitcnt vmcnt(0)
	v_and_b32_e32 v5, v44, v4
	v_cmp_eq_u32_e64 s[22:23], v5, v41
	v_bfe_u32 v5, v6, s63, 2
	v_bfe_u32 v6, v7, s63, 2
	v_cmp_eq_u32_e64 s[24:25], 0, v5
	v_bfe_u32 v7, v8, s63, 2
	s_and_b64 s[4:5], vcc, s[24:25]
	v_cmp_eq_u32_e64 s[24:25], 0, v6
	v_bfe_u32 v4, v4, s63, 2
	s_and_b64 s[10:11], s[18:19], s[24:25]
	v_cmp_eq_u32_e64 s[24:25], 0, v7
	s_and_b64 s[16:17], s[20:21], s[24:25]
	v_cmp_eq_u32_e64 s[24:25], 0, v4
	v_cndmask_b32_e64 v8, 0, 1, s[4:5]
	s_and_b64 s[48:49], s[22:23], s[24:25]
	v_cmp_ne_u32_e64 s[24:25], 0, v8
	v_cndmask_b32_e64 v8, 0, 1, s[10:11]
	s_bcnt1_i32_b64 s1, s[24:25]
	v_cmp_ne_u32_e64 s[24:25], 0, v8
	v_cndmask_b32_e64 v8, 0, 1, s[16:17]
	s_bcnt1_i32_b64 s3, s[24:25]
	;; [unrolled: 3-line block ×3, first 2 shown]
	v_cmp_ne_u32_e64 s[24:25], 0, v8
	s_bcnt1_i32_b64 s5, s[24:25]
	s_add_u32 s1, s1, s46
	s_addc_u32 s10, 0, s47
	s_add_u32 s1, s1, s3
	s_addc_u32 s3, s10, 0
	;; [unrolled: 2-line block ×3, first 2 shown]
	s_add_u32 s46, s1, s5
	v_cmp_eq_u32_e64 s[24:25], 1, v5
	s_addc_u32 s47, s3, 0
	s_and_b64 s[4:5], vcc, s[24:25]
	v_cmp_eq_u32_e64 s[24:25], 1, v6
	s_and_b64 s[10:11], s[18:19], s[24:25]
	v_cmp_eq_u32_e64 s[24:25], 1, v7
	s_and_b64 s[16:17], s[20:21], s[24:25]
	v_cmp_eq_u32_e64 s[24:25], 1, v4
	v_cndmask_b32_e64 v8, 0, 1, s[4:5]
	s_and_b64 s[48:49], s[22:23], s[24:25]
	v_cmp_ne_u32_e64 s[24:25], 0, v8
	v_cndmask_b32_e64 v8, 0, 1, s[10:11]
	s_bcnt1_i32_b64 s1, s[24:25]
	v_cmp_ne_u32_e64 s[24:25], 0, v8
	v_cndmask_b32_e64 v8, 0, 1, s[16:17]
	s_bcnt1_i32_b64 s3, s[24:25]
	;; [unrolled: 3-line block ×3, first 2 shown]
	v_cmp_ne_u32_e64 s[24:25], 0, v8
	s_bcnt1_i32_b64 s5, s[24:25]
	s_add_u32 s1, s1, s40
	s_addc_u32 s10, 0, s41
	s_add_u32 s1, s1, s3
	s_addc_u32 s3, s10, 0
	;; [unrolled: 2-line block ×3, first 2 shown]
	s_add_u32 s40, s1, s5
	v_cmp_eq_u32_e64 s[24:25], 2, v5
	s_addc_u32 s41, s3, 0
	s_and_b64 s[4:5], vcc, s[24:25]
	v_cmp_eq_u32_e64 s[24:25], 2, v6
	s_and_b64 s[10:11], s[18:19], s[24:25]
	v_cmp_eq_u32_e64 s[24:25], 2, v7
	s_and_b64 s[16:17], s[20:21], s[24:25]
	v_cmp_eq_u32_e64 s[24:25], 2, v4
	v_cndmask_b32_e64 v8, 0, 1, s[4:5]
	s_and_b64 s[48:49], s[22:23], s[24:25]
	v_cmp_ne_u32_e64 s[24:25], 0, v8
	v_cndmask_b32_e64 v8, 0, 1, s[10:11]
	s_bcnt1_i32_b64 s1, s[24:25]
	v_cmp_ne_u32_e64 s[24:25], 0, v8
	v_cndmask_b32_e64 v8, 0, 1, s[16:17]
	s_bcnt1_i32_b64 s3, s[24:25]
	;; [unrolled: 3-line block ×3, first 2 shown]
	v_cmp_ne_u32_e64 s[24:25], 0, v8
	s_bcnt1_i32_b64 s5, s[24:25]
	s_add_u32 s1, s1, s38
	s_addc_u32 s10, 0, s39
	s_add_u32 s1, s1, s3
	s_addc_u32 s3, s10, 0
	;; [unrolled: 2-line block ×3, first 2 shown]
	s_add_u32 s38, s1, s5
	v_cmp_eq_u32_e64 s[24:25], 3, v5
	s_addc_u32 s39, s3, 0
	s_and_b64 s[4:5], vcc, s[24:25]
	v_cmp_eq_u32_e32 vcc, 3, v6
	s_and_b64 s[10:11], s[18:19], vcc
	v_cmp_eq_u32_e32 vcc, 3, v7
	s_and_b64 s[16:17], s[20:21], vcc
	v_cmp_eq_u32_e32 vcc, 3, v4
	v_cndmask_b32_e64 v4, 0, 1, s[4:5]
	s_and_b64 s[18:19], s[22:23], vcc
	v_cmp_ne_u32_e32 vcc, 0, v4
	v_cndmask_b32_e64 v4, 0, 1, s[10:11]
	s_bcnt1_i32_b64 s1, vcc
	v_cmp_ne_u32_e32 vcc, 0, v4
	v_cndmask_b32_e64 v4, 0, 1, s[16:17]
	s_bcnt1_i32_b64 s3, vcc
	;; [unrolled: 3-line block ×3, first 2 shown]
	v_cmp_ne_u32_e32 vcc, 0, v4
	s_bcnt1_i32_b64 s5, vcc
	s_add_u32 s1, s1, s14
	s_addc_u32 s10, 0, s15
	s_add_u32 s1, s1, s3
	v_add_co_u32_e32 v30, vcc, s0, v30
	s_addc_u32 s3, s10, 0
	v_addc_co_u32_e32 v31, vcc, 0, v31, vcc
	s_add_u32 s1, s1, s4
	v_add_co_u32_e32 v28, vcc, v28, v46
	s_addc_u32 s3, s3, 0
	v_addc_co_u32_e32 v29, vcc, v29, v47, vcc
	s_add_u32 s14, s1, s5
	v_cmp_le_u64_e32 vcc, s[6:7], v[30:31]
	s_addc_u32 s15, s3, 0
	v_mov_b32_e32 v4, s46
	v_mov_b32_e32 v6, s40
	;; [unrolled: 1-line block ×4, first 2 shown]
	s_or_b64 s[12:13], vcc, s[12:13]
	v_mov_b32_e32 v5, s47
	v_mov_b32_e32 v7, s41
	;; [unrolled: 1-line block ×4, first 2 shown]
	s_andn2_b64 exec, exec, s[12:13]
	s_cbranch_execnz .LBB129_69
; %bb.70:                               ;   in Loop: Header=BB129_31 Depth=1
	s_or_b64 exec, exec, s[12:13]
.LBB129_71:                             ;   in Loop: Header=BB129_31 Depth=1
	s_or_b64 exec, exec, s[8:9]
	v_mov_b32_e32 v29, s7
	v_add_co_u32_e32 v28, vcc, s6, v0
	v_addc_co_u32_e32 v29, vcc, 0, v29, vcc
	v_cmp_gt_u64_e32 vcc, s[28:29], v[28:29]
	s_and_saveexec_b64 s[6:7], vcc
	s_cbranch_execz .LBB129_77
; %bb.72:                               ;   in Loop: Header=BB129_31 Depth=1
	v_mov_b32_e32 v30, s54
	v_mov_b32_e32 v31, s55
	v_mad_u64_u32 v[30:31], s[0:1], v28, s26, v[30:31]
	v_mul_lo_u32 v46, v28, s27
	v_mul_lo_u32 v47, v29, s26
	s_mov_b64 s[4:5], 0
	v_add3_u32 v31, v47, v31, v46
	global_load_ubyte v31, v[30:31], off
	s_branch .LBB129_74
.LBB129_73:                             ;   in Loop: Header=BB129_74 Depth=2
	s_or_b64 exec, exec, s[8:9]
	s_waitcnt vmcnt(0)
	v_and_b32_e32 v31, 0xff, v31
	s_and_b64 s[0:1], exec, vcc
	v_and_b32_e32 v46, v44, v31
	v_bfe_u32 v31, v31, s63, 2
	s_or_b64 s[4:5], s[0:1], s[4:5]
	v_cmp_eq_u32_e32 vcc, v46, v41
	v_cmp_eq_u32_e64 s[18:19], 0, v31
	s_and_b64 s[0:1], vcc, s[18:19]
	v_cndmask_b32_e64 v46, 0, 1, s[0:1]
	v_cmp_ne_u32_e64 s[18:19], 0, v46
	s_bcnt1_i32_b64 s0, s[18:19]
	v_add_co_u32_e64 v4, s[18:19], s0, v4
	v_addc_co_u32_e64 v5, s[18:19], 0, v5, s[18:19]
	v_cmp_eq_u32_e64 s[18:19], 1, v31
	s_and_b64 s[0:1], vcc, s[18:19]
	v_cndmask_b32_e64 v46, 0, 1, s[0:1]
	v_cmp_ne_u32_e64 s[18:19], 0, v46
	s_bcnt1_i32_b64 s0, s[18:19]
	v_add_co_u32_e64 v6, s[18:19], s0, v6
	v_addc_co_u32_e64 v7, s[18:19], 0, v7, s[18:19]
	;; [unrolled: 7-line block ×3, first 2 shown]
	v_cmp_eq_u32_e64 s[18:19], 3, v31
	s_and_b64 s[0:1], vcc, s[18:19]
	v_cndmask_b32_e64 v31, 0, 1, s[0:1]
	v_cmp_ne_u32_e32 vcc, 0, v31
	s_bcnt1_i32_b64 s0, vcc
	v_add_co_u32_e32 v10, vcc, s0, v10
	v_addc_co_u32_e32 v11, vcc, 0, v11, vcc
	v_mov_b32_e32 v31, v30
	s_andn2_b64 exec, exec, s[4:5]
	s_cbranch_execz .LBB129_76
.LBB129_74:                             ;   Parent Loop BB129_31 Depth=1
                                        ; =>  This Inner Loop Header: Depth=2
	v_add_co_u32_e32 v28, vcc, v28, v2
	v_addc_co_u32_e32 v29, vcc, 0, v29, vcc
	v_cmp_gt_u64_e64 s[18:19], s[28:29], v[28:29]
	v_cmp_le_u64_e32 vcc, s[28:29], v[28:29]
	v_mov_b32_e32 v30, 0
	s_and_saveexec_b64 s[8:9], s[18:19]
	s_cbranch_execz .LBB129_73
; %bb.75:                               ;   in Loop: Header=BB129_74 Depth=2
	v_mov_b32_e32 v46, s54
	v_mov_b32_e32 v47, s55
	v_mad_u64_u32 v[46:47], s[0:1], v28, s26, v[46:47]
	v_mul_lo_u32 v30, v28, s27
	v_mul_lo_u32 v48, v29, s26
	v_add3_u32 v47, v48, v47, v30
	global_load_ubyte v30, v[46:47], off
	s_branch .LBB129_73
.LBB129_76:                             ;   in Loop: Header=BB129_31 Depth=1
	s_or_b64 exec, exec, s[4:5]
.LBB129_77:                             ;   in Loop: Header=BB129_31 Depth=1
	s_or_b64 exec, exec, s[6:7]
	s_mov_b64 s[4:5], 0
.LBB129_78:                             ;   in Loop: Header=BB129_31 Depth=1
	s_and_b64 vcc, exec, s[4:5]
	s_cbranch_vccz .LBB129_88
; %bb.79:                               ;   in Loop: Header=BB129_31 Depth=1
	v_readlane_b32 s0, v57, 27
	v_readlane_b32 s1, v57, 28
	v_mov_b32_e32 v8, 0
	v_mov_b32_e32 v9, 0
	s_nop 2
	global_load_ushort v2, v3, s[0:1]
	s_waitcnt vmcnt(0)
	v_readfirstlane_b32 s0, v2
	s_and_b32 s0, 0xffff, s0
	s_lshl_b32 s1, s0, 2
	v_cvt_f32_u32_e32 v4, s1
	s_sub_i32 s3, 0, s1
	v_rcp_iflag_f32_e32 v6, v4
	v_mov_b32_e32 v4, 0
	v_mov_b32_e32 v5, 0
	v_mul_f32_e32 v6, 0x4f7ffffe, v6
	v_cvt_u32_f32_e32 v10, v6
	v_mov_b32_e32 v6, 0
	v_mov_b32_e32 v7, 0
	v_readfirstlane_b32 s4, v10
	s_mul_i32 s3, s3, s4
	s_mul_hi_u32 s3, s4, s3
	s_add_i32 s4, s4, s3
	s_mul_hi_u32 s3, s2, s4
	s_mul_i32 s4, s3, s1
	s_sub_i32 s4, s2, s4
	s_add_i32 s5, s3, 1
	s_sub_i32 s6, s4, s1
	s_cmp_ge_u32 s4, s1
	s_cselect_b32 s3, s5, s3
	s_cselect_b32 s4, s6, s4
	s_add_i32 s5, s3, 1
	s_cmp_ge_u32 s4, s1
	s_cselect_b32 s3, s5, s3
	s_mul_hi_u32 s7, s0, s3
	s_mul_i32 s6, s0, s3
	s_lshl_b64 s[8:9], s[6:7], 2
	v_cmp_gt_u64_e32 vcc, s[8:9], v[14:15]
	v_mov_b32_e32 v10, 0
	v_mov_b32_e32 v11, 0
	s_and_saveexec_b64 s[12:13], vcc
	s_cbranch_execz .LBB129_83
; %bb.80:                               ;   in Loop: Header=BB129_31 Depth=1
	v_mov_b32_e32 v29, v15
	s_mov_b64 s[14:15], 0
	v_mov_b32_e32 v30, v14
	s_mov_b64 s[38:39], 0
	s_mov_b64 s[40:41], 0
	;; [unrolled: 1-line block ×4, first 2 shown]
	v_mov_b32_e32 v28, v14
.LBB129_81:                             ;   Parent Loop BB129_31 Depth=1
                                        ; =>  This Inner Loop Header: Depth=2
	ds_read_b32 v4, v30
	v_add_u32_e32 v30, s1, v30
	s_waitcnt lgkmcnt(0)
	v_and_b32_e32 v6, 0xff, v4
	v_bfe_u32 v7, v4, 8, 8
	v_and_b32_e32 v8, v44, v6
	v_bfe_u32 v6, v6, s63, 2
	v_lshrrev_b32_e32 v5, 24, v4
	v_bfe_u32 v4, v4, 16, 8
	v_cmp_eq_u32_e32 vcc, v8, v41
	v_and_b32_e32 v8, v44, v7
	v_bfe_u32 v7, v7, s63, 2
	v_cmp_eq_u32_e64 s[24:25], 0, v6
	v_cmp_eq_u32_e64 s[18:19], v8, v41
	v_and_b32_e32 v8, v44, v4
	v_bfe_u32 v4, v4, s63, 2
	s_and_b64 s[4:5], vcc, s[24:25]
	v_cmp_eq_u32_e64 s[24:25], 0, v7
	v_cmp_eq_u32_e64 s[20:21], v8, v41
	v_and_b32_e32 v8, v44, v5
	v_bfe_u32 v5, v5, s63, 2
	s_and_b64 s[10:11], s[18:19], s[24:25]
	v_cmp_eq_u32_e64 s[24:25], 0, v4
	v_cmp_eq_u32_e64 s[22:23], v8, v41
	s_and_b64 s[16:17], s[20:21], s[24:25]
	v_cmp_eq_u32_e64 s[24:25], 0, v5
	v_cndmask_b32_e64 v8, 0, 1, s[4:5]
	s_and_b64 s[50:51], s[22:23], s[24:25]
	v_cmp_ne_u32_e64 s[24:25], 0, v8
	v_cndmask_b32_e64 v8, 0, 1, s[10:11]
	s_bcnt1_i32_b64 s3, s[24:25]
	v_cmp_ne_u32_e64 s[24:25], 0, v8
	v_cndmask_b32_e64 v8, 0, 1, s[16:17]
	s_bcnt1_i32_b64 s4, s[24:25]
	;; [unrolled: 3-line block ×3, first 2 shown]
	v_cmp_ne_u32_e64 s[24:25], 0, v8
	s_bcnt1_i32_b64 s7, s[24:25]
	s_add_u32 s3, s3, s48
	s_addc_u32 s10, 0, s49
	s_add_u32 s3, s3, s4
	s_addc_u32 s4, s10, 0
	;; [unrolled: 2-line block ×3, first 2 shown]
	s_add_u32 s48, s3, s7
	v_cmp_eq_u32_e64 s[24:25], 1, v6
	s_addc_u32 s49, s4, 0
	s_and_b64 s[4:5], vcc, s[24:25]
	v_cmp_eq_u32_e64 s[24:25], 1, v7
	s_and_b64 s[10:11], s[18:19], s[24:25]
	v_cmp_eq_u32_e64 s[24:25], 1, v4
	s_and_b64 s[16:17], s[20:21], s[24:25]
	v_cmp_eq_u32_e64 s[24:25], 1, v5
	v_cndmask_b32_e64 v8, 0, 1, s[4:5]
	s_and_b64 s[50:51], s[22:23], s[24:25]
	v_cmp_ne_u32_e64 s[24:25], 0, v8
	v_cndmask_b32_e64 v8, 0, 1, s[10:11]
	s_bcnt1_i32_b64 s3, s[24:25]
	v_cmp_ne_u32_e64 s[24:25], 0, v8
	v_cndmask_b32_e64 v8, 0, 1, s[16:17]
	s_bcnt1_i32_b64 s4, s[24:25]
	;; [unrolled: 3-line block ×3, first 2 shown]
	v_cmp_ne_u32_e64 s[24:25], 0, v8
	s_bcnt1_i32_b64 s7, s[24:25]
	s_add_u32 s3, s3, s46
	s_addc_u32 s10, 0, s47
	s_add_u32 s3, s3, s4
	s_addc_u32 s4, s10, 0
	;; [unrolled: 2-line block ×3, first 2 shown]
	s_add_u32 s46, s3, s7
	v_cmp_eq_u32_e64 s[24:25], 2, v6
	s_addc_u32 s47, s4, 0
	s_and_b64 s[4:5], vcc, s[24:25]
	v_cmp_eq_u32_e64 s[24:25], 2, v7
	s_and_b64 s[10:11], s[18:19], s[24:25]
	v_cmp_eq_u32_e64 s[24:25], 2, v4
	s_and_b64 s[16:17], s[20:21], s[24:25]
	v_cmp_eq_u32_e64 s[24:25], 2, v5
	v_cndmask_b32_e64 v8, 0, 1, s[4:5]
	s_and_b64 s[50:51], s[22:23], s[24:25]
	v_cmp_ne_u32_e64 s[24:25], 0, v8
	v_cndmask_b32_e64 v8, 0, 1, s[10:11]
	s_bcnt1_i32_b64 s3, s[24:25]
	v_cmp_ne_u32_e64 s[24:25], 0, v8
	v_cndmask_b32_e64 v8, 0, 1, s[16:17]
	s_bcnt1_i32_b64 s4, s[24:25]
	;; [unrolled: 3-line block ×3, first 2 shown]
	v_cmp_ne_u32_e64 s[24:25], 0, v8
	s_bcnt1_i32_b64 s7, s[24:25]
	s_add_u32 s3, s3, s40
	s_addc_u32 s10, 0, s41
	s_add_u32 s3, s3, s4
	s_addc_u32 s4, s10, 0
	;; [unrolled: 2-line block ×3, first 2 shown]
	s_add_u32 s40, s3, s7
	v_cmp_eq_u32_e64 s[24:25], 3, v6
	s_addc_u32 s41, s4, 0
	s_and_b64 s[4:5], vcc, s[24:25]
	v_cmp_eq_u32_e32 vcc, 3, v7
	s_and_b64 s[10:11], s[18:19], vcc
	v_cmp_eq_u32_e32 vcc, 3, v4
	s_and_b64 s[16:17], s[20:21], vcc
	v_cmp_eq_u32_e32 vcc, 3, v5
	v_cndmask_b32_e64 v4, 0, 1, s[4:5]
	s_and_b64 s[18:19], s[22:23], vcc
	v_cmp_ne_u32_e32 vcc, 0, v4
	v_cndmask_b32_e64 v4, 0, 1, s[10:11]
	s_bcnt1_i32_b64 s3, vcc
	v_cmp_ne_u32_e32 vcc, 0, v4
	v_cndmask_b32_e64 v4, 0, 1, s[16:17]
	s_bcnt1_i32_b64 s4, vcc
	;; [unrolled: 3-line block ×3, first 2 shown]
	v_cmp_ne_u32_e32 vcc, 0, v4
	s_bcnt1_i32_b64 s7, vcc
	s_add_u32 s3, s3, s38
	s_addc_u32 s10, 0, s39
	s_add_u32 s3, s3, s4
	s_addc_u32 s4, s10, 0
	s_add_u32 s3, s3, s5
	v_add_co_u32_e32 v28, vcc, s1, v28
	s_addc_u32 s4, s4, 0
	v_addc_co_u32_e32 v29, vcc, 0, v29, vcc
	s_add_u32 s38, s3, s7
	v_cmp_le_u64_e32 vcc, s[8:9], v[28:29]
	s_addc_u32 s39, s4, 0
	v_mov_b32_e32 v4, s48
	v_mov_b32_e32 v6, s46
	;; [unrolled: 1-line block ×4, first 2 shown]
	s_or_b64 s[14:15], vcc, s[14:15]
	v_mov_b32_e32 v5, s49
	v_mov_b32_e32 v7, s47
	;; [unrolled: 1-line block ×4, first 2 shown]
	s_andn2_b64 exec, exec, s[14:15]
	s_cbranch_execnz .LBB129_81
; %bb.82:                               ;   in Loop: Header=BB129_31 Depth=1
	s_or_b64 exec, exec, s[14:15]
.LBB129_83:                             ;   in Loop: Header=BB129_31 Depth=1
	s_or_b64 exec, exec, s[12:13]
	v_mov_b32_e32 v29, s9
	v_add_co_u32_e32 v28, vcc, s8, v0
	s_and_b32 s52, s2, 0x7fffffff
	v_addc_co_u32_e32 v29, vcc, 0, v29, vcc
	v_cmp_gt_u64_e32 vcc, s[52:53], v[28:29]
	s_and_saveexec_b64 s[2:3], vcc
	s_cbranch_execz .LBB129_87
; %bb.84:                               ;   in Loop: Header=BB129_31 Depth=1
	v_lshl_add_u32 v30, s6, 2, v0
	s_mov_b64 s[6:7], 0
.LBB129_85:                             ;   Parent Loop BB129_31 Depth=1
                                        ; =>  This Inner Loop Header: Depth=2
	ds_read_u8 v31, v30
	v_add_u32_e32 v30, s0, v30
	s_waitcnt lgkmcnt(0)
	v_and_b32_e32 v46, v44, v31
	v_bfe_u32 v31, v31, s63, 2
	v_cmp_eq_u32_e32 vcc, v46, v41
	v_cmp_eq_u32_e64 s[18:19], 0, v31
	s_and_b64 s[4:5], vcc, s[18:19]
	v_cndmask_b32_e64 v46, 0, 1, s[4:5]
	v_cmp_ne_u32_e64 s[18:19], 0, v46
	s_bcnt1_i32_b64 s1, s[18:19]
	v_add_co_u32_e64 v4, s[18:19], s1, v4
	v_addc_co_u32_e64 v5, s[18:19], 0, v5, s[18:19]
	v_cmp_eq_u32_e64 s[18:19], 1, v31
	s_and_b64 s[4:5], vcc, s[18:19]
	v_cndmask_b32_e64 v46, 0, 1, s[4:5]
	v_cmp_ne_u32_e64 s[18:19], 0, v46
	s_bcnt1_i32_b64 s1, s[18:19]
	v_add_co_u32_e64 v6, s[18:19], s1, v6
	v_addc_co_u32_e64 v7, s[18:19], 0, v7, s[18:19]
	;; [unrolled: 7-line block ×3, first 2 shown]
	v_cmp_eq_u32_e64 s[18:19], 3, v31
	s_and_b64 s[4:5], vcc, s[18:19]
	v_cndmask_b32_e64 v31, 0, 1, s[4:5]
	v_cmp_ne_u32_e32 vcc, 0, v31
	s_bcnt1_i32_b64 s1, vcc
	v_add_co_u32_e32 v10, vcc, s1, v10
	v_addc_co_u32_e32 v11, vcc, 0, v11, vcc
	v_add_co_u32_sdwa v28, vcc, v28, v2 dst_sel:DWORD dst_unused:UNUSED_PAD src0_sel:DWORD src1_sel:WORD_0
	v_addc_co_u32_e32 v29, vcc, 0, v29, vcc
	v_cmp_le_u64_e32 vcc, s[52:53], v[28:29]
	s_or_b64 s[6:7], vcc, s[6:7]
	s_andn2_b64 exec, exec, s[6:7]
	s_cbranch_execnz .LBB129_85
; %bb.86:                               ;   in Loop: Header=BB129_31 Depth=1
	s_or_b64 exec, exec, s[6:7]
.LBB129_87:                             ;   in Loop: Header=BB129_31 Depth=1
	s_or_b64 exec, exec, s[2:3]
	s_mov_b32 s52, 0xc0c0004
.LBB129_88:                             ;   in Loop: Header=BB129_31 Depth=1
	v_readlane_b32 s0, v57, 50
	s_lshl_b32 s0, s0, 6
	s_and_saveexec_b64 s[2:3], s[64:65]
	s_cbranch_execz .LBB129_90
; %bb.89:                               ;   in Loop: Header=BB129_31 Depth=1
	v_lshl_add_u32 v2, s0, 3, v39
	ds_write_b128 v2, v[4:7]
	ds_write_b128 v2, v[8:11] offset:16
.LBB129_90:                             ;   in Loop: Header=BB129_31 Depth=1
	s_or_b64 exec, exec, s[2:3]
	s_waitcnt lgkmcnt(0)
	s_barrier
	s_mov_b64 s[2:3], exec
	v_readlane_b32 s4, v57, 16
	v_readlane_b32 s5, v57, 17
	s_and_b64 s[4:5], s[2:3], s[4:5]
	s_mov_b64 exec, s[4:5]
	s_cbranch_execz .LBB129_102
; %bb.91:                               ;   in Loop: Header=BB129_31 Depth=1
	v_readlane_b32 s4, v57, 20
	v_mov_b32_e32 v4, 0
	v_readlane_b32 s5, v57, 21
	v_mov_b32_e32 v5, 0
	s_andn2_b64 vcc, exec, s[4:5]
	s_cbranch_vccnz .LBB129_101
; %bb.92:                               ;   in Loop: Header=BB129_31 Depth=1
	v_readlane_b32 s4, v57, 33
	v_readlane_b32 s5, v57, 34
	s_andn2_b64 vcc, exec, s[4:5]
	s_cbranch_vccnz .LBB129_97
; %bb.93:                               ;   in Loop: Header=BB129_31 Depth=1
	v_readlane_b32 s1, v57, 50
	v_mov_b32_e32 v4, 0
	v_lshl_add_u32 v2, s1, 9, v40
	v_mov_b32_e32 v5, 0
	s_mov_b32 s1, 0
.LBB129_94:                             ;   Parent Loop BB129_31 Depth=1
                                        ; =>  This Inner Loop Header: Depth=2
	ds_read2_b64 v[6:9], v2 offset1:4
	s_add_i32 s1, s1, 8
	s_cmp_eq_u32 s62, s1
	s_waitcnt lgkmcnt(0)
	v_add_co_u32_e32 v4, vcc, v6, v4
	v_addc_co_u32_e32 v5, vcc, v7, v5, vcc
	v_add_co_u32_e32 v8, vcc, v8, v4
	v_addc_co_u32_e32 v9, vcc, v9, v5, vcc
	ds_read2_b64 v[4:7], v2 offset0:8 offset1:12
	s_waitcnt lgkmcnt(0)
	v_add_co_u32_e32 v4, vcc, v4, v8
	v_addc_co_u32_e32 v5, vcc, v5, v9, vcc
	v_add_co_u32_e32 v8, vcc, v6, v4
	v_addc_co_u32_e32 v9, vcc, v7, v5, vcc
	ds_read2_b64 v[4:7], v2 offset0:16 offset1:20
	;; [unrolled: 6-line block ×3, first 2 shown]
	v_add_u32_e32 v2, 0x100, v2
	s_waitcnt lgkmcnt(0)
	v_add_co_u32_e32 v4, vcc, v4, v8
	v_addc_co_u32_e32 v5, vcc, v5, v9, vcc
	v_add_co_u32_e32 v4, vcc, v6, v4
	v_addc_co_u32_e32 v5, vcc, v7, v5, vcc
	s_cbranch_scc0 .LBB129_94
; %bb.95:                               ;   in Loop: Header=BB129_31 Depth=1
	s_mov_b32 s1, s62
	s_branch .LBB129_98
.LBB129_96:                             ;   in Loop: Header=BB129_31 Depth=1
                                        ; implicit-def: $sgpr4_sgpr5
	s_branch .LBB129_66
.LBB129_97:                             ;   in Loop: Header=BB129_31 Depth=1
	v_mov_b32_e32 v4, 0
	v_mov_b32_e32 v5, 0
	s_mov_b32 s1, 0
.LBB129_98:                             ;   in Loop: Header=BB129_31 Depth=1
	v_readlane_b32 s4, v57, 36
	v_readlane_b32 s5, v57, 37
	s_andn2_b64 vcc, exec, s[4:5]
	s_cbranch_vccnz .LBB129_101
; %bb.99:                               ;   in Loop: Header=BB129_31 Depth=1
	v_readlane_b32 s4, v57, 50
	s_lshl_b32 s4, s4, 9
	s_lshl_b32 s1, s1, 5
	s_add_i32 s4, s4, s1
	v_add_u32_e32 v2, s4, v40
	v_readlane_b32 s1, v57, 35
.LBB129_100:                            ;   Parent Loop BB129_31 Depth=1
                                        ; =>  This Inner Loop Header: Depth=2
	ds_read_b64 v[6:7], v2
	s_add_i32 s1, s1, -1
	v_add_u32_e32 v2, 32, v2
	s_cmp_lg_u32 s1, 0
	s_waitcnt lgkmcnt(0)
	v_add_co_u32_e32 v4, vcc, v6, v4
	v_addc_co_u32_e32 v5, vcc, v7, v5, vcc
	s_cbranch_scc1 .LBB129_100
.LBB129_101:                            ;   in Loop: Header=BB129_31 Depth=1
	v_add_lshl_u32 v2, s0, v35, 3
	ds_write_b64 v2, v[4:5] offset:3072
.LBB129_102:                            ;   in Loop: Header=BB129_31 Depth=1
	s_or_b64 exec, exec, s[2:3]
	s_lshl_b32 s0, s0, 3
	v_mov_b32_e32 v2, s0
	s_waitcnt lgkmcnt(0)
	s_barrier
	ds_read_b128 v[4:7], v2 offset:3072
	ds_read_b128 v[8:11], v2 offset:3088
	v_readlane_b32 s4, v57, 14
	s_lshl_b32 s0, 3, s63
	v_cmp_eq_u64_e64 s[18:19], 1, v[26:27]
	v_readlane_b32 s5, v57, 15
	s_waitcnt lgkmcnt(1)
	v_readfirstlane_b32 s23, v5
	v_readfirstlane_b32 s22, v4
	;; [unrolled: 1-line block ×4, first 2 shown]
	s_waitcnt lgkmcnt(0)
	v_readfirstlane_b32 s49, v9
	v_readfirstlane_b32 s48, v8
	;; [unrolled: 1-line block ×4, first 2 shown]
	s_not_b32 s1, s0
	s_mov_b64 s[2:3], -1
	s_mov_b64 s[24:25], 0
	s_andn2_b64 vcc, exec, s[4:5]
	s_mov_b64 s[40:41], 0
	s_mov_b64 s[20:21], 0
                                        ; implicit-def: $sgpr14_sgpr15
                                        ; implicit-def: $sgpr12_sgpr13
                                        ; implicit-def: $vgpr4_vgpr5
                                        ; implicit-def: $vgpr2
                                        ; implicit-def: $vgpr11
                                        ; implicit-def: $vgpr10
                                        ; implicit-def: $vgpr8
	s_cbranch_vccnz .LBB129_298
; %bb.103:                              ;   in Loop: Header=BB129_31 Depth=1
	s_cmp_eq_u64 s[22:23], 1
	s_cselect_b64 s[2:3], -1, 0
	s_and_b64 s[6:7], s[2:3], s[18:19]
	s_mov_b64 s[4:5], -1
	v_mov_b32_e32 v11, v41
	v_mov_b32_e32 v10, v44
	;; [unrolled: 1-line block ×3, first 2 shown]
                                        ; implicit-def: $sgpr12_sgpr13
                                        ; implicit-def: $sgpr14_sgpr15
	s_and_saveexec_b64 s[2:3], s[6:7]
	s_cbranch_execz .LBB129_138
; %bb.104:                              ;   in Loop: Header=BB129_31 Depth=1
	ds_read_b64 v[4:5], v3 offset:5120
	s_waitcnt lgkmcnt(0)
	s_barrier
	v_readfirstlane_b32 s10, v4
	v_readfirstlane_b32 s11, v5
	s_mov_b64 s[4:5], exec
	v_readlane_b32 s8, v57, 46
	v_readlane_b32 s9, v57, 47
	s_and_b64 s[8:9], s[4:5], s[8:9]
	s_mov_b64 exec, s[8:9]
; %bb.105:                              ;   in Loop: Header=BB129_31 Depth=1
	ds_write_b8 v0, v3 offset:3072
; %bb.106:                              ;   in Loop: Header=BB129_31 Depth=1
	s_or_b64 exec, exec, s[4:5]
	v_and_b32_e32 v11, s1, v41
	v_or_b32_e32 v10, s0, v44
	s_mov_b64 s[14:15], -1
	s_mov_b64 s[12:13], 0
	s_cmp_eq_u64 s[10:11], 0
	s_mov_b64 s[8:9], 0
	s_mov_b64 s[4:5], -1
	s_waitcnt lgkmcnt(0)
	s_barrier
                                        ; implicit-def: $vgpr8
	s_cbranch_scc1 .LBB129_123
; %bb.107:                              ;   in Loop: Header=BB129_31 Depth=1
	v_readlane_b32 s4, v57, 22
	s_add_u32 s20, s10, s4
	v_readlane_b32 s4, v57, 24
	s_addc_u32 s9, s11, s4
	s_mov_b32 s8, s53
	s_cmp_lg_u64 s[8:9], 0
	s_cbranch_scc0 .LBB129_164
; %bb.108:                              ;   in Loop: Header=BB129_31 Depth=1
	v_cvt_f32_u32_e32 v2, s33
	s_sub_u32 s8, 0, s33
	s_subb_u32 s16, 0, 0
	v_mac_f32_e32 v2, 0, v42
	v_rcp_f32_e32 v2, v2
	v_mul_f32_e32 v2, 0x5f7ffffc, v2
	v_mul_f32_e32 v4, 0x2f800000, v2
	v_trunc_f32_e32 v4, v4
	v_mac_f32_e32 v2, 0xcf800000, v4
	v_cvt_u32_f32_e32 v4, v4
	v_cvt_u32_f32_e32 v2, v2
	v_readfirstlane_b32 s17, v4
	v_readfirstlane_b32 s4, v2
	s_mul_i32 s5, s8, s17
	s_mul_hi_u32 s38, s8, s4
	s_mul_i32 s21, s16, s4
	s_add_i32 s5, s38, s5
	s_mul_i32 s39, s8, s4
	s_add_i32 s5, s5, s21
	s_mul_hi_u32 s38, s4, s39
	s_mul_i32 s40, s4, s5
	s_mul_hi_u32 s21, s4, s5
	s_add_u32 s38, s38, s40
	s_addc_u32 s21, 0, s21
	s_mul_hi_u32 s41, s17, s39
	s_mul_i32 s39, s17, s39
	s_add_u32 s38, s38, s39
	s_mul_hi_u32 s40, s17, s5
	s_addc_u32 s21, s21, s41
	s_addc_u32 s38, s40, 0
	s_mul_i32 s5, s17, s5
	s_add_u32 s5, s21, s5
	s_addc_u32 s21, 0, s38
	s_add_u32 s38, s4, s5
	s_cselect_b64 s[4:5], -1, 0
	s_cmp_lg_u64 s[4:5], 0
	s_addc_u32 s17, s17, s21
	s_mul_i32 s4, s8, s17
	s_mul_hi_u32 s5, s8, s38
	s_add_i32 s4, s5, s4
	s_mul_i32 s16, s16, s38
	s_add_i32 s4, s4, s16
	s_mul_i32 s8, s8, s38
	s_mul_hi_u32 s16, s17, s8
	s_mul_i32 s21, s17, s8
	s_mul_i32 s40, s38, s4
	s_mul_hi_u32 s8, s38, s8
	s_mul_hi_u32 s39, s38, s4
	s_add_u32 s8, s8, s40
	s_addc_u32 s39, 0, s39
	s_add_u32 s8, s8, s21
	s_mul_hi_u32 s5, s17, s4
	s_addc_u32 s8, s39, s16
	s_addc_u32 s5, s5, 0
	s_mul_i32 s4, s17, s4
	s_add_u32 s4, s8, s4
	s_addc_u32 s8, 0, s5
	s_add_u32 s16, s38, s4
	s_cselect_b64 s[4:5], -1, 0
	s_cmp_lg_u64 s[4:5], 0
	s_addc_u32 s4, s17, s8
	s_mul_i32 s8, s20, s4
	s_mul_hi_u32 s17, s20, s16
	s_mul_hi_u32 s5, s20, s4
	s_add_u32 s8, s17, s8
	s_addc_u32 s5, 0, s5
	s_mul_hi_u32 s21, s9, s16
	s_mul_i32 s16, s9, s16
	s_add_u32 s8, s8, s16
	s_mul_hi_u32 s17, s9, s4
	s_addc_u32 s5, s5, s21
	s_addc_u32 s8, s17, 0
	s_mul_i32 s4, s9, s4
	s_add_u32 s4, s5, s4
	s_addc_u32 s5, 0, s8
	s_mul_i32 s5, s33, s5
	s_mul_hi_u32 s8, s33, s4
	s_add_i32 s8, s8, s5
	s_mul_i32 s4, s33, s4
	s_sub_u32 s16, s20, s4
	s_cselect_b64 s[4:5], -1, 0
	s_cmp_lg_u64 s[4:5], 0
	s_subb_u32 s8, s9, s8
	s_sub_u32 s17, s16, s33
	s_cselect_b64 s[4:5], -1, 0
	s_cmp_lg_u64 s[4:5], 0
	s_subb_u32 s21, s8, 0
	;; [unrolled: 4-line block ×3, first 2 shown]
	s_cmp_ge_u32 s17, s33
	s_cselect_b32 s5, -1, 0
	s_cmp_eq_u32 s21, 0
	s_cselect_b32 s5, s5, -1
	s_cmp_lg_u32 s5, 0
	s_cselect_b32 s4, s4, s21
	s_cselect_b32 s17, s38, s17
	s_cmp_ge_u32 s16, s33
	s_cselect_b32 s5, -1, 0
	s_cmp_eq_u32 s8, 0
	s_cselect_b32 s5, s5, -1
	s_cmp_lg_u32 s5, 0
	s_cselect_b32 s5, s4, s8
	s_cselect_b32 s4, s17, s16
	s_cbranch_execnz .LBB129_110
.LBB129_109:                            ;   in Loop: Header=BB129_31 Depth=1
	v_cvt_f32_u32_e32 v2, s33
	s_sub_i32 s4, 0, s33
	v_rcp_iflag_f32_e32 v2, v2
	v_mul_f32_e32 v2, 0x4f7ffffe, v2
	v_cvt_u32_f32_e32 v2, v2
	v_readfirstlane_b32 s5, v2
	s_mul_i32 s4, s4, s5
	s_mul_hi_u32 s4, s5, s4
	s_add_i32 s5, s5, s4
	s_mul_hi_u32 s4, s20, s5
	s_mul_i32 s4, s4, s33
	s_sub_i32 s4, s20, s4
	s_sub_i32 s5, s4, s33
	s_cmp_ge_u32 s4, s33
	s_cselect_b32 s4, s5, s4
	s_sub_i32 s5, s4, s33
	s_cmp_ge_u32 s4, s33
	s_cselect_b32 s52, s5, s4
	s_mov_b64 s[4:5], s[52:53]
	s_mov_b32 s52, 0xc0c0004
.LBB129_110:                            ;   in Loop: Header=BB129_31 Depth=1
	s_sub_u32 s20, s20, s4
	s_subb_u32 s21, s9, s5
	v_cmp_gt_u64_e32 vcc, s[20:21], v[0:1]
	s_mov_b64 s[4:5], 0
	s_mov_b64 s[8:9], 0
                                        ; implicit-def: $vgpr8
	s_and_saveexec_b64 s[16:17], vcc
	s_cbranch_execz .LBB129_122
; %bb.111:                              ;   in Loop: Header=BB129_31 Depth=1
	v_mov_b32_e32 v5, v1
	v_mov_b32_e32 v2, v0
	;; [unrolled: 1-line block ×3, first 2 shown]
                                        ; implicit-def: $sgpr38_sgpr39
	s_branch .LBB129_114
.LBB129_112:                            ;   in Loop: Header=BB129_114 Depth=2
	s_or_b64 exec, exec, s[40:41]
	s_waitcnt lgkmcnt(0)
	s_barrier
	ds_read_u16 v6, v3 offset:3072
	s_mov_b64 s[40:41], -1
	s_waitcnt lgkmcnt(0)
	s_barrier
	v_cmp_ne_u32_sdwa s[56:57], v6, v3 src0_sel:BYTE_0 src1_sel:DWORD
	s_and_b64 vcc, exec, s[56:57]
	s_mov_b64 s[56:57], -1
	s_cbranch_vccz .LBB129_117
.LBB129_113:                            ;   in Loop: Header=BB129_114 Depth=2
	s_and_b64 s[40:41], exec, s[40:41]
	s_or_b64 s[8:9], s[40:41], s[8:9]
	s_andn2_b64 s[38:39], s[38:39], exec
	s_and_b64 s[40:41], s[56:57], exec
	s_or_b64 s[38:39], s[38:39], s[40:41]
	s_andn2_b64 exec, exec, s[8:9]
	s_cbranch_execz .LBB129_121
.LBB129_114:                            ;   Parent Loop BB129_31 Depth=1
                                        ; =>  This Inner Loop Header: Depth=2
	v_cmp_gt_u64_e32 vcc, s[10:11], v[4:5]
	s_and_saveexec_b64 s[40:41], vcc
	s_cbranch_execz .LBB129_112
; %bb.115:                              ;   in Loop: Header=BB129_114 Depth=2
	ds_read_u8 v6, v2
	s_waitcnt lgkmcnt(0)
	v_and_b32_e32 v7, v6, v10
	v_cmp_eq_u32_sdwa s[56:57], v7, v11 src0_sel:BYTE_0 src1_sel:DWORD
	s_and_b64 exec, exec, s[56:57]
	s_cbranch_execz .LBB129_112
; %bb.116:                              ;   in Loop: Header=BB129_114 Depth=2
	v_lshlrev_b16_e32 v6, 8, v6
	v_or_b32_e32 v6, 1, v6
	ds_write_b16 v3, v6 offset:3072
	s_branch .LBB129_112
.LBB129_117:                            ;   in Loop: Header=BB129_114 Depth=2
	v_add_co_u32_e32 v4, vcc, s33, v4
	v_addc_co_u32_e32 v5, vcc, 0, v5, vcc
	v_cmp_le_u64_e32 vcc, s[20:21], v[4:5]
	v_add_u32_e32 v2, s33, v2
	s_mov_b64 s[56:57], 0
	s_orn2_b64 s[40:41], vcc, exec
	s_branch .LBB129_113
.LBB129_118:                            ;   in Loop: Header=BB129_31 Depth=1
	s_or_b64 exec, exec, s[6:7]
	s_waitcnt lgkmcnt(0)
	s_barrier
	s_mov_b64 s[4:5], exec
	v_readlane_b32 s0, v57, 8
	v_readlane_b32 s1, v57, 9
	s_and_b64 s[0:1], s[4:5], s[0:1]
	s_mov_b64 exec, s[0:1]
	s_cbranch_execz .LBB129_120
; %bb.119:                              ;   in Loop: Header=BB129_31 Depth=1
	ds_read_b32 v4, v3 offset:5144
	s_waitcnt lgkmcnt(0)
	v_ashrrev_i32_e32 v5, 31, v4
	ds_write_b64 v3, v[4:5] offset:5120
.LBB129_120:                            ;   in Loop: Header=BB129_31 Depth=1
	s_or_b64 exec, exec, s[4:5]
	s_waitcnt lgkmcnt(0)
	s_barrier
	s_mov_b64 s[4:5], -1
	s_and_b64 vcc, exec, s[2:3]
	s_cbranch_vccnz .LBB129_46
	s_branch .LBB129_61
.LBB129_121:                            ;   in Loop: Header=BB129_31 Depth=1
	s_or_b64 exec, exec, s[8:9]
	v_lshrrev_b32_sdwa v8, v43, v6 dst_sel:DWORD dst_unused:UNUSED_PAD src0_sel:DWORD src1_sel:WORD_0
	s_and_b64 s[8:9], s[38:39], exec
.LBB129_122:                            ;   in Loop: Header=BB129_31 Depth=1
	s_or_b64 exec, exec, s[16:17]
.LBB129_123:                            ;   in Loop: Header=BB129_31 Depth=1
	s_and_b64 vcc, exec, s[4:5]
	s_cbranch_vccz .LBB129_137
; %bb.124:                              ;   in Loop: Header=BB129_31 Depth=1
	v_readlane_b32 s20, v57, 25
	v_readlane_b32 s21, v57, 26
	s_mov_b32 s20, s53
	s_cmp_lg_u64 s[20:21], 0
	v_writelane_b32 v57, s20, 25
	v_writelane_b32 v57, s21, 26
	s_cbranch_scc0 .LBB129_165
; %bb.125:                              ;   in Loop: Header=BB129_31 Depth=1
	v_cvt_f32_u32_e32 v2, s33
	s_sub_u32 s10, 0, s33
	s_subb_u32 s11, 0, 0
	v_mac_f32_e32 v2, 0, v42
	v_rcp_f32_e32 v2, v2
	v_mul_f32_e32 v2, 0x5f7ffffc, v2
	v_mul_f32_e32 v4, 0x2f800000, v2
	v_trunc_f32_e32 v4, v4
	v_mac_f32_e32 v2, 0xcf800000, v4
	v_cvt_u32_f32_e32 v4, v4
	v_cvt_u32_f32_e32 v2, v2
	v_readfirstlane_b32 s12, v4
	v_readfirstlane_b32 s4, v2
	s_mul_i32 s5, s10, s12
	s_mul_hi_u32 s14, s10, s4
	s_mul_i32 s13, s11, s4
	s_add_i32 s5, s14, s5
	s_mul_i32 s15, s10, s4
	s_add_i32 s5, s5, s13
	s_mul_hi_u32 s14, s4, s15
	s_mul_i32 s16, s4, s5
	s_mul_hi_u32 s13, s4, s5
	s_add_u32 s14, s14, s16
	s_addc_u32 s13, 0, s13
	s_mul_hi_u32 s17, s12, s15
	s_mul_i32 s15, s12, s15
	s_add_u32 s14, s14, s15
	s_mul_hi_u32 s16, s12, s5
	s_addc_u32 s13, s13, s17
	s_addc_u32 s14, s16, 0
	s_mul_i32 s5, s12, s5
	s_add_u32 s5, s13, s5
	s_addc_u32 s13, 0, s14
	s_add_u32 s14, s4, s5
	s_cselect_b64 s[4:5], -1, 0
	s_cmp_lg_u64 s[4:5], 0
	s_addc_u32 s12, s12, s13
	s_mul_i32 s4, s10, s12
	s_mul_hi_u32 s5, s10, s14
	s_add_i32 s4, s5, s4
	s_mul_i32 s11, s11, s14
	s_add_i32 s4, s4, s11
	s_mul_i32 s10, s10, s14
	s_mul_hi_u32 s11, s12, s10
	s_mul_i32 s13, s12, s10
	s_mul_i32 s16, s14, s4
	s_mul_hi_u32 s10, s14, s10
	s_mul_hi_u32 s15, s14, s4
	s_add_u32 s10, s10, s16
	s_addc_u32 s15, 0, s15
	s_add_u32 s10, s10, s13
	s_mul_hi_u32 s5, s12, s4
	s_addc_u32 s10, s15, s11
	s_addc_u32 s5, s5, 0
	s_mul_i32 s4, s12, s4
	s_add_u32 s4, s10, s4
	s_addc_u32 s10, 0, s5
	s_add_u32 s11, s14, s4
	s_cselect_b64 s[4:5], -1, 0
	s_cmp_lg_u64 s[4:5], 0
	s_addc_u32 s4, s12, s10
	v_readlane_b32 s14, v57, 23
	s_mul_i32 s10, s14, s4
	s_mul_hi_u32 s12, s14, s11
	s_mul_hi_u32 s5, s14, s4
	s_add_u32 s10, s12, s10
	s_addc_u32 s5, 0, s5
	s_mul_hi_u32 s13, s21, s11
	s_mul_i32 s11, s21, s11
	s_add_u32 s10, s10, s11
	s_mul_hi_u32 s12, s21, s4
	s_addc_u32 s5, s5, s13
	s_addc_u32 s10, s12, 0
	s_mul_i32 s4, s21, s4
	s_add_u32 s4, s5, s4
	s_addc_u32 s5, 0, s10
	s_mul_i32 s5, s33, s5
	s_mul_hi_u32 s10, s33, s4
	s_add_i32 s10, s10, s5
	s_mul_i32 s4, s33, s4
	s_sub_u32 s11, s14, s4
	s_cselect_b64 s[4:5], -1, 0
	s_cmp_lg_u64 s[4:5], 0
	s_subb_u32 s10, s21, s10
	s_sub_u32 s12, s11, s33
	s_cselect_b64 s[4:5], -1, 0
	s_cmp_lg_u64 s[4:5], 0
	s_subb_u32 s13, s10, 0
	;; [unrolled: 4-line block ×3, first 2 shown]
	s_cmp_ge_u32 s12, s33
	s_cselect_b32 s5, -1, 0
	s_cmp_eq_u32 s13, 0
	s_cselect_b32 s5, s5, -1
	s_cmp_lg_u32 s5, 0
	s_cselect_b32 s4, s4, s13
	s_cselect_b32 s12, s14, s12
	s_cmp_ge_u32 s11, s33
	s_cselect_b32 s5, -1, 0
	s_cmp_eq_u32 s10, 0
	s_cselect_b32 s5, s5, -1
	s_cmp_lg_u32 s5, 0
	s_cselect_b32 s5, s4, s10
	s_cselect_b32 s4, s12, s11
	s_cbranch_execnz .LBB129_127
.LBB129_126:                            ;   in Loop: Header=BB129_31 Depth=1
	v_cvt_f32_u32_e32 v2, s33
	s_sub_i32 s4, 0, s33
	v_readlane_b32 s10, v57, 23
	v_rcp_iflag_f32_e32 v2, v2
	v_mul_f32_e32 v2, 0x4f7ffffe, v2
	v_cvt_u32_f32_e32 v2, v2
	v_readfirstlane_b32 s5, v2
	s_mul_i32 s4, s4, s5
	s_mul_hi_u32 s4, s5, s4
	s_add_i32 s5, s5, s4
	s_mul_hi_u32 s4, s10, s5
	s_mul_i32 s4, s4, s33
	s_sub_i32 s4, s10, s4
	s_sub_i32 s5, s4, s33
	s_cmp_ge_u32 s4, s33
	s_cselect_b32 s4, s5, s4
	s_sub_i32 s5, s4, s33
	s_cmp_ge_u32 s4, s33
	s_cselect_b32 s52, s5, s4
	s_mov_b64 s[4:5], s[52:53]
	s_mov_b32 s52, 0xc0c0004
.LBB129_127:                            ;   in Loop: Header=BB129_31 Depth=1
	v_readlane_b32 s10, v57, 23
	v_readlane_b32 s12, v57, 25
	s_sub_u32 s10, s10, s4
	v_readlane_b32 s13, v57, 26
	s_subb_u32 s11, s13, s5
	v_cmp_gt_u64_e32 vcc, s[10:11], v[0:1]
                                        ; implicit-def: $vgpr8
	s_and_saveexec_b64 s[4:5], vcc
	s_cbranch_execz .LBB129_136
; %bb.128:                              ;   in Loop: Header=BB129_31 Depth=1
	v_mov_b32_e32 v4, v21
	v_mov_b32_e32 v7, v1
	s_mov_b64 s[12:13], 0
	v_mov_b32_e32 v5, v22
	v_mov_b32_e32 v6, v0
                                        ; implicit-def: $sgpr14_sgpr15
	s_branch .LBB129_131
.LBB129_129:                            ;   in Loop: Header=BB129_131 Depth=2
	s_or_b64 exec, exec, s[16:17]
	s_waitcnt lgkmcnt(0)
	s_barrier
	ds_read_u16 v2, v3 offset:3072
	s_mov_b64 s[16:17], -1
	s_waitcnt lgkmcnt(0)
	s_barrier
	v_cmp_ne_u32_sdwa s[20:21], v2, v3 src0_sel:BYTE_0 src1_sel:DWORD
	s_and_b64 vcc, exec, s[20:21]
	s_mov_b64 s[20:21], -1
	s_cbranch_vccz .LBB129_134
.LBB129_130:                            ;   in Loop: Header=BB129_131 Depth=2
	s_and_b64 s[16:17], exec, s[16:17]
	s_or_b64 s[12:13], s[16:17], s[12:13]
	s_andn2_b64 s[14:15], s[14:15], exec
	s_and_b64 s[16:17], s[20:21], exec
	s_or_b64 s[14:15], s[14:15], s[16:17]
	s_andn2_b64 exec, exec, s[12:13]
	s_cbranch_execz .LBB129_135
.LBB129_131:                            ;   Parent Loop BB129_31 Depth=1
                                        ; =>  This Inner Loop Header: Depth=2
	v_cmp_gt_u64_e32 vcc, s[28:29], v[6:7]
	s_and_saveexec_b64 s[16:17], vcc
	s_cbranch_execz .LBB129_129
; %bb.132:                              ;   in Loop: Header=BB129_131 Depth=2
	global_load_ubyte v2, v[4:5], off
	s_waitcnt vmcnt(0)
	v_and_b32_e32 v8, v2, v10
	v_cmp_eq_u32_sdwa s[20:21], v8, v11 src0_sel:BYTE_0 src1_sel:DWORD
	s_and_b64 exec, exec, s[20:21]
	s_cbranch_execz .LBB129_129
; %bb.133:                              ;   in Loop: Header=BB129_131 Depth=2
	v_lshlrev_b16_e32 v2, 8, v2
	v_or_b32_e32 v2, 1, v2
	ds_write_b16 v3, v2 offset:3072
	s_branch .LBB129_129
.LBB129_134:                            ;   in Loop: Header=BB129_131 Depth=2
	v_add_co_u32_e32 v6, vcc, s33, v6
	v_addc_co_u32_e32 v7, vcc, 0, v7, vcc
	v_mov_b32_e32 v8, s59
	v_add_co_u32_e32 v4, vcc, s58, v4
	v_addc_co_u32_e32 v5, vcc, v5, v8, vcc
	v_cmp_le_u64_e32 vcc, s[10:11], v[6:7]
	s_mov_b64 s[20:21], 0
	s_orn2_b64 s[16:17], vcc, exec
	s_branch .LBB129_130
.LBB129_135:                            ;   in Loop: Header=BB129_31 Depth=1
	s_or_b64 exec, exec, s[12:13]
	s_andn2_b64 s[8:9], s[8:9], exec
	s_and_b64 s[10:11], s[14:15], exec
	v_lshrrev_b32_sdwa v8, v43, v2 dst_sel:DWORD dst_unused:UNUSED_PAD src0_sel:DWORD src1_sel:WORD_0
	s_or_b64 s[8:9], s[8:9], s[10:11]
.LBB129_136:                            ;   in Loop: Header=BB129_31 Depth=1
	s_or_b64 exec, exec, s[4:5]
	s_mov_b64 s[14:15], 0
	s_mov_b64 s[12:13], -1
.LBB129_137:                            ;   in Loop: Header=BB129_31 Depth=1
	s_orn2_b64 s[4:5], s[8:9], exec
.LBB129_138:                            ;   in Loop: Header=BB129_31 Depth=1
	s_or_b64 exec, exec, s[2:3]
	s_mov_b64 s[2:3], 0
	s_mov_b64 s[40:41], 0
	;; [unrolled: 1-line block ×3, first 2 shown]
                                        ; implicit-def: $vgpr4_vgpr5
                                        ; implicit-def: $vgpr2
	s_and_saveexec_b64 s[38:39], s[4:5]
	s_cbranch_execz .LBB129_297
; %bb.139:                              ;   in Loop: Header=BB129_31 Depth=1
	v_mov_b32_e32 v4, 1
	s_xor_b64 s[4:5], s[6:7], -1
	v_mov_b32_e32 v2, 1
	v_mov_b32_e32 v5, 0
	s_mov_b64 s[8:9], 0
	s_and_saveexec_b64 s[6:7], s[4:5]
	s_cbranch_execz .LBB129_148
; %bb.140:                              ;   in Loop: Header=BB129_31 Depth=1
	v_cmp_ge_u64_e32 vcc, s[22:23], v[26:27]
	s_and_saveexec_b64 s[4:5], vcc
	s_xor_b64 s[4:5], exec, s[4:5]
	s_cbranch_execz .LBB129_145
; %bb.141:                              ;   in Loop: Header=BB129_31 Depth=1
	ds_read_b64 v[4:5], v3 offset:5120
	v_and_b32_e32 v11, s1, v11
	v_or_b32_e32 v10, s0, v10
	s_waitcnt lgkmcnt(0)
	v_cmp_ne_u64_e32 vcc, 0, v[4:5]
	s_cbranch_vccnz .LBB129_145
; %bb.142:                              ;   in Loop: Header=BB129_31 Depth=1
	s_mov_b64 s[8:9], exec
	v_readlane_b32 s10, v57, 8
	v_readlane_b32 s11, v57, 9
	s_and_b64 s[10:11], s[8:9], s[10:11]
	s_mov_b64 exec, s[10:11]
; %bb.143:                              ;   in Loop: Header=BB129_31 Depth=1
	v_mov_b32_e32 v4, s22
	v_mov_b32_e32 v5, s23
	ds_write_b64 v3, v[4:5] offset:5128
; %bb.144:                              ;   in Loop: Header=BB129_31 Depth=1
	s_or_b64 exec, exec, s[8:9]
	s_waitcnt lgkmcnt(0)
	s_barrier
.LBB129_145:                            ;   in Loop: Header=BB129_31 Depth=1
	s_or_saveexec_b64 s[4:5], s[4:5]
	v_mov_b32_e32 v4, v26
	s_mov_b64 s[8:9], 0
	v_mov_b32_e32 v2, 8
	v_mov_b32_e32 v5, v27
	s_xor_b64 exec, exec, s[4:5]
; %bb.146:                              ;   in Loop: Header=BB129_31 Depth=1
	v_subrev_co_u32_e32 v4, vcc, s22, v26
	v_mov_b32_e32 v2, s23
	v_subb_co_u32_e32 v5, vcc, v27, v2, vcc
	v_mov_b32_e32 v2, 0
	s_mov_b64 s[8:9], exec
; %bb.147:                              ;   in Loop: Header=BB129_31 Depth=1
	s_or_b64 exec, exec, s[4:5]
	s_and_b64 s[8:9], s[8:9], exec
.LBB129_148:                            ;   in Loop: Header=BB129_31 Depth=1
	s_or_b64 exec, exec, s[6:7]
	s_mov_b64 s[4:5], -1
                                        ; implicit-def: $sgpr40_sgpr41
                                        ; implicit-def: $sgpr6_sgpr7
	s_and_saveexec_b64 s[10:11], s[8:9]
	s_xor_b64 s[20:21], exec, s[10:11]
	s_cbranch_execz .LBB129_294
; %bb.149:                              ;   in Loop: Header=BB129_31 Depth=1
	s_cmp_eq_u64 s[46:47], 1
	v_cmp_eq_u64_e32 vcc, 1, v[4:5]
	s_cselect_b64 s[4:5], -1, 0
	s_and_b64 s[8:9], s[4:5], vcc
	s_mov_b64 s[4:5], -1
                                        ; implicit-def: $sgpr6_sgpr7
                                        ; implicit-def: $sgpr40_sgpr41
	s_and_saveexec_b64 s[10:11], s[8:9]
	s_cbranch_execz .LBB129_183
; %bb.150:                              ;   in Loop: Header=BB129_31 Depth=1
	ds_read_b64 v[6:7], v3 offset:5120
	s_waitcnt lgkmcnt(0)
	s_barrier
	v_readfirstlane_b32 s16, v6
	v_readfirstlane_b32 s17, v7
	s_mov_b64 s[4:5], exec
	v_readlane_b32 s6, v57, 46
	v_readlane_b32 s7, v57, 47
	s_and_b64 s[6:7], s[4:5], s[6:7]
	s_mov_b64 exec, s[6:7]
; %bb.151:                              ;   in Loop: Header=BB129_31 Depth=1
	ds_write_b8 v0, v3 offset:3072
; %bb.152:                              ;   in Loop: Header=BB129_31 Depth=1
	s_or_b64 exec, exec, s[4:5]
	v_and_b32_e32 v6, s1, v11
	v_lshl_or_b32 v11, 1, s63, v6
	v_or_b32_e32 v10, s0, v10
	s_mov_b64 s[40:41], -1
	s_mov_b64 s[6:7], 0
	s_cmp_eq_u64 s[16:17], 0
	s_mov_b64 s[60:61], 0
	s_mov_b64 s[66:67], -1
	s_waitcnt lgkmcnt(0)
	s_barrier
                                        ; implicit-def: $vgpr8
	s_cbranch_scc1 .LBB129_168
; %bb.153:                              ;   in Loop: Header=BB129_31 Depth=1
	v_readlane_b32 s4, v57, 22
	s_add_u32 s58, s16, s4
	v_readlane_b32 s4, v57, 24
	s_addc_u32 s61, s17, s4
	s_mov_b32 s60, s53
	s_mov_b64 s[70:71], s[64:65]
	s_cmp_lg_u64 s[60:61], 0
	s_cbranch_scc0 .LBB129_209
; %bb.154:                              ;   in Loop: Header=BB129_31 Depth=1
	v_cvt_f32_u32_e32 v6, s33
	s_sub_u32 s52, 0, s33
	s_subb_u32 s56, 0, 0
	v_mac_f32_e32 v6, 0, v42
	v_rcp_f32_e32 v6, v6
	v_mul_f32_e32 v6, 0x5f7ffffc, v6
	v_mul_f32_e32 v7, 0x2f800000, v6
	v_trunc_f32_e32 v7, v7
	v_mac_f32_e32 v6, 0xcf800000, v7
	v_cvt_u32_f32_e32 v7, v7
	v_cvt_u32_f32_e32 v6, v6
	v_readfirstlane_b32 s57, v7
	v_readfirstlane_b32 s4, v6
	s_mul_i32 s5, s52, s57
	s_mul_hi_u32 s60, s52, s4
	s_mul_i32 s59, s56, s4
	s_add_i32 s5, s60, s5
	s_mul_i32 s64, s52, s4
	s_add_i32 s5, s5, s59
	s_mul_hi_u32 s60, s4, s64
	s_mul_i32 s65, s4, s5
	s_mul_hi_u32 s59, s4, s5
	s_add_u32 s60, s60, s65
	s_addc_u32 s59, 0, s59
	s_mul_hi_u32 s66, s57, s64
	s_mul_i32 s64, s57, s64
	s_add_u32 s60, s60, s64
	s_mul_hi_u32 s65, s57, s5
	s_addc_u32 s59, s59, s66
	s_addc_u32 s60, s65, 0
	s_mul_i32 s5, s57, s5
	s_add_u32 s5, s59, s5
	s_addc_u32 s59, 0, s60
	s_add_u32 s60, s4, s5
	s_cselect_b64 s[4:5], -1, 0
	s_cmp_lg_u64 s[4:5], 0
	s_addc_u32 s57, s57, s59
	s_mul_i32 s4, s52, s57
	s_mul_hi_u32 s5, s52, s60
	s_add_i32 s4, s5, s4
	s_mul_i32 s56, s56, s60
	s_add_i32 s4, s4, s56
	s_mul_i32 s52, s52, s60
	s_mul_hi_u32 s56, s57, s52
	s_mul_i32 s59, s57, s52
	s_mul_i32 s65, s60, s4
	s_mul_hi_u32 s52, s60, s52
	s_mul_hi_u32 s64, s60, s4
	s_add_u32 s52, s52, s65
	s_addc_u32 s64, 0, s64
	s_add_u32 s52, s52, s59
	s_mul_hi_u32 s5, s57, s4
	s_addc_u32 s52, s64, s56
	s_addc_u32 s5, s5, 0
	s_mul_i32 s4, s57, s4
	s_add_u32 s4, s52, s4
	s_addc_u32 s52, 0, s5
	s_add_u32 s56, s60, s4
	s_cselect_b64 s[4:5], -1, 0
	s_cmp_lg_u64 s[4:5], 0
	s_addc_u32 s4, s57, s52
	s_mul_i32 s52, s58, s4
	s_mul_hi_u32 s57, s58, s56
	s_mul_hi_u32 s5, s58, s4
	s_add_u32 s52, s57, s52
	s_addc_u32 s5, 0, s5
	s_mul_hi_u32 s59, s61, s56
	s_mul_i32 s56, s61, s56
	s_add_u32 s52, s52, s56
	s_mul_hi_u32 s57, s61, s4
	s_addc_u32 s5, s5, s59
	s_addc_u32 s52, s57, 0
	s_mul_i32 s4, s61, s4
	s_add_u32 s4, s5, s4
	s_addc_u32 s5, 0, s52
	s_mul_i32 s5, s33, s5
	s_mul_hi_u32 s52, s33, s4
	s_add_i32 s52, s52, s5
	s_mul_i32 s4, s33, s4
	s_sub_u32 s56, s58, s4
	s_cselect_b64 s[4:5], -1, 0
	s_cmp_lg_u64 s[4:5], 0
	s_subb_u32 s52, s61, s52
	s_sub_u32 s57, s56, s33
	s_cselect_b64 s[4:5], -1, 0
	s_cmp_lg_u64 s[4:5], 0
	s_subb_u32 s59, s52, 0
	;; [unrolled: 4-line block ×3, first 2 shown]
	s_cmp_ge_u32 s57, s33
	s_cselect_b32 s5, -1, 0
	s_cmp_eq_u32 s59, 0
	s_cselect_b32 s5, s5, -1
	s_cmp_lg_u32 s5, 0
	s_cselect_b32 s4, s4, s59
	s_cselect_b32 s57, s60, s57
	s_cmp_ge_u32 s56, s33
	s_cselect_b32 s5, -1, 0
	s_cmp_eq_u32 s52, 0
	s_cselect_b32 s5, s5, -1
	s_cmp_lg_u32 s5, 0
	s_cselect_b32 s5, s4, s52
	s_cselect_b32 s4, s57, s56
	s_cbranch_execnz .LBB129_156
.LBB129_155:                            ;   in Loop: Header=BB129_31 Depth=1
	v_cvt_f32_u32_e32 v6, s33
	s_sub_i32 s4, 0, s33
	v_rcp_iflag_f32_e32 v6, v6
	v_mul_f32_e32 v6, 0x4f7ffffe, v6
	v_cvt_u32_f32_e32 v6, v6
	v_readfirstlane_b32 s5, v6
	s_mul_i32 s4, s4, s5
	s_mul_hi_u32 s4, s5, s4
	s_add_i32 s5, s5, s4
	s_mul_hi_u32 s4, s58, s5
	s_mul_i32 s4, s4, s33
	s_sub_i32 s4, s58, s4
	s_sub_i32 s5, s4, s33
	s_cmp_ge_u32 s4, s33
	s_cselect_b32 s4, s5, s4
	s_sub_i32 s5, s4, s33
	s_cmp_ge_u32 s4, s33
	s_cselect_b32 s52, s5, s4
	s_mov_b64 s[4:5], s[52:53]
.LBB129_156:                            ;   in Loop: Header=BB129_31 Depth=1
	s_sub_u32 s68, s58, s4
	s_subb_u32 s69, s61, s5
	v_cmp_gt_u64_e32 vcc, s[68:69], v[0:1]
	s_mov_b64 s[66:67], 0
	s_mov_b64 s[60:61], 0
                                        ; implicit-def: $vgpr8
	s_and_saveexec_b64 s[4:5], vcc
	s_mov_b64 s[64:65], s[70:71]
	s_mov_b32 s52, 0xc0c0004
	s_cbranch_execz .LBB129_167
; %bb.157:                              ;   in Loop: Header=BB129_31 Depth=1
	v_mov_b32_e32 v7, v1
	v_mov_b32_e32 v8, v0
	;; [unrolled: 1-line block ×3, first 2 shown]
                                        ; implicit-def: $sgpr70_sgpr71
	s_branch .LBB129_160
.LBB129_158:                            ;   in Loop: Header=BB129_160 Depth=2
	s_or_b64 exec, exec, s[56:57]
	s_waitcnt lgkmcnt(0)
	s_barrier
	ds_read_u16 v9, v3 offset:3072
	s_mov_b64 s[56:57], -1
	s_waitcnt lgkmcnt(0)
	s_barrier
	v_cmp_ne_u32_sdwa s[58:59], v9, v3 src0_sel:BYTE_0 src1_sel:DWORD
	s_and_b64 vcc, exec, s[58:59]
	s_mov_b64 s[58:59], -1
	s_cbranch_vccz .LBB129_163
.LBB129_159:                            ;   in Loop: Header=BB129_160 Depth=2
	s_and_b64 s[56:57], exec, s[56:57]
	s_or_b64 s[60:61], s[56:57], s[60:61]
	s_andn2_b64 s[56:57], s[70:71], exec
	s_and_b64 s[58:59], s[58:59], exec
	s_or_b64 s[70:71], s[56:57], s[58:59]
	s_andn2_b64 exec, exec, s[60:61]
	s_cbranch_execz .LBB129_166
.LBB129_160:                            ;   Parent Loop BB129_31 Depth=1
                                        ; =>  This Inner Loop Header: Depth=2
	v_cmp_gt_u64_e32 vcc, s[16:17], v[6:7]
	s_and_saveexec_b64 s[56:57], vcc
	s_cbranch_execz .LBB129_158
; %bb.161:                              ;   in Loop: Header=BB129_160 Depth=2
	ds_read_u8 v9, v8
	s_waitcnt lgkmcnt(0)
	v_and_b32_e32 v28, v9, v10
	v_cmp_eq_u32_sdwa s[58:59], v28, v11 src0_sel:BYTE_0 src1_sel:DWORD
	s_and_b64 exec, exec, s[58:59]
	s_cbranch_execz .LBB129_158
; %bb.162:                              ;   in Loop: Header=BB129_160 Depth=2
	v_lshlrev_b16_e32 v9, 8, v9
	v_or_b32_e32 v9, 1, v9
	ds_write_b16 v3, v9 offset:3072
	s_branch .LBB129_158
.LBB129_163:                            ;   in Loop: Header=BB129_160 Depth=2
	v_add_co_u32_e32 v6, vcc, s33, v6
	v_addc_co_u32_e32 v7, vcc, 0, v7, vcc
	v_cmp_le_u64_e32 vcc, s[68:69], v[6:7]
	v_add_u32_e32 v8, s33, v8
	s_mov_b64 s[58:59], 0
	s_orn2_b64 s[56:57], vcc, exec
	s_branch .LBB129_159
.LBB129_164:                            ;   in Loop: Header=BB129_31 Depth=1
                                        ; implicit-def: $sgpr4_sgpr5
	s_branch .LBB129_109
.LBB129_165:                            ;   in Loop: Header=BB129_31 Depth=1
                                        ; implicit-def: $sgpr4_sgpr5
	s_branch .LBB129_126
.LBB129_166:                            ;   in Loop: Header=BB129_31 Depth=1
	s_or_b64 exec, exec, s[60:61]
	v_lshrrev_b32_sdwa v8, v43, v9 dst_sel:DWORD dst_unused:UNUSED_PAD src0_sel:DWORD src1_sel:WORD_0
	s_and_b64 s[60:61], s[70:71], exec
.LBB129_167:                            ;   in Loop: Header=BB129_31 Depth=1
	s_or_b64 exec, exec, s[4:5]
	v_readlane_b32 s59, v57, 51
	s_mul_i32 s58, s26, s33
.LBB129_168:                            ;   in Loop: Header=BB129_31 Depth=1
	s_and_b64 vcc, exec, s[66:67]
	s_cbranch_vccz .LBB129_182
; %bb.169:                              ;   in Loop: Header=BB129_31 Depth=1
	v_readlane_b32 s56, v57, 25
	v_readlane_b32 s57, v57, 26
	s_mov_b32 s56, s53
	s_cmp_lg_u64 s[56:57], 0
	v_writelane_b32 v57, s56, 25
	v_writelane_b32 v57, s57, 26
	s_cbranch_scc0 .LBB129_210
; %bb.170:                              ;   in Loop: Header=BB129_31 Depth=1
	v_cvt_f32_u32_e32 v6, s33
	s_sub_u32 s6, 0, s33
	s_subb_u32 s7, 0, 0
	v_mac_f32_e32 v6, 0, v42
	v_rcp_f32_e32 v6, v6
	v_mul_f32_e32 v6, 0x5f7ffffc, v6
	v_mul_f32_e32 v7, 0x2f800000, v6
	v_trunc_f32_e32 v7, v7
	v_mac_f32_e32 v6, 0xcf800000, v7
	v_cvt_u32_f32_e32 v7, v7
	v_cvt_u32_f32_e32 v6, v6
	v_readfirstlane_b32 s16, v7
	v_readfirstlane_b32 s4, v6
	s_mul_i32 s5, s6, s16
	s_mul_hi_u32 s40, s6, s4
	s_mul_i32 s17, s7, s4
	s_add_i32 s5, s40, s5
	s_mul_i32 s41, s6, s4
	s_add_i32 s5, s5, s17
	s_mul_hi_u32 s40, s4, s41
	s_mul_i32 s52, s4, s5
	s_mul_hi_u32 s17, s4, s5
	s_add_u32 s40, s40, s52
	s_addc_u32 s17, 0, s17
	s_mul_hi_u32 s56, s16, s41
	s_mul_i32 s41, s16, s41
	s_add_u32 s40, s40, s41
	s_mul_hi_u32 s52, s16, s5
	s_addc_u32 s17, s17, s56
	s_addc_u32 s40, s52, 0
	s_mul_i32 s5, s16, s5
	s_add_u32 s5, s17, s5
	s_addc_u32 s17, 0, s40
	s_add_u32 s40, s4, s5
	s_cselect_b64 s[4:5], -1, 0
	s_cmp_lg_u64 s[4:5], 0
	s_addc_u32 s16, s16, s17
	s_mul_i32 s4, s6, s16
	s_mul_hi_u32 s5, s6, s40
	s_add_i32 s4, s5, s4
	s_mul_i32 s7, s7, s40
	s_add_i32 s4, s4, s7
	s_mul_i32 s6, s6, s40
	s_mul_hi_u32 s7, s16, s6
	s_mul_i32 s17, s16, s6
	s_mul_i32 s52, s40, s4
	s_mul_hi_u32 s6, s40, s6
	s_mul_hi_u32 s41, s40, s4
	s_add_u32 s6, s6, s52
	s_addc_u32 s41, 0, s41
	s_add_u32 s6, s6, s17
	s_mul_hi_u32 s5, s16, s4
	s_addc_u32 s6, s41, s7
	s_addc_u32 s5, s5, 0
	s_mul_i32 s4, s16, s4
	s_add_u32 s4, s6, s4
	s_addc_u32 s6, 0, s5
	s_add_u32 s7, s40, s4
	s_cselect_b64 s[4:5], -1, 0
	s_cmp_lg_u64 s[4:5], 0
	s_addc_u32 s4, s16, s6
	v_readlane_b32 s40, v57, 23
	s_mul_i32 s6, s40, s4
	s_mul_hi_u32 s16, s40, s7
	s_mul_hi_u32 s5, s40, s4
	s_add_u32 s6, s16, s6
	s_addc_u32 s5, 0, s5
	s_mul_hi_u32 s17, s57, s7
	s_mul_i32 s7, s57, s7
	s_add_u32 s6, s6, s7
	s_mul_hi_u32 s16, s57, s4
	s_addc_u32 s5, s5, s17
	s_addc_u32 s6, s16, 0
	s_mul_i32 s4, s57, s4
	s_add_u32 s4, s5, s4
	s_addc_u32 s5, 0, s6
	s_mul_i32 s5, s33, s5
	s_mul_hi_u32 s6, s33, s4
	s_add_i32 s6, s6, s5
	s_mul_i32 s4, s33, s4
	s_sub_u32 s7, s40, s4
	s_cselect_b64 s[4:5], -1, 0
	s_cmp_lg_u64 s[4:5], 0
	s_subb_u32 s6, s57, s6
	s_sub_u32 s16, s7, s33
	s_cselect_b64 s[4:5], -1, 0
	s_cmp_lg_u64 s[4:5], 0
	s_subb_u32 s17, s6, 0
	;; [unrolled: 4-line block ×3, first 2 shown]
	s_cmp_ge_u32 s16, s33
	s_cselect_b32 s5, -1, 0
	s_cmp_eq_u32 s17, 0
	s_cselect_b32 s5, s5, -1
	s_cmp_lg_u32 s5, 0
	s_cselect_b32 s4, s4, s17
	s_cselect_b32 s16, s40, s16
	s_cmp_ge_u32 s7, s33
	s_cselect_b32 s5, -1, 0
	s_cmp_eq_u32 s6, 0
	s_cselect_b32 s5, s5, -1
	s_cmp_lg_u32 s5, 0
	s_cselect_b32 s5, s4, s6
	s_cselect_b32 s4, s16, s7
	s_cbranch_execnz .LBB129_172
.LBB129_171:                            ;   in Loop: Header=BB129_31 Depth=1
	v_cvt_f32_u32_e32 v6, s33
	s_sub_i32 s4, 0, s33
	v_readlane_b32 s6, v57, 23
	v_rcp_iflag_f32_e32 v6, v6
	v_mul_f32_e32 v6, 0x4f7ffffe, v6
	v_cvt_u32_f32_e32 v6, v6
	v_readfirstlane_b32 s5, v6
	s_mul_i32 s4, s4, s5
	s_mul_hi_u32 s4, s5, s4
	s_add_i32 s5, s5, s4
	s_mul_hi_u32 s4, s6, s5
	s_mul_i32 s4, s4, s33
	s_sub_i32 s4, s6, s4
	s_sub_i32 s5, s4, s33
	s_cmp_ge_u32 s4, s33
	s_cselect_b32 s4, s5, s4
	s_sub_i32 s5, s4, s33
	s_cmp_ge_u32 s4, s33
	s_cselect_b32 s52, s5, s4
	s_mov_b64 s[4:5], s[52:53]
.LBB129_172:                            ;   in Loop: Header=BB129_31 Depth=1
	v_readlane_b32 s6, v57, 23
	v_readlane_b32 s16, v57, 25
	s_sub_u32 s6, s6, s4
	v_readlane_b32 s17, v57, 26
	s_subb_u32 s7, s17, s5
	v_cmp_gt_u64_e32 vcc, s[6:7], v[0:1]
                                        ; implicit-def: $vgpr8
	s_and_saveexec_b64 s[4:5], vcc
	s_mov_b32 s52, 0xc0c0004
	s_cbranch_execz .LBB129_181
; %bb.173:                              ;   in Loop: Header=BB129_31 Depth=1
	v_mov_b32_e32 v6, v21
	v_mov_b32_e32 v9, v1
	s_mov_b64 s[16:17], 0
	v_mov_b32_e32 v7, v22
	v_mov_b32_e32 v8, v0
                                        ; implicit-def: $sgpr40_sgpr41
	s_branch .LBB129_176
.LBB129_174:                            ;   in Loop: Header=BB129_176 Depth=2
	s_or_b64 exec, exec, s[56:57]
	s_waitcnt lgkmcnt(0)
	s_barrier
	ds_read_u16 v28, v3 offset:3072
	s_mov_b64 s[56:57], -1
	s_waitcnt lgkmcnt(0)
	s_barrier
	v_cmp_eq_u32_sdwa s[58:59], v28, v3 src0_sel:BYTE_0 src1_sel:DWORD
	s_and_b64 vcc, exec, s[58:59]
	s_mov_b64 s[58:59], -1
	s_cbranch_vccnz .LBB129_179
.LBB129_175:                            ;   in Loop: Header=BB129_176 Depth=2
	s_and_b64 s[56:57], exec, s[56:57]
	s_or_b64 s[16:17], s[56:57], s[16:17]
	s_andn2_b64 s[40:41], s[40:41], exec
	s_and_b64 s[56:57], s[58:59], exec
	s_or_b64 s[40:41], s[40:41], s[56:57]
	s_andn2_b64 exec, exec, s[16:17]
	s_cbranch_execz .LBB129_180
.LBB129_176:                            ;   Parent Loop BB129_31 Depth=1
                                        ; =>  This Inner Loop Header: Depth=2
	v_cmp_gt_u64_e32 vcc, s[28:29], v[8:9]
	s_and_saveexec_b64 s[56:57], vcc
	s_cbranch_execz .LBB129_174
; %bb.177:                              ;   in Loop: Header=BB129_176 Depth=2
	global_load_ubyte v28, v[6:7], off
	s_waitcnt vmcnt(0)
	v_and_b32_e32 v29, v28, v10
	v_cmp_eq_u32_sdwa s[58:59], v29, v11 src0_sel:BYTE_0 src1_sel:DWORD
	s_and_b64 exec, exec, s[58:59]
	s_cbranch_execz .LBB129_174
; %bb.178:                              ;   in Loop: Header=BB129_176 Depth=2
	v_lshlrev_b16_e32 v28, 8, v28
	v_or_b32_e32 v28, 1, v28
	ds_write_b16 v3, v28 offset:3072
	s_branch .LBB129_174
.LBB129_179:                            ;   in Loop: Header=BB129_176 Depth=2
	v_add_co_u32_e32 v8, vcc, s33, v8
	v_readlane_b32 s52, v57, 51
	v_addc_co_u32_e32 v9, vcc, 0, v9, vcc
	v_mov_b32_e32 v29, s52
	s_mul_i32 s52, s26, s33
	v_add_co_u32_e32 v6, vcc, s52, v6
	v_addc_co_u32_e32 v7, vcc, v7, v29, vcc
	v_cmp_le_u64_e32 vcc, s[6:7], v[8:9]
	s_mov_b32 s52, 0xc0c0004
	s_mov_b64 s[58:59], 0
	s_orn2_b64 s[56:57], vcc, exec
	s_branch .LBB129_175
.LBB129_180:                            ;   in Loop: Header=BB129_31 Depth=1
	s_or_b64 exec, exec, s[16:17]
	s_andn2_b64 s[6:7], s[60:61], exec
	s_and_b64 s[16:17], s[40:41], exec
	v_lshrrev_b32_sdwa v8, v43, v28 dst_sel:DWORD dst_unused:UNUSED_PAD src0_sel:DWORD src1_sel:WORD_0
	s_or_b64 s[60:61], s[6:7], s[16:17]
	v_readlane_b32 s59, v57, 51
	s_mul_i32 s58, s26, s33
.LBB129_181:                            ;   in Loop: Header=BB129_31 Depth=1
	s_or_b64 exec, exec, s[4:5]
	s_mov_b64 s[40:41], 0
	s_mov_b64 s[6:7], -1
.LBB129_182:                            ;   in Loop: Header=BB129_31 Depth=1
	s_orn2_b64 s[4:5], s[60:61], exec
.LBB129_183:                            ;   in Loop: Header=BB129_31 Depth=1
	s_or_b64 exec, exec, s[10:11]
	s_mov_b64 s[10:11], 0
	s_and_saveexec_b64 s[70:71], s[4:5]
	s_cbranch_execz .LBB129_293
; %bb.184:                              ;   in Loop: Header=BB129_31 Depth=1
	v_mov_b32_e32 v6, 1
	s_xor_b64 s[4:5], s[8:9], -1
	v_mov_b32_e32 v2, 1
	v_mov_b32_e32 v7, 0
	s_and_saveexec_b64 s[8:9], s[4:5]
	s_cbranch_execz .LBB129_193
; %bb.185:                              ;   in Loop: Header=BB129_31 Depth=1
	v_cmp_ge_u64_e32 vcc, s[46:47], v[4:5]
	s_and_saveexec_b64 s[4:5], vcc
	s_xor_b64 s[4:5], exec, s[4:5]
	s_cbranch_execz .LBB129_190
; %bb.186:                              ;   in Loop: Header=BB129_31 Depth=1
	ds_read_b64 v[6:7], v3 offset:5120
	v_and_b32_e32 v2, s1, v11
	v_lshl_or_b32 v11, 1, s63, v2
	v_or_b32_e32 v10, s0, v10
	s_waitcnt lgkmcnt(0)
	v_cmp_ne_u64_e32 vcc, 0, v[6:7]
	s_cbranch_vccnz .LBB129_190
; %bb.187:                              ;   in Loop: Header=BB129_31 Depth=1
	s_mov_b64 s[10:11], exec
	v_readlane_b32 s16, v57, 8
	v_readlane_b32 s17, v57, 9
	s_and_b64 s[16:17], s[10:11], s[16:17]
	s_mov_b64 exec, s[16:17]
; %bb.188:                              ;   in Loop: Header=BB129_31 Depth=1
	v_mov_b32_e32 v6, s46
	v_mov_b32_e32 v7, s47
	ds_write_b64 v3, v[6:7] offset:5128
; %bb.189:                              ;   in Loop: Header=BB129_31 Depth=1
	s_or_b64 exec, exec, s[10:11]
	s_waitcnt lgkmcnt(0)
	s_barrier
.LBB129_190:                            ;   in Loop: Header=BB129_31 Depth=1
	s_or_saveexec_b64 s[4:5], s[4:5]
	s_mov_b64 s[10:11], 0
	v_mov_b32_e32 v2, 8
	s_xor_b64 exec, exec, s[4:5]
; %bb.191:                              ;   in Loop: Header=BB129_31 Depth=1
	v_subrev_co_u32_e32 v4, vcc, s46, v4
	v_mov_b32_e32 v2, s47
	v_subb_co_u32_e32 v5, vcc, v5, v2, vcc
	v_mov_b32_e32 v2, 0
	s_mov_b64 s[10:11], exec
; %bb.192:                              ;   in Loop: Header=BB129_31 Depth=1
	s_or_b64 exec, exec, s[4:5]
	v_mov_b32_e32 v7, v5
	s_and_b64 s[10:11], s[10:11], exec
	v_mov_b32_e32 v6, v4
.LBB129_193:                            ;   in Loop: Header=BB129_31 Depth=1
	s_or_b64 exec, exec, s[8:9]
	s_mov_b64 s[4:5], -1
                                        ; implicit-def: $sgpr66_sgpr67
                                        ; implicit-def: $sgpr8_sgpr9
                                        ; kill: killed $sgpr8_sgpr9
	s_and_saveexec_b64 s[56:57], s[10:11]
	s_cbranch_execz .LBB129_292
; %bb.194:                              ;   in Loop: Header=BB129_31 Depth=1
	s_cmp_eq_u64 s[48:49], 1
	v_cmp_eq_u64_e32 vcc, 1, v[6:7]
	s_cselect_b64 s[4:5], -1, 0
	v_writelane_b32 v57, s56, 60
	s_and_b64 s[60:61], s[4:5], vcc
	s_mov_b64 s[4:5], -1
	v_writelane_b32 v57, s57, 61
                                        ; implicit-def: $sgpr8_sgpr9
                                        ; kill: killed $sgpr8_sgpr9
                                        ; implicit-def: $sgpr66_sgpr67
	s_and_saveexec_b64 s[10:11], s[60:61]
	s_cbranch_execz .LBB129_228
; %bb.195:                              ;   in Loop: Header=BB129_31 Depth=1
	ds_read_b64 v[4:5], v3 offset:5120
	s_waitcnt lgkmcnt(0)
	s_barrier
	v_readfirstlane_b32 s72, v4
	v_readfirstlane_b32 s73, v5
	s_mov_b64 s[4:5], exec
	v_readlane_b32 s8, v57, 46
	v_readlane_b32 s9, v57, 47
	s_and_b64 s[8:9], s[4:5], s[8:9]
	s_mov_b64 exec, s[8:9]
; %bb.196:                              ;   in Loop: Header=BB129_31 Depth=1
	ds_write_b8 v0, v3 offset:3072
; %bb.197:                              ;   in Loop: Header=BB129_31 Depth=1
	s_or_b64 exec, exec, s[4:5]
	s_mov_b64 s[4:5], 0
	v_and_b32_e32 v4, s1, v11
	v_writelane_b32 v57, s4, 58
	v_lshl_or_b32 v11, 2, s63, v4
	v_or_b32_e32 v10, s0, v10
	s_mov_b64 s[66:67], -1
	v_writelane_b32 v57, s5, 59
	s_cmp_eq_u64 s[72:73], 0
	s_mov_b64 s[16:17], 0
	s_mov_b64 s[4:5], -1
	s_waitcnt lgkmcnt(0)
	s_barrier
                                        ; implicit-def: $vgpr8
	s_cbranch_scc1 .LBB129_213
; %bb.198:                              ;   in Loop: Header=BB129_31 Depth=1
	v_writelane_b32 v57, s64, 62
	v_writelane_b32 v57, s65, 63
	v_readlane_b32 s4, v57, 22
	s_add_u32 s56, s72, s4
	v_readlane_b32 s4, v57, 24
	s_addc_u32 s17, s73, s4
	s_mov_b32 s16, s53
	s_cmp_lg_u64 s[16:17], 0
	s_cbranch_scc0 .LBB129_245
; %bb.199:                              ;   in Loop: Header=BB129_31 Depth=1
	v_cvt_f32_u32_e32 v4, s33
	s_sub_u32 s8, 0, s33
	s_subb_u32 s9, 0, 0
	v_mac_f32_e32 v4, 0, v42
	v_rcp_f32_e32 v4, v4
	v_mul_f32_e32 v4, 0x5f7ffffc, v4
	v_mul_f32_e32 v5, 0x2f800000, v4
	v_trunc_f32_e32 v5, v5
	v_mac_f32_e32 v4, 0xcf800000, v5
	v_cvt_u32_f32_e32 v5, v5
	v_cvt_u32_f32_e32 v4, v4
	v_readfirstlane_b32 s16, v5
	v_readfirstlane_b32 s4, v4
	s_mul_i32 s5, s8, s16
	s_mul_hi_u32 s57, s8, s4
	s_mul_i32 s52, s9, s4
	s_add_i32 s5, s57, s5
	s_mul_i32 s58, s8, s4
	s_add_i32 s5, s5, s52
	s_mul_hi_u32 s57, s4, s58
	s_mul_i32 s59, s4, s5
	s_mul_hi_u32 s52, s4, s5
	s_add_u32 s57, s57, s59
	s_addc_u32 s52, 0, s52
	s_mul_hi_u32 s64, s16, s58
	s_mul_i32 s58, s16, s58
	s_add_u32 s57, s57, s58
	s_mul_hi_u32 s59, s16, s5
	s_addc_u32 s52, s52, s64
	s_addc_u32 s57, s59, 0
	s_mul_i32 s5, s16, s5
	s_add_u32 s5, s52, s5
	s_addc_u32 s52, 0, s57
	s_add_u32 s57, s4, s5
	s_cselect_b64 s[4:5], -1, 0
	s_cmp_lg_u64 s[4:5], 0
	s_addc_u32 s16, s16, s52
	s_mul_i32 s4, s8, s16
	s_mul_hi_u32 s5, s8, s57
	s_add_i32 s4, s5, s4
	s_mul_i32 s9, s9, s57
	s_add_i32 s4, s4, s9
	s_mul_i32 s8, s8, s57
	s_mul_hi_u32 s9, s16, s8
	s_mul_i32 s52, s16, s8
	s_mul_i32 s59, s57, s4
	s_mul_hi_u32 s8, s57, s8
	s_mul_hi_u32 s58, s57, s4
	s_add_u32 s8, s8, s59
	s_addc_u32 s58, 0, s58
	s_add_u32 s8, s8, s52
	s_mul_hi_u32 s5, s16, s4
	s_addc_u32 s8, s58, s9
	s_addc_u32 s5, s5, 0
	s_mul_i32 s4, s16, s4
	s_add_u32 s4, s8, s4
	s_addc_u32 s8, 0, s5
	s_add_u32 s9, s57, s4
	s_cselect_b64 s[4:5], -1, 0
	s_cmp_lg_u64 s[4:5], 0
	s_addc_u32 s4, s16, s8
	s_mul_i32 s8, s56, s4
	s_mul_hi_u32 s16, s56, s9
	s_mul_hi_u32 s5, s56, s4
	s_add_u32 s8, s16, s8
	s_addc_u32 s5, 0, s5
	s_mul_hi_u32 s52, s17, s9
	s_mul_i32 s9, s17, s9
	s_add_u32 s8, s8, s9
	s_mul_hi_u32 s16, s17, s4
	s_addc_u32 s5, s5, s52
	s_addc_u32 s8, s16, 0
	s_mul_i32 s4, s17, s4
	s_add_u32 s4, s5, s4
	s_addc_u32 s5, 0, s8
	s_mul_i32 s5, s33, s5
	s_mul_hi_u32 s8, s33, s4
	s_add_i32 s8, s8, s5
	s_mul_i32 s4, s33, s4
	s_sub_u32 s9, s56, s4
	s_cselect_b64 s[4:5], -1, 0
	s_cmp_lg_u64 s[4:5], 0
	s_subb_u32 s8, s17, s8
	s_sub_u32 s16, s9, s33
	s_cselect_b64 s[4:5], -1, 0
	s_cmp_lg_u64 s[4:5], 0
	s_subb_u32 s52, s8, 0
	;; [unrolled: 4-line block ×3, first 2 shown]
	s_cmp_ge_u32 s16, s33
	s_cselect_b32 s5, -1, 0
	s_cmp_eq_u32 s52, 0
	s_cselect_b32 s5, s5, -1
	s_cmp_lg_u32 s5, 0
	s_cselect_b32 s4, s4, s52
	s_cselect_b32 s16, s57, s16
	s_cmp_ge_u32 s9, s33
	s_cselect_b32 s5, -1, 0
	s_cmp_eq_u32 s8, 0
	s_cselect_b32 s5, s5, -1
	s_cmp_lg_u32 s5, 0
	s_cselect_b32 s5, s4, s8
	s_cselect_b32 s4, s16, s9
	s_cbranch_execnz .LBB129_201
.LBB129_200:                            ;   in Loop: Header=BB129_31 Depth=1
	v_cvt_f32_u32_e32 v4, s33
	s_sub_i32 s4, 0, s33
	v_rcp_iflag_f32_e32 v4, v4
	v_mul_f32_e32 v4, 0x4f7ffffe, v4
	v_cvt_u32_f32_e32 v4, v4
	v_readfirstlane_b32 s5, v4
	s_mul_i32 s4, s4, s5
	s_mul_hi_u32 s4, s5, s4
	s_add_i32 s5, s5, s4
	s_mul_hi_u32 s4, s56, s5
	s_mul_i32 s4, s4, s33
	s_sub_i32 s4, s56, s4
	s_sub_i32 s5, s4, s33
	s_cmp_ge_u32 s4, s33
	s_cselect_b32 s4, s5, s4
	s_sub_i32 s5, s4, s33
	s_cmp_ge_u32 s4, s33
	s_cselect_b32 s52, s5, s4
	s_mov_b64 s[4:5], s[52:53]
.LBB129_201:                            ;   in Loop: Header=BB129_31 Depth=1
	s_sub_u32 s8, s56, s4
	s_subb_u32 s9, s17, s5
	v_cmp_gt_u64_e32 vcc, s[8:9], v[0:1]
	s_mov_b64 s[4:5], 0
	s_mov_b64 s[16:17], 0
                                        ; implicit-def: $vgpr8
	s_and_saveexec_b64 s[68:69], vcc
	s_mov_b32 s52, 0xc0c0004
	s_cbranch_execz .LBB129_212
; %bb.202:                              ;   in Loop: Header=BB129_31 Depth=1
	v_mov_b32_e32 v5, v1
	v_mov_b32_e32 v8, v0
	;; [unrolled: 1-line block ×3, first 2 shown]
                                        ; implicit-def: $sgpr56_sgpr57
	s_branch .LBB129_205
.LBB129_203:                            ;   in Loop: Header=BB129_205 Depth=2
	s_or_b64 exec, exec, s[58:59]
	s_waitcnt lgkmcnt(0)
	s_barrier
	ds_read_u16 v9, v3 offset:3072
	s_mov_b64 s[58:59], -1
	s_waitcnt lgkmcnt(0)
	s_barrier
	v_cmp_ne_u32_sdwa s[64:65], v9, v3 src0_sel:BYTE_0 src1_sel:DWORD
	s_and_b64 vcc, exec, s[64:65]
	s_mov_b64 s[64:65], -1
	s_cbranch_vccz .LBB129_208
.LBB129_204:                            ;   in Loop: Header=BB129_205 Depth=2
	s_and_b64 s[58:59], exec, s[58:59]
	s_or_b64 s[16:17], s[58:59], s[16:17]
	s_andn2_b64 s[56:57], s[56:57], exec
	s_and_b64 s[58:59], s[64:65], exec
	s_or_b64 s[56:57], s[56:57], s[58:59]
	s_andn2_b64 exec, exec, s[16:17]
	s_cbranch_execz .LBB129_211
.LBB129_205:                            ;   Parent Loop BB129_31 Depth=1
                                        ; =>  This Inner Loop Header: Depth=2
	v_cmp_gt_u64_e32 vcc, s[72:73], v[4:5]
	s_and_saveexec_b64 s[58:59], vcc
	s_cbranch_execz .LBB129_203
; %bb.206:                              ;   in Loop: Header=BB129_205 Depth=2
	ds_read_u8 v9, v8
	s_waitcnt lgkmcnt(0)
	v_and_b32_e32 v28, v9, v10
	v_cmp_eq_u32_sdwa s[64:65], v28, v11 src0_sel:BYTE_0 src1_sel:DWORD
	s_and_b64 exec, exec, s[64:65]
	s_cbranch_execz .LBB129_203
; %bb.207:                              ;   in Loop: Header=BB129_205 Depth=2
	v_lshlrev_b16_e32 v9, 8, v9
	v_or_b32_e32 v9, 1, v9
	ds_write_b16 v3, v9 offset:3072
	s_branch .LBB129_203
.LBB129_208:                            ;   in Loop: Header=BB129_205 Depth=2
	v_add_co_u32_e32 v4, vcc, s33, v4
	v_addc_co_u32_e32 v5, vcc, 0, v5, vcc
	v_cmp_le_u64_e32 vcc, s[8:9], v[4:5]
	v_add_u32_e32 v8, s33, v8
	s_mov_b64 s[64:65], 0
	s_orn2_b64 s[58:59], vcc, exec
	s_branch .LBB129_204
.LBB129_209:                            ;   in Loop: Header=BB129_31 Depth=1
                                        ; implicit-def: $sgpr4_sgpr5
	s_branch .LBB129_155
.LBB129_210:                            ;   in Loop: Header=BB129_31 Depth=1
                                        ; implicit-def: $sgpr4_sgpr5
	s_branch .LBB129_171
.LBB129_211:                            ;   in Loop: Header=BB129_31 Depth=1
	s_or_b64 exec, exec, s[16:17]
	v_lshrrev_b32_sdwa v8, v43, v9 dst_sel:DWORD dst_unused:UNUSED_PAD src0_sel:DWORD src1_sel:WORD_0
	s_and_b64 s[16:17], s[56:57], exec
.LBB129_212:                            ;   in Loop: Header=BB129_31 Depth=1
	s_or_b64 exec, exec, s[68:69]
	v_readlane_b32 s64, v57, 62
	v_readlane_b32 s65, v57, 63
	;; [unrolled: 1-line block ×3, first 2 shown]
	s_mul_i32 s58, s26, s33
.LBB129_213:                            ;   in Loop: Header=BB129_31 Depth=1
	s_and_b64 vcc, exec, s[4:5]
	s_cbranch_vccz .LBB129_227
; %bb.214:                              ;   in Loop: Header=BB129_31 Depth=1
	v_readlane_b32 s72, v57, 25
	v_readlane_b32 s73, v57, 26
	s_mov_b32 s72, s53
	s_cmp_lg_u64 s[72:73], 0
	v_writelane_b32 v57, s72, 25
	v_writelane_b32 v57, s73, 26
	s_cbranch_scc0 .LBB129_246
; %bb.215:                              ;   in Loop: Header=BB129_31 Depth=1
	v_cvt_f32_u32_e32 v4, s33
	s_sub_u32 s8, 0, s33
	s_subb_u32 s9, 0, 0
	s_mov_b64 s[68:69], s[64:65]
	v_mac_f32_e32 v4, 0, v42
	v_rcp_f32_e32 v4, v4
	v_mul_f32_e32 v4, 0x5f7ffffc, v4
	v_mul_f32_e32 v5, 0x2f800000, v4
	v_trunc_f32_e32 v5, v5
	v_mac_f32_e32 v4, 0xcf800000, v5
	v_cvt_u32_f32_e32 v5, v5
	v_cvt_u32_f32_e32 v4, v4
	v_readfirstlane_b32 s52, v5
	v_readfirstlane_b32 s4, v4
	s_mul_i32 s5, s8, s52
	s_mul_hi_u32 s57, s8, s4
	s_mul_i32 s56, s9, s4
	s_add_i32 s5, s57, s5
	s_mul_i32 s58, s8, s4
	s_add_i32 s5, s5, s56
	s_mul_hi_u32 s57, s4, s58
	s_mul_i32 s59, s4, s5
	s_mul_hi_u32 s56, s4, s5
	s_add_u32 s57, s57, s59
	s_addc_u32 s56, 0, s56
	s_mul_hi_u32 s64, s52, s58
	s_mul_i32 s58, s52, s58
	s_add_u32 s57, s57, s58
	s_mul_hi_u32 s59, s52, s5
	s_addc_u32 s56, s56, s64
	s_addc_u32 s57, s59, 0
	s_mul_i32 s5, s52, s5
	s_add_u32 s5, s56, s5
	s_addc_u32 s56, 0, s57
	s_add_u32 s57, s4, s5
	s_cselect_b64 s[4:5], -1, 0
	s_cmp_lg_u64 s[4:5], 0
	s_addc_u32 s52, s52, s56
	s_mul_i32 s4, s8, s52
	s_mul_hi_u32 s5, s8, s57
	s_add_i32 s4, s5, s4
	s_mul_i32 s9, s9, s57
	s_add_i32 s4, s4, s9
	s_mul_i32 s8, s8, s57
	s_mul_hi_u32 s9, s52, s8
	s_mul_i32 s56, s52, s8
	s_mul_i32 s59, s57, s4
	s_mul_hi_u32 s8, s57, s8
	s_mul_hi_u32 s58, s57, s4
	s_add_u32 s8, s8, s59
	s_addc_u32 s58, 0, s58
	s_add_u32 s8, s8, s56
	s_mul_hi_u32 s5, s52, s4
	s_addc_u32 s8, s58, s9
	s_addc_u32 s5, s5, 0
	s_mul_i32 s4, s52, s4
	s_add_u32 s4, s8, s4
	s_addc_u32 s8, 0, s5
	s_add_u32 s9, s57, s4
	s_cselect_b64 s[4:5], -1, 0
	s_cmp_lg_u64 s[4:5], 0
	s_addc_u32 s4, s52, s8
	v_readlane_b32 s57, v57, 23
	s_mul_i32 s8, s57, s4
	s_mul_hi_u32 s52, s57, s9
	s_mul_hi_u32 s5, s57, s4
	s_add_u32 s8, s52, s8
	s_addc_u32 s5, 0, s5
	s_mul_hi_u32 s56, s73, s9
	s_mul_i32 s9, s73, s9
	s_add_u32 s8, s8, s9
	s_mul_hi_u32 s52, s73, s4
	s_addc_u32 s5, s5, s56
	s_addc_u32 s8, s52, 0
	s_mul_i32 s4, s73, s4
	s_add_u32 s4, s5, s4
	s_addc_u32 s5, 0, s8
	s_mul_i32 s5, s33, s5
	s_mul_hi_u32 s8, s33, s4
	s_add_i32 s8, s8, s5
	s_mul_i32 s4, s33, s4
	s_sub_u32 s9, s57, s4
	s_cselect_b64 s[4:5], -1, 0
	s_cmp_lg_u64 s[4:5], 0
	s_subb_u32 s8, s73, s8
	s_sub_u32 s52, s9, s33
	s_cselect_b64 s[4:5], -1, 0
	s_cmp_lg_u64 s[4:5], 0
	s_subb_u32 s56, s8, 0
	;; [unrolled: 4-line block ×3, first 2 shown]
	s_cmp_ge_u32 s52, s33
	s_cselect_b32 s5, -1, 0
	s_cmp_eq_u32 s56, 0
	s_cselect_b32 s5, s5, -1
	s_cmp_lg_u32 s5, 0
	s_cselect_b32 s4, s4, s56
	s_cselect_b32 s52, s57, s52
	s_cmp_ge_u32 s9, s33
	s_cselect_b32 s5, -1, 0
	s_cmp_eq_u32 s8, 0
	s_cselect_b32 s5, s5, -1
	s_cmp_lg_u32 s5, 0
	s_mov_b64 s[64:65], s[68:69]
	v_readlane_b32 s59, v57, 51
	s_mul_i32 s58, s26, s33
	s_cselect_b32 s5, s4, s8
	s_cselect_b32 s4, s52, s9
	s_cbranch_execnz .LBB129_217
.LBB129_216:                            ;   in Loop: Header=BB129_31 Depth=1
	v_cvt_f32_u32_e32 v4, s33
	s_sub_i32 s4, 0, s33
	v_readlane_b32 s8, v57, 23
	v_rcp_iflag_f32_e32 v4, v4
	v_mul_f32_e32 v4, 0x4f7ffffe, v4
	v_cvt_u32_f32_e32 v4, v4
	v_readfirstlane_b32 s5, v4
	s_mul_i32 s4, s4, s5
	s_mul_hi_u32 s4, s5, s4
	s_add_i32 s5, s5, s4
	s_mul_hi_u32 s4, s8, s5
	s_mul_i32 s4, s4, s33
	s_sub_i32 s4, s8, s4
	s_sub_i32 s5, s4, s33
	s_cmp_ge_u32 s4, s33
	s_cselect_b32 s4, s5, s4
	s_sub_i32 s5, s4, s33
	s_cmp_ge_u32 s4, s33
	s_cselect_b32 s52, s5, s4
	s_mov_b64 s[4:5], s[52:53]
.LBB129_217:                            ;   in Loop: Header=BB129_31 Depth=1
	v_readlane_b32 s8, v57, 23
	v_readlane_b32 s56, v57, 25
	s_sub_u32 s8, s8, s4
	v_readlane_b32 s57, v57, 26
	s_subb_u32 s9, s57, s5
	v_cmp_gt_u64_e32 vcc, s[8:9], v[0:1]
                                        ; implicit-def: $vgpr8
	s_and_saveexec_b64 s[4:5], vcc
	s_mov_b32 s52, 0xc0c0004
	s_cbranch_execz .LBB129_226
; %bb.218:                              ;   in Loop: Header=BB129_31 Depth=1
	v_mov_b32_e32 v4, v21
	v_mov_b32_e32 v9, v1
	s_mov_b64 s[68:69], 0
	v_mov_b32_e32 v5, v22
	v_mov_b32_e32 v8, v0
                                        ; implicit-def: $sgpr72_sgpr73
	s_branch .LBB129_221
.LBB129_219:                            ;   in Loop: Header=BB129_221 Depth=2
	s_or_b64 exec, exec, s[56:57]
	s_waitcnt lgkmcnt(0)
	s_barrier
	ds_read_u16 v28, v3 offset:3072
	s_mov_b64 s[56:57], -1
	s_waitcnt lgkmcnt(0)
	s_barrier
	v_cmp_eq_u32_sdwa s[58:59], v28, v3 src0_sel:BYTE_0 src1_sel:DWORD
	s_and_b64 vcc, exec, s[58:59]
	s_mov_b64 s[58:59], -1
	s_cbranch_vccnz .LBB129_224
.LBB129_220:                            ;   in Loop: Header=BB129_221 Depth=2
	s_and_b64 s[56:57], exec, s[56:57]
	s_or_b64 s[68:69], s[56:57], s[68:69]
	s_andn2_b64 s[56:57], s[72:73], exec
	s_and_b64 s[58:59], s[58:59], exec
	s_or_b64 s[72:73], s[56:57], s[58:59]
	s_andn2_b64 exec, exec, s[68:69]
	s_cbranch_execz .LBB129_225
.LBB129_221:                            ;   Parent Loop BB129_31 Depth=1
                                        ; =>  This Inner Loop Header: Depth=2
	v_cmp_gt_u64_e32 vcc, s[28:29], v[8:9]
	s_and_saveexec_b64 s[56:57], vcc
	s_cbranch_execz .LBB129_219
; %bb.222:                              ;   in Loop: Header=BB129_221 Depth=2
	global_load_ubyte v28, v[4:5], off
	s_waitcnt vmcnt(0)
	v_and_b32_e32 v29, v28, v10
	v_cmp_eq_u32_sdwa s[58:59], v29, v11 src0_sel:BYTE_0 src1_sel:DWORD
	s_and_b64 exec, exec, s[58:59]
	s_cbranch_execz .LBB129_219
; %bb.223:                              ;   in Loop: Header=BB129_221 Depth=2
	v_lshlrev_b16_e32 v28, 8, v28
	v_or_b32_e32 v28, 1, v28
	ds_write_b16 v3, v28 offset:3072
	s_branch .LBB129_219
.LBB129_224:                            ;   in Loop: Header=BB129_221 Depth=2
	v_add_co_u32_e32 v8, vcc, s33, v8
	v_readlane_b32 s52, v57, 51
	v_addc_co_u32_e32 v9, vcc, 0, v9, vcc
	v_mov_b32_e32 v29, s52
	s_mul_i32 s52, s26, s33
	v_add_co_u32_e32 v4, vcc, s52, v4
	v_addc_co_u32_e32 v5, vcc, v5, v29, vcc
	v_cmp_le_u64_e32 vcc, s[8:9], v[8:9]
	s_mov_b32 s52, 0xc0c0004
	s_mov_b64 s[58:59], 0
	s_orn2_b64 s[56:57], vcc, exec
	s_branch .LBB129_220
.LBB129_225:                            ;   in Loop: Header=BB129_31 Depth=1
	s_or_b64 exec, exec, s[68:69]
	s_andn2_b64 s[8:9], s[16:17], exec
	s_and_b64 s[16:17], s[72:73], exec
	v_lshrrev_b32_sdwa v8, v43, v28 dst_sel:DWORD dst_unused:UNUSED_PAD src0_sel:DWORD src1_sel:WORD_0
	s_or_b64 s[16:17], s[8:9], s[16:17]
	v_readlane_b32 s59, v57, 51
	s_mul_i32 s58, s26, s33
.LBB129_226:                            ;   in Loop: Header=BB129_31 Depth=1
	s_or_b64 exec, exec, s[4:5]
	s_mov_b64 s[4:5], -1
	s_mov_b64 s[66:67], 0
	v_writelane_b32 v57, s4, 58
	v_writelane_b32 v57, s5, 59
.LBB129_227:                            ;   in Loop: Header=BB129_31 Depth=1
	s_orn2_b64 s[4:5], s[16:17], exec
.LBB129_228:                            ;   in Loop: Header=BB129_31 Depth=1
	s_or_b64 exec, exec, s[10:11]
	s_mov_b64 s[8:9], 0
	s_and_saveexec_b64 s[10:11], s[4:5]
	v_readlane_b32 s56, v57, 60
	v_readlane_b32 s57, v57, 61
	s_cbranch_execz .LBB129_291
; %bb.229:                              ;   in Loop: Header=BB129_31 Depth=1
                                        ; implicit-def: $vgpr56 : SGPR spill to VGPR lane
	v_mov_b32_e32 v4, 1
	v_writelane_b32 v56, s66, 0
	s_xor_b64 s[4:5], s[60:61], -1
	v_mov_b32_e32 v2, 1
	v_mov_b32_e32 v5, 0
	v_writelane_b32 v56, s67, 1
	s_and_saveexec_b64 s[16:17], s[4:5]
	s_cbranch_execz .LBB129_238
; %bb.230:                              ;   in Loop: Header=BB129_31 Depth=1
	v_cmp_ge_u64_e32 vcc, s[48:49], v[6:7]
	s_and_saveexec_b64 s[4:5], vcc
	s_xor_b64 s[4:5], exec, s[4:5]
	s_cbranch_execz .LBB129_235
; %bb.231:                              ;   in Loop: Header=BB129_31 Depth=1
	ds_read_b64 v[4:5], v3 offset:5120
	v_and_b32_e32 v2, s1, v11
	v_lshl_or_b32 v11, 2, s63, v2
	v_or_b32_e32 v10, s0, v10
	s_waitcnt lgkmcnt(0)
	v_cmp_ne_u64_e32 vcc, 0, v[4:5]
	s_cbranch_vccnz .LBB129_235
; %bb.232:                              ;   in Loop: Header=BB129_31 Depth=1
	s_mov_b64 s[8:9], exec
	v_readlane_b32 s56, v57, 8
	v_readlane_b32 s57, v57, 9
	s_and_b64 s[56:57], s[8:9], s[56:57]
	s_mov_b64 exec, s[56:57]
; %bb.233:                              ;   in Loop: Header=BB129_31 Depth=1
	v_mov_b32_e32 v4, s48
	v_mov_b32_e32 v5, s49
	ds_write_b64 v3, v[4:5] offset:5128
; %bb.234:                              ;   in Loop: Header=BB129_31 Depth=1
	s_or_b64 exec, exec, s[8:9]
	s_waitcnt lgkmcnt(0)
	s_barrier
.LBB129_235:                            ;   in Loop: Header=BB129_31 Depth=1
	s_or_saveexec_b64 s[4:5], s[4:5]
	s_mov_b64 s[8:9], 0
	v_mov_b32_e32 v2, 8
	s_xor_b64 exec, exec, s[4:5]
; %bb.236:                              ;   in Loop: Header=BB129_31 Depth=1
	v_subrev_co_u32_e32 v6, vcc, s48, v6
	v_mov_b32_e32 v2, s49
	v_subb_co_u32_e32 v7, vcc, v7, v2, vcc
	v_mov_b32_e32 v2, 0
	s_mov_b64 s[8:9], exec
; %bb.237:                              ;   in Loop: Header=BB129_31 Depth=1
	s_or_b64 exec, exec, s[4:5]
	v_mov_b32_e32 v4, v6
	v_readlane_b32 s56, v57, 60
	s_and_b64 s[8:9], s[8:9], exec
	v_mov_b32_e32 v5, v7
	v_readlane_b32 s57, v57, 61
.LBB129_238:                            ;   in Loop: Header=BB129_31 Depth=1
	s_or_b64 exec, exec, s[16:17]
	s_mov_b64 s[4:5], -1
                                        ; implicit-def: $sgpr72_sgpr73
                                        ; implicit-def: $sgpr68_sgpr69
	s_and_saveexec_b64 s[60:61], s[8:9]
	s_cbranch_execz .LBB129_290
; %bb.239:                              ;   in Loop: Header=BB129_31 Depth=1
	s_cmp_eq_u64 s[50:51], 1
	v_cmp_eq_u64_e32 vcc, 1, v[4:5]
	s_cselect_b64 s[4:5], -1, 0
	s_and_b64 s[66:67], s[4:5], vcc
	s_mov_b64 s[4:5], -1
                                        ; implicit-def: $sgpr72_sgpr73
                                        ; implicit-def: $sgpr68_sgpr69
	s_mov_b64 s[8:9], exec
	v_writelane_b32 v56, s8, 2
	v_writelane_b32 v56, s9, 3
	s_and_b64 s[8:9], s[8:9], s[66:67]
	s_mov_b64 exec, s[8:9]
	s_cbranch_execz .LBB129_278
; %bb.240:                              ;   in Loop: Header=BB129_31 Depth=1
	ds_read_b64 v[6:7], v3 offset:5120
	s_waitcnt lgkmcnt(0)
	s_barrier
	v_readfirstlane_b32 s72, v6
	v_readfirstlane_b32 s73, v7
	s_mov_b64 s[4:5], exec
	v_readlane_b32 s8, v57, 46
	v_readlane_b32 s9, v57, 47
	s_and_b64 s[8:9], s[4:5], s[8:9]
	s_mov_b64 exec, s[8:9]
; %bb.241:                              ;   in Loop: Header=BB129_31 Depth=1
	ds_write_b8 v0, v3 offset:3072
; %bb.242:                              ;   in Loop: Header=BB129_31 Depth=1
	s_or_b64 exec, exec, s[4:5]
	v_or_b32_e32 v11, s0, v11
	v_or_b32_e32 v10, s0, v10
	s_cmp_eq_u64 s[72:73], 0
	s_mov_b64 s[16:17], 0
	s_mov_b64 s[4:5], -1
	s_waitcnt lgkmcnt(0)
	s_barrier
                                        ; implicit-def: $vgpr8
	s_cbranch_scc1 .LBB129_260
; %bb.243:                              ;   in Loop: Header=BB129_31 Depth=1
	v_writelane_b32 v57, s64, 62
	v_writelane_b32 v57, s65, 63
	v_readlane_b32 s4, v57, 22
	s_add_u32 s56, s72, s4
	v_readlane_b32 s4, v57, 24
	s_addc_u32 s17, s73, s4
	s_mov_b32 s16, s53
	s_cmp_lg_u64 s[16:17], 0
	s_cbranch_scc0 .LBB129_247
; %bb.244:                              ;   in Loop: Header=BB129_31 Depth=1
	v_cvt_f32_u32_e32 v6, s33
	s_sub_u32 s8, 0, s33
	s_subb_u32 s9, 0, 0
	v_mac_f32_e32 v6, 0, v42
	v_rcp_f32_e32 v6, v6
	v_mul_f32_e32 v6, 0x5f7ffffc, v6
	v_mul_f32_e32 v7, 0x2f800000, v6
	v_trunc_f32_e32 v7, v7
	v_mac_f32_e32 v6, 0xcf800000, v7
	v_cvt_u32_f32_e32 v7, v7
	v_cvt_u32_f32_e32 v6, v6
	v_readfirstlane_b32 s16, v7
	v_readfirstlane_b32 s4, v6
	s_mul_i32 s5, s8, s16
	s_mul_hi_u32 s57, s8, s4
	s_mul_i32 s52, s9, s4
	s_add_i32 s5, s57, s5
	s_mul_i32 s58, s8, s4
	s_add_i32 s5, s5, s52
	s_mul_hi_u32 s57, s4, s58
	s_mul_i32 s59, s4, s5
	s_mul_hi_u32 s52, s4, s5
	s_add_u32 s57, s57, s59
	s_addc_u32 s52, 0, s52
	s_mul_hi_u32 s64, s16, s58
	s_mul_i32 s58, s16, s58
	s_add_u32 s57, s57, s58
	s_mul_hi_u32 s59, s16, s5
	s_addc_u32 s52, s52, s64
	s_addc_u32 s57, s59, 0
	s_mul_i32 s5, s16, s5
	s_add_u32 s5, s52, s5
	s_addc_u32 s52, 0, s57
	s_add_u32 s57, s4, s5
	s_cselect_b64 s[4:5], -1, 0
	s_cmp_lg_u64 s[4:5], 0
	s_addc_u32 s16, s16, s52
	s_mul_i32 s4, s8, s16
	s_mul_hi_u32 s5, s8, s57
	s_add_i32 s4, s5, s4
	s_mul_i32 s9, s9, s57
	s_add_i32 s4, s4, s9
	s_mul_i32 s8, s8, s57
	s_mul_hi_u32 s9, s16, s8
	s_mul_i32 s52, s16, s8
	s_mul_i32 s59, s57, s4
	s_mul_hi_u32 s8, s57, s8
	s_mul_hi_u32 s58, s57, s4
	s_add_u32 s8, s8, s59
	s_addc_u32 s58, 0, s58
	s_add_u32 s8, s8, s52
	s_mul_hi_u32 s5, s16, s4
	s_addc_u32 s8, s58, s9
	s_addc_u32 s5, s5, 0
	s_mul_i32 s4, s16, s4
	s_add_u32 s4, s8, s4
	s_addc_u32 s8, 0, s5
	s_add_u32 s9, s57, s4
	s_cselect_b64 s[4:5], -1, 0
	s_cmp_lg_u64 s[4:5], 0
	s_addc_u32 s4, s16, s8
	s_mul_i32 s8, s56, s4
	s_mul_hi_u32 s16, s56, s9
	s_mul_hi_u32 s5, s56, s4
	s_add_u32 s8, s16, s8
	s_addc_u32 s5, 0, s5
	s_mul_hi_u32 s52, s17, s9
	s_mul_i32 s9, s17, s9
	s_add_u32 s8, s8, s9
	s_mul_hi_u32 s16, s17, s4
	s_addc_u32 s5, s5, s52
	s_addc_u32 s8, s16, 0
	s_mul_i32 s4, s17, s4
	s_add_u32 s4, s5, s4
	s_addc_u32 s5, 0, s8
	s_mul_i32 s5, s33, s5
	s_mul_hi_u32 s8, s33, s4
	s_add_i32 s8, s8, s5
	s_mul_i32 s4, s33, s4
	s_sub_u32 s9, s56, s4
	s_cselect_b64 s[4:5], -1, 0
	s_cmp_lg_u64 s[4:5], 0
	s_subb_u32 s8, s17, s8
	s_sub_u32 s16, s9, s33
	s_cselect_b64 s[4:5], -1, 0
	s_cmp_lg_u64 s[4:5], 0
	s_subb_u32 s52, s8, 0
	;; [unrolled: 4-line block ×3, first 2 shown]
	s_cmp_ge_u32 s16, s33
	s_cselect_b32 s5, -1, 0
	s_cmp_eq_u32 s52, 0
	s_cselect_b32 s5, s5, -1
	s_cmp_lg_u32 s5, 0
	s_cselect_b32 s4, s4, s52
	s_cselect_b32 s16, s57, s16
	s_cmp_ge_u32 s9, s33
	s_cselect_b32 s5, -1, 0
	s_cmp_eq_u32 s8, 0
	s_cselect_b32 s5, s5, -1
	s_cmp_lg_u32 s5, 0
	s_mov_b32 s52, 0xc0c0004
	s_cselect_b32 s5, s4, s8
	s_cselect_b32 s4, s16, s9
	s_mov_b64 s[8:9], 0
	s_branch .LBB129_248
.LBB129_245:                            ;   in Loop: Header=BB129_31 Depth=1
                                        ; implicit-def: $sgpr4_sgpr5
	s_branch .LBB129_200
.LBB129_246:                            ;   in Loop: Header=BB129_31 Depth=1
                                        ; implicit-def: $sgpr4_sgpr5
	s_branch .LBB129_216
.LBB129_247:                            ;   in Loop: Header=BB129_31 Depth=1
	s_mov_b64 s[8:9], -1
                                        ; implicit-def: $sgpr4_sgpr5
.LBB129_248:                            ;   in Loop: Header=BB129_31 Depth=1
	s_andn2_b64 vcc, exec, s[8:9]
	s_cbranch_vccnz .LBB129_250
; %bb.249:                              ;   in Loop: Header=BB129_31 Depth=1
	v_cvt_f32_u32_e32 v6, s33
	s_sub_i32 s4, 0, s33
	v_rcp_iflag_f32_e32 v6, v6
	v_mul_f32_e32 v6, 0x4f7ffffe, v6
	v_cvt_u32_f32_e32 v6, v6
	v_readfirstlane_b32 s5, v6
	s_mul_i32 s4, s4, s5
	s_mul_hi_u32 s4, s5, s4
	s_add_i32 s5, s5, s4
	s_mul_hi_u32 s4, s56, s5
	s_mul_i32 s4, s4, s33
	s_sub_i32 s4, s56, s4
	s_sub_i32 s5, s4, s33
	s_cmp_ge_u32 s4, s33
	s_cselect_b32 s4, s5, s4
	s_sub_i32 s5, s4, s33
	s_cmp_ge_u32 s4, s33
	s_cselect_b32 s52, s5, s4
	s_mov_b64 s[4:5], s[52:53]
	s_mov_b32 s52, 0xc0c0004
.LBB129_250:                            ;   in Loop: Header=BB129_31 Depth=1
	s_sub_u32 s8, s56, s4
	s_subb_u32 s9, s17, s5
	v_cmp_gt_u64_e32 vcc, s[8:9], v[0:1]
	s_mov_b64 s[4:5], 0
	s_mov_b64 s[16:17], 0
                                        ; implicit-def: $vgpr8
	s_and_saveexec_b64 s[68:69], vcc
	s_cbranch_execz .LBB129_259
; %bb.251:                              ;   in Loop: Header=BB129_31 Depth=1
	v_mov_b32_e32 v7, v1
	v_mov_b32_e32 v8, v0
	;; [unrolled: 1-line block ×3, first 2 shown]
                                        ; implicit-def: $sgpr56_sgpr57
	s_branch .LBB129_254
.LBB129_252:                            ;   in Loop: Header=BB129_254 Depth=2
	s_or_b64 exec, exec, s[58:59]
	s_waitcnt lgkmcnt(0)
	s_barrier
	ds_read_u16 v9, v3 offset:3072
	s_mov_b64 s[58:59], -1
	s_waitcnt lgkmcnt(0)
	s_barrier
	v_cmp_ne_u32_sdwa s[64:65], v9, v3 src0_sel:BYTE_0 src1_sel:DWORD
	s_and_b64 vcc, exec, s[64:65]
	s_mov_b64 s[64:65], -1
	s_cbranch_vccz .LBB129_257
.LBB129_253:                            ;   in Loop: Header=BB129_254 Depth=2
	s_and_b64 s[58:59], exec, s[58:59]
	s_or_b64 s[16:17], s[58:59], s[16:17]
	s_andn2_b64 s[56:57], s[56:57], exec
	s_and_b64 s[58:59], s[64:65], exec
	s_or_b64 s[56:57], s[56:57], s[58:59]
	s_andn2_b64 exec, exec, s[16:17]
	s_cbranch_execz .LBB129_258
.LBB129_254:                            ;   Parent Loop BB129_31 Depth=1
                                        ; =>  This Inner Loop Header: Depth=2
	v_cmp_gt_u64_e32 vcc, s[72:73], v[6:7]
	s_and_saveexec_b64 s[58:59], vcc
	s_cbranch_execz .LBB129_252
; %bb.255:                              ;   in Loop: Header=BB129_254 Depth=2
	ds_read_u8 v9, v8
	s_waitcnt lgkmcnt(0)
	v_and_b32_e32 v28, v9, v10
	v_cmp_eq_u32_sdwa s[64:65], v28, v11 src0_sel:BYTE_0 src1_sel:DWORD
	s_and_b64 exec, exec, s[64:65]
	s_cbranch_execz .LBB129_252
; %bb.256:                              ;   in Loop: Header=BB129_254 Depth=2
	v_lshlrev_b16_e32 v9, 8, v9
	v_or_b32_e32 v9, 1, v9
	ds_write_b16 v3, v9 offset:3072
	s_branch .LBB129_252
.LBB129_257:                            ;   in Loop: Header=BB129_254 Depth=2
	v_add_co_u32_e32 v6, vcc, s33, v6
	v_addc_co_u32_e32 v7, vcc, 0, v7, vcc
	v_cmp_le_u64_e32 vcc, s[8:9], v[6:7]
	v_add_u32_e32 v8, s33, v8
	s_mov_b64 s[64:65], 0
	s_orn2_b64 s[58:59], vcc, exec
	s_branch .LBB129_253
.LBB129_258:                            ;   in Loop: Header=BB129_31 Depth=1
	s_or_b64 exec, exec, s[16:17]
	v_lshrrev_b32_sdwa v8, v43, v9 dst_sel:DWORD dst_unused:UNUSED_PAD src0_sel:DWORD src1_sel:WORD_0
	s_and_b64 s[16:17], s[56:57], exec
.LBB129_259:                            ;   in Loop: Header=BB129_31 Depth=1
	s_or_b64 exec, exec, s[68:69]
	v_readlane_b32 s64, v57, 62
	v_readlane_b32 s65, v57, 63
	;; [unrolled: 1-line block ×3, first 2 shown]
	s_mul_i32 s58, s26, s33
.LBB129_260:                            ;   in Loop: Header=BB129_31 Depth=1
	s_and_b64 vcc, exec, s[4:5]
	s_cbranch_vccz .LBB129_263
; %bb.261:                              ;   in Loop: Header=BB129_31 Depth=1
	v_readlane_b32 s72, v57, 25
	v_readlane_b32 s73, v57, 26
	s_mov_b32 s72, s53
	s_cmp_lg_u64 s[72:73], 0
	v_writelane_b32 v57, s72, 25
	v_writelane_b32 v57, s73, 26
	s_cbranch_scc0 .LBB129_264
; %bb.262:                              ;   in Loop: Header=BB129_31 Depth=1
	v_cvt_f32_u32_e32 v6, s33
	s_sub_u32 s8, 0, s33
	s_subb_u32 s9, 0, 0
	s_mov_b64 s[68:69], s[64:65]
	v_mac_f32_e32 v6, 0, v42
	v_rcp_f32_e32 v6, v6
	v_mul_f32_e32 v6, 0x5f7ffffc, v6
	v_mul_f32_e32 v7, 0x2f800000, v6
	v_trunc_f32_e32 v7, v7
	v_mac_f32_e32 v6, 0xcf800000, v7
	v_cvt_u32_f32_e32 v7, v7
	v_cvt_u32_f32_e32 v6, v6
	v_readfirstlane_b32 s52, v7
	v_readfirstlane_b32 s4, v6
	s_mul_i32 s5, s8, s52
	s_mul_hi_u32 s57, s8, s4
	s_mul_i32 s56, s9, s4
	s_add_i32 s5, s57, s5
	s_mul_i32 s58, s8, s4
	s_add_i32 s5, s5, s56
	s_mul_hi_u32 s57, s4, s58
	s_mul_i32 s59, s4, s5
	s_mul_hi_u32 s56, s4, s5
	s_add_u32 s57, s57, s59
	s_addc_u32 s56, 0, s56
	s_mul_hi_u32 s64, s52, s58
	s_mul_i32 s58, s52, s58
	s_add_u32 s57, s57, s58
	s_mul_hi_u32 s59, s52, s5
	s_addc_u32 s56, s56, s64
	s_addc_u32 s57, s59, 0
	s_mul_i32 s5, s52, s5
	s_add_u32 s5, s56, s5
	s_addc_u32 s56, 0, s57
	s_add_u32 s57, s4, s5
	s_cselect_b64 s[4:5], -1, 0
	s_cmp_lg_u64 s[4:5], 0
	s_addc_u32 s52, s52, s56
	s_mul_i32 s4, s8, s52
	s_mul_hi_u32 s5, s8, s57
	s_add_i32 s4, s5, s4
	s_mul_i32 s9, s9, s57
	s_add_i32 s4, s4, s9
	s_mul_i32 s8, s8, s57
	s_mul_hi_u32 s9, s52, s8
	s_mul_i32 s56, s52, s8
	s_mul_i32 s59, s57, s4
	s_mul_hi_u32 s8, s57, s8
	s_mul_hi_u32 s58, s57, s4
	s_add_u32 s8, s8, s59
	s_addc_u32 s58, 0, s58
	s_add_u32 s8, s8, s56
	s_mul_hi_u32 s5, s52, s4
	s_addc_u32 s8, s58, s9
	s_addc_u32 s5, s5, 0
	s_mul_i32 s4, s52, s4
	s_add_u32 s4, s8, s4
	s_addc_u32 s8, 0, s5
	s_add_u32 s9, s57, s4
	s_cselect_b64 s[4:5], -1, 0
	s_cmp_lg_u64 s[4:5], 0
	s_addc_u32 s4, s52, s8
	v_readlane_b32 s57, v57, 23
	s_mul_i32 s8, s57, s4
	s_mul_hi_u32 s52, s57, s9
	s_mul_hi_u32 s5, s57, s4
	s_add_u32 s8, s52, s8
	s_addc_u32 s5, 0, s5
	s_mul_hi_u32 s56, s73, s9
	s_mul_i32 s9, s73, s9
	s_add_u32 s8, s8, s9
	s_mul_hi_u32 s52, s73, s4
	s_addc_u32 s5, s5, s56
	s_addc_u32 s8, s52, 0
	s_mul_i32 s4, s73, s4
	s_add_u32 s4, s5, s4
	s_addc_u32 s5, 0, s8
	s_mul_i32 s5, s33, s5
	s_mul_hi_u32 s8, s33, s4
	s_add_i32 s8, s8, s5
	s_mul_i32 s4, s33, s4
	s_sub_u32 s9, s57, s4
	s_cselect_b64 s[4:5], -1, 0
	s_cmp_lg_u64 s[4:5], 0
	s_subb_u32 s8, s73, s8
	s_sub_u32 s52, s9, s33
	s_cselect_b64 s[4:5], -1, 0
	s_cmp_lg_u64 s[4:5], 0
	s_subb_u32 s56, s8, 0
	;; [unrolled: 4-line block ×3, first 2 shown]
	s_cmp_ge_u32 s52, s33
	s_cselect_b32 s5, -1, 0
	s_cmp_eq_u32 s56, 0
	s_cselect_b32 s5, s5, -1
	s_cmp_lg_u32 s5, 0
	s_cselect_b32 s4, s4, s56
	s_cselect_b32 s52, s57, s52
	s_cmp_ge_u32 s9, s33
	s_cselect_b32 s5, -1, 0
	s_cmp_eq_u32 s8, 0
	s_cselect_b32 s5, s5, -1
	s_cmp_lg_u32 s5, 0
	s_mov_b64 s[64:65], s[68:69]
	v_readlane_b32 s59, v57, 51
	s_mul_i32 s58, s26, s33
	s_cselect_b32 s5, s4, s8
	s_cselect_b32 s4, s52, s9
	s_mov_b64 s[8:9], 0
	s_branch .LBB129_265
.LBB129_263:                            ;   in Loop: Header=BB129_31 Depth=1
	s_mov_b64 s[68:69], -1
	s_mov_b64 s[72:73], 0
	s_branch .LBB129_277
.LBB129_264:                            ;   in Loop: Header=BB129_31 Depth=1
	s_mov_b64 s[8:9], -1
                                        ; implicit-def: $sgpr4_sgpr5
.LBB129_265:                            ;   in Loop: Header=BB129_31 Depth=1
	s_andn2_b64 vcc, exec, s[8:9]
	s_cbranch_vccnz .LBB129_267
; %bb.266:                              ;   in Loop: Header=BB129_31 Depth=1
	v_cvt_f32_u32_e32 v6, s33
	s_sub_i32 s4, 0, s33
	v_readlane_b32 s8, v57, 23
	v_rcp_iflag_f32_e32 v6, v6
	v_mul_f32_e32 v6, 0x4f7ffffe, v6
	v_cvt_u32_f32_e32 v6, v6
	v_readfirstlane_b32 s5, v6
	s_mul_i32 s4, s4, s5
	s_mul_hi_u32 s4, s5, s4
	s_add_i32 s5, s5, s4
	s_mul_hi_u32 s4, s8, s5
	s_mul_i32 s4, s4, s33
	s_sub_i32 s4, s8, s4
	s_sub_i32 s5, s4, s33
	s_cmp_ge_u32 s4, s33
	s_cselect_b32 s4, s5, s4
	s_sub_i32 s5, s4, s33
	s_cmp_ge_u32 s4, s33
	s_cselect_b32 s52, s5, s4
	s_mov_b64 s[4:5], s[52:53]
.LBB129_267:                            ;   in Loop: Header=BB129_31 Depth=1
	v_readlane_b32 s8, v57, 23
	s_sub_u32 s72, s8, s4
	v_readlane_b32 s8, v57, 25
	v_readlane_b32 s9, v57, 26
	s_subb_u32 s73, s9, s5
	v_cmp_gt_u64_e32 vcc, s[72:73], v[0:1]
                                        ; implicit-def: $vgpr8
	s_and_saveexec_b64 s[4:5], vcc
	s_mov_b32 s52, 0xc0c0004
	s_cbranch_execz .LBB129_276
; %bb.268:                              ;   in Loop: Header=BB129_31 Depth=1
	v_mov_b32_e32 v6, v21
	v_mov_b32_e32 v9, v1
	s_mov_b64 s[8:9], 0
	v_mov_b32_e32 v7, v22
	v_mov_b32_e32 v8, v0
                                        ; implicit-def: $sgpr68_sgpr69
	s_branch .LBB129_271
.LBB129_269:                            ;   in Loop: Header=BB129_271 Depth=2
	s_or_b64 exec, exec, s[56:57]
	s_waitcnt lgkmcnt(0)
	s_barrier
	ds_read_u16 v28, v3 offset:3072
	s_mov_b64 s[56:57], -1
	s_waitcnt lgkmcnt(0)
	s_barrier
	v_cmp_eq_u32_sdwa s[58:59], v28, v3 src0_sel:BYTE_0 src1_sel:DWORD
	s_and_b64 vcc, exec, s[58:59]
	s_mov_b64 s[58:59], -1
	s_cbranch_vccnz .LBB129_274
.LBB129_270:                            ;   in Loop: Header=BB129_271 Depth=2
	s_and_b64 s[56:57], exec, s[56:57]
	s_or_b64 s[8:9], s[56:57], s[8:9]
	s_andn2_b64 s[56:57], s[68:69], exec
	s_and_b64 s[58:59], s[58:59], exec
	s_or_b64 s[68:69], s[56:57], s[58:59]
	s_andn2_b64 exec, exec, s[8:9]
	s_cbranch_execz .LBB129_275
.LBB129_271:                            ;   Parent Loop BB129_31 Depth=1
                                        ; =>  This Inner Loop Header: Depth=2
	v_cmp_gt_u64_e32 vcc, s[28:29], v[8:9]
	s_and_saveexec_b64 s[56:57], vcc
	s_cbranch_execz .LBB129_269
; %bb.272:                              ;   in Loop: Header=BB129_271 Depth=2
	global_load_ubyte v28, v[6:7], off
	s_waitcnt vmcnt(0)
	v_and_b32_e32 v29, v28, v10
	v_cmp_eq_u32_sdwa s[58:59], v29, v11 src0_sel:BYTE_0 src1_sel:DWORD
	s_and_b64 exec, exec, s[58:59]
	s_cbranch_execz .LBB129_269
; %bb.273:                              ;   in Loop: Header=BB129_271 Depth=2
	v_lshlrev_b16_e32 v28, 8, v28
	v_or_b32_e32 v28, 1, v28
	ds_write_b16 v3, v28 offset:3072
	s_branch .LBB129_269
.LBB129_274:                            ;   in Loop: Header=BB129_271 Depth=2
	v_add_co_u32_e32 v8, vcc, s33, v8
	v_readlane_b32 s52, v57, 51
	v_addc_co_u32_e32 v9, vcc, 0, v9, vcc
	v_mov_b32_e32 v29, s52
	s_mul_i32 s52, s26, s33
	v_add_co_u32_e32 v6, vcc, s52, v6
	v_addc_co_u32_e32 v7, vcc, v7, v29, vcc
	v_cmp_le_u64_e32 vcc, s[72:73], v[8:9]
	s_mov_b32 s52, 0xc0c0004
	s_mov_b64 s[58:59], 0
	s_orn2_b64 s[56:57], vcc, exec
	s_branch .LBB129_270
.LBB129_275:                            ;   in Loop: Header=BB129_31 Depth=1
	s_or_b64 exec, exec, s[8:9]
	s_andn2_b64 s[8:9], s[16:17], exec
	s_and_b64 s[16:17], s[68:69], exec
	v_lshrrev_b32_sdwa v8, v43, v28 dst_sel:DWORD dst_unused:UNUSED_PAD src0_sel:DWORD src1_sel:WORD_0
	s_or_b64 s[16:17], s[8:9], s[16:17]
	v_readlane_b32 s59, v57, 51
	s_mul_i32 s58, s26, s33
.LBB129_276:                            ;   in Loop: Header=BB129_31 Depth=1
	s_or_b64 exec, exec, s[4:5]
	s_mov_b64 s[68:69], 0
	s_mov_b64 s[72:73], -1
.LBB129_277:                            ;   in Loop: Header=BB129_31 Depth=1
	s_orn2_b64 s[4:5], s[16:17], exec
.LBB129_278:                            ;   in Loop: Header=BB129_31 Depth=1
	v_readlane_b32 s8, v56, 2
	v_readlane_b32 s9, v56, 3
	s_or_b64 exec, exec, s[8:9]
	s_mov_b64 s[8:9], 0
	s_and_saveexec_b64 s[16:17], s[4:5]
	v_readlane_b32 s56, v57, 60
	v_readlane_b32 s57, v57, 61
	s_cbranch_execz .LBB129_289
; %bb.279:                              ;   in Loop: Header=BB129_31 Depth=1
	v_mov_b32_e32 v6, 1
	s_xor_b64 s[8:9], s[66:67], -1
	v_mov_b32_e32 v7, 0
	v_mov_b32_e32 v2, 1
	s_and_saveexec_b64 s[4:5], s[8:9]
	s_cbranch_execz .LBB129_288
; %bb.280:                              ;   in Loop: Header=BB129_31 Depth=1
	v_cmp_ge_u64_e32 vcc, s[50:51], v[4:5]
	s_and_saveexec_b64 s[8:9], vcc
	s_xor_b64 s[8:9], exec, s[8:9]
	s_cbranch_execz .LBB129_285
; %bb.281:                              ;   in Loop: Header=BB129_31 Depth=1
	ds_read_b64 v[6:7], v3 offset:5120
	v_or_b32_e32 v11, s0, v11
	v_or_b32_e32 v10, s0, v10
	s_waitcnt lgkmcnt(0)
	v_cmp_ne_u64_e32 vcc, 0, v[6:7]
	s_cbranch_vccnz .LBB129_285
; %bb.282:                              ;   in Loop: Header=BB129_31 Depth=1
	s_mov_b64 s[56:57], exec
	v_readlane_b32 s58, v57, 8
	v_readlane_b32 s59, v57, 9
	s_and_b64 s[58:59], s[56:57], s[58:59]
	s_mov_b64 exec, s[58:59]
; %bb.283:                              ;   in Loop: Header=BB129_31 Depth=1
	v_mov_b32_e32 v6, s50
	v_mov_b32_e32 v7, s51
	ds_write_b64 v3, v[6:7] offset:5128
; %bb.284:                              ;   in Loop: Header=BB129_31 Depth=1
	s_or_b64 exec, exec, s[56:57]
	v_readlane_b32 s59, v57, 51
	s_mul_i32 s58, s26, s33
	s_waitcnt lgkmcnt(0)
	s_barrier
.LBB129_285:                            ;   in Loop: Header=BB129_31 Depth=1
	s_andn2_saveexec_b64 s[8:9], s[8:9]
; %bb.286:                              ;   in Loop: Header=BB129_31 Depth=1
	v_mov_b32_e32 v2, s51
	v_subrev_co_u32_e32 v4, vcc, s50, v4
	v_subb_co_u32_e32 v5, vcc, v5, v2, vcc
; %bb.287:                              ;   in Loop: Header=BB129_31 Depth=1
	s_or_b64 exec, exec, s[8:9]
	v_mov_b32_e32 v7, v5
	v_readlane_b32 s56, v57, 60
	v_mov_b32_e32 v2, 8
	v_mov_b32_e32 v6, v4
	v_readlane_b32 s57, v57, 61
.LBB129_288:                            ;   in Loop: Header=BB129_31 Depth=1
	s_or_b64 exec, exec, s[4:5]
	v_mov_b32_e32 v4, v6
	s_mov_b64 s[8:9], exec
	v_mov_b32_e32 v5, v7
.LBB129_289:                            ;   in Loop: Header=BB129_31 Depth=1
	s_or_b64 exec, exec, s[16:17]
	s_orn2_b64 s[4:5], s[8:9], exec
.LBB129_290:                            ;   in Loop: Header=BB129_31 Depth=1
	s_or_b64 exec, exec, s[60:61]
	v_readlane_b32 s8, v57, 58
	v_readlane_b32 s9, v57, 59
	s_andn2_b64 s[8:9], s[8:9], exec
	s_and_b64 s[16:17], s[72:73], exec
	s_or_b64 s[8:9], s[8:9], s[16:17]
	v_writelane_b32 v57, s8, 58
	v_writelane_b32 v57, s9, 59
	v_readlane_b32 s8, v56, 0
	v_readlane_b32 s9, v56, 1
	s_andn2_b64 s[8:9], s[8:9], exec
	s_and_b64 s[16:17], s[68:69], exec
	v_mov_b32_e32 v7, v5
	s_or_b64 s[66:67], s[8:9], s[16:17]
	s_and_b64 s[8:9], s[4:5], exec
	v_mov_b32_e32 v6, v4
.LBB129_291:                            ;   in Loop: Header=BB129_31 Depth=1
	s_or_b64 exec, exec, s[10:11]
	s_orn2_b64 s[4:5], s[8:9], exec
.LBB129_292:                            ;   in Loop: Header=BB129_31 Depth=1
	s_or_b64 exec, exec, s[56:57]
	v_readlane_b32 s8, v57, 58
	v_readlane_b32 s9, v57, 59
	s_andn2_b64 s[6:7], s[6:7], exec
	s_and_b64 s[8:9], s[8:9], exec
	s_or_b64 s[6:7], s[6:7], s[8:9]
	s_andn2_b64 s[8:9], s[40:41], exec
	s_and_b64 s[10:11], s[66:67], exec
	v_mov_b32_e32 v4, v6
	s_or_b64 s[40:41], s[8:9], s[10:11]
	s_and_b64 s[10:11], s[4:5], exec
	v_mov_b32_e32 v5, v7
.LBB129_293:                            ;   in Loop: Header=BB129_31 Depth=1
	s_or_b64 exec, exec, s[70:71]
	s_orn2_b64 s[4:5], s[10:11], exec
.LBB129_294:                            ;   in Loop: Header=BB129_31 Depth=1
	s_or_b64 exec, exec, s[20:21]
	s_mov_b64 s[8:9], 0
	s_mov_b64 s[10:11], 0
	s_and_saveexec_b64 s[16:17], s[4:5]
	s_xor_b64 s[4:5], exec, s[16:17]
; %bb.295:                              ;   in Loop: Header=BB129_31 Depth=1
	v_cmp_eq_u32_e32 vcc, 8, v2
	v_cmp_ne_u32_e64 s[20:21], 8, v2
	s_and_b64 s[10:11], s[20:21], exec
	s_and_b64 s[8:9], vcc, exec
; %bb.296:                              ;   in Loop: Header=BB129_31 Depth=1
	s_or_b64 exec, exec, s[4:5]
	s_andn2_b64 s[4:5], s[12:13], exec
	s_and_b64 s[6:7], s[6:7], exec
	s_or_b64 s[12:13], s[4:5], s[6:7]
	s_andn2_b64 s[4:5], s[14:15], exec
	s_and_b64 s[6:7], s[40:41], exec
	s_or_b64 s[14:15], s[4:5], s[6:7]
	s_and_b64 s[20:21], s[10:11], exec
	s_and_b64 s[40:41], s[8:9], exec
.LBB129_297:                            ;   in Loop: Header=BB129_31 Depth=1
	s_or_b64 exec, exec, s[38:39]
.LBB129_298:                            ;   in Loop: Header=BB129_31 Depth=1
	s_and_b64 vcc, exec, s[2:3]
	s_cbranch_vccz .LBB129_314
; %bb.299:                              ;   in Loop: Header=BB129_31 Depth=1
	s_cmp_eq_u64 s[50:51], 1
	s_cselect_b64 s[2:3], -1, 0
	s_and_b64 s[6:7], s[2:3], s[18:19]
	s_mov_b64 s[4:5], -1
                                        ; implicit-def: $sgpr2_sgpr3
                                        ; implicit-def: $sgpr24_sgpr25
	s_and_saveexec_b64 s[8:9], s[6:7]
	s_cbranch_execz .LBB129_332
; %bb.300:                              ;   in Loop: Header=BB129_31 Depth=1
	ds_read_b64 v[4:5], v3 offset:5120
	s_waitcnt lgkmcnt(0)
	s_barrier
	v_readfirstlane_b32 s12, v4
	v_readfirstlane_b32 s13, v5
	s_mov_b64 s[2:3], exec
	v_readlane_b32 s4, v57, 46
	v_readlane_b32 s5, v57, 47
	s_and_b64 s[4:5], s[2:3], s[4:5]
	s_mov_b64 exec, s[4:5]
; %bb.301:                              ;   in Loop: Header=BB129_31 Depth=1
	ds_write_b8 v0, v3 offset:3072
; %bb.302:                              ;   in Loop: Header=BB129_31 Depth=1
	s_or_b64 exec, exec, s[2:3]
	v_or_b32_e32 v41, s0, v41
	v_or_b32_e32 v44, s0, v44
	s_mov_b64 s[24:25], -1
	s_mov_b64 s[2:3], 0
	s_cmp_eq_u64 s[12:13], 0
	s_mov_b64 s[10:11], 0
	s_mov_b64 s[14:15], -1
	s_waitcnt lgkmcnt(0)
	s_barrier
                                        ; implicit-def: $vgpr45
	s_cbranch_scc1 .LBB129_317
; %bb.303:                              ;   in Loop: Header=BB129_31 Depth=1
	v_readlane_b32 s4, v57, 22
	s_add_u32 s16, s12, s4
	v_readlane_b32 s4, v57, 24
	s_addc_u32 s11, s13, s4
	s_mov_b32 s10, s53
	s_cmp_lg_u64 s[10:11], 0
	s_cbranch_scc0 .LBB129_358
; %bb.304:                              ;   in Loop: Header=BB129_31 Depth=1
	v_cvt_f32_u32_e32 v2, s33
	s_sub_u32 s10, 0, s33
	s_subb_u32 s14, 0, 0
	v_mac_f32_e32 v2, 0, v42
	v_rcp_f32_e32 v2, v2
	v_mul_f32_e32 v2, 0x5f7ffffc, v2
	v_mul_f32_e32 v4, 0x2f800000, v2
	v_trunc_f32_e32 v4, v4
	v_mac_f32_e32 v2, 0xcf800000, v4
	v_cvt_u32_f32_e32 v4, v4
	v_cvt_u32_f32_e32 v2, v2
	v_readfirstlane_b32 s15, v4
	v_readfirstlane_b32 s4, v2
	s_mul_i32 s5, s10, s15
	s_mul_hi_u32 s18, s10, s4
	s_mul_i32 s17, s14, s4
	s_add_i32 s5, s18, s5
	s_mul_i32 s19, s10, s4
	s_add_i32 s5, s5, s17
	s_mul_hi_u32 s18, s4, s19
	s_mul_i32 s38, s4, s5
	s_mul_hi_u32 s17, s4, s5
	s_add_u32 s18, s18, s38
	s_addc_u32 s17, 0, s17
	s_mul_hi_u32 s39, s15, s19
	s_mul_i32 s19, s15, s19
	s_add_u32 s18, s18, s19
	s_mul_hi_u32 s38, s15, s5
	s_addc_u32 s17, s17, s39
	s_addc_u32 s18, s38, 0
	s_mul_i32 s5, s15, s5
	s_add_u32 s5, s17, s5
	s_addc_u32 s17, 0, s18
	s_add_u32 s18, s4, s5
	s_cselect_b64 s[4:5], -1, 0
	s_cmp_lg_u64 s[4:5], 0
	s_addc_u32 s15, s15, s17
	s_mul_i32 s4, s10, s15
	s_mul_hi_u32 s5, s10, s18
	s_add_i32 s4, s5, s4
	s_mul_i32 s14, s14, s18
	s_add_i32 s4, s4, s14
	s_mul_i32 s10, s10, s18
	s_mul_hi_u32 s14, s15, s10
	s_mul_i32 s17, s15, s10
	s_mul_i32 s38, s18, s4
	s_mul_hi_u32 s10, s18, s10
	s_mul_hi_u32 s19, s18, s4
	s_add_u32 s10, s10, s38
	s_addc_u32 s19, 0, s19
	s_add_u32 s10, s10, s17
	s_mul_hi_u32 s5, s15, s4
	s_addc_u32 s10, s19, s14
	s_addc_u32 s5, s5, 0
	s_mul_i32 s4, s15, s4
	s_add_u32 s4, s10, s4
	s_addc_u32 s10, 0, s5
	s_add_u32 s14, s18, s4
	s_cselect_b64 s[4:5], -1, 0
	s_cmp_lg_u64 s[4:5], 0
	s_addc_u32 s4, s15, s10
	s_mul_i32 s10, s16, s4
	s_mul_hi_u32 s15, s16, s14
	s_mul_hi_u32 s5, s16, s4
	s_add_u32 s10, s15, s10
	s_addc_u32 s5, 0, s5
	s_mul_hi_u32 s17, s11, s14
	s_mul_i32 s14, s11, s14
	s_add_u32 s10, s10, s14
	s_mul_hi_u32 s15, s11, s4
	s_addc_u32 s5, s5, s17
	s_addc_u32 s10, s15, 0
	s_mul_i32 s4, s11, s4
	s_add_u32 s4, s5, s4
	s_addc_u32 s5, 0, s10
	s_mul_i32 s5, s33, s5
	s_mul_hi_u32 s10, s33, s4
	s_add_i32 s10, s10, s5
	s_mul_i32 s4, s33, s4
	s_sub_u32 s14, s16, s4
	s_cselect_b64 s[4:5], -1, 0
	s_cmp_lg_u64 s[4:5], 0
	s_subb_u32 s10, s11, s10
	s_sub_u32 s15, s14, s33
	s_cselect_b64 s[4:5], -1, 0
	s_cmp_lg_u64 s[4:5], 0
	s_subb_u32 s17, s10, 0
	;; [unrolled: 4-line block ×3, first 2 shown]
	s_cmp_ge_u32 s15, s33
	s_cselect_b32 s5, -1, 0
	s_cmp_eq_u32 s17, 0
	s_cselect_b32 s5, s5, -1
	s_cmp_lg_u32 s5, 0
	s_cselect_b32 s4, s4, s17
	s_cselect_b32 s15, s18, s15
	s_cmp_ge_u32 s14, s33
	s_cselect_b32 s5, -1, 0
	s_cmp_eq_u32 s10, 0
	s_cselect_b32 s5, s5, -1
	s_cmp_lg_u32 s5, 0
	s_cselect_b32 s5, s4, s10
	s_cselect_b32 s4, s15, s14
	s_cbranch_execnz .LBB129_306
.LBB129_305:                            ;   in Loop: Header=BB129_31 Depth=1
	v_cvt_f32_u32_e32 v2, s33
	s_sub_i32 s4, 0, s33
	v_rcp_iflag_f32_e32 v2, v2
	v_mul_f32_e32 v2, 0x4f7ffffe, v2
	v_cvt_u32_f32_e32 v2, v2
	v_readfirstlane_b32 s5, v2
	s_mul_i32 s4, s4, s5
	s_mul_hi_u32 s4, s5, s4
	s_add_i32 s5, s5, s4
	s_mul_hi_u32 s4, s16, s5
	s_mul_i32 s4, s4, s33
	s_sub_i32 s4, s16, s4
	s_sub_i32 s5, s4, s33
	s_cmp_ge_u32 s4, s33
	s_cselect_b32 s4, s5, s4
	s_sub_i32 s5, s4, s33
	s_cmp_ge_u32 s4, s33
	s_cselect_b32 s52, s5, s4
	s_mov_b64 s[4:5], s[52:53]
	s_mov_b32 s52, 0xc0c0004
.LBB129_306:                            ;   in Loop: Header=BB129_31 Depth=1
	s_sub_u32 s16, s16, s4
	s_subb_u32 s17, s11, s5
	v_cmp_gt_u64_e32 vcc, s[16:17], v[0:1]
	s_mov_b64 s[14:15], 0
	s_mov_b64 s[10:11], 0
                                        ; implicit-def: $vgpr45
	s_and_saveexec_b64 s[4:5], vcc
	s_cbranch_execz .LBB129_316
; %bb.307:                              ;   in Loop: Header=BB129_31 Depth=1
	v_mov_b32_e32 v5, v1
	v_mov_b32_e32 v2, v0
	;; [unrolled: 1-line block ×3, first 2 shown]
                                        ; implicit-def: $sgpr18_sgpr19
	s_branch .LBB129_310
.LBB129_308:                            ;   in Loop: Header=BB129_310 Depth=2
	s_or_b64 exec, exec, s[38:39]
	s_waitcnt lgkmcnt(0)
	s_barrier
	ds_read_u16 v6, v3 offset:3072
	s_mov_b64 s[38:39], -1
	s_waitcnt lgkmcnt(0)
	s_barrier
	v_cmp_ne_u32_sdwa s[56:57], v6, v3 src0_sel:BYTE_0 src1_sel:DWORD
	s_and_b64 vcc, exec, s[56:57]
	s_mov_b64 s[56:57], -1
	s_cbranch_vccz .LBB129_313
.LBB129_309:                            ;   in Loop: Header=BB129_310 Depth=2
	s_and_b64 s[38:39], exec, s[38:39]
	s_or_b64 s[10:11], s[38:39], s[10:11]
	s_andn2_b64 s[18:19], s[18:19], exec
	s_and_b64 s[38:39], s[56:57], exec
	s_or_b64 s[18:19], s[18:19], s[38:39]
	s_andn2_b64 exec, exec, s[10:11]
	s_cbranch_execz .LBB129_315
.LBB129_310:                            ;   Parent Loop BB129_31 Depth=1
                                        ; =>  This Inner Loop Header: Depth=2
	v_cmp_gt_u64_e32 vcc, s[12:13], v[4:5]
	s_and_saveexec_b64 s[38:39], vcc
	s_cbranch_execz .LBB129_308
; %bb.311:                              ;   in Loop: Header=BB129_310 Depth=2
	ds_read_u8 v6, v2
	s_waitcnt lgkmcnt(0)
	v_and_b32_e32 v7, v6, v44
	v_cmp_eq_u32_sdwa s[56:57], v7, v41 src0_sel:BYTE_0 src1_sel:DWORD
	s_and_b64 exec, exec, s[56:57]
	s_cbranch_execz .LBB129_308
; %bb.312:                              ;   in Loop: Header=BB129_310 Depth=2
	v_lshlrev_b16_e32 v6, 8, v6
	v_or_b32_e32 v6, 1, v6
	ds_write_b16 v3, v6 offset:3072
	s_branch .LBB129_308
.LBB129_313:                            ;   in Loop: Header=BB129_310 Depth=2
	v_add_co_u32_e32 v4, vcc, s33, v4
	v_addc_co_u32_e32 v5, vcc, 0, v5, vcc
	v_cmp_le_u64_e32 vcc, s[16:17], v[4:5]
	v_add_u32_e32 v2, s33, v2
	s_mov_b64 s[56:57], 0
	s_orn2_b64 s[38:39], vcc, exec
	s_branch .LBB129_309
.LBB129_314:                            ;   in Loop: Header=BB129_31 Depth=1
	s_mov_b64 s[2:3], 0
	v_mov_b32_e32 v41, v11
	v_mov_b32_e32 v44, v10
	;; [unrolled: 1-line block ×3, first 2 shown]
	s_and_saveexec_b64 s[4:5], s[40:41]
	s_cbranch_execnz .LBB129_491
	s_branch .LBB129_492
.LBB129_315:                            ;   in Loop: Header=BB129_31 Depth=1
	s_or_b64 exec, exec, s[10:11]
	v_lshrrev_b32_sdwa v45, v43, v6 dst_sel:DWORD dst_unused:UNUSED_PAD src0_sel:DWORD src1_sel:WORD_0
	s_and_b64 s[10:11], s[18:19], exec
.LBB129_316:                            ;   in Loop: Header=BB129_31 Depth=1
	s_or_b64 exec, exec, s[4:5]
.LBB129_317:                            ;   in Loop: Header=BB129_31 Depth=1
	s_and_b64 vcc, exec, s[14:15]
	s_cbranch_vccz .LBB129_331
; %bb.318:                              ;   in Loop: Header=BB129_31 Depth=1
	v_readlane_b32 s18, v57, 25
	v_readlane_b32 s19, v57, 26
	s_mov_b32 s18, s53
	s_cmp_lg_u64 s[18:19], 0
	v_writelane_b32 v57, s18, 25
	v_writelane_b32 v57, s19, 26
	s_cbranch_scc0 .LBB129_359
; %bb.319:                              ;   in Loop: Header=BB129_31 Depth=1
	v_cvt_f32_u32_e32 v2, s33
	s_sub_u32 s4, 0, s33
	s_subb_u32 s5, 0, 0
	v_mac_f32_e32 v2, 0, v42
	v_rcp_f32_e32 v2, v2
	v_mul_f32_e32 v2, 0x5f7ffffc, v2
	v_mul_f32_e32 v4, 0x2f800000, v2
	v_trunc_f32_e32 v4, v4
	v_mac_f32_e32 v2, 0xcf800000, v4
	v_cvt_u32_f32_e32 v4, v4
	v_cvt_u32_f32_e32 v2, v2
	v_readfirstlane_b32 s12, v4
	v_readfirstlane_b32 s2, v2
	s_mul_i32 s3, s4, s12
	s_mul_hi_u32 s14, s4, s2
	s_mul_i32 s13, s5, s2
	s_add_i32 s3, s14, s3
	s_mul_i32 s15, s4, s2
	s_add_i32 s3, s3, s13
	s_mul_hi_u32 s14, s2, s15
	s_mul_i32 s16, s2, s3
	s_mul_hi_u32 s13, s2, s3
	s_add_u32 s14, s14, s16
	s_addc_u32 s13, 0, s13
	s_mul_hi_u32 s17, s12, s15
	s_mul_i32 s15, s12, s15
	s_add_u32 s14, s14, s15
	s_mul_hi_u32 s16, s12, s3
	s_addc_u32 s13, s13, s17
	s_addc_u32 s14, s16, 0
	s_mul_i32 s3, s12, s3
	s_add_u32 s3, s13, s3
	s_addc_u32 s13, 0, s14
	s_add_u32 s14, s2, s3
	s_cselect_b64 s[2:3], -1, 0
	s_cmp_lg_u64 s[2:3], 0
	s_addc_u32 s12, s12, s13
	s_mul_i32 s2, s4, s12
	s_mul_hi_u32 s3, s4, s14
	s_add_i32 s2, s3, s2
	s_mul_i32 s5, s5, s14
	s_add_i32 s2, s2, s5
	s_mul_i32 s4, s4, s14
	s_mul_hi_u32 s5, s12, s4
	s_mul_i32 s13, s12, s4
	s_mul_i32 s16, s14, s2
	s_mul_hi_u32 s4, s14, s4
	s_mul_hi_u32 s15, s14, s2
	s_add_u32 s4, s4, s16
	s_addc_u32 s15, 0, s15
	s_add_u32 s4, s4, s13
	s_mul_hi_u32 s3, s12, s2
	s_addc_u32 s4, s15, s5
	s_addc_u32 s3, s3, 0
	s_mul_i32 s2, s12, s2
	s_add_u32 s2, s4, s2
	s_addc_u32 s4, 0, s3
	s_add_u32 s5, s14, s2
	s_cselect_b64 s[2:3], -1, 0
	s_cmp_lg_u64 s[2:3], 0
	s_addc_u32 s2, s12, s4
	v_readlane_b32 s14, v57, 23
	s_mul_i32 s4, s14, s2
	s_mul_hi_u32 s12, s14, s5
	s_mul_hi_u32 s3, s14, s2
	s_add_u32 s4, s12, s4
	s_addc_u32 s3, 0, s3
	s_mul_hi_u32 s13, s19, s5
	s_mul_i32 s5, s19, s5
	s_add_u32 s4, s4, s5
	s_mul_hi_u32 s12, s19, s2
	s_addc_u32 s3, s3, s13
	s_addc_u32 s4, s12, 0
	s_mul_i32 s2, s19, s2
	s_add_u32 s2, s3, s2
	s_addc_u32 s3, 0, s4
	s_mul_i32 s3, s33, s3
	s_mul_hi_u32 s4, s33, s2
	s_add_i32 s4, s4, s3
	s_mul_i32 s2, s33, s2
	s_sub_u32 s5, s14, s2
	s_cselect_b64 s[2:3], -1, 0
	s_cmp_lg_u64 s[2:3], 0
	s_subb_u32 s4, s19, s4
	s_sub_u32 s12, s5, s33
	s_cselect_b64 s[2:3], -1, 0
	s_cmp_lg_u64 s[2:3], 0
	s_subb_u32 s13, s4, 0
	;; [unrolled: 4-line block ×3, first 2 shown]
	s_cmp_ge_u32 s12, s33
	s_cselect_b32 s3, -1, 0
	s_cmp_eq_u32 s13, 0
	s_cselect_b32 s3, s3, -1
	s_cmp_lg_u32 s3, 0
	s_cselect_b32 s2, s2, s13
	s_cselect_b32 s12, s14, s12
	s_cmp_ge_u32 s5, s33
	s_cselect_b32 s3, -1, 0
	s_cmp_eq_u32 s4, 0
	s_cselect_b32 s3, s3, -1
	s_cmp_lg_u32 s3, 0
	s_cselect_b32 s3, s2, s4
	s_cselect_b32 s2, s12, s5
	s_cbranch_execnz .LBB129_321
.LBB129_320:                            ;   in Loop: Header=BB129_31 Depth=1
	v_cvt_f32_u32_e32 v2, s33
	s_sub_i32 s2, 0, s33
	v_readlane_b32 s4, v57, 23
	v_rcp_iflag_f32_e32 v2, v2
	v_mul_f32_e32 v2, 0x4f7ffffe, v2
	v_cvt_u32_f32_e32 v2, v2
	v_readfirstlane_b32 s3, v2
	s_mul_i32 s2, s2, s3
	s_mul_hi_u32 s2, s3, s2
	s_add_i32 s3, s3, s2
	s_mul_hi_u32 s2, s4, s3
	s_mul_i32 s2, s2, s33
	s_sub_i32 s2, s4, s2
	s_sub_i32 s3, s2, s33
	s_cmp_ge_u32 s2, s33
	s_cselect_b32 s2, s3, s2
	s_sub_i32 s3, s2, s33
	s_cmp_ge_u32 s2, s33
	s_cselect_b32 s52, s3, s2
	s_mov_b64 s[2:3], s[52:53]
	s_mov_b32 s52, 0xc0c0004
.LBB129_321:                            ;   in Loop: Header=BB129_31 Depth=1
	v_readlane_b32 s4, v57, 23
	v_readlane_b32 s12, v57, 25
	s_sub_u32 s4, s4, s2
	v_readlane_b32 s13, v57, 26
	s_subb_u32 s5, s13, s3
	v_cmp_gt_u64_e32 vcc, s[4:5], v[0:1]
                                        ; implicit-def: $vgpr45
	s_and_saveexec_b64 s[2:3], vcc
	s_cbranch_execz .LBB129_330
; %bb.322:                              ;   in Loop: Header=BB129_31 Depth=1
	v_mov_b32_e32 v4, v21
	v_mov_b32_e32 v7, v1
	s_mov_b64 s[12:13], 0
	v_mov_b32_e32 v5, v22
	v_mov_b32_e32 v6, v0
                                        ; implicit-def: $sgpr14_sgpr15
	s_branch .LBB129_325
.LBB129_323:                            ;   in Loop: Header=BB129_325 Depth=2
	s_or_b64 exec, exec, s[16:17]
	s_waitcnt lgkmcnt(0)
	s_barrier
	ds_read_u16 v2, v3 offset:3072
	s_mov_b64 s[16:17], -1
	s_waitcnt lgkmcnt(0)
	s_barrier
	v_cmp_ne_u32_sdwa s[18:19], v2, v3 src0_sel:BYTE_0 src1_sel:DWORD
	s_and_b64 vcc, exec, s[18:19]
	s_mov_b64 s[18:19], -1
	s_cbranch_vccz .LBB129_328
.LBB129_324:                            ;   in Loop: Header=BB129_325 Depth=2
	s_and_b64 s[16:17], exec, s[16:17]
	s_or_b64 s[12:13], s[16:17], s[12:13]
	s_andn2_b64 s[14:15], s[14:15], exec
	s_and_b64 s[16:17], s[18:19], exec
	s_or_b64 s[14:15], s[14:15], s[16:17]
	s_andn2_b64 exec, exec, s[12:13]
	s_cbranch_execz .LBB129_329
.LBB129_325:                            ;   Parent Loop BB129_31 Depth=1
                                        ; =>  This Inner Loop Header: Depth=2
	v_cmp_gt_u64_e32 vcc, s[28:29], v[6:7]
	s_and_saveexec_b64 s[16:17], vcc
	s_cbranch_execz .LBB129_323
; %bb.326:                              ;   in Loop: Header=BB129_325 Depth=2
	global_load_ubyte v2, v[4:5], off
	s_waitcnt vmcnt(0)
	v_and_b32_e32 v8, v2, v44
	v_cmp_eq_u32_sdwa s[18:19], v8, v41 src0_sel:BYTE_0 src1_sel:DWORD
	s_and_b64 exec, exec, s[18:19]
	s_cbranch_execz .LBB129_323
; %bb.327:                              ;   in Loop: Header=BB129_325 Depth=2
	v_lshlrev_b16_e32 v2, 8, v2
	v_or_b32_e32 v2, 1, v2
	ds_write_b16 v3, v2 offset:3072
	s_branch .LBB129_323
.LBB129_328:                            ;   in Loop: Header=BB129_325 Depth=2
	v_add_co_u32_e32 v6, vcc, s33, v6
	v_addc_co_u32_e32 v7, vcc, 0, v7, vcc
	v_mov_b32_e32 v8, s59
	v_add_co_u32_e32 v4, vcc, s58, v4
	v_addc_co_u32_e32 v5, vcc, v5, v8, vcc
	v_cmp_le_u64_e32 vcc, s[4:5], v[6:7]
	s_mov_b64 s[18:19], 0
	s_orn2_b64 s[16:17], vcc, exec
	s_branch .LBB129_324
.LBB129_329:                            ;   in Loop: Header=BB129_31 Depth=1
	s_or_b64 exec, exec, s[12:13]
	s_andn2_b64 s[4:5], s[10:11], exec
	s_and_b64 s[10:11], s[14:15], exec
	v_lshrrev_b32_sdwa v45, v43, v2 dst_sel:DWORD dst_unused:UNUSED_PAD src0_sel:DWORD src1_sel:WORD_0
	s_or_b64 s[10:11], s[4:5], s[10:11]
.LBB129_330:                            ;   in Loop: Header=BB129_31 Depth=1
	s_or_b64 exec, exec, s[2:3]
	s_mov_b64 s[24:25], 0
	s_mov_b64 s[2:3], -1
.LBB129_331:                            ;   in Loop: Header=BB129_31 Depth=1
	s_orn2_b64 s[4:5], s[10:11], exec
.LBB129_332:                            ;   in Loop: Header=BB129_31 Depth=1
	s_or_b64 exec, exec, s[8:9]
                                        ; implicit-def: $vgpr4_vgpr5
                                        ; implicit-def: $vgpr2
	s_and_saveexec_b64 s[12:13], s[4:5]
	s_cbranch_execz .LBB129_490
; %bb.333:                              ;   in Loop: Header=BB129_31 Depth=1
	v_mov_b32_e32 v4, 1
	s_xor_b64 s[4:5], s[6:7], -1
	v_mov_b32_e32 v2, 1
	v_mov_b32_e32 v5, 0
	s_mov_b64 s[8:9], 0
	s_and_saveexec_b64 s[6:7], s[4:5]
	s_cbranch_execz .LBB129_342
; %bb.334:                              ;   in Loop: Header=BB129_31 Depth=1
	v_cmp_ge_u64_e32 vcc, s[50:51], v[26:27]
	s_and_saveexec_b64 s[4:5], vcc
	s_xor_b64 s[4:5], exec, s[4:5]
	s_cbranch_execz .LBB129_339
; %bb.335:                              ;   in Loop: Header=BB129_31 Depth=1
	ds_read_b64 v[4:5], v3 offset:5120
	v_or_b32_e32 v41, s0, v41
	v_or_b32_e32 v44, s0, v44
	s_waitcnt lgkmcnt(0)
	v_cmp_ne_u64_e32 vcc, 0, v[4:5]
	s_cbranch_vccnz .LBB129_339
; %bb.336:                              ;   in Loop: Header=BB129_31 Depth=1
	s_mov_b64 s[8:9], exec
	v_readlane_b32 s10, v57, 8
	v_readlane_b32 s11, v57, 9
	s_and_b64 s[10:11], s[8:9], s[10:11]
	s_mov_b64 exec, s[10:11]
; %bb.337:                              ;   in Loop: Header=BB129_31 Depth=1
	v_mov_b32_e32 v4, s50
	v_mov_b32_e32 v5, s51
	ds_write_b64 v3, v[4:5] offset:5128
; %bb.338:                              ;   in Loop: Header=BB129_31 Depth=1
	s_or_b64 exec, exec, s[8:9]
	s_waitcnt lgkmcnt(0)
	s_barrier
.LBB129_339:                            ;   in Loop: Header=BB129_31 Depth=1
	s_or_saveexec_b64 s[4:5], s[4:5]
	s_mov_b64 s[8:9], 0
	v_mov_b32_e32 v2, 5
	s_xor_b64 exec, exec, s[4:5]
; %bb.340:                              ;   in Loop: Header=BB129_31 Depth=1
	v_subrev_co_u32_e32 v26, vcc, s50, v26
	v_mov_b32_e32 v2, s51
	v_subb_co_u32_e32 v27, vcc, v27, v2, vcc
	v_mov_b32_e32 v2, 0
	s_mov_b64 s[8:9], exec
; %bb.341:                              ;   in Loop: Header=BB129_31 Depth=1
	s_or_b64 exec, exec, s[4:5]
	v_mov_b32_e32 v4, v26
	s_and_b64 s[8:9], s[8:9], exec
	v_mov_b32_e32 v5, v27
.LBB129_342:                            ;   in Loop: Header=BB129_31 Depth=1
	s_or_b64 exec, exec, s[6:7]
	s_mov_b64 s[4:5], -1
                                        ; implicit-def: $sgpr38_sgpr39
                                        ; implicit-def: $sgpr50_sgpr51
	s_and_saveexec_b64 s[6:7], s[8:9]
	s_xor_b64 s[14:15], exec, s[6:7]
	s_cbranch_execz .LBB129_487
; %bb.343:                              ;   in Loop: Header=BB129_31 Depth=1
	s_cmp_eq_u64 s[48:49], 1
	v_cmp_eq_u64_e32 vcc, 1, v[4:5]
	s_cselect_b64 s[4:5], -1, 0
	s_and_b64 s[8:9], s[4:5], vcc
	s_mov_b64 s[4:5], -1
                                        ; implicit-def: $sgpr50_sgpr51
                                        ; implicit-def: $sgpr38_sgpr39
	s_and_saveexec_b64 s[6:7], s[8:9]
	s_cbranch_execz .LBB129_377
; %bb.344:                              ;   in Loop: Header=BB129_31 Depth=1
	ds_read_b64 v[6:7], v3 offset:5120
	s_waitcnt lgkmcnt(0)
	s_barrier
	v_readfirstlane_b32 s16, v6
	v_readfirstlane_b32 s17, v7
	s_mov_b64 s[4:5], exec
	v_readlane_b32 s10, v57, 46
	v_readlane_b32 s11, v57, 47
	s_and_b64 s[10:11], s[4:5], s[10:11]
	s_mov_b64 exec, s[10:11]
; %bb.345:                              ;   in Loop: Header=BB129_31 Depth=1
	ds_write_b8 v0, v3 offset:3072
; %bb.346:                              ;   in Loop: Header=BB129_31 Depth=1
	s_or_b64 exec, exec, s[4:5]
	v_and_b32_e32 v6, s1, v41
	v_lshl_or_b32 v41, 2, s63, v6
	v_or_b32_e32 v44, s0, v44
	s_mov_b64 s[38:39], -1
	s_mov_b64 s[50:51], 0
	s_cmp_eq_u64 s[16:17], 0
	s_mov_b64 s[10:11], 0
	s_mov_b64 s[18:19], -1
	s_waitcnt lgkmcnt(0)
	s_barrier
                                        ; implicit-def: $vgpr45
	s_cbranch_scc1 .LBB129_362
; %bb.347:                              ;   in Loop: Header=BB129_31 Depth=1
	v_readlane_b32 s4, v57, 22
	s_add_u32 s56, s16, s4
	v_readlane_b32 s4, v57, 24
	s_addc_u32 s11, s17, s4
	s_mov_b32 s10, s53
	s_cmp_lg_u64 s[10:11], 0
	s_cbranch_scc0 .LBB129_403
; %bb.348:                              ;   in Loop: Header=BB129_31 Depth=1
	v_cvt_f32_u32_e32 v6, s33
	s_sub_u32 s10, 0, s33
	s_subb_u32 s18, 0, 0
	v_mac_f32_e32 v6, 0, v42
	v_rcp_f32_e32 v6, v6
	v_mul_f32_e32 v6, 0x5f7ffffc, v6
	v_mul_f32_e32 v7, 0x2f800000, v6
	v_trunc_f32_e32 v7, v7
	v_mac_f32_e32 v6, 0xcf800000, v7
	v_cvt_u32_f32_e32 v7, v7
	v_cvt_u32_f32_e32 v6, v6
	v_readfirstlane_b32 s19, v7
	v_readfirstlane_b32 s4, v6
	s_mul_i32 s5, s10, s19
	s_mul_hi_u32 s57, s10, s4
	s_mul_i32 s52, s18, s4
	s_add_i32 s5, s57, s5
	s_mul_i32 s58, s10, s4
	s_add_i32 s5, s5, s52
	s_mul_hi_u32 s57, s4, s58
	s_mul_i32 s59, s4, s5
	s_mul_hi_u32 s52, s4, s5
	s_add_u32 s57, s57, s59
	s_addc_u32 s52, 0, s52
	s_mul_hi_u32 s60, s19, s58
	s_mul_i32 s58, s19, s58
	s_add_u32 s57, s57, s58
	s_mul_hi_u32 s59, s19, s5
	s_addc_u32 s52, s52, s60
	s_addc_u32 s57, s59, 0
	s_mul_i32 s5, s19, s5
	s_add_u32 s5, s52, s5
	s_addc_u32 s52, 0, s57
	s_add_u32 s57, s4, s5
	s_cselect_b64 s[4:5], -1, 0
	s_cmp_lg_u64 s[4:5], 0
	s_addc_u32 s19, s19, s52
	s_mul_i32 s4, s10, s19
	s_mul_hi_u32 s5, s10, s57
	s_add_i32 s4, s5, s4
	s_mul_i32 s18, s18, s57
	s_add_i32 s4, s4, s18
	s_mul_i32 s10, s10, s57
	s_mul_hi_u32 s18, s19, s10
	s_mul_i32 s52, s19, s10
	s_mul_i32 s59, s57, s4
	s_mul_hi_u32 s10, s57, s10
	s_mul_hi_u32 s58, s57, s4
	s_add_u32 s10, s10, s59
	s_addc_u32 s58, 0, s58
	s_add_u32 s10, s10, s52
	s_mul_hi_u32 s5, s19, s4
	s_addc_u32 s10, s58, s18
	s_addc_u32 s5, s5, 0
	s_mul_i32 s4, s19, s4
	s_add_u32 s4, s10, s4
	s_addc_u32 s10, 0, s5
	s_add_u32 s18, s57, s4
	s_cselect_b64 s[4:5], -1, 0
	s_cmp_lg_u64 s[4:5], 0
	s_addc_u32 s4, s19, s10
	s_mul_i32 s10, s56, s4
	s_mul_hi_u32 s19, s56, s18
	s_mul_hi_u32 s5, s56, s4
	s_add_u32 s10, s19, s10
	s_addc_u32 s5, 0, s5
	s_mul_hi_u32 s52, s11, s18
	s_mul_i32 s18, s11, s18
	s_add_u32 s10, s10, s18
	s_mul_hi_u32 s19, s11, s4
	s_addc_u32 s5, s5, s52
	s_addc_u32 s10, s19, 0
	s_mul_i32 s4, s11, s4
	s_add_u32 s4, s5, s4
	s_addc_u32 s5, 0, s10
	s_mul_i32 s5, s33, s5
	s_mul_hi_u32 s10, s33, s4
	s_add_i32 s10, s10, s5
	s_mul_i32 s4, s33, s4
	s_sub_u32 s18, s56, s4
	s_cselect_b64 s[4:5], -1, 0
	s_cmp_lg_u64 s[4:5], 0
	s_subb_u32 s10, s11, s10
	s_sub_u32 s19, s18, s33
	s_cselect_b64 s[4:5], -1, 0
	s_cmp_lg_u64 s[4:5], 0
	s_subb_u32 s52, s10, 0
	;; [unrolled: 4-line block ×3, first 2 shown]
	s_cmp_ge_u32 s19, s33
	s_cselect_b32 s5, -1, 0
	s_cmp_eq_u32 s52, 0
	s_cselect_b32 s5, s5, -1
	s_cmp_lg_u32 s5, 0
	s_cselect_b32 s4, s4, s52
	s_cselect_b32 s19, s57, s19
	s_cmp_ge_u32 s18, s33
	s_cselect_b32 s5, -1, 0
	s_cmp_eq_u32 s10, 0
	s_cselect_b32 s5, s5, -1
	s_cmp_lg_u32 s5, 0
	s_cselect_b32 s5, s4, s10
	s_cselect_b32 s4, s19, s18
	s_cbranch_execnz .LBB129_350
.LBB129_349:                            ;   in Loop: Header=BB129_31 Depth=1
	v_cvt_f32_u32_e32 v6, s33
	s_sub_i32 s4, 0, s33
	v_rcp_iflag_f32_e32 v6, v6
	v_mul_f32_e32 v6, 0x4f7ffffe, v6
	v_cvt_u32_f32_e32 v6, v6
	v_readfirstlane_b32 s5, v6
	s_mul_i32 s4, s4, s5
	s_mul_hi_u32 s4, s5, s4
	s_add_i32 s5, s5, s4
	s_mul_hi_u32 s4, s56, s5
	s_mul_i32 s4, s4, s33
	s_sub_i32 s4, s56, s4
	s_sub_i32 s5, s4, s33
	s_cmp_ge_u32 s4, s33
	s_cselect_b32 s4, s5, s4
	s_sub_i32 s5, s4, s33
	s_cmp_ge_u32 s4, s33
	s_cselect_b32 s52, s5, s4
	s_mov_b64 s[4:5], s[52:53]
.LBB129_350:                            ;   in Loop: Header=BB129_31 Depth=1
	s_sub_u32 s60, s56, s4
	s_subb_u32 s61, s11, s5
	v_cmp_gt_u64_e32 vcc, s[60:61], v[0:1]
	s_mov_b64 s[18:19], 0
	s_mov_b64 s[10:11], 0
                                        ; implicit-def: $vgpr45
	s_and_saveexec_b64 s[4:5], vcc
	s_mov_b32 s52, 0xc0c0004
	s_cbranch_execz .LBB129_361
; %bb.351:                              ;   in Loop: Header=BB129_31 Depth=1
	v_mov_b32_e32 v7, v1
	v_mov_b32_e32 v8, v0
	;; [unrolled: 1-line block ×3, first 2 shown]
                                        ; implicit-def: $sgpr66_sgpr67
	s_branch .LBB129_354
.LBB129_352:                            ;   in Loop: Header=BB129_354 Depth=2
	s_or_b64 exec, exec, s[56:57]
	s_waitcnt lgkmcnt(0)
	s_barrier
	ds_read_u16 v9, v3 offset:3072
	s_mov_b64 s[56:57], -1
	s_waitcnt lgkmcnt(0)
	s_barrier
	v_cmp_ne_u32_sdwa s[58:59], v9, v3 src0_sel:BYTE_0 src1_sel:DWORD
	s_and_b64 vcc, exec, s[58:59]
	s_mov_b64 s[58:59], -1
	s_cbranch_vccz .LBB129_357
.LBB129_353:                            ;   in Loop: Header=BB129_354 Depth=2
	s_and_b64 s[56:57], exec, s[56:57]
	s_or_b64 s[10:11], s[56:57], s[10:11]
	s_andn2_b64 s[56:57], s[66:67], exec
	s_and_b64 s[58:59], s[58:59], exec
	s_or_b64 s[66:67], s[56:57], s[58:59]
	s_andn2_b64 exec, exec, s[10:11]
	s_cbranch_execz .LBB129_360
.LBB129_354:                            ;   Parent Loop BB129_31 Depth=1
                                        ; =>  This Inner Loop Header: Depth=2
	v_cmp_gt_u64_e32 vcc, s[16:17], v[6:7]
	s_and_saveexec_b64 s[56:57], vcc
	s_cbranch_execz .LBB129_352
; %bb.355:                              ;   in Loop: Header=BB129_354 Depth=2
	ds_read_u8 v9, v8
	s_waitcnt lgkmcnt(0)
	v_and_b32_e32 v10, v9, v44
	v_cmp_eq_u32_sdwa s[58:59], v10, v41 src0_sel:BYTE_0 src1_sel:DWORD
	s_and_b64 exec, exec, s[58:59]
	s_cbranch_execz .LBB129_352
; %bb.356:                              ;   in Loop: Header=BB129_354 Depth=2
	v_lshlrev_b16_e32 v9, 8, v9
	v_or_b32_e32 v9, 1, v9
	ds_write_b16 v3, v9 offset:3072
	s_branch .LBB129_352
.LBB129_357:                            ;   in Loop: Header=BB129_354 Depth=2
	v_add_co_u32_e32 v6, vcc, s33, v6
	v_addc_co_u32_e32 v7, vcc, 0, v7, vcc
	v_cmp_le_u64_e32 vcc, s[60:61], v[6:7]
	v_add_u32_e32 v8, s33, v8
	s_mov_b64 s[58:59], 0
	s_orn2_b64 s[56:57], vcc, exec
	s_branch .LBB129_353
.LBB129_358:                            ;   in Loop: Header=BB129_31 Depth=1
                                        ; implicit-def: $sgpr4_sgpr5
	s_andn2_b64 vcc, exec, s[14:15]
	s_cbranch_vccz .LBB129_305
	s_branch .LBB129_306
.LBB129_359:                            ;   in Loop: Header=BB129_31 Depth=1
                                        ; implicit-def: $sgpr2_sgpr3
	s_branch .LBB129_320
.LBB129_360:                            ;   in Loop: Header=BB129_31 Depth=1
	s_or_b64 exec, exec, s[10:11]
	v_lshrrev_b32_sdwa v45, v43, v9 dst_sel:DWORD dst_unused:UNUSED_PAD src0_sel:DWORD src1_sel:WORD_0
	s_and_b64 s[10:11], s[66:67], exec
.LBB129_361:                            ;   in Loop: Header=BB129_31 Depth=1
	s_or_b64 exec, exec, s[4:5]
	v_readlane_b32 s59, v57, 51
	s_mul_i32 s58, s26, s33
.LBB129_362:                            ;   in Loop: Header=BB129_31 Depth=1
	s_and_b64 vcc, exec, s[18:19]
	s_cbranch_vccz .LBB129_376
; %bb.363:                              ;   in Loop: Header=BB129_31 Depth=1
	v_readlane_b32 s56, v57, 25
	v_readlane_b32 s57, v57, 26
	s_mov_b32 s56, s53
	s_cmp_lg_u64 s[56:57], 0
	v_writelane_b32 v57, s56, 25
	v_writelane_b32 v57, s57, 26
	s_cbranch_scc0 .LBB129_404
; %bb.364:                              ;   in Loop: Header=BB129_31 Depth=1
	v_cvt_f32_u32_e32 v6, s33
	s_sub_u32 s16, 0, s33
	s_subb_u32 s17, 0, 0
	v_mac_f32_e32 v6, 0, v42
	v_rcp_f32_e32 v6, v6
	v_mul_f32_e32 v6, 0x5f7ffffc, v6
	v_mul_f32_e32 v7, 0x2f800000, v6
	v_trunc_f32_e32 v7, v7
	v_mac_f32_e32 v6, 0xcf800000, v7
	v_cvt_u32_f32_e32 v7, v7
	v_cvt_u32_f32_e32 v6, v6
	v_readfirstlane_b32 s18, v7
	v_readfirstlane_b32 s4, v6
	s_mul_i32 s5, s16, s18
	s_mul_hi_u32 s38, s16, s4
	s_mul_i32 s19, s17, s4
	s_add_i32 s5, s38, s5
	s_mul_i32 s39, s16, s4
	s_add_i32 s5, s5, s19
	s_mul_hi_u32 s38, s4, s39
	s_mul_i32 s50, s4, s5
	s_mul_hi_u32 s19, s4, s5
	s_add_u32 s38, s38, s50
	s_addc_u32 s19, 0, s19
	s_mul_hi_u32 s51, s18, s39
	s_mul_i32 s39, s18, s39
	s_add_u32 s38, s38, s39
	s_mul_hi_u32 s50, s18, s5
	s_addc_u32 s19, s19, s51
	s_addc_u32 s38, s50, 0
	s_mul_i32 s5, s18, s5
	s_add_u32 s5, s19, s5
	s_addc_u32 s19, 0, s38
	s_add_u32 s38, s4, s5
	s_cselect_b64 s[4:5], -1, 0
	s_cmp_lg_u64 s[4:5], 0
	s_addc_u32 s18, s18, s19
	s_mul_i32 s4, s16, s18
	s_mul_hi_u32 s5, s16, s38
	s_add_i32 s4, s5, s4
	s_mul_i32 s17, s17, s38
	s_add_i32 s4, s4, s17
	s_mul_i32 s16, s16, s38
	s_mul_hi_u32 s17, s18, s16
	s_mul_i32 s19, s18, s16
	s_mul_i32 s50, s38, s4
	s_mul_hi_u32 s16, s38, s16
	s_mul_hi_u32 s39, s38, s4
	s_add_u32 s16, s16, s50
	s_addc_u32 s39, 0, s39
	s_add_u32 s16, s16, s19
	s_mul_hi_u32 s5, s18, s4
	s_addc_u32 s16, s39, s17
	s_addc_u32 s5, s5, 0
	s_mul_i32 s4, s18, s4
	s_add_u32 s4, s16, s4
	s_addc_u32 s16, 0, s5
	s_add_u32 s17, s38, s4
	s_cselect_b64 s[4:5], -1, 0
	s_cmp_lg_u64 s[4:5], 0
	s_addc_u32 s4, s18, s16
	v_readlane_b32 s38, v57, 23
	s_mul_i32 s16, s38, s4
	s_mul_hi_u32 s18, s38, s17
	s_mul_hi_u32 s5, s38, s4
	s_add_u32 s16, s18, s16
	s_addc_u32 s5, 0, s5
	s_mul_hi_u32 s19, s57, s17
	s_mul_i32 s17, s57, s17
	s_add_u32 s16, s16, s17
	s_mul_hi_u32 s18, s57, s4
	s_addc_u32 s5, s5, s19
	s_addc_u32 s16, s18, 0
	s_mul_i32 s4, s57, s4
	s_add_u32 s4, s5, s4
	s_addc_u32 s5, 0, s16
	s_mul_i32 s5, s33, s5
	s_mul_hi_u32 s16, s33, s4
	s_add_i32 s16, s16, s5
	s_mul_i32 s4, s33, s4
	s_sub_u32 s17, s38, s4
	s_cselect_b64 s[4:5], -1, 0
	s_cmp_lg_u64 s[4:5], 0
	s_subb_u32 s16, s57, s16
	s_sub_u32 s18, s17, s33
	s_cselect_b64 s[4:5], -1, 0
	s_cmp_lg_u64 s[4:5], 0
	s_subb_u32 s19, s16, 0
	;; [unrolled: 4-line block ×3, first 2 shown]
	s_cmp_ge_u32 s18, s33
	s_cselect_b32 s5, -1, 0
	s_cmp_eq_u32 s19, 0
	s_cselect_b32 s5, s5, -1
	s_cmp_lg_u32 s5, 0
	s_cselect_b32 s4, s4, s19
	s_cselect_b32 s18, s38, s18
	s_cmp_ge_u32 s17, s33
	s_cselect_b32 s5, -1, 0
	s_cmp_eq_u32 s16, 0
	s_cselect_b32 s5, s5, -1
	s_cmp_lg_u32 s5, 0
	s_cselect_b32 s5, s4, s16
	s_cselect_b32 s4, s18, s17
	s_cbranch_execnz .LBB129_366
.LBB129_365:                            ;   in Loop: Header=BB129_31 Depth=1
	v_cvt_f32_u32_e32 v6, s33
	s_sub_i32 s4, 0, s33
	v_readlane_b32 s16, v57, 23
	v_rcp_iflag_f32_e32 v6, v6
	v_mul_f32_e32 v6, 0x4f7ffffe, v6
	v_cvt_u32_f32_e32 v6, v6
	v_readfirstlane_b32 s5, v6
	s_mul_i32 s4, s4, s5
	s_mul_hi_u32 s4, s5, s4
	s_add_i32 s5, s5, s4
	s_mul_hi_u32 s4, s16, s5
	s_mul_i32 s4, s4, s33
	s_sub_i32 s4, s16, s4
	s_sub_i32 s5, s4, s33
	s_cmp_ge_u32 s4, s33
	s_cselect_b32 s4, s5, s4
	s_sub_i32 s5, s4, s33
	s_cmp_ge_u32 s4, s33
	s_cselect_b32 s52, s5, s4
	s_mov_b64 s[4:5], s[52:53]
	s_mov_b32 s52, 0xc0c0004
.LBB129_366:                            ;   in Loop: Header=BB129_31 Depth=1
	v_readlane_b32 s16, v57, 23
	v_readlane_b32 s18, v57, 25
	s_sub_u32 s16, s16, s4
	v_readlane_b32 s19, v57, 26
	s_subb_u32 s17, s19, s5
	v_cmp_gt_u64_e32 vcc, s[16:17], v[0:1]
                                        ; implicit-def: $vgpr45
	s_and_saveexec_b64 s[4:5], vcc
	s_cbranch_execz .LBB129_375
; %bb.367:                              ;   in Loop: Header=BB129_31 Depth=1
	v_mov_b32_e32 v6, v21
	v_mov_b32_e32 v9, v1
	s_mov_b64 s[18:19], 0
	v_mov_b32_e32 v7, v22
	v_mov_b32_e32 v8, v0
                                        ; implicit-def: $sgpr38_sgpr39
	s_branch .LBB129_370
.LBB129_368:                            ;   in Loop: Header=BB129_370 Depth=2
	s_or_b64 exec, exec, s[50:51]
	s_waitcnt lgkmcnt(0)
	s_barrier
	ds_read_u16 v10, v3 offset:3072
	s_mov_b64 s[50:51], -1
	s_waitcnt lgkmcnt(0)
	s_barrier
	v_cmp_eq_u32_sdwa s[56:57], v10, v3 src0_sel:BYTE_0 src1_sel:DWORD
	s_and_b64 vcc, exec, s[56:57]
	s_mov_b64 s[56:57], -1
	s_cbranch_vccnz .LBB129_373
.LBB129_369:                            ;   in Loop: Header=BB129_370 Depth=2
	s_and_b64 s[50:51], exec, s[50:51]
	s_or_b64 s[18:19], s[50:51], s[18:19]
	s_andn2_b64 s[38:39], s[38:39], exec
	s_and_b64 s[50:51], s[56:57], exec
	s_or_b64 s[38:39], s[38:39], s[50:51]
	s_andn2_b64 exec, exec, s[18:19]
	s_cbranch_execz .LBB129_374
.LBB129_370:                            ;   Parent Loop BB129_31 Depth=1
                                        ; =>  This Inner Loop Header: Depth=2
	v_cmp_gt_u64_e32 vcc, s[28:29], v[8:9]
	s_and_saveexec_b64 s[50:51], vcc
	s_cbranch_execz .LBB129_368
; %bb.371:                              ;   in Loop: Header=BB129_370 Depth=2
	global_load_ubyte v10, v[6:7], off
	s_waitcnt vmcnt(0)
	v_and_b32_e32 v11, v10, v44
	v_cmp_eq_u32_sdwa s[56:57], v11, v41 src0_sel:BYTE_0 src1_sel:DWORD
	s_and_b64 exec, exec, s[56:57]
	s_cbranch_execz .LBB129_368
; %bb.372:                              ;   in Loop: Header=BB129_370 Depth=2
	v_lshlrev_b16_e32 v10, 8, v10
	v_or_b32_e32 v10, 1, v10
	ds_write_b16 v3, v10 offset:3072
	s_branch .LBB129_368
.LBB129_373:                            ;   in Loop: Header=BB129_370 Depth=2
	v_add_co_u32_e32 v8, vcc, s33, v8
	v_addc_co_u32_e32 v9, vcc, 0, v9, vcc
	v_mov_b32_e32 v11, s59
	v_add_co_u32_e32 v6, vcc, s58, v6
	v_addc_co_u32_e32 v7, vcc, v7, v11, vcc
	v_cmp_le_u64_e32 vcc, s[16:17], v[8:9]
	s_mov_b64 s[56:57], 0
	s_orn2_b64 s[50:51], vcc, exec
	s_branch .LBB129_369
.LBB129_374:                            ;   in Loop: Header=BB129_31 Depth=1
	s_or_b64 exec, exec, s[18:19]
	s_andn2_b64 s[10:11], s[10:11], exec
	s_and_b64 s[16:17], s[38:39], exec
	v_lshrrev_b32_sdwa v45, v43, v10 dst_sel:DWORD dst_unused:UNUSED_PAD src0_sel:DWORD src1_sel:WORD_0
	s_or_b64 s[10:11], s[10:11], s[16:17]
.LBB129_375:                            ;   in Loop: Header=BB129_31 Depth=1
	s_or_b64 exec, exec, s[4:5]
	s_mov_b64 s[38:39], 0
	s_mov_b64 s[50:51], -1
.LBB129_376:                            ;   in Loop: Header=BB129_31 Depth=1
	s_orn2_b64 s[4:5], s[10:11], exec
.LBB129_377:                            ;   in Loop: Header=BB129_31 Depth=1
	s_or_b64 exec, exec, s[6:7]
	s_mov_b64 s[10:11], 0
	s_and_saveexec_b64 s[6:7], s[4:5]
	s_cbranch_execz .LBB129_486
; %bb.378:                              ;   in Loop: Header=BB129_31 Depth=1
	v_mov_b32_e32 v6, 1
	s_xor_b64 s[4:5], s[8:9], -1
	v_mov_b32_e32 v2, 1
	v_mov_b32_e32 v7, 0
	s_and_saveexec_b64 s[8:9], s[4:5]
	s_cbranch_execz .LBB129_387
; %bb.379:                              ;   in Loop: Header=BB129_31 Depth=1
	v_cmp_ge_u64_e32 vcc, s[48:49], v[4:5]
	s_and_saveexec_b64 s[4:5], vcc
	s_xor_b64 s[4:5], exec, s[4:5]
	s_cbranch_execz .LBB129_384
; %bb.380:                              ;   in Loop: Header=BB129_31 Depth=1
	ds_read_b64 v[6:7], v3 offset:5120
	v_and_b32_e32 v2, s1, v41
	v_lshl_or_b32 v41, 2, s63, v2
	v_or_b32_e32 v44, s0, v44
	s_waitcnt lgkmcnt(0)
	v_cmp_ne_u64_e32 vcc, 0, v[6:7]
	s_cbranch_vccnz .LBB129_384
; %bb.381:                              ;   in Loop: Header=BB129_31 Depth=1
	s_mov_b64 s[10:11], exec
	v_readlane_b32 s16, v57, 8
	v_readlane_b32 s17, v57, 9
	s_and_b64 s[16:17], s[10:11], s[16:17]
	s_mov_b64 exec, s[16:17]
; %bb.382:                              ;   in Loop: Header=BB129_31 Depth=1
	v_mov_b32_e32 v6, s48
	v_mov_b32_e32 v7, s49
	ds_write_b64 v3, v[6:7] offset:5128
; %bb.383:                              ;   in Loop: Header=BB129_31 Depth=1
	s_or_b64 exec, exec, s[10:11]
	s_waitcnt lgkmcnt(0)
	s_barrier
.LBB129_384:                            ;   in Loop: Header=BB129_31 Depth=1
	s_or_saveexec_b64 s[4:5], s[4:5]
	s_mov_b64 s[10:11], 0
	v_mov_b32_e32 v2, 5
	s_xor_b64 exec, exec, s[4:5]
; %bb.385:                              ;   in Loop: Header=BB129_31 Depth=1
	v_subrev_co_u32_e32 v4, vcc, s48, v4
	v_mov_b32_e32 v2, s49
	v_subb_co_u32_e32 v5, vcc, v5, v2, vcc
	v_mov_b32_e32 v2, 0
	s_mov_b64 s[10:11], exec
; %bb.386:                              ;   in Loop: Header=BB129_31 Depth=1
	s_or_b64 exec, exec, s[4:5]
	v_mov_b32_e32 v7, v5
	s_and_b64 s[10:11], s[10:11], exec
	v_mov_b32_e32 v6, v4
.LBB129_387:                            ;   in Loop: Header=BB129_31 Depth=1
	s_or_b64 exec, exec, s[8:9]
	s_mov_b64 s[4:5], -1
                                        ; implicit-def: $sgpr48_sgpr49
                                        ; implicit-def: $sgpr66_sgpr67
	s_and_saveexec_b64 s[18:19], s[10:11]
	s_cbranch_execz .LBB129_485
; %bb.388:                              ;   in Loop: Header=BB129_31 Depth=1
	s_cmp_eq_u64 s[46:47], 1
	v_cmp_eq_u64_e32 vcc, 1, v[6:7]
	s_cselect_b64 s[4:5], -1, 0
	s_and_b64 s[10:11], s[4:5], vcc
	s_mov_b64 s[4:5], -1
                                        ; implicit-def: $sgpr66_sgpr67
                                        ; implicit-def: $sgpr48_sgpr49
	s_and_saveexec_b64 s[8:9], s[10:11]
	s_cbranch_execz .LBB129_422
; %bb.389:                              ;   in Loop: Header=BB129_31 Depth=1
	ds_read_b64 v[4:5], v3 offset:5120
	s_waitcnt lgkmcnt(0)
	s_barrier
	v_readfirstlane_b32 s16, v4
	v_readfirstlane_b32 s17, v5
	s_mov_b64 s[4:5], exec
	v_readlane_b32 s48, v57, 46
	v_readlane_b32 s49, v57, 47
	s_and_b64 s[48:49], s[4:5], s[48:49]
	s_mov_b64 exec, s[48:49]
; %bb.390:                              ;   in Loop: Header=BB129_31 Depth=1
	ds_write_b8 v0, v3 offset:3072
; %bb.391:                              ;   in Loop: Header=BB129_31 Depth=1
	s_or_b64 exec, exec, s[4:5]
	v_and_b32_e32 v4, s1, v41
	v_lshl_or_b32 v41, 1, s63, v4
	v_or_b32_e32 v44, s0, v44
	s_mov_b64 s[48:49], -1
	s_mov_b64 s[66:67], 0
	s_cmp_eq_u64 s[16:17], 0
	s_mov_b64 s[60:61], 0
	s_mov_b64 s[68:69], -1
	s_waitcnt lgkmcnt(0)
	s_barrier
                                        ; implicit-def: $vgpr45
	s_cbranch_scc1 .LBB129_407
; %bb.392:                              ;   in Loop: Header=BB129_31 Depth=1
	v_readlane_b32 s4, v57, 22
	s_add_u32 s58, s16, s4
	v_readlane_b32 s4, v57, 24
	s_addc_u32 s61, s17, s4
	s_mov_b32 s60, s53
	s_mov_b64 s[72:73], s[64:65]
	s_cmp_lg_u64 s[60:61], 0
	s_cbranch_scc0 .LBB129_439
; %bb.393:                              ;   in Loop: Header=BB129_31 Depth=1
	v_cvt_f32_u32_e32 v4, s33
	s_sub_u32 s52, 0, s33
	s_subb_u32 s56, 0, 0
	v_mac_f32_e32 v4, 0, v42
	v_rcp_f32_e32 v4, v4
	v_mul_f32_e32 v4, 0x5f7ffffc, v4
	v_mul_f32_e32 v5, 0x2f800000, v4
	v_trunc_f32_e32 v5, v5
	v_mac_f32_e32 v4, 0xcf800000, v5
	v_cvt_u32_f32_e32 v5, v5
	v_cvt_u32_f32_e32 v4, v4
	v_readfirstlane_b32 s57, v5
	v_readfirstlane_b32 s4, v4
	s_mul_i32 s5, s52, s57
	s_mul_hi_u32 s60, s52, s4
	s_mul_i32 s59, s56, s4
	s_add_i32 s5, s60, s5
	s_mul_i32 s64, s52, s4
	s_add_i32 s5, s5, s59
	s_mul_hi_u32 s60, s4, s64
	s_mul_i32 s65, s4, s5
	s_mul_hi_u32 s59, s4, s5
	s_add_u32 s60, s60, s65
	s_addc_u32 s59, 0, s59
	s_mul_hi_u32 s68, s57, s64
	s_mul_i32 s64, s57, s64
	s_add_u32 s60, s60, s64
	s_mul_hi_u32 s65, s57, s5
	s_addc_u32 s59, s59, s68
	s_addc_u32 s60, s65, 0
	s_mul_i32 s5, s57, s5
	s_add_u32 s5, s59, s5
	s_addc_u32 s59, 0, s60
	s_add_u32 s60, s4, s5
	s_cselect_b64 s[4:5], -1, 0
	s_cmp_lg_u64 s[4:5], 0
	s_addc_u32 s57, s57, s59
	s_mul_i32 s4, s52, s57
	s_mul_hi_u32 s5, s52, s60
	s_add_i32 s4, s5, s4
	s_mul_i32 s56, s56, s60
	s_add_i32 s4, s4, s56
	s_mul_i32 s52, s52, s60
	s_mul_hi_u32 s56, s57, s52
	s_mul_i32 s59, s57, s52
	s_mul_i32 s65, s60, s4
	s_mul_hi_u32 s52, s60, s52
	s_mul_hi_u32 s64, s60, s4
	s_add_u32 s52, s52, s65
	s_addc_u32 s64, 0, s64
	s_add_u32 s52, s52, s59
	s_mul_hi_u32 s5, s57, s4
	s_addc_u32 s52, s64, s56
	s_addc_u32 s5, s5, 0
	s_mul_i32 s4, s57, s4
	s_add_u32 s4, s52, s4
	s_addc_u32 s52, 0, s5
	s_add_u32 s56, s60, s4
	s_cselect_b64 s[4:5], -1, 0
	s_cmp_lg_u64 s[4:5], 0
	s_addc_u32 s4, s57, s52
	s_mul_i32 s52, s58, s4
	s_mul_hi_u32 s57, s58, s56
	s_mul_hi_u32 s5, s58, s4
	s_add_u32 s52, s57, s52
	s_addc_u32 s5, 0, s5
	s_mul_hi_u32 s59, s61, s56
	s_mul_i32 s56, s61, s56
	s_add_u32 s52, s52, s56
	s_mul_hi_u32 s57, s61, s4
	s_addc_u32 s5, s5, s59
	s_addc_u32 s52, s57, 0
	s_mul_i32 s4, s61, s4
	s_add_u32 s4, s5, s4
	s_addc_u32 s5, 0, s52
	s_mul_i32 s5, s33, s5
	s_mul_hi_u32 s52, s33, s4
	s_add_i32 s52, s52, s5
	s_mul_i32 s4, s33, s4
	s_sub_u32 s56, s58, s4
	s_cselect_b64 s[4:5], -1, 0
	s_cmp_lg_u64 s[4:5], 0
	s_subb_u32 s52, s61, s52
	s_sub_u32 s57, s56, s33
	s_cselect_b64 s[4:5], -1, 0
	s_cmp_lg_u64 s[4:5], 0
	s_subb_u32 s59, s52, 0
	;; [unrolled: 4-line block ×3, first 2 shown]
	s_cmp_ge_u32 s57, s33
	s_cselect_b32 s5, -1, 0
	s_cmp_eq_u32 s59, 0
	s_cselect_b32 s5, s5, -1
	s_cmp_lg_u32 s5, 0
	s_cselect_b32 s4, s4, s59
	s_cselect_b32 s57, s60, s57
	s_cmp_ge_u32 s56, s33
	s_cselect_b32 s5, -1, 0
	s_cmp_eq_u32 s52, 0
	s_cselect_b32 s5, s5, -1
	s_cmp_lg_u32 s5, 0
	s_cselect_b32 s5, s4, s52
	s_cselect_b32 s4, s57, s56
	s_cbranch_execnz .LBB129_395
.LBB129_394:                            ;   in Loop: Header=BB129_31 Depth=1
	v_cvt_f32_u32_e32 v4, s33
	s_sub_i32 s4, 0, s33
	v_rcp_iflag_f32_e32 v4, v4
	v_mul_f32_e32 v4, 0x4f7ffffe, v4
	v_cvt_u32_f32_e32 v4, v4
	v_readfirstlane_b32 s5, v4
	s_mul_i32 s4, s4, s5
	s_mul_hi_u32 s4, s5, s4
	s_add_i32 s5, s5, s4
	s_mul_hi_u32 s4, s58, s5
	s_mul_i32 s4, s4, s33
	s_sub_i32 s4, s58, s4
	s_sub_i32 s5, s4, s33
	s_cmp_ge_u32 s4, s33
	s_cselect_b32 s4, s5, s4
	s_sub_i32 s5, s4, s33
	s_cmp_ge_u32 s4, s33
	s_cselect_b32 s52, s5, s4
	s_mov_b64 s[4:5], s[52:53]
.LBB129_395:                            ;   in Loop: Header=BB129_31 Depth=1
	s_sub_u32 s70, s58, s4
	s_subb_u32 s71, s61, s5
	v_cmp_gt_u64_e32 vcc, s[70:71], v[0:1]
	s_mov_b64 s[68:69], 0
	s_mov_b64 s[60:61], 0
                                        ; implicit-def: $vgpr45
	s_and_saveexec_b64 s[4:5], vcc
	s_mov_b64 s[64:65], s[72:73]
	s_mov_b32 s52, 0xc0c0004
	s_cbranch_execz .LBB129_406
; %bb.396:                              ;   in Loop: Header=BB129_31 Depth=1
	v_mov_b32_e32 v5, v1
	v_mov_b32_e32 v8, v0
	;; [unrolled: 1-line block ×3, first 2 shown]
                                        ; implicit-def: $sgpr72_sgpr73
	s_branch .LBB129_399
.LBB129_397:                            ;   in Loop: Header=BB129_399 Depth=2
	s_or_b64 exec, exec, s[56:57]
	s_waitcnt lgkmcnt(0)
	s_barrier
	ds_read_u16 v9, v3 offset:3072
	s_mov_b64 s[56:57], -1
	s_waitcnt lgkmcnt(0)
	s_barrier
	v_cmp_ne_u32_sdwa s[58:59], v9, v3 src0_sel:BYTE_0 src1_sel:DWORD
	s_and_b64 vcc, exec, s[58:59]
	s_mov_b64 s[58:59], -1
	s_cbranch_vccz .LBB129_402
.LBB129_398:                            ;   in Loop: Header=BB129_399 Depth=2
	s_and_b64 s[56:57], exec, s[56:57]
	s_or_b64 s[60:61], s[56:57], s[60:61]
	s_andn2_b64 s[56:57], s[72:73], exec
	s_and_b64 s[58:59], s[58:59], exec
	s_or_b64 s[72:73], s[56:57], s[58:59]
	s_andn2_b64 exec, exec, s[60:61]
	s_cbranch_execz .LBB129_405
.LBB129_399:                            ;   Parent Loop BB129_31 Depth=1
                                        ; =>  This Inner Loop Header: Depth=2
	v_cmp_gt_u64_e32 vcc, s[16:17], v[4:5]
	s_and_saveexec_b64 s[56:57], vcc
	s_cbranch_execz .LBB129_397
; %bb.400:                              ;   in Loop: Header=BB129_399 Depth=2
	ds_read_u8 v9, v8
	s_waitcnt lgkmcnt(0)
	v_and_b32_e32 v10, v9, v44
	v_cmp_eq_u32_sdwa s[58:59], v10, v41 src0_sel:BYTE_0 src1_sel:DWORD
	s_and_b64 exec, exec, s[58:59]
	s_cbranch_execz .LBB129_397
; %bb.401:                              ;   in Loop: Header=BB129_399 Depth=2
	v_lshlrev_b16_e32 v9, 8, v9
	v_or_b32_e32 v9, 1, v9
	ds_write_b16 v3, v9 offset:3072
	s_branch .LBB129_397
.LBB129_402:                            ;   in Loop: Header=BB129_399 Depth=2
	v_add_co_u32_e32 v4, vcc, s33, v4
	v_addc_co_u32_e32 v5, vcc, 0, v5, vcc
	v_cmp_le_u64_e32 vcc, s[70:71], v[4:5]
	v_add_u32_e32 v8, s33, v8
	s_mov_b64 s[58:59], 0
	s_orn2_b64 s[56:57], vcc, exec
	s_branch .LBB129_398
.LBB129_403:                            ;   in Loop: Header=BB129_31 Depth=1
                                        ; implicit-def: $sgpr4_sgpr5
	s_andn2_b64 vcc, exec, s[18:19]
	s_cbranch_vccz .LBB129_349
	s_branch .LBB129_350
.LBB129_404:                            ;   in Loop: Header=BB129_31 Depth=1
                                        ; implicit-def: $sgpr4_sgpr5
	s_branch .LBB129_365
.LBB129_405:                            ;   in Loop: Header=BB129_31 Depth=1
	s_or_b64 exec, exec, s[60:61]
	v_lshrrev_b32_sdwa v45, v43, v9 dst_sel:DWORD dst_unused:UNUSED_PAD src0_sel:DWORD src1_sel:WORD_0
	s_and_b64 s[60:61], s[72:73], exec
.LBB129_406:                            ;   in Loop: Header=BB129_31 Depth=1
	s_or_b64 exec, exec, s[4:5]
	v_readlane_b32 s59, v57, 51
	s_mul_i32 s58, s26, s33
.LBB129_407:                            ;   in Loop: Header=BB129_31 Depth=1
	s_and_b64 vcc, exec, s[68:69]
	s_cbranch_vccz .LBB129_421
; %bb.408:                              ;   in Loop: Header=BB129_31 Depth=1
	v_readlane_b32 s66, v57, 25
	v_readlane_b32 s67, v57, 26
	s_mov_b32 s66, s53
	s_cmp_lg_u64 s[66:67], 0
	v_writelane_b32 v57, s66, 25
	v_writelane_b32 v57, s67, 26
	s_cbranch_scc0 .LBB129_440
; %bb.409:                              ;   in Loop: Header=BB129_31 Depth=1
	v_cvt_f32_u32_e32 v4, s33
	s_sub_u32 s16, 0, s33
	s_subb_u32 s17, 0, 0
	v_mac_f32_e32 v4, 0, v42
	v_rcp_f32_e32 v4, v4
	v_mul_f32_e32 v4, 0x5f7ffffc, v4
	v_mul_f32_e32 v5, 0x2f800000, v4
	v_trunc_f32_e32 v5, v5
	v_mac_f32_e32 v4, 0xcf800000, v5
	v_cvt_u32_f32_e32 v5, v5
	v_cvt_u32_f32_e32 v4, v4
	v_readfirstlane_b32 s48, v5
	v_readfirstlane_b32 s4, v4
	s_mul_i32 s5, s16, s48
	s_mul_hi_u32 s52, s16, s4
	s_mul_i32 s49, s17, s4
	s_add_i32 s5, s52, s5
	s_mul_i32 s56, s16, s4
	s_add_i32 s5, s5, s49
	s_mul_hi_u32 s52, s4, s56
	s_mul_i32 s57, s4, s5
	s_mul_hi_u32 s49, s4, s5
	s_add_u32 s52, s52, s57
	s_addc_u32 s49, 0, s49
	s_mul_hi_u32 s58, s48, s56
	s_mul_i32 s56, s48, s56
	s_add_u32 s52, s52, s56
	s_mul_hi_u32 s57, s48, s5
	s_addc_u32 s49, s49, s58
	s_addc_u32 s52, s57, 0
	s_mul_i32 s5, s48, s5
	s_add_u32 s5, s49, s5
	s_addc_u32 s49, 0, s52
	s_add_u32 s52, s4, s5
	s_cselect_b64 s[4:5], -1, 0
	s_cmp_lg_u64 s[4:5], 0
	s_addc_u32 s48, s48, s49
	s_mul_i32 s4, s16, s48
	s_mul_hi_u32 s5, s16, s52
	s_add_i32 s4, s5, s4
	s_mul_i32 s17, s17, s52
	s_add_i32 s4, s4, s17
	s_mul_i32 s16, s16, s52
	s_mul_hi_u32 s17, s48, s16
	s_mul_i32 s49, s48, s16
	s_mul_i32 s57, s52, s4
	s_mul_hi_u32 s16, s52, s16
	s_mul_hi_u32 s56, s52, s4
	s_add_u32 s16, s16, s57
	s_addc_u32 s56, 0, s56
	s_add_u32 s16, s16, s49
	s_mul_hi_u32 s5, s48, s4
	s_addc_u32 s16, s56, s17
	s_addc_u32 s5, s5, 0
	s_mul_i32 s4, s48, s4
	s_add_u32 s4, s16, s4
	s_addc_u32 s16, 0, s5
	s_add_u32 s17, s52, s4
	s_cselect_b64 s[4:5], -1, 0
	s_cmp_lg_u64 s[4:5], 0
	s_addc_u32 s4, s48, s16
	v_readlane_b32 s52, v57, 23
	s_mul_i32 s16, s52, s4
	s_mul_hi_u32 s48, s52, s17
	s_mul_hi_u32 s5, s52, s4
	s_add_u32 s16, s48, s16
	s_addc_u32 s5, 0, s5
	s_mul_hi_u32 s49, s67, s17
	s_mul_i32 s17, s67, s17
	s_add_u32 s16, s16, s17
	s_mul_hi_u32 s48, s67, s4
	s_addc_u32 s5, s5, s49
	s_addc_u32 s16, s48, 0
	s_mul_i32 s4, s67, s4
	s_add_u32 s4, s5, s4
	s_addc_u32 s5, 0, s16
	s_mul_i32 s5, s33, s5
	s_mul_hi_u32 s16, s33, s4
	s_add_i32 s16, s16, s5
	s_mul_i32 s4, s33, s4
	s_sub_u32 s17, s52, s4
	s_cselect_b64 s[4:5], -1, 0
	s_cmp_lg_u64 s[4:5], 0
	s_subb_u32 s16, s67, s16
	s_sub_u32 s48, s17, s33
	s_cselect_b64 s[4:5], -1, 0
	s_cmp_lg_u64 s[4:5], 0
	s_subb_u32 s49, s16, 0
	;; [unrolled: 4-line block ×3, first 2 shown]
	s_cmp_ge_u32 s48, s33
	s_cselect_b32 s5, -1, 0
	s_cmp_eq_u32 s49, 0
	s_cselect_b32 s5, s5, -1
	s_cmp_lg_u32 s5, 0
	s_cselect_b32 s4, s4, s49
	s_cselect_b32 s48, s52, s48
	s_cmp_ge_u32 s17, s33
	s_cselect_b32 s5, -1, 0
	s_cmp_eq_u32 s16, 0
	s_cselect_b32 s5, s5, -1
	s_cmp_lg_u32 s5, 0
	s_mul_i32 s58, s26, s33
	s_cselect_b32 s5, s4, s16
	s_cselect_b32 s4, s48, s17
	s_cbranch_execnz .LBB129_411
.LBB129_410:                            ;   in Loop: Header=BB129_31 Depth=1
	v_cvt_f32_u32_e32 v4, s33
	s_sub_i32 s4, 0, s33
	v_readlane_b32 s16, v57, 23
	v_rcp_iflag_f32_e32 v4, v4
	v_mul_f32_e32 v4, 0x4f7ffffe, v4
	v_cvt_u32_f32_e32 v4, v4
	v_readfirstlane_b32 s5, v4
	s_mul_i32 s4, s4, s5
	s_mul_hi_u32 s4, s5, s4
	s_add_i32 s5, s5, s4
	s_mul_hi_u32 s4, s16, s5
	s_mul_i32 s4, s4, s33
	s_sub_i32 s4, s16, s4
	s_sub_i32 s5, s4, s33
	s_cmp_ge_u32 s4, s33
	s_cselect_b32 s4, s5, s4
	s_sub_i32 s5, s4, s33
	s_cmp_ge_u32 s4, s33
	s_cselect_b32 s52, s5, s4
	s_mov_b64 s[4:5], s[52:53]
.LBB129_411:                            ;   in Loop: Header=BB129_31 Depth=1
	v_readlane_b32 s16, v57, 23
	v_readlane_b32 s48, v57, 25
	s_sub_u32 s16, s16, s4
	v_readlane_b32 s49, v57, 26
	s_subb_u32 s17, s49, s5
	v_cmp_gt_u64_e32 vcc, s[16:17], v[0:1]
                                        ; implicit-def: $vgpr45
	s_and_saveexec_b64 s[4:5], vcc
	s_mov_b32 s52, 0xc0c0004
	s_cbranch_execz .LBB129_420
; %bb.412:                              ;   in Loop: Header=BB129_31 Depth=1
	v_mov_b32_e32 v4, v21
	v_mov_b32_e32 v9, v1
	s_mov_b64 s[48:49], 0
	v_mov_b32_e32 v5, v22
	v_mov_b32_e32 v8, v0
                                        ; implicit-def: $sgpr66_sgpr67
	s_branch .LBB129_415
.LBB129_413:                            ;   in Loop: Header=BB129_415 Depth=2
	s_or_b64 exec, exec, s[56:57]
	s_waitcnt lgkmcnt(0)
	s_barrier
	ds_read_u16 v10, v3 offset:3072
	s_mov_b64 s[56:57], -1
	s_waitcnt lgkmcnt(0)
	s_barrier
	v_cmp_eq_u32_sdwa s[58:59], v10, v3 src0_sel:BYTE_0 src1_sel:DWORD
	s_and_b64 vcc, exec, s[58:59]
	s_mov_b64 s[58:59], -1
	s_cbranch_vccnz .LBB129_418
.LBB129_414:                            ;   in Loop: Header=BB129_415 Depth=2
	s_and_b64 s[56:57], exec, s[56:57]
	s_or_b64 s[48:49], s[56:57], s[48:49]
	s_andn2_b64 s[56:57], s[66:67], exec
	s_and_b64 s[58:59], s[58:59], exec
	s_or_b64 s[66:67], s[56:57], s[58:59]
	s_andn2_b64 exec, exec, s[48:49]
	s_cbranch_execz .LBB129_419
.LBB129_415:                            ;   Parent Loop BB129_31 Depth=1
                                        ; =>  This Inner Loop Header: Depth=2
	v_cmp_gt_u64_e32 vcc, s[28:29], v[8:9]
	s_and_saveexec_b64 s[56:57], vcc
	s_cbranch_execz .LBB129_413
; %bb.416:                              ;   in Loop: Header=BB129_415 Depth=2
	global_load_ubyte v10, v[4:5], off
	s_waitcnt vmcnt(0)
	v_and_b32_e32 v11, v10, v44
	v_cmp_eq_u32_sdwa s[58:59], v11, v41 src0_sel:BYTE_0 src1_sel:DWORD
	s_and_b64 exec, exec, s[58:59]
	s_cbranch_execz .LBB129_413
; %bb.417:                              ;   in Loop: Header=BB129_415 Depth=2
	v_lshlrev_b16_e32 v10, 8, v10
	v_or_b32_e32 v10, 1, v10
	ds_write_b16 v3, v10 offset:3072
	s_branch .LBB129_413
.LBB129_418:                            ;   in Loop: Header=BB129_415 Depth=2
	v_add_co_u32_e32 v8, vcc, s33, v8
	v_readlane_b32 s52, v57, 51
	v_addc_co_u32_e32 v9, vcc, 0, v9, vcc
	v_mov_b32_e32 v11, s52
	s_mul_i32 s52, s26, s33
	v_add_co_u32_e32 v4, vcc, s52, v4
	v_addc_co_u32_e32 v5, vcc, v5, v11, vcc
	v_cmp_le_u64_e32 vcc, s[16:17], v[8:9]
	s_mov_b32 s52, 0xc0c0004
	s_mov_b64 s[58:59], 0
	s_orn2_b64 s[56:57], vcc, exec
	s_branch .LBB129_414
.LBB129_419:                            ;   in Loop: Header=BB129_31 Depth=1
	s_or_b64 exec, exec, s[48:49]
	s_andn2_b64 s[16:17], s[60:61], exec
	s_and_b64 s[48:49], s[66:67], exec
	v_lshrrev_b32_sdwa v45, v43, v10 dst_sel:DWORD dst_unused:UNUSED_PAD src0_sel:DWORD src1_sel:WORD_0
	s_or_b64 s[60:61], s[16:17], s[48:49]
	v_readlane_b32 s59, v57, 51
	s_mul_i32 s58, s26, s33
.LBB129_420:                            ;   in Loop: Header=BB129_31 Depth=1
	s_or_b64 exec, exec, s[4:5]
	s_mov_b64 s[48:49], 0
	s_mov_b64 s[66:67], -1
.LBB129_421:                            ;   in Loop: Header=BB129_31 Depth=1
	s_orn2_b64 s[4:5], s[60:61], exec
.LBB129_422:                            ;   in Loop: Header=BB129_31 Depth=1
	s_or_b64 exec, exec, s[8:9]
	s_mov_b64 s[16:17], 0
	s_and_saveexec_b64 s[8:9], s[4:5]
	s_cbranch_execz .LBB129_484
; %bb.423:                              ;   in Loop: Header=BB129_31 Depth=1
	v_mov_b32_e32 v4, 1
	s_xor_b64 s[4:5], s[10:11], -1
	v_mov_b32_e32 v2, 1
	v_mov_b32_e32 v5, 0
	s_and_saveexec_b64 s[10:11], s[4:5]
	s_cbranch_execz .LBB129_432
; %bb.424:                              ;   in Loop: Header=BB129_31 Depth=1
	v_cmp_ge_u64_e32 vcc, s[46:47], v[6:7]
	s_and_saveexec_b64 s[4:5], vcc
	s_xor_b64 s[4:5], exec, s[4:5]
	s_cbranch_execz .LBB129_429
; %bb.425:                              ;   in Loop: Header=BB129_31 Depth=1
	ds_read_b64 v[4:5], v3 offset:5120
	v_and_b32_e32 v2, s1, v41
	v_lshl_or_b32 v41, 1, s63, v2
	v_or_b32_e32 v44, s0, v44
	s_waitcnt lgkmcnt(0)
	v_cmp_ne_u64_e32 vcc, 0, v[4:5]
	s_cbranch_vccnz .LBB129_429
; %bb.426:                              ;   in Loop: Header=BB129_31 Depth=1
	s_mov_b64 s[16:17], exec
	v_readlane_b32 s56, v57, 8
	v_readlane_b32 s57, v57, 9
	s_and_b64 s[56:57], s[16:17], s[56:57]
	s_mov_b64 exec, s[56:57]
; %bb.427:                              ;   in Loop: Header=BB129_31 Depth=1
	v_mov_b32_e32 v4, s46
	v_mov_b32_e32 v5, s47
	ds_write_b64 v3, v[4:5] offset:5128
; %bb.428:                              ;   in Loop: Header=BB129_31 Depth=1
	s_or_b64 exec, exec, s[16:17]
	s_waitcnt lgkmcnt(0)
	s_barrier
.LBB129_429:                            ;   in Loop: Header=BB129_31 Depth=1
	s_or_saveexec_b64 s[4:5], s[4:5]
	s_mov_b64 s[16:17], 0
	v_mov_b32_e32 v2, 5
	s_xor_b64 exec, exec, s[4:5]
; %bb.430:                              ;   in Loop: Header=BB129_31 Depth=1
	v_subrev_co_u32_e32 v6, vcc, s46, v6
	v_mov_b32_e32 v2, s47
	v_subb_co_u32_e32 v7, vcc, v7, v2, vcc
	v_mov_b32_e32 v2, 0
	s_mov_b64 s[16:17], exec
; %bb.431:                              ;   in Loop: Header=BB129_31 Depth=1
	s_or_b64 exec, exec, s[4:5]
	v_mov_b32_e32 v4, v6
	s_and_b64 s[16:17], s[16:17], exec
	v_mov_b32_e32 v5, v7
.LBB129_432:                            ;   in Loop: Header=BB129_31 Depth=1
	s_or_b64 exec, exec, s[10:11]
	s_mov_b64 s[4:5], -1
                                        ; implicit-def: $sgpr70_sgpr71
                                        ; implicit-def: $sgpr60_sgpr61
	s_and_saveexec_b64 s[10:11], s[16:17]
	s_cbranch_execz .LBB129_483
; %bb.433:                              ;   in Loop: Header=BB129_31 Depth=1
	s_cmp_eq_u64 s[22:23], 1
	v_cmp_eq_u64_e32 vcc, 1, v[4:5]
	s_cselect_b64 s[4:5], -1, 0
	s_and_b64 s[16:17], s[4:5], vcc
	s_mov_b64 s[4:5], -1
                                        ; implicit-def: $sgpr70_sgpr71
                                        ; implicit-def: $sgpr60_sgpr61
	s_mov_b64 s[46:47], exec
	v_writelane_b32 v57, s16, 58
	v_writelane_b32 v57, s17, 59
	s_and_b64 s[16:17], s[46:47], s[16:17]
	s_mov_b64 exec, s[16:17]
	s_cbranch_execz .LBB129_471
; %bb.434:                              ;   in Loop: Header=BB129_31 Depth=1
	ds_read_b64 v[6:7], v3 offset:5120
	v_writelane_b32 v57, s46, 60
	v_writelane_b32 v57, s47, 61
	s_waitcnt lgkmcnt(0)
	s_barrier
	v_readfirstlane_b32 s16, v6
	v_readfirstlane_b32 s17, v7
	s_mov_b64 s[4:5], exec
	v_readlane_b32 s46, v57, 46
	v_readlane_b32 s47, v57, 47
	s_and_b64 s[46:47], s[4:5], s[46:47]
	s_mov_b64 exec, s[46:47]
; %bb.435:                              ;   in Loop: Header=BB129_31 Depth=1
	ds_write_b8 v0, v3 offset:3072
; %bb.436:                              ;   in Loop: Header=BB129_31 Depth=1
	s_or_b64 exec, exec, s[4:5]
	v_and_b32_e32 v41, s1, v41
	v_or_b32_e32 v44, s0, v44
	s_mov_b64 s[60:61], -1
	s_mov_b64 s[70:71], 0
	s_cmp_eq_u64 s[16:17], 0
	s_mov_b64 s[46:47], 0
	s_mov_b64 s[72:73], -1
	s_waitcnt lgkmcnt(0)
	s_barrier
                                        ; implicit-def: $vgpr45
	s_cbranch_scc1 .LBB129_454
; %bb.437:                              ;   in Loop: Header=BB129_31 Depth=1
	v_readlane_b32 s4, v57, 22
	s_add_u32 s58, s16, s4
	v_readlane_b32 s4, v57, 24
	s_addc_u32 s47, s17, s4
	s_mov_b32 s46, s53
	s_mov_b64 s[68:69], s[64:65]
	s_cmp_lg_u64 s[46:47], 0
	s_cbranch_scc0 .LBB129_441
; %bb.438:                              ;   in Loop: Header=BB129_31 Depth=1
	v_cvt_f32_u32_e32 v6, s33
	s_sub_u32 s46, 0, s33
	s_subb_u32 s52, 0, 0
	v_mac_f32_e32 v6, 0, v42
	v_rcp_f32_e32 v6, v6
	v_mul_f32_e32 v6, 0x5f7ffffc, v6
	v_mul_f32_e32 v7, 0x2f800000, v6
	v_trunc_f32_e32 v7, v7
	v_mac_f32_e32 v6, 0xcf800000, v7
	v_cvt_u32_f32_e32 v7, v7
	v_cvt_u32_f32_e32 v6, v6
	v_readfirstlane_b32 s56, v7
	v_readfirstlane_b32 s4, v6
	s_mul_i32 s5, s46, s56
	s_mul_hi_u32 s59, s46, s4
	s_mul_i32 s57, s52, s4
	s_add_i32 s5, s59, s5
	s_mul_i32 s60, s46, s4
	s_add_i32 s5, s5, s57
	s_mul_hi_u32 s59, s4, s60
	s_mul_i32 s61, s4, s5
	s_mul_hi_u32 s57, s4, s5
	s_add_u32 s59, s59, s61
	s_addc_u32 s57, 0, s57
	s_mul_hi_u32 s64, s56, s60
	s_mul_i32 s60, s56, s60
	s_add_u32 s59, s59, s60
	s_mul_hi_u32 s61, s56, s5
	s_addc_u32 s57, s57, s64
	s_addc_u32 s59, s61, 0
	s_mul_i32 s5, s56, s5
	s_add_u32 s5, s57, s5
	s_addc_u32 s57, 0, s59
	s_add_u32 s59, s4, s5
	s_cselect_b64 s[4:5], -1, 0
	s_cmp_lg_u64 s[4:5], 0
	s_addc_u32 s56, s56, s57
	s_mul_i32 s4, s46, s56
	s_mul_hi_u32 s5, s46, s59
	s_add_i32 s4, s5, s4
	s_mul_i32 s52, s52, s59
	s_add_i32 s4, s4, s52
	s_mul_i32 s46, s46, s59
	s_mul_hi_u32 s52, s56, s46
	s_mul_i32 s57, s56, s46
	s_mul_i32 s61, s59, s4
	s_mul_hi_u32 s46, s59, s46
	s_mul_hi_u32 s60, s59, s4
	s_add_u32 s46, s46, s61
	s_addc_u32 s60, 0, s60
	s_add_u32 s46, s46, s57
	s_mul_hi_u32 s5, s56, s4
	s_addc_u32 s46, s60, s52
	s_addc_u32 s5, s5, 0
	s_mul_i32 s4, s56, s4
	s_add_u32 s4, s46, s4
	s_addc_u32 s46, 0, s5
	s_add_u32 s52, s59, s4
	s_cselect_b64 s[4:5], -1, 0
	s_cmp_lg_u64 s[4:5], 0
	s_addc_u32 s4, s56, s46
	s_mul_i32 s46, s58, s4
	s_mul_hi_u32 s56, s58, s52
	s_mul_hi_u32 s5, s58, s4
	s_add_u32 s46, s56, s46
	s_addc_u32 s5, 0, s5
	s_mul_hi_u32 s57, s47, s52
	s_mul_i32 s52, s47, s52
	s_add_u32 s46, s46, s52
	s_mul_hi_u32 s56, s47, s4
	s_addc_u32 s5, s5, s57
	s_addc_u32 s46, s56, 0
	s_mul_i32 s4, s47, s4
	s_add_u32 s4, s5, s4
	s_addc_u32 s5, 0, s46
	s_mul_i32 s5, s33, s5
	s_mul_hi_u32 s46, s33, s4
	s_add_i32 s46, s46, s5
	s_mul_i32 s4, s33, s4
	s_sub_u32 s52, s58, s4
	s_cselect_b64 s[4:5], -1, 0
	s_cmp_lg_u64 s[4:5], 0
	s_subb_u32 s46, s47, s46
	s_sub_u32 s56, s52, s33
	s_cselect_b64 s[4:5], -1, 0
	s_cmp_lg_u64 s[4:5], 0
	s_subb_u32 s57, s46, 0
	;; [unrolled: 4-line block ×3, first 2 shown]
	s_cmp_ge_u32 s56, s33
	s_cselect_b32 s5, -1, 0
	s_cmp_eq_u32 s57, 0
	s_cselect_b32 s5, s5, -1
	s_cmp_lg_u32 s5, 0
	s_cselect_b32 s4, s4, s57
	s_cselect_b32 s56, s59, s56
	s_cmp_ge_u32 s52, s33
	s_cselect_b32 s5, -1, 0
	s_cmp_eq_u32 s46, 0
	s_cselect_b32 s5, s5, -1
	s_cmp_lg_u32 s5, 0
	s_cselect_b32 s5, s4, s46
	s_cselect_b32 s4, s56, s52
	s_mov_b64 s[56:57], 0
	s_branch .LBB129_442
.LBB129_439:                            ;   in Loop: Header=BB129_31 Depth=1
                                        ; implicit-def: $sgpr4_sgpr5
	s_branch .LBB129_394
.LBB129_440:                            ;   in Loop: Header=BB129_31 Depth=1
                                        ; implicit-def: $sgpr4_sgpr5
	s_branch .LBB129_410
.LBB129_441:                            ;   in Loop: Header=BB129_31 Depth=1
	s_mov_b64 s[56:57], -1
                                        ; implicit-def: $sgpr4_sgpr5
.LBB129_442:                            ;   in Loop: Header=BB129_31 Depth=1
	s_andn2_b64 vcc, exec, s[56:57]
	s_cbranch_vccnz .LBB129_444
; %bb.443:                              ;   in Loop: Header=BB129_31 Depth=1
	v_cvt_f32_u32_e32 v6, s33
	s_sub_i32 s4, 0, s33
	v_rcp_iflag_f32_e32 v6, v6
	v_mul_f32_e32 v6, 0x4f7ffffe, v6
	v_cvt_u32_f32_e32 v6, v6
	v_readfirstlane_b32 s5, v6
	s_mul_i32 s4, s4, s5
	s_mul_hi_u32 s4, s5, s4
	s_add_i32 s5, s5, s4
	s_mul_hi_u32 s4, s58, s5
	s_mul_i32 s4, s4, s33
	s_sub_i32 s4, s58, s4
	s_sub_i32 s5, s4, s33
	s_cmp_ge_u32 s4, s33
	s_cselect_b32 s4, s5, s4
	s_sub_i32 s5, s4, s33
	s_cmp_ge_u32 s4, s33
	s_cselect_b32 s52, s5, s4
	s_mov_b64 s[4:5], s[52:53]
.LBB129_444:                            ;   in Loop: Header=BB129_31 Depth=1
	s_sub_u32 s60, s58, s4
	s_subb_u32 s61, s47, s5
	v_cmp_gt_u64_e32 vcc, s[60:61], v[0:1]
	s_mov_b64 s[72:73], 0
	s_mov_b64 s[46:47], 0
                                        ; implicit-def: $vgpr45
	s_and_saveexec_b64 s[4:5], vcc
	s_mov_b64 s[64:65], s[68:69]
	s_mov_b32 s52, 0xc0c0004
	s_cbranch_execz .LBB129_453
; %bb.445:                              ;   in Loop: Header=BB129_31 Depth=1
	v_mov_b32_e32 v7, v1
	v_mov_b32_e32 v8, v0
	;; [unrolled: 1-line block ×3, first 2 shown]
                                        ; implicit-def: $sgpr68_sgpr69
	s_branch .LBB129_448
.LBB129_446:                            ;   in Loop: Header=BB129_448 Depth=2
	s_or_b64 exec, exec, s[56:57]
	s_waitcnt lgkmcnt(0)
	s_barrier
	ds_read_u16 v9, v3 offset:3072
	s_mov_b64 s[56:57], -1
	s_waitcnt lgkmcnt(0)
	s_barrier
	v_cmp_ne_u32_sdwa s[58:59], v9, v3 src0_sel:BYTE_0 src1_sel:DWORD
	s_and_b64 vcc, exec, s[58:59]
	s_mov_b64 s[58:59], -1
	s_cbranch_vccz .LBB129_451
.LBB129_447:                            ;   in Loop: Header=BB129_448 Depth=2
	s_and_b64 s[56:57], exec, s[56:57]
	s_or_b64 s[46:47], s[56:57], s[46:47]
	s_andn2_b64 s[56:57], s[68:69], exec
	s_and_b64 s[58:59], s[58:59], exec
	s_or_b64 s[68:69], s[56:57], s[58:59]
	s_andn2_b64 exec, exec, s[46:47]
	s_cbranch_execz .LBB129_452
.LBB129_448:                            ;   Parent Loop BB129_31 Depth=1
                                        ; =>  This Inner Loop Header: Depth=2
	v_cmp_gt_u64_e32 vcc, s[16:17], v[6:7]
	s_and_saveexec_b64 s[56:57], vcc
	s_cbranch_execz .LBB129_446
; %bb.449:                              ;   in Loop: Header=BB129_448 Depth=2
	ds_read_u8 v9, v8
	s_waitcnt lgkmcnt(0)
	v_and_b32_e32 v10, v9, v44
	v_cmp_eq_u32_sdwa s[58:59], v10, v41 src0_sel:BYTE_0 src1_sel:DWORD
	s_and_b64 exec, exec, s[58:59]
	s_cbranch_execz .LBB129_446
; %bb.450:                              ;   in Loop: Header=BB129_448 Depth=2
	v_lshlrev_b16_e32 v9, 8, v9
	v_or_b32_e32 v9, 1, v9
	ds_write_b16 v3, v9 offset:3072
	s_branch .LBB129_446
.LBB129_451:                            ;   in Loop: Header=BB129_448 Depth=2
	v_add_co_u32_e32 v6, vcc, s33, v6
	v_addc_co_u32_e32 v7, vcc, 0, v7, vcc
	v_cmp_le_u64_e32 vcc, s[60:61], v[6:7]
	v_add_u32_e32 v8, s33, v8
	s_mov_b64 s[58:59], 0
	s_orn2_b64 s[56:57], vcc, exec
	s_branch .LBB129_447
.LBB129_452:                            ;   in Loop: Header=BB129_31 Depth=1
	s_or_b64 exec, exec, s[46:47]
	v_lshrrev_b32_sdwa v45, v43, v9 dst_sel:DWORD dst_unused:UNUSED_PAD src0_sel:DWORD src1_sel:WORD_0
	s_and_b64 s[46:47], s[68:69], exec
.LBB129_453:                            ;   in Loop: Header=BB129_31 Depth=1
	s_or_b64 exec, exec, s[4:5]
	v_readlane_b32 s59, v57, 51
	s_mul_i32 s58, s26, s33
	s_mov_b64 s[60:61], -1
.LBB129_454:                            ;   in Loop: Header=BB129_31 Depth=1
	s_and_b64 vcc, exec, s[72:73]
	s_cbranch_vccz .LBB129_470
; %bb.455:                              ;   in Loop: Header=BB129_31 Depth=1
	v_readlane_b32 s60, v57, 25
	v_readlane_b32 s61, v57, 26
	s_mov_b32 s60, s53
	s_cmp_lg_u64 s[60:61], 0
	v_writelane_b32 v57, s60, 25
	v_writelane_b32 v57, s61, 26
	s_cbranch_scc0 .LBB129_457
; %bb.456:                              ;   in Loop: Header=BB129_31 Depth=1
	v_cvt_f32_u32_e32 v6, s33
	s_sub_u32 s16, 0, s33
	s_subb_u32 s17, 0, 0
	v_mac_f32_e32 v6, 0, v42
	v_rcp_f32_e32 v6, v6
	v_mul_f32_e32 v6, 0x5f7ffffc, v6
	v_mul_f32_e32 v7, 0x2f800000, v6
	v_trunc_f32_e32 v7, v7
	v_mac_f32_e32 v6, 0xcf800000, v7
	v_cvt_u32_f32_e32 v7, v7
	v_cvt_u32_f32_e32 v6, v6
	v_readfirstlane_b32 s52, v7
	v_readfirstlane_b32 s4, v6
	s_mul_i32 s5, s16, s52
	s_mul_hi_u32 s57, s16, s4
	s_mul_i32 s56, s17, s4
	s_add_i32 s5, s57, s5
	s_mul_i32 s58, s16, s4
	s_add_i32 s5, s5, s56
	s_mul_hi_u32 s57, s4, s58
	s_mul_i32 s59, s4, s5
	s_mul_hi_u32 s56, s4, s5
	s_add_u32 s57, s57, s59
	s_addc_u32 s56, 0, s56
	s_mul_hi_u32 s60, s52, s58
	s_mul_i32 s58, s52, s58
	s_add_u32 s57, s57, s58
	s_mul_hi_u32 s59, s52, s5
	s_addc_u32 s56, s56, s60
	s_addc_u32 s57, s59, 0
	s_mul_i32 s5, s52, s5
	s_add_u32 s5, s56, s5
	s_addc_u32 s56, 0, s57
	s_add_u32 s57, s4, s5
	s_cselect_b64 s[4:5], -1, 0
	s_cmp_lg_u64 s[4:5], 0
	s_addc_u32 s52, s52, s56
	s_mul_i32 s4, s16, s52
	s_mul_hi_u32 s5, s16, s57
	s_add_i32 s4, s5, s4
	s_mul_i32 s17, s17, s57
	s_add_i32 s4, s4, s17
	s_mul_i32 s16, s16, s57
	s_mul_hi_u32 s17, s52, s16
	s_mul_i32 s56, s52, s16
	s_mul_i32 s59, s57, s4
	s_mul_hi_u32 s16, s57, s16
	s_mul_hi_u32 s58, s57, s4
	s_add_u32 s16, s16, s59
	s_addc_u32 s58, 0, s58
	s_add_u32 s16, s16, s56
	s_mul_hi_u32 s5, s52, s4
	s_addc_u32 s16, s58, s17
	s_addc_u32 s5, s5, 0
	s_mul_i32 s4, s52, s4
	s_add_u32 s4, s16, s4
	s_addc_u32 s16, 0, s5
	s_add_u32 s17, s57, s4
	s_cselect_b64 s[4:5], -1, 0
	s_cmp_lg_u64 s[4:5], 0
	s_addc_u32 s4, s52, s16
	v_readlane_b32 s57, v57, 23
	s_mul_i32 s16, s57, s4
	s_mul_hi_u32 s52, s57, s17
	s_mul_hi_u32 s5, s57, s4
	s_add_u32 s16, s52, s16
	s_addc_u32 s5, 0, s5
	s_mul_hi_u32 s56, s61, s17
	s_mul_i32 s17, s61, s17
	s_add_u32 s16, s16, s17
	s_mul_hi_u32 s52, s61, s4
	s_addc_u32 s5, s5, s56
	s_addc_u32 s16, s52, 0
	s_mul_i32 s4, s61, s4
	s_add_u32 s4, s5, s4
	s_addc_u32 s5, 0, s16
	s_mul_i32 s5, s33, s5
	s_mul_hi_u32 s16, s33, s4
	s_add_i32 s16, s16, s5
	s_mul_i32 s4, s33, s4
	s_sub_u32 s17, s57, s4
	s_cselect_b64 s[4:5], -1, 0
	s_cmp_lg_u64 s[4:5], 0
	s_subb_u32 s16, s61, s16
	s_sub_u32 s52, s17, s33
	s_cselect_b64 s[4:5], -1, 0
	s_cmp_lg_u64 s[4:5], 0
	s_subb_u32 s56, s16, 0
	;; [unrolled: 4-line block ×3, first 2 shown]
	s_cmp_ge_u32 s52, s33
	s_cselect_b32 s5, -1, 0
	s_cmp_eq_u32 s56, 0
	s_cselect_b32 s5, s5, -1
	s_cmp_lg_u32 s5, 0
	s_cselect_b32 s4, s4, s56
	s_cselect_b32 s52, s57, s52
	s_cmp_ge_u32 s17, s33
	s_cselect_b32 s5, -1, 0
	s_cmp_eq_u32 s16, 0
	s_cselect_b32 s5, s5, -1
	s_cmp_lg_u32 s5, 0
	v_readlane_b32 s59, v57, 51
	s_mul_i32 s58, s26, s33
	s_cselect_b32 s5, s4, s16
	s_cselect_b32 s4, s52, s17
	s_mov_b64 s[16:17], 0
	s_branch .LBB129_458
.LBB129_457:                            ;   in Loop: Header=BB129_31 Depth=1
	s_mov_b64 s[16:17], -1
                                        ; implicit-def: $sgpr4_sgpr5
.LBB129_458:                            ;   in Loop: Header=BB129_31 Depth=1
	s_andn2_b64 vcc, exec, s[16:17]
	s_cbranch_vccnz .LBB129_460
; %bb.459:                              ;   in Loop: Header=BB129_31 Depth=1
	v_cvt_f32_u32_e32 v6, s33
	s_sub_i32 s4, 0, s33
	v_readlane_b32 s16, v57, 23
	v_rcp_iflag_f32_e32 v6, v6
	v_mul_f32_e32 v6, 0x4f7ffffe, v6
	v_cvt_u32_f32_e32 v6, v6
	v_readfirstlane_b32 s5, v6
	s_mul_i32 s4, s4, s5
	s_mul_hi_u32 s4, s5, s4
	s_add_i32 s5, s5, s4
	s_mul_hi_u32 s4, s16, s5
	s_mul_i32 s4, s4, s33
	s_sub_i32 s4, s16, s4
	s_sub_i32 s5, s4, s33
	s_cmp_ge_u32 s4, s33
	s_cselect_b32 s4, s5, s4
	s_sub_i32 s5, s4, s33
	s_cmp_ge_u32 s4, s33
	s_cselect_b32 s52, s5, s4
	s_mov_b64 s[4:5], s[52:53]
.LBB129_460:                            ;   in Loop: Header=BB129_31 Depth=1
	v_readlane_b32 s16, v57, 23
	v_readlane_b32 s56, v57, 25
	s_sub_u32 s16, s16, s4
	v_readlane_b32 s57, v57, 26
	s_subb_u32 s17, s57, s5
	v_cmp_gt_u64_e32 vcc, s[16:17], v[0:1]
                                        ; implicit-def: $vgpr45
	s_and_saveexec_b64 s[4:5], vcc
	s_mov_b32 s52, 0xc0c0004
	s_cbranch_execz .LBB129_469
; %bb.461:                              ;   in Loop: Header=BB129_31 Depth=1
	v_mov_b32_e32 v6, v21
	v_mov_b32_e32 v9, v1
	s_mov_b64 s[60:61], 0
	v_mov_b32_e32 v7, v22
	v_mov_b32_e32 v8, v0
                                        ; implicit-def: $sgpr68_sgpr69
	s_branch .LBB129_464
.LBB129_462:                            ;   in Loop: Header=BB129_464 Depth=2
	s_or_b64 exec, exec, s[56:57]
	s_waitcnt lgkmcnt(0)
	s_barrier
	ds_read_u16 v10, v3 offset:3072
	s_mov_b64 s[56:57], -1
	s_waitcnt lgkmcnt(0)
	s_barrier
	v_cmp_eq_u32_sdwa s[58:59], v10, v3 src0_sel:BYTE_0 src1_sel:DWORD
	s_and_b64 vcc, exec, s[58:59]
	s_mov_b64 s[58:59], -1
	s_cbranch_vccnz .LBB129_467
.LBB129_463:                            ;   in Loop: Header=BB129_464 Depth=2
	s_and_b64 s[56:57], exec, s[56:57]
	s_or_b64 s[60:61], s[56:57], s[60:61]
	s_andn2_b64 s[56:57], s[68:69], exec
	s_and_b64 s[58:59], s[58:59], exec
	s_or_b64 s[68:69], s[56:57], s[58:59]
	s_andn2_b64 exec, exec, s[60:61]
	s_cbranch_execz .LBB129_468
.LBB129_464:                            ;   Parent Loop BB129_31 Depth=1
                                        ; =>  This Inner Loop Header: Depth=2
	v_cmp_gt_u64_e32 vcc, s[28:29], v[8:9]
	s_and_saveexec_b64 s[56:57], vcc
	s_cbranch_execz .LBB129_462
; %bb.465:                              ;   in Loop: Header=BB129_464 Depth=2
	global_load_ubyte v10, v[6:7], off
	s_waitcnt vmcnt(0)
	v_and_b32_e32 v11, v10, v44
	v_cmp_eq_u32_sdwa s[58:59], v11, v41 src0_sel:BYTE_0 src1_sel:DWORD
	s_and_b64 exec, exec, s[58:59]
	s_cbranch_execz .LBB129_462
; %bb.466:                              ;   in Loop: Header=BB129_464 Depth=2
	v_lshlrev_b16_e32 v10, 8, v10
	v_or_b32_e32 v10, 1, v10
	ds_write_b16 v3, v10 offset:3072
	s_branch .LBB129_462
.LBB129_467:                            ;   in Loop: Header=BB129_464 Depth=2
	v_add_co_u32_e32 v8, vcc, s33, v8
	v_readlane_b32 s52, v57, 51
	v_addc_co_u32_e32 v9, vcc, 0, v9, vcc
	v_mov_b32_e32 v11, s52
	s_mul_i32 s52, s26, s33
	v_add_co_u32_e32 v6, vcc, s52, v6
	v_addc_co_u32_e32 v7, vcc, v7, v11, vcc
	v_cmp_le_u64_e32 vcc, s[16:17], v[8:9]
	s_mov_b32 s52, 0xc0c0004
	s_mov_b64 s[58:59], 0
	s_orn2_b64 s[56:57], vcc, exec
	s_branch .LBB129_463
.LBB129_468:                            ;   in Loop: Header=BB129_31 Depth=1
	s_or_b64 exec, exec, s[60:61]
	s_andn2_b64 s[16:17], s[46:47], exec
	s_and_b64 s[46:47], s[68:69], exec
	v_lshrrev_b32_sdwa v45, v43, v10 dst_sel:DWORD dst_unused:UNUSED_PAD src0_sel:DWORD src1_sel:WORD_0
	s_or_b64 s[46:47], s[16:17], s[46:47]
	v_readlane_b32 s59, v57, 51
	s_mul_i32 s58, s26, s33
.LBB129_469:                            ;   in Loop: Header=BB129_31 Depth=1
	s_or_b64 exec, exec, s[4:5]
	s_mov_b64 s[60:61], 0
	s_mov_b64 s[70:71], -1
.LBB129_470:                            ;   in Loop: Header=BB129_31 Depth=1
	s_orn2_b64 s[4:5], s[46:47], exec
	v_readlane_b32 s46, v57, 60
	v_readlane_b32 s47, v57, 61
.LBB129_471:                            ;   in Loop: Header=BB129_31 Depth=1
	s_or_b64 exec, exec, s[46:47]
	s_mov_b64 s[46:47], 0
	s_and_saveexec_b64 s[16:17], s[4:5]
	s_cbranch_execz .LBB129_482
; %bb.472:                              ;   in Loop: Header=BB129_31 Depth=1
	v_readlane_b32 s4, v57, 58
	v_readlane_b32 s5, v57, 59
	v_mov_b32_e32 v6, 1
	s_xor_b64 s[46:47], s[4:5], -1
	v_mov_b32_e32 v7, 0
	v_mov_b32_e32 v2, 1
	s_and_saveexec_b64 s[4:5], s[46:47]
	s_cbranch_execz .LBB129_481
; %bb.473:                              ;   in Loop: Header=BB129_31 Depth=1
	v_cmp_ge_u64_e32 vcc, s[22:23], v[4:5]
	s_and_saveexec_b64 s[46:47], vcc
	s_xor_b64 s[46:47], exec, s[46:47]
	s_cbranch_execz .LBB129_478
; %bb.474:                              ;   in Loop: Header=BB129_31 Depth=1
	ds_read_b64 v[6:7], v3 offset:5120
	v_and_b32_e32 v41, s1, v41
	v_or_b32_e32 v44, s0, v44
	s_waitcnt lgkmcnt(0)
	v_cmp_ne_u64_e32 vcc, 0, v[6:7]
	s_cbranch_vccnz .LBB129_478
; %bb.475:                              ;   in Loop: Header=BB129_31 Depth=1
	s_mov_b64 s[56:57], exec
	v_readlane_b32 s0, v57, 8
	v_readlane_b32 s1, v57, 9
	s_and_b64 s[0:1], s[56:57], s[0:1]
	s_mov_b64 exec, s[0:1]
; %bb.476:                              ;   in Loop: Header=BB129_31 Depth=1
	v_mov_b32_e32 v6, s22
	v_mov_b32_e32 v7, s23
	ds_write_b64 v3, v[6:7] offset:5128
; %bb.477:                              ;   in Loop: Header=BB129_31 Depth=1
	s_or_b64 exec, exec, s[56:57]
	s_waitcnt lgkmcnt(0)
	s_barrier
.LBB129_478:                            ;   in Loop: Header=BB129_31 Depth=1
	s_andn2_saveexec_b64 s[46:47], s[46:47]
; %bb.479:                              ;   in Loop: Header=BB129_31 Depth=1
	v_mov_b32_e32 v2, s23
	v_subrev_co_u32_e32 v4, vcc, s22, v4
	v_subb_co_u32_e32 v5, vcc, v5, v2, vcc
; %bb.480:                              ;   in Loop: Header=BB129_31 Depth=1
	s_or_b64 exec, exec, s[46:47]
	v_mov_b32_e32 v7, v5
	v_mov_b32_e32 v2, 5
	;; [unrolled: 1-line block ×3, first 2 shown]
.LBB129_481:                            ;   in Loop: Header=BB129_31 Depth=1
	s_or_b64 exec, exec, s[4:5]
	v_mov_b32_e32 v4, v6
	s_mov_b64 s[46:47], exec
	v_mov_b32_e32 v5, v7
.LBB129_482:                            ;   in Loop: Header=BB129_31 Depth=1
	s_or_b64 exec, exec, s[16:17]
	s_orn2_b64 s[4:5], s[46:47], exec
.LBB129_483:                            ;   in Loop: Header=BB129_31 Depth=1
	s_or_b64 exec, exec, s[10:11]
	s_andn2_b64 s[0:1], s[66:67], exec
	s_and_b64 s[10:11], s[70:71], exec
	s_or_b64 s[66:67], s[0:1], s[10:11]
	s_andn2_b64 s[0:1], s[48:49], exec
	s_and_b64 s[10:11], s[60:61], exec
	v_mov_b32_e32 v7, v5
	s_or_b64 s[48:49], s[0:1], s[10:11]
	s_and_b64 s[16:17], s[4:5], exec
	v_mov_b32_e32 v6, v4
.LBB129_484:                            ;   in Loop: Header=BB129_31 Depth=1
	s_or_b64 exec, exec, s[8:9]
	s_orn2_b64 s[4:5], s[16:17], exec
.LBB129_485:                            ;   in Loop: Header=BB129_31 Depth=1
	s_or_b64 exec, exec, s[18:19]
	s_andn2_b64 s[0:1], s[50:51], exec
	s_and_b64 s[8:9], s[66:67], exec
	s_or_b64 s[50:51], s[0:1], s[8:9]
	s_andn2_b64 s[0:1], s[38:39], exec
	s_and_b64 s[8:9], s[48:49], exec
	v_mov_b32_e32 v4, v6
	s_or_b64 s[38:39], s[0:1], s[8:9]
	s_and_b64 s[10:11], s[4:5], exec
	v_mov_b32_e32 v5, v7
.LBB129_486:                            ;   in Loop: Header=BB129_31 Depth=1
	s_or_b64 exec, exec, s[6:7]
	s_orn2_b64 s[4:5], s[10:11], exec
.LBB129_487:                            ;   in Loop: Header=BB129_31 Depth=1
	s_or_b64 exec, exec, s[14:15]
	s_mov_b64 s[6:7], s[40:41]
	s_mov_b64 s[8:9], s[20:21]
	s_and_saveexec_b64 s[10:11], s[4:5]
; %bb.488:                              ;   in Loop: Header=BB129_31 Depth=1
	v_cmp_ne_u32_e64 s[18:19], 5, v2
	v_cmp_eq_u32_e32 vcc, 5, v2
	s_andn2_b64 s[0:1], s[20:21], exec
	s_and_b64 s[4:5], s[18:19], exec
	s_or_b64 s[8:9], s[0:1], s[4:5]
	s_andn2_b64 s[0:1], s[40:41], exec
	s_and_b64 s[4:5], vcc, exec
	s_or_b64 s[6:7], s[0:1], s[4:5]
; %bb.489:                              ;   in Loop: Header=BB129_31 Depth=1
	s_or_b64 exec, exec, s[10:11]
	s_andn2_b64 s[0:1], s[2:3], exec
	s_and_b64 s[2:3], s[50:51], exec
	s_or_b64 s[2:3], s[0:1], s[2:3]
	s_andn2_b64 s[0:1], s[24:25], exec
	s_and_b64 s[4:5], s[38:39], exec
	s_or_b64 s[24:25], s[0:1], s[4:5]
	;; [unrolled: 3-line block ×4, first 2 shown]
.LBB129_490:                            ;   in Loop: Header=BB129_31 Depth=1
	s_or_b64 exec, exec, s[12:13]
	s_mov_b64 s[14:15], 0
	s_mov_b64 s[12:13], 0
	s_and_saveexec_b64 s[4:5], s[40:41]
.LBB129_491:                            ;   in Loop: Header=BB129_31 Depth=1
	v_mov_b32_e32 v2, 0
	s_or_b64 s[20:21], s[20:21], exec
.LBB129_492:                            ;   in Loop: Header=BB129_31 Depth=1
	s_or_b64 exec, exec, s[4:5]
	s_andn2_b64 s[0:1], s[92:93], exec
	s_and_b64 s[2:3], s[2:3], exec
	s_or_b64 s[92:93], s[0:1], s[2:3]
	s_andn2_b64 s[0:1], s[90:91], exec
	s_and_b64 s[2:3], s[24:25], exec
	s_or_b64 s[90:91], s[0:1], s[2:3]
	;; [unrolled: 3-line block ×3, first 2 shown]
	s_andn2_b64 s[0:1], s[86:87], exec
	s_and_b64 s[2:3], s[14:15], exec
	v_mov_b32_e32 v27, v5
	s_mov_b64 s[4:5], -1
	s_andn2_b64 s[94:95], s[94:95], exec
	s_or_b64 s[86:87], s[0:1], s[2:3]
	v_mov_b32_e32 v26, v4
	s_and_saveexec_b64 s[0:1], s[20:21]
	s_xor_b64 s[2:3], exec, s[0:1]
	v_readlane_b32 s15, v57, 52
	v_readlane_b32 s20, v57, 53
	;; [unrolled: 1-line block ×6, first 2 shown]
	s_cbranch_execz .LBB129_30
; %bb.493:                              ;   in Loop: Header=BB129_31 Depth=1
	v_cmp_eq_u32_e32 vcc, 0, v2
	s_mov_b64 s[6:7], -1
	s_and_saveexec_b64 s[8:9], vcc
	s_cbranch_execz .LBB129_29
; %bb.494:                              ;   in Loop: Header=BB129_31 Depth=1
	v_readlane_b32 s0, v57, 50
	s_xor_b32 s0, s0, 1
	s_add_i32 s10, s63, -2
	s_cmp_eq_u32 s63, 0
	v_writelane_b32 v57, s0, 50
	s_cselect_b64 s[0:1], -1, 0
	s_xor_b64 s[6:7], exec, -1
	s_orn2_b64 s[4:5], s[0:1], exec
	s_mov_b32 s63, s10
	s_branch .LBB129_29
.LBB129_495:
	s_or_b64 exec, exec, s[74:75]
	s_xor_b64 s[4:5], s[84:85], -1
	s_xor_b64 s[12:13], s[82:83], -1
	;; [unrolled: 1-line block ×5, first 2 shown]
	s_mov_b64 s[8:9], 0
	s_and_saveexec_b64 s[6:7], s[0:1]
	s_xor_b64 s[6:7], exec, s[6:7]
	s_cbranch_execnz .LBB129_500
; %bb.496:
	s_andn2_saveexec_b64 s[0:1], s[6:7]
	s_cbranch_execnz .LBB129_519
.LBB129_497:
	s_or_b64 exec, exec, s[0:1]
	s_and_saveexec_b64 s[0:1], s[8:9]
.LBB129_498:
	; divergent unreachable
.LBB129_499:
	s_endpgm
.LBB129_500:
	s_and_saveexec_b64 s[0:1], s[10:11]
	s_xor_b64 s[10:11], exec, s[0:1]
	s_cbranch_execz .LBB129_517
; %bb.501:
	s_and_saveexec_b64 s[0:1], s[12:13]
	s_xor_b64 s[12:13], exec, s[0:1]
	s_cbranch_execz .LBB129_515
; %bb.502:
	;; [unrolled: 4-line block ×3, first 2 shown]
	s_and_saveexec_b64 s[0:1], s[2:3]
	s_xor_b64 s[2:3], exec, s[0:1]
; %bb.504:
	v_mov_b32_e32 v45, v41
; %bb.505:
	s_or_b64 exec, exec, s[2:3]
	s_mov_b64 s[2:3], exec
	v_readlane_b32 s0, v57, 8
	v_readlane_b32 s1, v57, 9
	;; [unrolled: 1-line block ×5, first 2 shown]
	s_and_b64 s[0:1], s[2:3], s[0:1]
	v_readlane_b32 s5, v57, 11
	v_readlane_b32 s49, v57, 40
	;; [unrolled: 1-line block ×3, first 2 shown]
	s_mov_b64 exec, s[0:1]
; %bb.506:
	v_mov_b32_e32 v2, 0
	v_mov_b32_e32 v3, v2
	ds_write_b64 v2, v[2:3] offset:5136
; %bb.507:
	s_or_b64 exec, exec, s[2:3]
	v_mov_b32_e32 v16, 0
	s_waitcnt lgkmcnt(0)
	s_barrier
	s_mov_b64 s[2:3], exec
	v_readlane_b32 s0, v57, 44
	v_readlane_b32 s1, v57, 45
	s_and_b64 s[0:1], s[2:3], s[0:1]
	s_mov_b64 exec, s[0:1]
	s_cbranch_execz .LBB129_509
; %bb.508:
	global_load_ubyte v16, v[12:13], off
.LBB129_509:
	s_or_b64 exec, exec, s[2:3]
	s_add_u32 s0, s28, 63
	v_readlane_b32 s8, v57, 0
	s_addc_u32 s17, s29, 0
	s_and_b32 s16, s0, 0xffffffc0
	v_readlane_b32 s9, v57, 1
	s_mul_i32 s0, s8, s37
	s_mul_hi_u32 s1, s8, s36
	s_add_i32 s0, s1, s0
	s_mul_i32 s1, s9, s36
	s_mul_i32 s3, s8, s36
	v_readlane_b32 s8, v57, 2
	s_add_i32 s2, s0, s1
	v_readlane_b32 s9, v57, 3
	s_mul_i32 s0, s8, s45
	s_mul_hi_u32 s1, s8, s44
	s_add_i32 s0, s1, s0
	s_mul_i32 s1, s9, s44
	s_add_i32 s1, s0, s1
	s_mul_i32 s0, s8, s44
	v_readlane_b32 s8, v57, 4
	v_readlane_b32 s9, v57, 5
	s_add_u32 s3, s8, s3
	s_addc_u32 s2, s9, s2
	s_add_u32 s18, s3, s34
	s_addc_u32 s19, s2, s35
	s_lshl_b64 s[0:1], s[0:1], 3
	v_readlane_b32 s2, v57, 6
	s_load_dwordx2 s[20:21], s[4:5], 0x368
	s_load_dwordx2 s[22:23], s[4:5], 0x510
	v_readlane_b32 s3, v57, 7
	s_add_u32 s2, s2, s0
	s_addc_u32 s3, s3, s1
	s_lshl_b64 s[0:1], s[42:43], 3
	s_add_u32 s0, s2, s0
	v_cmp_gt_u64_e32 vcc, s[16:17], v[0:1]
	s_addc_u32 s1, s3, s1
	s_mov_b64 s[34:35], -1
	s_mov_b64 s[2:3], 0
	s_mov_b64 s[4:5], 0
	s_and_saveexec_b64 s[24:25], vcc
	s_cbranch_execnz .LBB129_520
; %bb.510:
	s_or_b64 exec, exec, s[24:25]
	s_and_saveexec_b64 s[8:9], s[34:35]
	s_cbranch_execnz .LBB129_535
.LBB129_511:
	s_or_b64 exec, exec, s[8:9]
	s_and_saveexec_b64 s[0:1], s[4:5]
	s_xor_b64 s[0:1], exec, s[0:1]
	s_cbranch_execnz .LBB129_558
.LBB129_512:
	s_or_b64 exec, exec, s[0:1]
	s_and_b64 s[8:9], s[2:3], exec
.LBB129_513:
	s_andn2_saveexec_b64 s[0:1], s[14:15]
	s_cbranch_execnz .LBB129_560
.LBB129_514:
	s_or_b64 exec, exec, s[0:1]
	s_and_b64 s[8:9], s[8:9], exec
.LBB129_515:
	s_andn2_saveexec_b64 s[0:1], s[12:13]
	s_cbranch_execnz .LBB129_559
.LBB129_516:
	s_or_b64 exec, exec, s[0:1]
	s_and_b64 s[8:9], s[8:9], exec
.LBB129_517:
	s_andn2_saveexec_b64 s[0:1], s[10:11]
	s_cbranch_execnz .LBB129_554
.LBB129_518:
	s_or_b64 exec, exec, s[0:1]
	s_and_b64 s[8:9], s[8:9], exec
	s_andn2_saveexec_b64 s[0:1], s[6:7]
	s_cbranch_execz .LBB129_497
.LBB129_519:
	s_or_b64 s[8:9], s[8:9], exec
	s_trap 2
	s_or_b64 exec, exec, s[0:1]
	s_and_saveexec_b64 s[0:1], s[8:9]
	s_cbranch_execnz .LBB129_498
	s_branch .LBB129_499
.LBB129_520:
	v_add_co_u32_e64 v4, s[4:5], s33, v0
	v_addc_co_u32_e64 v5, s[4:5], 0, 0, s[4:5]
	v_readlane_b32 s4, v57, 38
	s_add_u32 s4, s48, s4
	v_readlane_b32 s5, v57, 41
	s_addc_u32 s5, s49, s5
	v_mov_b32_e32 v2, s4
	v_mov_b32_e32 v3, s5
	v_mad_u64_u32 v[2:3], s[4:5], s26, v4, v[2:3]
	v_mul_lo_u32 v5, s26, v5
	v_mul_lo_u32 v4, s27, v4
	v_mov_b32_e32 v11, v1
	s_mov_b64 s[34:35], 0
	v_mov_b32_e32 v10, v0
	v_add3_u32 v3, v4, v3, v5
	v_mov_b32_e32 v5, 0
                                        ; implicit-def: $sgpr36_sgpr37
                                        ; implicit-def: $vgpr8_vgpr9
	s_branch .LBB129_522
.LBB129_521:                            ;   in Loop: Header=BB129_522 Depth=1
	s_or_b64 exec, exec, s[38:39]
	s_xor_b64 s[4:5], s[40:41], -1
	s_and_b64 s[8:9], exec, s[8:9]
	s_or_b64 s[34:35], s[8:9], s[34:35]
	s_andn2_b64 s[8:9], s[36:37], exec
	s_and_b64 s[4:5], s[4:5], exec
	v_mov_b32_e32 v11, v7
	s_or_b64 s[36:37], s[8:9], s[4:5]
	v_mov_b32_e32 v16, v17
	v_mov_b32_e32 v10, v6
	s_andn2_b64 exec, exec, s[34:35]
	s_cbranch_execz .LBB129_534
.LBB129_522:                            ; =>This Inner Loop Header: Depth=1
	v_add_co_u32_e64 v6, s[4:5], s33, v10
	v_addc_co_u32_e64 v7, s[4:5], 0, v11, s[4:5]
	v_cmp_gt_u64_e64 s[4:5], s[28:29], v[6:7]
	v_mov_b32_e32 v17, 0
	s_and_saveexec_b64 s[8:9], s[4:5]
	s_cbranch_execz .LBB129_524
; %bb.523:                              ;   in Loop: Header=BB129_522 Depth=1
	global_load_ubyte v17, v[2:3], off
.LBB129_524:                            ;   in Loop: Header=BB129_522 Depth=1
	s_or_b64 exec, exec, s[8:9]
	s_waitcnt vmcnt(0)
	v_cmp_gt_u16_sdwa s[8:9], v16, v45 src0_sel:BYTE_0 src1_sel:BYTE_0
	v_cndmask_b32_e64 v4, 0, 1, s[8:9]
	v_cmp_lt_u16_sdwa s[8:9], v16, v45 src0_sel:BYTE_0 src1_sel:BYTE_0
	v_cndmask_b32_e64 v14, 0, 1, s[8:9]
	v_cndmask_b32_e64 v4, v14, v4, s[50:51]
	v_cmp_gt_u64_e64 s[4:5], s[28:29], v[10:11]
	v_and_b32_e32 v4, 1, v4
	v_cmp_eq_u32_e64 s[8:9], 1, v4
	s_and_b64 s[38:39], s[4:5], s[8:9]
	v_cndmask_b32_e64 v4, 0, 1, s[38:39]
	v_cmp_ne_u32_e64 s[4:5], 0, v4
	s_cmp_lg_u64 s[4:5], 0
	s_cselect_b64 s[8:9], -1, 0
	s_and_b64 s[8:9], s[64:65], s[8:9]
	s_and_saveexec_b64 s[40:41], s[8:9]
	s_cbranch_execz .LBB129_528
; %bb.525:                              ;   in Loop: Header=BB129_522 Depth=1
	s_mov_b64 s[44:45], exec
	v_mbcnt_lo_u32_b32 v4, s44, 0
	v_mbcnt_hi_u32_b32 v14, s45, v4
	s_bcnt1_i32_b64 s46, s[4:5]
	v_cmp_eq_u32_e64 s[8:9], 0, v14
                                        ; implicit-def: $vgpr8_vgpr9
	s_and_saveexec_b64 s[42:43], s[8:9]
	s_cbranch_execz .LBB129_527
; %bb.526:                              ;   in Loop: Header=BB129_522 Depth=1
	s_bcnt1_i32_b64 s8, s[44:45]
	s_mul_i32 s8, s46, s8
	v_mov_b32_e32 v4, s8
	s_waitcnt lgkmcnt(0)
	ds_add_rtn_u64 v[8:9], v5, v[4:5] offset:5136
.LBB129_527:                            ;   in Loop: Header=BB129_522 Depth=1
	s_or_b64 exec, exec, s[42:43]
	s_waitcnt lgkmcnt(0)
	v_readfirstlane_b32 s8, v9
	v_readfirstlane_b32 s9, v8
	v_mov_b32_e32 v8, s9
	v_mov_b32_e32 v9, s8
	v_mad_u64_u32 v[8:9], s[8:9], s46, v14, v[8:9]
.LBB129_528:                            ;   in Loop: Header=BB129_522 Depth=1
	s_or_b64 exec, exec, s[40:41]
	s_waitcnt lgkmcnt(0)
	ds_bpermute_b32 v8, v34, v8
	ds_bpermute_b32 v9, v34, v9
	s_mov_b64 s[8:9], -1
	s_mov_b64 s[42:43], -1
	s_and_saveexec_b64 s[40:41], s[38:39]
	s_cbranch_execz .LBB129_532
; %bb.529:                              ;   in Loop: Header=BB129_522 Depth=1
	v_and_b32_e32 v14, s4, v33
	v_and_b32_e32 v4, s5, v32
	v_bcnt_u32_b32 v14, v14, 0
	v_bcnt_u32_b32 v4, v4, v14
	s_waitcnt lgkmcnt(0)
	v_add_co_u32_e64 v14, s[4:5], v8, v4
	v_addc_co_u32_e64 v15, s[4:5], 0, v9, s[4:5]
	v_cmp_gt_u64_e64 s[4:5], s[30:31], v[14:15]
	s_mov_b64 s[38:39], 0
	s_and_saveexec_b64 s[42:43], s[4:5]
; %bb.530:                              ;   in Loop: Header=BB129_522 Depth=1
	v_mov_b32_e32 v21, s19
	v_mul_lo_u32 v4, v15, s22
	v_mul_lo_u32 v22, v14, s23
	v_mad_u64_u32 v[18:19], s[4:5], v14, s22, 0
	v_mov_b32_e32 v20, s18
	v_mad_u64_u32 v[20:21], s[4:5], v14, s20, v[20:21]
	v_mul_lo_u32 v14, v14, s21
	v_mul_lo_u32 v15, v15, s20
	v_add3_u32 v19, v19, v22, v4
	v_mov_b32_e32 v4, s1
	s_mov_b64 s[38:39], exec
	v_add3_u32 v21, v15, v21, v14
	v_lshlrev_b64 v[14:15], 3, v[18:19]
	global_store_byte v[20:21], v16, off
	v_add_co_u32_e64 v14, s[4:5], s0, v14
	v_addc_co_u32_e64 v15, s[4:5], v4, v15, s[4:5]
	global_store_dwordx2 v[14:15], v[10:11], off
; %bb.531:                              ;   in Loop: Header=BB129_522 Depth=1
	s_or_b64 exec, exec, s[42:43]
	s_orn2_b64 s[42:43], s[38:39], exec
.LBB129_532:                            ;   in Loop: Header=BB129_522 Depth=1
	s_or_b64 exec, exec, s[40:41]
	s_mov_b64 s[40:41], -1
	s_and_saveexec_b64 s[38:39], s[42:43]
	s_cbranch_execz .LBB129_521
; %bb.533:                              ;   in Loop: Header=BB129_522 Depth=1
	v_mov_b32_e32 v4, s59
	v_add_co_u32_e64 v2, s[4:5], s58, v2
	v_addc_co_u32_e64 v3, s[4:5], v3, v4, s[4:5]
	v_cmp_le_u64_e64 s[4:5], s[16:17], v[6:7]
	s_xor_b64 s[40:41], exec, -1
	s_orn2_b64 s[8:9], s[4:5], exec
	s_branch .LBB129_521
.LBB129_534:
	s_or_b64 exec, exec, s[34:35]
	s_mov_b64 s[4:5], exec
	s_orn2_b64 s[34:35], s[36:37], exec
	s_or_b64 exec, exec, s[24:25]
	s_and_saveexec_b64 s[8:9], s[34:35]
	s_cbranch_execz .LBB129_511
.LBB129_535:
	v_mov_b32_e32 v4, 0
	s_waitcnt vmcnt(0) lgkmcnt(0)
	s_barrier
	s_mov_b64 s[2:3], exec
	v_readlane_b32 s24, v57, 44
	v_readlane_b32 s25, v57, 45
	s_and_b64 s[24:25], s[2:3], s[24:25]
	s_mov_b64 exec, s[24:25]
	s_cbranch_execz .LBB129_537
; %bb.536:
	global_load_ubyte v4, v[12:13], off
.LBB129_537:
	s_or_b64 exec, exec, s[2:3]
	s_mov_b64 s[2:3], 0
	s_and_saveexec_b64 s[24:25], vcc
	s_cbranch_execz .LBB129_557
; %bb.538:
	v_add_co_u32_e32 v5, vcc, s33, v0
	v_addc_co_u32_e64 v6, s[2:3], 0, 0, vcc
	v_readlane_b32 s2, v57, 38
	s_add_u32 s2, s48, s2
	v_readlane_b32 s3, v57, 41
	s_addc_u32 s3, s49, s3
	v_mov_b32_e32 v2, s2
	v_mov_b32_e32 v3, s3
	v_mad_u64_u32 v[2:3], s[2:3], s26, v5, v[2:3]
	v_mul_lo_u32 v6, s26, v6
	v_mul_lo_u32 v5, s27, v5
	s_mov_b64 s[26:27], 0
                                        ; implicit-def: $sgpr34_sgpr35
                                        ; implicit-def: $vgpr8_vgpr9
	v_add3_u32 v3, v5, v3, v6
	v_mov_b32_e32 v5, 0
	s_branch .LBB129_541
.LBB129_539:                            ;   in Loop: Header=BB129_541 Depth=1
	s_or_b64 exec, exec, s[38:39]
	s_orn2_b64 s[40:41], s[40:41], exec
	s_orn2_b64 s[38:39], s[36:37], exec
.LBB129_540:                            ;   in Loop: Header=BB129_541 Depth=1
	s_or_b64 exec, exec, s[2:3]
	s_xor_b64 s[2:3], s[40:41], -1
	s_and_b64 s[36:37], exec, s[38:39]
	s_or_b64 s[26:27], s[36:37], s[26:27]
	s_andn2_b64 s[34:35], s[34:35], exec
	s_and_b64 s[2:3], s[2:3], exec
	v_mov_b32_e32 v0, v6
	s_or_b64 s[34:35], s[34:35], s[2:3]
	v_mov_b32_e32 v1, v7
	v_mov_b32_e32 v4, v12
	s_andn2_b64 exec, exec, s[26:27]
	s_cbranch_execz .LBB129_555
.LBB129_541:                            ; =>This Inner Loop Header: Depth=1
	v_add_co_u32_e32 v6, vcc, s33, v0
	v_addc_co_u32_e32 v7, vcc, 0, v1, vcc
	v_cmp_gt_u64_e32 vcc, s[28:29], v[6:7]
	v_mov_b32_e32 v12, 0
	s_and_saveexec_b64 s[2:3], vcc
	s_cbranch_execz .LBB129_543
; %bb.542:                              ;   in Loop: Header=BB129_541 Depth=1
	global_load_ubyte v12, v[2:3], off
.LBB129_543:                            ;   in Loop: Header=BB129_541 Depth=1
	s_or_b64 exec, exec, s[2:3]
	v_cmp_gt_u64_e32 vcc, s[28:29], v[0:1]
	s_waitcnt vmcnt(0)
	v_cmp_eq_u16_sdwa s[2:3], v4, v45 src0_sel:BYTE_0 src1_sel:BYTE_0
	s_and_b64 s[36:37], vcc, s[2:3]
	v_cndmask_b32_e64 v4, 0, 1, s[36:37]
	v_cmp_ne_u32_e32 vcc, 0, v4
	s_cmp_lg_u64 vcc, 0
	s_cselect_b64 s[2:3], -1, 0
	s_and_b64 s[2:3], s[64:65], s[2:3]
	s_and_saveexec_b64 s[38:39], s[2:3]
	s_cbranch_execz .LBB129_547
; %bb.544:                              ;   in Loop: Header=BB129_541 Depth=1
	s_mov_b64 s[42:43], exec
	v_mbcnt_lo_u32_b32 v4, s42, 0
	v_mbcnt_hi_u32_b32 v10, s43, v4
	s_bcnt1_i32_b64 s44, vcc
	v_cmp_eq_u32_e64 s[2:3], 0, v10
                                        ; implicit-def: $vgpr8_vgpr9
	s_and_saveexec_b64 s[40:41], s[2:3]
; %bb.545:                              ;   in Loop: Header=BB129_541 Depth=1
	s_bcnt1_i32_b64 s2, s[42:43]
	s_mul_i32 s2, s44, s2
	v_mov_b32_e32 v4, s2
	ds_add_rtn_u64 v[8:9], v5, v[4:5] offset:5136
; %bb.546:                              ;   in Loop: Header=BB129_541 Depth=1
	s_or_b64 exec, exec, s[40:41]
	s_waitcnt lgkmcnt(0)
	v_readfirstlane_b32 s2, v9
	v_readfirstlane_b32 s3, v8
	v_mov_b32_e32 v8, s3
	v_mov_b32_e32 v9, s2
	v_mad_u64_u32 v[8:9], s[2:3], s44, v10, v[8:9]
.LBB129_547:                            ;   in Loop: Header=BB129_541 Depth=1
	s_or_b64 exec, exec, s[38:39]
	ds_bpermute_b32 v8, v34, v8
	ds_bpermute_b32 v9, v34, v9
	s_cmp_eq_u64 vcc, 0
	s_cselect_b64 s[40:41], -1, 0
	s_mov_b64 s[38:39], -1
	s_waitcnt lgkmcnt(0)
	v_cmp_gt_u64_e64 s[2:3], s[30:31], v[8:9]
	s_or_b64 s[42:43], s[40:41], s[2:3]
	s_mov_b64 s[40:41], -1
	s_and_saveexec_b64 s[2:3], s[42:43]
	s_cbranch_execz .LBB129_540
; %bb.548:                              ;   in Loop: Header=BB129_541 Depth=1
	v_and_b32_e32 v10, vcc_lo, v33
	v_and_b32_e32 v4, vcc_hi, v32
	v_bcnt_u32_b32 v10, v10, 0
	v_bcnt_u32_b32 v4, v4, v10
	v_mov_b32_e32 v11, s31
	v_sub_co_u32_e32 v10, vcc, s30, v8
	v_subb_co_u32_e32 v11, vcc, v11, v9, vcc
	v_cmp_gt_u64_e32 vcc, v[10:11], v[4:5]
	s_mov_b64 s[42:43], -1
	s_and_b64 s[44:45], s[36:37], vcc
	s_mov_b64 s[36:37], -1
	s_and_saveexec_b64 s[38:39], s[44:45]
	s_cbranch_execz .LBB129_552
; %bb.549:                              ;   in Loop: Header=BB129_541 Depth=1
	v_add_co_u32_e32 v10, vcc, v8, v4
	v_addc_co_u32_e32 v11, vcc, 0, v9, vcc
	v_cmp_gt_u64_e32 vcc, s[30:31], v[10:11]
	s_mov_b64 s[42:43], 0
	s_and_saveexec_b64 s[40:41], vcc
; %bb.550:                              ;   in Loop: Header=BB129_541 Depth=1
	v_mov_b32_e32 v15, s18
	v_mul_lo_u32 v4, v11, s22
	v_mul_lo_u32 v17, v10, s23
	v_mad_u64_u32 v[13:14], s[44:45], v10, s22, 0
	v_mov_b32_e32 v16, s19
	v_mad_u64_u32 v[15:16], s[44:45], v10, s20, v[15:16]
	v_mul_lo_u32 v10, v10, s21
	v_mul_lo_u32 v11, v11, s20
	v_add3_u32 v14, v14, v17, v4
	v_mov_b32_e32 v4, s1
	s_mov_b64 s[42:43], exec
	v_add3_u32 v16, v11, v16, v10
	v_lshlrev_b64 v[10:11], 3, v[13:14]
	global_store_byte v[15:16], v45, off
	v_add_co_u32_e32 v10, vcc, s0, v10
	v_addc_co_u32_e32 v11, vcc, v4, v11, vcc
	global_store_dwordx2 v[10:11], v[0:1], off
; %bb.551:                              ;   in Loop: Header=BB129_541 Depth=1
	s_or_b64 exec, exec, s[40:41]
	s_xor_b64 s[40:41], exec, -1
	s_orn2_b64 s[42:43], s[42:43], exec
.LBB129_552:                            ;   in Loop: Header=BB129_541 Depth=1
	s_or_b64 exec, exec, s[38:39]
	s_and_saveexec_b64 s[38:39], s[42:43]
	s_cbranch_execz .LBB129_539
; %bb.553:                              ;   in Loop: Header=BB129_541 Depth=1
	v_mov_b32_e32 v0, s59
	v_add_co_u32_e32 v2, vcc, s58, v2
	v_addc_co_u32_e32 v3, vcc, v3, v0, vcc
	v_cmp_le_u64_e32 vcc, s[16:17], v[6:7]
	s_or_b64 s[40:41], s[40:41], exec
	s_orn2_b64 s[36:37], vcc, exec
	s_branch .LBB129_539
.LBB129_554:
	s_or_b64 s[8:9], s[8:9], exec
	s_trap 2
	s_branch .LBB129_518
.LBB129_555:
	s_or_b64 exec, exec, s[26:27]
	s_mov_b64 s[0:1], 0
	s_and_saveexec_b64 s[2:3], s[34:35]
	s_xor_b64 s[2:3], exec, s[2:3]
	s_cbranch_execnz .LBB129_561
.LBB129_556:
	s_or_b64 exec, exec, s[2:3]
	s_and_b64 s[2:3], s[0:1], exec
.LBB129_557:
	s_or_b64 exec, exec, s[24:25]
	s_and_b64 s[2:3], s[2:3], exec
	s_andn2_b64 s[4:5], s[4:5], exec
	s_or_b64 exec, exec, s[8:9]
	s_and_saveexec_b64 s[0:1], s[4:5]
	s_xor_b64 s[0:1], exec, s[0:1]
	s_cbranch_execz .LBB129_512
.LBB129_558:
	s_trap 2
	s_or_b64 s[2:3], s[2:3], exec
	s_branch .LBB129_512
.LBB129_559:
	s_or_b64 s[8:9], s[8:9], exec
	s_trap 2
	s_branch .LBB129_516
.LBB129_560:
	s_trap 2
	s_or_b64 s[8:9], s[8:9], exec
	s_branch .LBB129_514
.LBB129_561:
	s_mov_b64 s[0:1], exec
	s_trap 2
	s_branch .LBB129_556
	.section	.rodata,"a",@progbits
	.p2align	6, 0x0
	.amdhsa_kernel _ZN2at6native6sbtopk10gatherTopKIhmLin1ELb0EEEvNS_4cuda6detail10TensorInfoIKT_T0_EES8_S8_bS8_S8_NS5_IS6_S8_EES8_NS5_IlS8_EES8_PS6_
		.amdhsa_group_segment_fixed_size 5152
		.amdhsa_private_segment_fixed_size 0
		.amdhsa_kernarg_size 1568
		.amdhsa_user_sgpr_count 6
		.amdhsa_user_sgpr_private_segment_buffer 1
		.amdhsa_user_sgpr_dispatch_ptr 0
		.amdhsa_user_sgpr_queue_ptr 0
		.amdhsa_user_sgpr_kernarg_segment_ptr 1
		.amdhsa_user_sgpr_dispatch_id 0
		.amdhsa_user_sgpr_flat_scratch_init 0
		.amdhsa_user_sgpr_private_segment_size 0
		.amdhsa_uses_dynamic_stack 0
		.amdhsa_system_sgpr_private_segment_wavefront_offset 0
		.amdhsa_system_sgpr_workgroup_id_x 1
		.amdhsa_system_sgpr_workgroup_id_y 1
		.amdhsa_system_sgpr_workgroup_id_z 1
		.amdhsa_system_sgpr_workgroup_info 0
		.amdhsa_system_vgpr_workitem_id 0
		.amdhsa_next_free_vgpr 58
		.amdhsa_next_free_sgpr 96
		.amdhsa_reserve_vcc 1
		.amdhsa_reserve_flat_scratch 0
		.amdhsa_float_round_mode_32 0
		.amdhsa_float_round_mode_16_64 0
		.amdhsa_float_denorm_mode_32 3
		.amdhsa_float_denorm_mode_16_64 3
		.amdhsa_dx10_clamp 1
		.amdhsa_ieee_mode 1
		.amdhsa_fp16_overflow 0
		.amdhsa_exception_fp_ieee_invalid_op 0
		.amdhsa_exception_fp_denorm_src 0
		.amdhsa_exception_fp_ieee_div_zero 0
		.amdhsa_exception_fp_ieee_overflow 0
		.amdhsa_exception_fp_ieee_underflow 0
		.amdhsa_exception_fp_ieee_inexact 0
		.amdhsa_exception_int_div_zero 0
	.end_amdhsa_kernel
	.section	.text._ZN2at6native6sbtopk10gatherTopKIhmLin1ELb0EEEvNS_4cuda6detail10TensorInfoIKT_T0_EES8_S8_bS8_S8_NS5_IS6_S8_EES8_NS5_IlS8_EES8_PS6_,"axG",@progbits,_ZN2at6native6sbtopk10gatherTopKIhmLin1ELb0EEEvNS_4cuda6detail10TensorInfoIKT_T0_EES8_S8_bS8_S8_NS5_IS6_S8_EES8_NS5_IlS8_EES8_PS6_,comdat
.Lfunc_end129:
	.size	_ZN2at6native6sbtopk10gatherTopKIhmLin1ELb0EEEvNS_4cuda6detail10TensorInfoIKT_T0_EES8_S8_bS8_S8_NS5_IS6_S8_EES8_NS5_IlS8_EES8_PS6_, .Lfunc_end129-_ZN2at6native6sbtopk10gatherTopKIhmLin1ELb0EEEvNS_4cuda6detail10TensorInfoIKT_T0_EES8_S8_bS8_S8_NS5_IS6_S8_EES8_NS5_IlS8_EES8_PS6_
                                        ; -- End function
	.set _ZN2at6native6sbtopk10gatherTopKIhmLin1ELb0EEEvNS_4cuda6detail10TensorInfoIKT_T0_EES8_S8_bS8_S8_NS5_IS6_S8_EES8_NS5_IlS8_EES8_PS6_.num_vgpr, 58
	.set _ZN2at6native6sbtopk10gatherTopKIhmLin1ELb0EEEvNS_4cuda6detail10TensorInfoIKT_T0_EES8_S8_bS8_S8_NS5_IS6_S8_EES8_NS5_IlS8_EES8_PS6_.num_agpr, 0
	.set _ZN2at6native6sbtopk10gatherTopKIhmLin1ELb0EEEvNS_4cuda6detail10TensorInfoIKT_T0_EES8_S8_bS8_S8_NS5_IS6_S8_EES8_NS5_IlS8_EES8_PS6_.numbered_sgpr, 96
	.set _ZN2at6native6sbtopk10gatherTopKIhmLin1ELb0EEEvNS_4cuda6detail10TensorInfoIKT_T0_EES8_S8_bS8_S8_NS5_IS6_S8_EES8_NS5_IlS8_EES8_PS6_.num_named_barrier, 0
	.set _ZN2at6native6sbtopk10gatherTopKIhmLin1ELb0EEEvNS_4cuda6detail10TensorInfoIKT_T0_EES8_S8_bS8_S8_NS5_IS6_S8_EES8_NS5_IlS8_EES8_PS6_.private_seg_size, 0
	.set _ZN2at6native6sbtopk10gatherTopKIhmLin1ELb0EEEvNS_4cuda6detail10TensorInfoIKT_T0_EES8_S8_bS8_S8_NS5_IS6_S8_EES8_NS5_IlS8_EES8_PS6_.uses_vcc, 1
	.set _ZN2at6native6sbtopk10gatherTopKIhmLin1ELb0EEEvNS_4cuda6detail10TensorInfoIKT_T0_EES8_S8_bS8_S8_NS5_IS6_S8_EES8_NS5_IlS8_EES8_PS6_.uses_flat_scratch, 0
	.set _ZN2at6native6sbtopk10gatherTopKIhmLin1ELb0EEEvNS_4cuda6detail10TensorInfoIKT_T0_EES8_S8_bS8_S8_NS5_IS6_S8_EES8_NS5_IlS8_EES8_PS6_.has_dyn_sized_stack, 0
	.set _ZN2at6native6sbtopk10gatherTopKIhmLin1ELb0EEEvNS_4cuda6detail10TensorInfoIKT_T0_EES8_S8_bS8_S8_NS5_IS6_S8_EES8_NS5_IlS8_EES8_PS6_.has_recursion, 0
	.set _ZN2at6native6sbtopk10gatherTopKIhmLin1ELb0EEEvNS_4cuda6detail10TensorInfoIKT_T0_EES8_S8_bS8_S8_NS5_IS6_S8_EES8_NS5_IlS8_EES8_PS6_.has_indirect_call, 0
	.section	.AMDGPU.csdata,"",@progbits
; Kernel info:
; codeLenInByte = 28996
; TotalNumSgprs: 100
; NumVgprs: 58
; ScratchSize: 0
; MemoryBound: 0
; FloatMode: 240
; IeeeMode: 1
; LDSByteSize: 5152 bytes/workgroup (compile time only)
; SGPRBlocks: 12
; VGPRBlocks: 14
; NumSGPRsForWavesPerEU: 100
; NumVGPRsForWavesPerEU: 58
; Occupancy: 4
; WaveLimiterHint : 1
; COMPUTE_PGM_RSRC2:SCRATCH_EN: 0
; COMPUTE_PGM_RSRC2:USER_SGPR: 6
; COMPUTE_PGM_RSRC2:TRAP_HANDLER: 0
; COMPUTE_PGM_RSRC2:TGID_X_EN: 1
; COMPUTE_PGM_RSRC2:TGID_Y_EN: 1
; COMPUTE_PGM_RSRC2:TGID_Z_EN: 1
; COMPUTE_PGM_RSRC2:TIDIG_COMP_CNT: 0
	.section	.text._ZN2at6native6mbtopk23computeBlockDigitCountsIamjLi1EEEvNS_4cuda6detail10TensorInfoIKT_T0_EEjPjjS8_iijT1_PSB_Ps,"axG",@progbits,_ZN2at6native6mbtopk23computeBlockDigitCountsIamjLi1EEEvNS_4cuda6detail10TensorInfoIKT_T0_EEjPjjS8_iijT1_PSB_Ps,comdat
	.protected	_ZN2at6native6mbtopk23computeBlockDigitCountsIamjLi1EEEvNS_4cuda6detail10TensorInfoIKT_T0_EEjPjjS8_iijT1_PSB_Ps ; -- Begin function _ZN2at6native6mbtopk23computeBlockDigitCountsIamjLi1EEEvNS_4cuda6detail10TensorInfoIKT_T0_EEjPjjS8_iijT1_PSB_Ps
	.globl	_ZN2at6native6mbtopk23computeBlockDigitCountsIamjLi1EEEvNS_4cuda6detail10TensorInfoIKT_T0_EEjPjjS8_iijT1_PSB_Ps
	.p2align	8
	.type	_ZN2at6native6mbtopk23computeBlockDigitCountsIamjLi1EEEvNS_4cuda6detail10TensorInfoIKT_T0_EEjPjjS8_iijT1_PSB_Ps,@function
_ZN2at6native6mbtopk23computeBlockDigitCountsIamjLi1EEEvNS_4cuda6detail10TensorInfoIKT_T0_EEjPjjS8_iijT1_PSB_Ps: ; @_ZN2at6native6mbtopk23computeBlockDigitCountsIamjLi1EEEvNS_4cuda6detail10TensorInfoIKT_T0_EEjPjjS8_iijT1_PSB_Ps
; %bb.0:
	s_load_dwordx4 s[0:3], s[4:5], 0x1c0
	s_load_dword s9, s[4:5], 0x1b0
	s_load_dwordx2 s[10:11], s[4:5], 0x1e0
	s_mov_b32 s13, 0
	s_waitcnt lgkmcnt(0)
	v_cvt_f32_u32_e32 v1, s2
	s_mul_i32 s8, s11, s8
	s_add_i32 s7, s8, s7
	v_rcp_iflag_f32_e32 v1, v1
	s_mul_i32 s14, s7, s10
	s_sub_i32 s11, 0, s2
	s_add_i32 s14, s14, s6
	v_mul_f32_e32 v1, 0x4f7ffffe, v1
	v_cvt_u32_f32_e32 v1, v1
	v_readfirstlane_b32 s6, v1
	s_mul_i32 s11, s11, s6
	s_mul_hi_u32 s7, s6, s11
	s_add_i32 s6, s6, s7
	s_mul_hi_u32 s6, s14, s6
	s_mul_i32 s7, s6, s2
	s_sub_i32 s7, s14, s7
	s_add_i32 s8, s6, 1
	s_sub_i32 s10, s7, s2
	s_cmp_ge_u32 s7, s2
	s_cselect_b32 s6, s8, s6
	s_cselect_b32 s7, s10, s7
	s_add_i32 s8, s6, 1
	s_cmp_ge_u32 s7, s2
	s_cselect_b32 s12, s8, s6
	s_cmp_ge_u32 s12, s9
	s_cbranch_scc1 .LBB130_21
; %bb.1:
	s_load_dwordx4 s[8:11], s[4:5], 0x1d0
	s_lshl_b64 s[6:7], s[12:13], 2
	s_movk_i32 s13, 0x100
	v_cmp_gt_u32_e32 vcc, s13, v0
	v_lshlrev_b32_e32 v1, 2, v0
	s_waitcnt lgkmcnt(0)
	s_add_u32 s8, s8, s6
	s_addc_u32 s9, s9, s7
	s_and_saveexec_b64 s[6:7], vcc
; %bb.2:
	v_mov_b32_e32 v2, 0
	ds_write_b32 v1, v2
; %bb.3:
	s_or_b64 exec, exec, s[6:7]
	s_load_dword s13, s[4:5], 0x1a0
	s_mul_i32 s6, s12, s2
	s_sub_i32 s6, s14, s6
	s_add_i32 s15, s6, 1
	s_mul_i32 s6, s1, s6
	s_lshl_b32 s16, s6, 8
	s_waitcnt lgkmcnt(0)
	s_sub_i32 s6, s13, s16
	s_add_u32 s6, s6, 0xff
	s_addc_u32 s7, 0, 0
	s_lshr_b64 s[6:7], s[6:7], 8
	s_cmp_lt_u32 s15, s2
	s_cselect_b32 s2, s1, s6
	s_cmp_lt_i32 s2, 1
	s_mov_b32 s1, 0
	s_barrier
	s_cbranch_scc1 .LBB130_19
; %bb.4:
	s_load_dwordx2 s[18:19], s[4:5], 0xd0
	s_load_dwordx2 s[6:7], s[4:5], 0x1b8
	;; [unrolled: 1-line block ×3, first 2 shown]
	s_load_dword s15, s[8:9], 0x0
	v_add_u32_e32 v2, s16, v0
	s_waitcnt lgkmcnt(0)
	s_mul_i32 s4, s19, s12
	s_mul_hi_u32 s5, s18, s12
	s_add_i32 s5, s5, s4
	s_mul_i32 s4, s18, s12
	s_add_u32 s4, s20, s4
	s_addc_u32 s5, s21, s5
	s_and_b32 s12, s0, 0xff
	s_cmp_eq_u32 s2, 1
	s_cbranch_scc1 .LBB130_14
; %bb.5:
	s_and_b32 s16, s2, 0x7ffffffe
	s_mov_b32 s17, 0
	v_mov_b32_e32 v3, 1
	v_mov_b32_e32 v4, v2
	s_branch .LBB130_7
.LBB130_6:                              ;   in Loop: Header=BB130_7 Depth=1
	s_or_b64 exec, exec, s[8:9]
	s_add_i32 s17, s17, 2
	s_cmp_eq_u32 s16, s17
	v_add_u32_e32 v4, 0x200, v4
	s_cbranch_scc1 .LBB130_13
.LBB130_7:                              ; =>This Inner Loop Header: Depth=1
	v_cmp_gt_u32_e64 s[0:1], s13, v4
	s_and_saveexec_b64 s[8:9], s[0:1]
	s_cbranch_execz .LBB130_10
; %bb.8:                                ;   in Loop: Header=BB130_7 Depth=1
	v_mov_b32_e32 v6, s5
	v_mov_b32_e32 v5, s4
	v_mad_u64_u32 v[5:6], s[0:1], s6, v4, v[5:6]
	v_mad_u64_u32 v[6:7], s[0:1], s7, v4, v[6:7]
	global_load_sbyte v5, v[5:6], off
	s_waitcnt vmcnt(0)
	v_add_u32_e32 v5, 0x80, v5
	v_xor_b32_e32 v6, s15, v5
	v_and_b32_e32 v6, s3, v6
	v_cmp_eq_u32_e64 s[0:1], 0, v6
	s_and_b64 exec, exec, s[0:1]
; %bb.9:                                ;   in Loop: Header=BB130_7 Depth=1
	v_lshrrev_b32_e32 v5, s12, v5
	v_lshlrev_b32_e32 v5, 2, v5
	ds_add_u32 v5, v3
.LBB130_10:                             ;   in Loop: Header=BB130_7 Depth=1
	s_or_b64 exec, exec, s[8:9]
	v_add_u32_e32 v5, 0x100, v4
	v_cmp_gt_u32_e64 s[0:1], s13, v5
	s_and_saveexec_b64 s[8:9], s[0:1]
	s_cbranch_execz .LBB130_6
; %bb.11:                               ;   in Loop: Header=BB130_7 Depth=1
	v_mov_b32_e32 v7, s5
	v_mov_b32_e32 v6, s4
	v_mad_u64_u32 v[6:7], s[0:1], s6, v5, v[6:7]
	v_mad_u64_u32 v[7:8], s[0:1], s7, v5, v[7:8]
	global_load_sbyte v5, v[6:7], off
	s_waitcnt vmcnt(0)
	v_add_u32_e32 v5, 0x80, v5
	v_xor_b32_e32 v6, s15, v5
	v_and_b32_e32 v6, s3, v6
	v_cmp_eq_u32_e64 s[0:1], 0, v6
	s_and_b64 exec, exec, s[0:1]
	s_cbranch_execz .LBB130_6
; %bb.12:                               ;   in Loop: Header=BB130_7 Depth=1
	v_lshrrev_b32_e32 v5, s12, v5
	v_lshlrev_b32_e32 v5, 2, v5
	ds_add_u32 v5, v3
	s_branch .LBB130_6
.LBB130_13:
	s_lshl_b32 s1, s16, 8
.LBB130_14:
	s_bitcmp0_b32 s2, 0
	s_cbranch_scc1 .LBB130_19
; %bb.15:
	v_add_u32_e32 v2, s1, v2
	v_cmp_gt_u32_e64 s[0:1], s13, v2
	s_and_saveexec_b64 s[8:9], s[0:1]
	s_cbranch_execz .LBB130_18
; %bb.16:
	v_mov_b32_e32 v3, s4
	v_mov_b32_e32 v4, s5
	v_mad_u64_u32 v[3:4], s[0:1], s6, v2, v[3:4]
	v_mad_u64_u32 v[4:5], s[0:1], s7, v2, v[4:5]
	global_load_sbyte v2, v[3:4], off
	s_waitcnt vmcnt(0)
	v_add_u32_e32 v2, 0x80, v2
	v_xor_b32_e32 v3, s15, v2
	v_and_b32_e32 v3, s3, v3
	v_cmp_eq_u32_e64 s[0:1], 0, v3
	s_and_b64 exec, exec, s[0:1]
; %bb.17:
	v_lshrrev_b32_e32 v2, s12, v2
	v_lshlrev_b32_e32 v2, 2, v2
	v_mov_b32_e32 v3, 1
	ds_add_u32 v2, v3
.LBB130_18:
	s_or_b64 exec, exec, s[8:9]
.LBB130_19:
	s_waitcnt lgkmcnt(0)
	s_barrier
	s_and_saveexec_b64 s[0:1], vcc
	s_cbranch_execz .LBB130_21
; %bb.20:
	v_lshl_or_b32 v2, s14, 8, v0
	v_mov_b32_e32 v3, 0
	ds_read_b32 v5, v1
	v_lshlrev_b64 v[2:3], 1, v[2:3]
	v_mov_b32_e32 v4, s11
	v_add_co_u32_e32 v0, vcc, s10, v2
	v_addc_co_u32_e32 v1, vcc, v4, v3, vcc
	s_waitcnt lgkmcnt(0)
	global_store_short v[0:1], v5, off
.LBB130_21:
	s_endpgm
	.section	.rodata,"a",@progbits
	.p2align	6, 0x0
	.amdhsa_kernel _ZN2at6native6mbtopk23computeBlockDigitCountsIamjLi1EEEvNS_4cuda6detail10TensorInfoIKT_T0_EEjPjjS8_iijT1_PSB_Ps
		.amdhsa_group_segment_fixed_size 1024
		.amdhsa_private_segment_fixed_size 0
		.amdhsa_kernarg_size 736
		.amdhsa_user_sgpr_count 6
		.amdhsa_user_sgpr_private_segment_buffer 1
		.amdhsa_user_sgpr_dispatch_ptr 0
		.amdhsa_user_sgpr_queue_ptr 0
		.amdhsa_user_sgpr_kernarg_segment_ptr 1
		.amdhsa_user_sgpr_dispatch_id 0
		.amdhsa_user_sgpr_flat_scratch_init 0
		.amdhsa_user_sgpr_private_segment_size 0
		.amdhsa_uses_dynamic_stack 0
		.amdhsa_system_sgpr_private_segment_wavefront_offset 0
		.amdhsa_system_sgpr_workgroup_id_x 1
		.amdhsa_system_sgpr_workgroup_id_y 1
		.amdhsa_system_sgpr_workgroup_id_z 1
		.amdhsa_system_sgpr_workgroup_info 0
		.amdhsa_system_vgpr_workitem_id 0
		.amdhsa_next_free_vgpr 9
		.amdhsa_next_free_sgpr 22
		.amdhsa_reserve_vcc 1
		.amdhsa_reserve_flat_scratch 0
		.amdhsa_float_round_mode_32 0
		.amdhsa_float_round_mode_16_64 0
		.amdhsa_float_denorm_mode_32 3
		.amdhsa_float_denorm_mode_16_64 3
		.amdhsa_dx10_clamp 1
		.amdhsa_ieee_mode 1
		.amdhsa_fp16_overflow 0
		.amdhsa_exception_fp_ieee_invalid_op 0
		.amdhsa_exception_fp_denorm_src 0
		.amdhsa_exception_fp_ieee_div_zero 0
		.amdhsa_exception_fp_ieee_overflow 0
		.amdhsa_exception_fp_ieee_underflow 0
		.amdhsa_exception_fp_ieee_inexact 0
		.amdhsa_exception_int_div_zero 0
	.end_amdhsa_kernel
	.section	.text._ZN2at6native6mbtopk23computeBlockDigitCountsIamjLi1EEEvNS_4cuda6detail10TensorInfoIKT_T0_EEjPjjS8_iijT1_PSB_Ps,"axG",@progbits,_ZN2at6native6mbtopk23computeBlockDigitCountsIamjLi1EEEvNS_4cuda6detail10TensorInfoIKT_T0_EEjPjjS8_iijT1_PSB_Ps,comdat
.Lfunc_end130:
	.size	_ZN2at6native6mbtopk23computeBlockDigitCountsIamjLi1EEEvNS_4cuda6detail10TensorInfoIKT_T0_EEjPjjS8_iijT1_PSB_Ps, .Lfunc_end130-_ZN2at6native6mbtopk23computeBlockDigitCountsIamjLi1EEEvNS_4cuda6detail10TensorInfoIKT_T0_EEjPjjS8_iijT1_PSB_Ps
                                        ; -- End function
	.set _ZN2at6native6mbtopk23computeBlockDigitCountsIamjLi1EEEvNS_4cuda6detail10TensorInfoIKT_T0_EEjPjjS8_iijT1_PSB_Ps.num_vgpr, 9
	.set _ZN2at6native6mbtopk23computeBlockDigitCountsIamjLi1EEEvNS_4cuda6detail10TensorInfoIKT_T0_EEjPjjS8_iijT1_PSB_Ps.num_agpr, 0
	.set _ZN2at6native6mbtopk23computeBlockDigitCountsIamjLi1EEEvNS_4cuda6detail10TensorInfoIKT_T0_EEjPjjS8_iijT1_PSB_Ps.numbered_sgpr, 22
	.set _ZN2at6native6mbtopk23computeBlockDigitCountsIamjLi1EEEvNS_4cuda6detail10TensorInfoIKT_T0_EEjPjjS8_iijT1_PSB_Ps.num_named_barrier, 0
	.set _ZN2at6native6mbtopk23computeBlockDigitCountsIamjLi1EEEvNS_4cuda6detail10TensorInfoIKT_T0_EEjPjjS8_iijT1_PSB_Ps.private_seg_size, 0
	.set _ZN2at6native6mbtopk23computeBlockDigitCountsIamjLi1EEEvNS_4cuda6detail10TensorInfoIKT_T0_EEjPjjS8_iijT1_PSB_Ps.uses_vcc, 1
	.set _ZN2at6native6mbtopk23computeBlockDigitCountsIamjLi1EEEvNS_4cuda6detail10TensorInfoIKT_T0_EEjPjjS8_iijT1_PSB_Ps.uses_flat_scratch, 0
	.set _ZN2at6native6mbtopk23computeBlockDigitCountsIamjLi1EEEvNS_4cuda6detail10TensorInfoIKT_T0_EEjPjjS8_iijT1_PSB_Ps.has_dyn_sized_stack, 0
	.set _ZN2at6native6mbtopk23computeBlockDigitCountsIamjLi1EEEvNS_4cuda6detail10TensorInfoIKT_T0_EEjPjjS8_iijT1_PSB_Ps.has_recursion, 0
	.set _ZN2at6native6mbtopk23computeBlockDigitCountsIamjLi1EEEvNS_4cuda6detail10TensorInfoIKT_T0_EEjPjjS8_iijT1_PSB_Ps.has_indirect_call, 0
	.section	.AMDGPU.csdata,"",@progbits
; Kernel info:
; codeLenInByte = 804
; TotalNumSgprs: 26
; NumVgprs: 9
; ScratchSize: 0
; MemoryBound: 0
; FloatMode: 240
; IeeeMode: 1
; LDSByteSize: 1024 bytes/workgroup (compile time only)
; SGPRBlocks: 3
; VGPRBlocks: 2
; NumSGPRsForWavesPerEU: 26
; NumVGPRsForWavesPerEU: 9
; Occupancy: 10
; WaveLimiterHint : 1
; COMPUTE_PGM_RSRC2:SCRATCH_EN: 0
; COMPUTE_PGM_RSRC2:USER_SGPR: 6
; COMPUTE_PGM_RSRC2:TRAP_HANDLER: 0
; COMPUTE_PGM_RSRC2:TGID_X_EN: 1
; COMPUTE_PGM_RSRC2:TGID_Y_EN: 1
; COMPUTE_PGM_RSRC2:TGID_Z_EN: 1
; COMPUTE_PGM_RSRC2:TIDIG_COMP_CNT: 0
	.section	.text._ZN2at6native6mbtopk10gatherTopKIamLi1EEEvNS_4cuda6detail10TensorInfoIKT_T0_EES8_S8_bjS8_NS5_IS6_S8_EES8_NS5_IlS8_EES8_jjPS6_PjSD_j,"axG",@progbits,_ZN2at6native6mbtopk10gatherTopKIamLi1EEEvNS_4cuda6detail10TensorInfoIKT_T0_EES8_S8_bjS8_NS5_IS6_S8_EES8_NS5_IlS8_EES8_jjPS6_PjSD_j,comdat
	.protected	_ZN2at6native6mbtopk10gatherTopKIamLi1EEEvNS_4cuda6detail10TensorInfoIKT_T0_EES8_S8_bjS8_NS5_IS6_S8_EES8_NS5_IlS8_EES8_jjPS6_PjSD_j ; -- Begin function _ZN2at6native6mbtopk10gatherTopKIamLi1EEEvNS_4cuda6detail10TensorInfoIKT_T0_EES8_S8_bjS8_NS5_IS6_S8_EES8_NS5_IlS8_EES8_jjPS6_PjSD_j
	.globl	_ZN2at6native6mbtopk10gatherTopKIamLi1EEEvNS_4cuda6detail10TensorInfoIKT_T0_EES8_S8_bjS8_NS5_IS6_S8_EES8_NS5_IlS8_EES8_jjPS6_PjSD_j
	.p2align	8
	.type	_ZN2at6native6mbtopk10gatherTopKIamLi1EEEvNS_4cuda6detail10TensorInfoIKT_T0_EES8_S8_bjS8_NS5_IS6_S8_EES8_NS5_IlS8_EES8_jjPS6_PjSD_j,@function
_ZN2at6native6mbtopk10gatherTopKIamLi1EEEvNS_4cuda6detail10TensorInfoIKT_T0_EES8_S8_bjS8_NS5_IS6_S8_EES8_NS5_IlS8_EES8_jjPS6_PjSD_j: ; @_ZN2at6native6mbtopk10gatherTopKIamLi1EEEvNS_4cuda6detail10TensorInfoIKT_T0_EES8_S8_bjS8_NS5_IS6_S8_EES8_NS5_IlS8_EES8_jjPS6_PjSD_j
; %bb.0:
	s_load_dwordx2 s[0:1], s[4:5], 0x538
	s_load_dword s2, s[4:5], 0x530
	s_waitcnt lgkmcnt(0)
	s_mul_i32 s1, s1, s8
	s_add_i32 s1, s1, s7
	s_mul_i32 s0, s1, s0
	s_add_i32 s0, s0, s6
	s_cmp_ge_u32 s0, s2
	s_cbranch_scc1 .LBB131_42
; %bb.1:
	s_load_dwordx2 s[20:21], s[4:5], 0x510
	s_load_dwordx4 s[8:11], s[4:5], 0x1a0
	s_waitcnt lgkmcnt(0)
	v_cvt_f32_u32_e32 v1, s21
	s_sub_i32 s2, 0, s21
	s_lshl_b32 s1, s20, 8
	v_rcp_iflag_f32_e32 v1, v1
	v_mul_f32_e32 v1, 0x4f7ffffe, v1
	v_cvt_u32_f32_e32 v1, v1
	v_readfirstlane_b32 s3, v1
	s_mul_i32 s2, s2, s3
	s_mul_hi_u32 s2, s3, s2
	s_add_i32 s3, s3, s2
	s_mul_hi_u32 s2, s0, s3
	s_mul_i32 s3, s2, s21
	s_sub_i32 s3, s0, s3
	s_add_i32 s6, s2, 1
	s_sub_i32 s7, s3, s21
	s_cmp_ge_u32 s3, s21
	s_cselect_b32 s2, s6, s2
	s_cselect_b32 s3, s7, s3
	s_add_i32 s6, s2, 1
	s_cmp_ge_u32 s3, s21
	s_cselect_b32 s38, s6, s2
	s_mul_i32 s22, s38, s21
	s_sub_i32 s39, s0, s22
	s_add_i32 s0, s39, 1
	s_cmp_lt_u32 s0, s21
	s_mul_i32 s33, s39, s1
	s_cbranch_scc1 .LBB131_3
; %bb.2:
	s_sub_u32 s0, s8, s33
	s_subb_u32 s1, s9, 0
	s_add_u32 s0, s0, 0xff
	s_addc_u32 s1, s1, 0
	s_ashr_i32 s2, s1, 31
	s_lshr_b32 s2, s2, 24
	s_add_u32 s0, s0, s2
	s_addc_u32 s1, s1, 0
	s_lshr_b64 s[0:1], s[0:1], 8
	s_mov_b32 s20, s0
.LBB131_3:
	s_load_dwordx4 s[12:15], s[4:5], 0x518
	v_mov_b32_e32 v1, s38
	v_cmp_ne_u32_e64 s[0:1], 0, v0
	v_cmp_eq_u32_e64 s[2:3], 0, v0
	s_waitcnt lgkmcnt(0)
	global_load_ubyte v8, v1, s[12:13]
	s_load_dwordx2 s[6:7], s[4:5], 0x0
	s_load_dwordx2 s[28:29], s[4:5], 0xd0
	;; [unrolled: 1-line block ×4, first 2 shown]
	s_and_saveexec_b64 s[12:13], s[2:3]
	s_cbranch_execz .LBB131_19
; %bb.4:
	s_load_dwordx2 s[30:31], s[4:5], 0x528
	s_mov_b32 s23, 0
	s_lshl_b64 s[34:35], s[22:23], 2
	s_add_u32 s16, s14, s34
	s_addc_u32 s17, s15, s35
	s_waitcnt lgkmcnt(0)
	s_add_u32 s18, s30, s34
	s_addc_u32 s19, s31, s35
	s_mov_b32 s22, 0
	s_mov_b32 s40, 0
	s_cmp_lt_u32 s21, 4
	s_cbranch_scc1 .LBB131_16
; %bb.5:
	s_mov_b32 s41, 0
.LBB131_6:                              ; =>This Inner Loop Header: Depth=1
	s_add_u32 s36, s14, s34
	s_addc_u32 s37, s15, s35
	s_load_dwordx4 s[16:19], s[36:37], 0x0
	s_add_u32 s36, s30, s34
	s_addc_u32 s37, s31, s35
	s_cmp_ge_u32 s41, s39
	s_cbranch_scc0 .LBB131_13
; %bb.7:                                ;   in Loop: Header=BB131_6 Depth=1
	s_add_i32 s42, s41, 1
	s_cmp_ge_u32 s42, s39
	s_cbranch_scc0 .LBB131_14
.LBB131_8:                              ;   in Loop: Header=BB131_6 Depth=1
	s_add_i32 s42, s42, 1
	s_cmp_ge_u32 s42, s39
	s_cbranch_scc0 .LBB131_15
.LBB131_9:                              ;   in Loop: Header=BB131_6 Depth=1
	s_add_i32 s42, s42, 1
	s_cmp_ge_u32 s42, s39
	s_cbranch_scc1 .LBB131_11
.LBB131_10:                             ;   in Loop: Header=BB131_6 Depth=1
	s_load_dword s36, s[36:37], 0xc
	s_waitcnt lgkmcnt(0)
	s_add_i32 s23, s23, s19
	s_add_i32 s22, s36, s22
.LBB131_11:                             ;   in Loop: Header=BB131_6 Depth=1
	s_waitcnt lgkmcnt(0)
	s_add_i32 s16, s16, s40
	s_add_i32 s16, s16, s17
	;; [unrolled: 1-line block ×4, first 2 shown]
	s_add_u32 s14, s14, 16
	s_addc_u32 s15, s15, 0
	s_add_u32 s30, s30, 16
	s_addc_u32 s31, s31, 0
	s_add_i32 s37, s42, 4
	s_add_u32 s18, s30, s34
	s_addc_u32 s19, s31, s35
	s_add_u32 s16, s14, s34
	s_addc_u32 s17, s15, s35
	s_add_i32 s36, s42, 1
	s_cmp_ge_u32 s37, s21
	s_cbranch_scc1 .LBB131_17
; %bb.12:                               ;   in Loop: Header=BB131_6 Depth=1
	s_mov_b32 s41, s36
	s_branch .LBB131_6
.LBB131_13:                             ;   in Loop: Header=BB131_6 Depth=1
	s_load_dword s42, s[36:37], 0x0
	s_waitcnt lgkmcnt(0)
	s_add_i32 s23, s16, s23
	s_add_i32 s22, s42, s22
	;; [unrolled: 1-line block ×3, first 2 shown]
	s_cmp_ge_u32 s42, s39
	s_cbranch_scc1 .LBB131_8
.LBB131_14:                             ;   in Loop: Header=BB131_6 Depth=1
	s_load_dword s43, s[36:37], 0x4
	s_waitcnt lgkmcnt(0)
	s_add_i32 s23, s23, s17
	s_add_i32 s22, s43, s22
	;; [unrolled: 1-line block ×3, first 2 shown]
	s_cmp_ge_u32 s42, s39
	s_cbranch_scc1 .LBB131_9
.LBB131_15:                             ;   in Loop: Header=BB131_6 Depth=1
	s_load_dword s43, s[36:37], 0x8
	s_waitcnt lgkmcnt(0)
	s_add_i32 s23, s23, s18
	s_add_i32 s22, s43, s22
	;; [unrolled: 1-line block ×3, first 2 shown]
	s_cmp_ge_u32 s42, s39
	s_cbranch_scc0 .LBB131_10
	s_branch .LBB131_11
.LBB131_16:
	s_mov_b32 s14, 0
	s_cmp_ge_u32 s14, s21
	s_cbranch_scc0 .LBB131_40
	s_branch .LBB131_18
.LBB131_17:
	s_add_i32 s14, s41, 4
	s_cmp_ge_u32 s14, s21
	s_cbranch_scc0 .LBB131_40
.LBB131_18:
	v_mov_b32_e32 v1, s22
	v_mov_b32_e32 v2, s40
	;; [unrolled: 1-line block ×4, first 2 shown]
	ds_write_b96 v4, v[1:3] offset:1056
.LBB131_19:
	s_or_b64 exec, exec, s[12:13]
	s_load_dwordx4 s[12:15], s[4:5], 0x1b8
	s_load_dwordx4 s[16:19], s[4:5], 0x360
	s_cmp_eq_u32 s20, 0
	s_waitcnt vmcnt(0) lgkmcnt(0)
	s_barrier
	s_cbranch_scc1 .LBB131_42
; %bb.20:
	s_mul_i32 s23, s27, s38
	s_mul_hi_u32 s27, s26, s38
	v_mov_b32_e32 v5, 0
	s_mul_i32 s21, s29, s38
	s_mul_hi_u32 s22, s28, s38
	s_add_i32 s27, s27, s23
	s_mul_i32 s23, s25, s38
	s_mul_hi_u32 s25, s24, s38
	ds_read_b96 v[1:3], v5 offset:1056
	s_add_i32 s21, s22, s21
	s_mul_i32 s22, s28, s38
	s_add_i32 s25, s25, s23
	s_add_u32 s22, s6, s22
	s_mul_i32 s26, s26, s38
	s_addc_u32 s23, s7, s21
	s_mul_i32 s24, s24, s38
	s_add_u32 s14, s14, s26
	s_addc_u32 s15, s15, s27
	s_lshl_b64 s[6:7], s[24:25], 3
	s_waitcnt lgkmcnt(0)
	v_add_u32_e32 v1, v1, v2
	v_lshrrev_b32_e32 v2, 3, v0
	s_add_u32 s21, s18, s6
	s_load_dword s6, s[4:5], 0x1b0
	v_and_b32_e32 v2, 28, v2
	v_lshl_add_u32 v10, v0, 2, v2
	v_lshrrev_b32_e32 v2, 1, v0
	s_addc_u32 s26, s19, s7
	s_load_dwordx2 s[18:19], s[4:5], 0x508
	v_and_b32_e32 v11, 0x7c, v2
	v_add_u32_e32 v2, -1, v0
	v_lshrrev_b32_e32 v4, 3, v2
	v_and_b32_e32 v4, 0x1ffffffc, v4
	s_movk_i32 s27, 0x80
	s_waitcnt lgkmcnt(0)
	s_bitcmp1_b32 s6, 0
	v_cmp_gt_u32_e64 s[6:7], 64, v0
	v_lshlrev_b32_e32 v12, 4, v0
	v_lshl_add_u32 v13, v2, 2, v4
	v_add_u32_e32 v4, s33, v0
	v_mbcnt_lo_u32_b32 v0, -1, 0
	v_add_u32_sdwa v9, sext(v8), s27 dst_sel:DWORD dst_unused:UNUSED_PAD src0_sel:BYTE_0 src1_sel:DWORD
	s_cselect_b64 s[4:5], -1, 0
	v_mbcnt_hi_u32_b32 v0, -1, v0
                                        ; implicit-def: $vgpr14
	s_branch .LBB131_23
.LBB131_21:                             ;   in Loop: Header=BB131_23 Depth=1
	s_or_b64 exec, exec, s[24:25]
	v_add_u32_e32 v1, v2, v1
.LBB131_22:                             ;   in Loop: Header=BB131_23 Depth=1
	s_add_i32 s20, s20, -1
	v_add_u32_e32 v3, v15, v3
	s_cmp_lg_u32 s20, 0
	v_add_u32_e32 v4, 0x100, v4
	s_cbranch_scc0 .LBB131_42
.LBB131_23:                             ; =>This Inner Loop Header: Depth=1
	v_cmp_gt_u64_e32 vcc, s[8:9], v[4:5]
	v_mov_b32_e32 v2, v5
	v_mov_b32_e32 v6, v5
	s_and_saveexec_b64 s[24:25], vcc
	s_cbranch_execz .LBB131_25
; %bb.24:                               ;   in Loop: Header=BB131_23 Depth=1
	v_mov_b32_e32 v6, s22
	v_mov_b32_e32 v7, s23
	v_mad_u64_u32 v[6:7], s[28:29], s12, v4, v[6:7]
	v_mov_b32_e32 v2, v7
	v_mad_u64_u32 v[14:15], s[28:29], s13, v4, v[2:3]
	v_mov_b32_e32 v7, v14
	global_load_ubyte v14, v[6:7], off
	s_waitcnt vmcnt(0)
	v_add_u32_sdwa v2, sext(v14), s27 dst_sel:DWORD dst_unused:UNUSED_PAD src0_sel:BYTE_0 src1_sel:DWORD
	v_cmp_gt_u32_e32 vcc, v2, v9
	v_cndmask_b32_e64 v6, 0, 1, vcc
	v_cmp_lt_u32_e32 vcc, v2, v9
	v_cndmask_b32_e64 v2, 0, 1, vcc
	v_cndmask_b32_e64 v2, v2, v6, s[4:5]
	v_cmp_eq_u16_sdwa s[28:29], v14, v8 src0_sel:DWORD src1_sel:BYTE_0
	v_and_b32_e32 v2, 1, v2
	v_cndmask_b32_e64 v6, 0, 1, s[28:29]
.LBB131_25:                             ;   in Loop: Header=BB131_23 Depth=1
	s_or_b64 exec, exec, s[24:25]
	ds_write_b32 v10, v2
	s_waitcnt vmcnt(0) lgkmcnt(0)
	s_barrier
	s_and_saveexec_b64 s[24:25], s[6:7]
	s_cbranch_execz .LBB131_27
; %bb.26:                               ;   in Loop: Header=BB131_23 Depth=1
	v_add_u32_e32 v7, v11, v12
	ds_read2_b32 v[15:16], v7 offset1:1
	ds_read2_b32 v[17:18], v7 offset0:2 offset1:3
	v_and_b32_e32 v19, 15, v0
	v_cmp_ne_u32_e32 vcc, 0, v19
	s_waitcnt lgkmcnt(1)
	v_add_u32_e32 v16, v16, v15
	s_waitcnt lgkmcnt(0)
	v_add3_u32 v16, v16, v17, v18
	v_bfe_i32 v18, v0, 4, 1
	; wave barrier
	s_nop 0
	v_mov_b32_dpp v17, v16 row_shr:1 row_mask:0xf bank_mask:0xf
	v_cndmask_b32_e32 v17, 0, v17, vcc
	v_add_u32_e32 v16, v17, v16
	v_cmp_lt_u32_e32 vcc, 1, v19
	s_nop 0
	v_mov_b32_dpp v17, v16 row_shr:2 row_mask:0xf bank_mask:0xf
	v_cndmask_b32_e32 v17, 0, v17, vcc
	v_add_u32_e32 v16, v16, v17
	v_cmp_lt_u32_e32 vcc, 3, v19
	;; [unrolled: 5-line block ×4, first 2 shown]
	s_nop 0
	v_mov_b32_dpp v17, v16 row_bcast:15 row_mask:0xf bank_mask:0xf
	v_and_b32_e32 v17, v18, v17
	v_add_u32_e32 v16, v16, v17
	v_and_b32_e32 v18, 64, v0
	s_nop 0
	v_mov_b32_dpp v17, v16 row_bcast:31 row_mask:0xf bank_mask:0xf
	v_cndmask_b32_e32 v17, 0, v17, vcc
	v_add_u32_e32 v16, v16, v17
	v_add_u32_e32 v17, -1, v0
	v_cmp_lt_i32_e32 vcc, v17, v18
	v_cndmask_b32_e32 v17, v17, v0, vcc
	v_lshlrev_b32_e32 v17, 2, v17
	ds_bpermute_b32 v16, v17, v16
	s_waitcnt lgkmcnt(0)
	v_add_u32_e32 v15, v16, v15
	v_cndmask_b32_e64 v17, v15, v2, s[2:3]
	ds_write_b32 v7, v17
	; wave barrier
	ds_read2_b32 v[15:16], v7 offset0:1 offset1:2
	ds_read_b32 v18, v7 offset:12
	s_waitcnt lgkmcnt(1)
	v_add_u32_e32 v15, v15, v17
	v_add_u32_e32 v16, v16, v15
	ds_write2_b32 v7, v15, v16 offset0:1 offset1:2
	s_waitcnt lgkmcnt(1)
	v_add_u32_e32 v15, v18, v16
	ds_write_b32 v7, v15 offset:12
.LBB131_27:                             ;   in Loop: Header=BB131_23 Depth=1
	s_or_b64 exec, exec, s[24:25]
	v_mov_b32_e32 v7, 0
	s_waitcnt lgkmcnt(0)
	s_barrier
	s_and_saveexec_b64 s[24:25], s[0:1]
; %bb.28:                               ;   in Loop: Header=BB131_23 Depth=1
	ds_read_b32 v7, v13
; %bb.29:                               ;   in Loop: Header=BB131_23 Depth=1
	s_or_b64 exec, exec, s[24:25]
	ds_read_b32 v15, v5 offset:1048
	v_cmp_ne_u32_e32 vcc, 0, v2
	s_waitcnt lgkmcnt(0)
	s_barrier
	s_and_saveexec_b64 s[24:25], vcc
	s_cbranch_execz .LBB131_31
; %bb.30:                               ;   in Loop: Header=BB131_23 Depth=1
	v_mov_b32_e32 v17, s15
	v_add_u32_e32 v7, v7, v3
	v_mov_b32_e32 v16, s14
	v_mad_u64_u32 v[16:17], s[28:29], s16, v7, v[16:17]
	v_mad_u64_u32 v[18:19], s[28:29], s18, v7, 0
	v_mov_b32_e32 v2, v17
	v_mad_u64_u32 v[20:21], s[28:29], s17, v7, v[2:3]
	v_mov_b32_e32 v2, v19
	;; [unrolled: 2-line block ×3, first 2 shown]
	global_store_byte v[16:17], v14, off
	v_mov_b32_e32 v19, v21
	v_lshlrev_b64 v[16:17], 3, v[18:19]
	v_mov_b32_e32 v2, s26
	v_add_co_u32_e32 v16, vcc, s21, v16
	v_addc_co_u32_e32 v17, vcc, v2, v17, vcc
	global_store_dwordx2 v[16:17], v[4:5], off
.LBB131_31:                             ;   in Loop: Header=BB131_23 Depth=1
	s_or_b64 exec, exec, s[24:25]
	v_mov_b32_e32 v2, v5
	v_cmp_le_u64_e32 vcc, s[10:11], v[1:2]
	s_cbranch_vccnz .LBB131_22
; %bb.32:                               ;   in Loop: Header=BB131_23 Depth=1
	ds_write_b32 v10, v6
	s_waitcnt vmcnt(0) lgkmcnt(0)
	s_barrier
	s_and_saveexec_b64 s[24:25], s[6:7]
	s_cbranch_execz .LBB131_34
; %bb.33:                               ;   in Loop: Header=BB131_23 Depth=1
	v_add_u32_e32 v2, v11, v12
	ds_read2_b32 v[16:17], v2 offset1:1
	ds_read2_b32 v[18:19], v2 offset0:2 offset1:3
	v_and_b32_e32 v7, 15, v0
	v_cmp_ne_u32_e32 vcc, 0, v7
	s_waitcnt lgkmcnt(1)
	v_add_u32_e32 v17, v17, v16
	s_waitcnt lgkmcnt(0)
	v_add3_u32 v17, v17, v18, v19
	; wave barrier
	s_nop 1
	v_mov_b32_dpp v18, v17 row_shr:1 row_mask:0xf bank_mask:0xf
	v_cndmask_b32_e32 v18, 0, v18, vcc
	v_add_u32_e32 v17, v18, v17
	v_cmp_lt_u32_e32 vcc, 1, v7
	s_nop 0
	v_mov_b32_dpp v18, v17 row_shr:2 row_mask:0xf bank_mask:0xf
	v_cndmask_b32_e32 v18, 0, v18, vcc
	v_add_u32_e32 v17, v17, v18
	v_cmp_lt_u32_e32 vcc, 3, v7
	;; [unrolled: 5-line block ×3, first 2 shown]
	s_nop 0
	v_mov_b32_dpp v18, v17 row_shr:8 row_mask:0xf bank_mask:0xf
	v_cndmask_b32_e32 v7, 0, v18, vcc
	v_add_u32_e32 v7, v17, v7
	v_bfe_i32 v18, v0, 4, 1
	v_cmp_lt_u32_e32 vcc, 31, v0
	v_mov_b32_dpp v17, v7 row_bcast:15 row_mask:0xf bank_mask:0xf
	v_and_b32_e32 v17, v18, v17
	v_add_u32_e32 v7, v7, v17
	v_and_b32_e32 v18, 64, v0
	s_nop 0
	v_mov_b32_dpp v17, v7 row_bcast:31 row_mask:0xf bank_mask:0xf
	v_cndmask_b32_e32 v17, 0, v17, vcc
	v_add_u32_e32 v7, v7, v17
	v_add_u32_e32 v17, -1, v0
	v_cmp_lt_i32_e32 vcc, v17, v18
	v_cndmask_b32_e32 v17, v17, v0, vcc
	v_lshlrev_b32_e32 v17, 2, v17
	ds_bpermute_b32 v7, v17, v7
	s_waitcnt lgkmcnt(0)
	v_add_u32_e32 v7, v7, v16
	v_cndmask_b32_e64 v7, v7, v6, s[2:3]
	ds_write_b32 v2, v7
	; wave barrier
	ds_read2_b32 v[16:17], v2 offset0:1 offset1:2
	ds_read_b32 v18, v2 offset:12
	s_waitcnt lgkmcnt(1)
	v_add_u32_e32 v7, v16, v7
	v_add_u32_e32 v16, v17, v7
	ds_write2_b32 v2, v7, v16 offset0:1 offset1:2
	s_waitcnt lgkmcnt(1)
	v_add_u32_e32 v7, v18, v16
	ds_write_b32 v2, v7 offset:12
.LBB131_34:                             ;   in Loop: Header=BB131_23 Depth=1
	s_or_b64 exec, exec, s[24:25]
	v_mov_b32_e32 v7, 0
	s_waitcnt lgkmcnt(0)
	s_barrier
	s_and_saveexec_b64 s[24:25], s[0:1]
; %bb.35:                               ;   in Loop: Header=BB131_23 Depth=1
	ds_read_b32 v7, v13
; %bb.36:                               ;   in Loop: Header=BB131_23 Depth=1
	s_or_b64 exec, exec, s[24:25]
	ds_read_b32 v2, v5 offset:1048
	v_cmp_ne_u32_e32 vcc, 0, v6
	s_waitcnt lgkmcnt(0)
	s_barrier
	s_and_saveexec_b64 s[24:25], vcc
	s_cbranch_execz .LBB131_21
; %bb.37:                               ;   in Loop: Header=BB131_23 Depth=1
	v_add_u32_e32 v6, v7, v1
	v_mov_b32_e32 v7, v5
	v_cmp_gt_u64_e32 vcc, s[10:11], v[6:7]
	s_and_b64 exec, exec, vcc
	s_cbranch_execz .LBB131_21
; %bb.38:                               ;   in Loop: Header=BB131_23 Depth=1
	v_mov_b32_e32 v17, s15
	v_mov_b32_e32 v16, s14
	v_mad_u64_u32 v[16:17], s[28:29], s16, v6, v[16:17]
	v_mad_u64_u32 v[18:19], s[28:29], s18, v6, 0
	v_mov_b32_e32 v7, v17
	v_mad_u64_u32 v[20:21], s[28:29], s17, v6, v[7:8]
	v_mov_b32_e32 v7, v19
	;; [unrolled: 2-line block ×3, first 2 shown]
	global_store_byte v[16:17], v14, off
	v_mov_b32_e32 v19, v6
	v_lshlrev_b64 v[6:7], 3, v[18:19]
	v_mov_b32_e32 v16, s26
	v_add_co_u32_e32 v6, vcc, s21, v6
	v_addc_co_u32_e32 v7, vcc, v16, v7, vcc
	global_store_dwordx2 v[6:7], v[4:5], off
	s_branch .LBB131_21
.LBB131_39:                             ;   in Loop: Header=BB131_40 Depth=1
	s_add_u32 s16, s16, 4
	s_addc_u32 s17, s17, 0
	s_waitcnt lgkmcnt(0)
	s_add_i32 s40, s15, s40
	s_add_u32 s18, s18, 4
	s_addc_u32 s19, s19, 0
	s_add_i32 s14, s14, 1
	s_cmp_lt_u32 s14, s21
	s_cbranch_scc0 .LBB131_18
.LBB131_40:                             ; =>This Inner Loop Header: Depth=1
	s_load_dword s15, s[16:17], 0x0
	s_cmp_ge_u32 s14, s39
	s_cbranch_scc1 .LBB131_39
; %bb.41:                               ;   in Loop: Header=BB131_40 Depth=1
	s_load_dword s30, s[18:19], 0x0
	s_waitcnt lgkmcnt(0)
	s_add_i32 s23, s15, s23
	s_add_i32 s22, s30, s22
	s_branch .LBB131_39
.LBB131_42:
	s_endpgm
	.section	.rodata,"a",@progbits
	.p2align	6, 0x0
	.amdhsa_kernel _ZN2at6native6mbtopk10gatherTopKIamLi1EEEvNS_4cuda6detail10TensorInfoIKT_T0_EES8_S8_bjS8_NS5_IS6_S8_EES8_NS5_IlS8_EES8_jjPS6_PjSD_j
		.amdhsa_group_segment_fixed_size 1068
		.amdhsa_private_segment_fixed_size 0
		.amdhsa_kernarg_size 1592
		.amdhsa_user_sgpr_count 6
		.amdhsa_user_sgpr_private_segment_buffer 1
		.amdhsa_user_sgpr_dispatch_ptr 0
		.amdhsa_user_sgpr_queue_ptr 0
		.amdhsa_user_sgpr_kernarg_segment_ptr 1
		.amdhsa_user_sgpr_dispatch_id 0
		.amdhsa_user_sgpr_flat_scratch_init 0
		.amdhsa_user_sgpr_private_segment_size 0
		.amdhsa_uses_dynamic_stack 0
		.amdhsa_system_sgpr_private_segment_wavefront_offset 0
		.amdhsa_system_sgpr_workgroup_id_x 1
		.amdhsa_system_sgpr_workgroup_id_y 1
		.amdhsa_system_sgpr_workgroup_id_z 1
		.amdhsa_system_sgpr_workgroup_info 0
		.amdhsa_system_vgpr_workitem_id 0
		.amdhsa_next_free_vgpr 23
		.amdhsa_next_free_sgpr 44
		.amdhsa_reserve_vcc 1
		.amdhsa_reserve_flat_scratch 0
		.amdhsa_float_round_mode_32 0
		.amdhsa_float_round_mode_16_64 0
		.amdhsa_float_denorm_mode_32 3
		.amdhsa_float_denorm_mode_16_64 3
		.amdhsa_dx10_clamp 1
		.amdhsa_ieee_mode 1
		.amdhsa_fp16_overflow 0
		.amdhsa_exception_fp_ieee_invalid_op 0
		.amdhsa_exception_fp_denorm_src 0
		.amdhsa_exception_fp_ieee_div_zero 0
		.amdhsa_exception_fp_ieee_overflow 0
		.amdhsa_exception_fp_ieee_underflow 0
		.amdhsa_exception_fp_ieee_inexact 0
		.amdhsa_exception_int_div_zero 0
	.end_amdhsa_kernel
	.section	.text._ZN2at6native6mbtopk10gatherTopKIamLi1EEEvNS_4cuda6detail10TensorInfoIKT_T0_EES8_S8_bjS8_NS5_IS6_S8_EES8_NS5_IlS8_EES8_jjPS6_PjSD_j,"axG",@progbits,_ZN2at6native6mbtopk10gatherTopKIamLi1EEEvNS_4cuda6detail10TensorInfoIKT_T0_EES8_S8_bjS8_NS5_IS6_S8_EES8_NS5_IlS8_EES8_jjPS6_PjSD_j,comdat
.Lfunc_end131:
	.size	_ZN2at6native6mbtopk10gatherTopKIamLi1EEEvNS_4cuda6detail10TensorInfoIKT_T0_EES8_S8_bjS8_NS5_IS6_S8_EES8_NS5_IlS8_EES8_jjPS6_PjSD_j, .Lfunc_end131-_ZN2at6native6mbtopk10gatherTopKIamLi1EEEvNS_4cuda6detail10TensorInfoIKT_T0_EES8_S8_bjS8_NS5_IS6_S8_EES8_NS5_IlS8_EES8_jjPS6_PjSD_j
                                        ; -- End function
	.set _ZN2at6native6mbtopk10gatherTopKIamLi1EEEvNS_4cuda6detail10TensorInfoIKT_T0_EES8_S8_bjS8_NS5_IS6_S8_EES8_NS5_IlS8_EES8_jjPS6_PjSD_j.num_vgpr, 23
	.set _ZN2at6native6mbtopk10gatherTopKIamLi1EEEvNS_4cuda6detail10TensorInfoIKT_T0_EES8_S8_bjS8_NS5_IS6_S8_EES8_NS5_IlS8_EES8_jjPS6_PjSD_j.num_agpr, 0
	.set _ZN2at6native6mbtopk10gatherTopKIamLi1EEEvNS_4cuda6detail10TensorInfoIKT_T0_EES8_S8_bjS8_NS5_IS6_S8_EES8_NS5_IlS8_EES8_jjPS6_PjSD_j.numbered_sgpr, 44
	.set _ZN2at6native6mbtopk10gatherTopKIamLi1EEEvNS_4cuda6detail10TensorInfoIKT_T0_EES8_S8_bjS8_NS5_IS6_S8_EES8_NS5_IlS8_EES8_jjPS6_PjSD_j.num_named_barrier, 0
	.set _ZN2at6native6mbtopk10gatherTopKIamLi1EEEvNS_4cuda6detail10TensorInfoIKT_T0_EES8_S8_bjS8_NS5_IS6_S8_EES8_NS5_IlS8_EES8_jjPS6_PjSD_j.private_seg_size, 0
	.set _ZN2at6native6mbtopk10gatherTopKIamLi1EEEvNS_4cuda6detail10TensorInfoIKT_T0_EES8_S8_bjS8_NS5_IS6_S8_EES8_NS5_IlS8_EES8_jjPS6_PjSD_j.uses_vcc, 1
	.set _ZN2at6native6mbtopk10gatherTopKIamLi1EEEvNS_4cuda6detail10TensorInfoIKT_T0_EES8_S8_bjS8_NS5_IS6_S8_EES8_NS5_IlS8_EES8_jjPS6_PjSD_j.uses_flat_scratch, 0
	.set _ZN2at6native6mbtopk10gatherTopKIamLi1EEEvNS_4cuda6detail10TensorInfoIKT_T0_EES8_S8_bjS8_NS5_IS6_S8_EES8_NS5_IlS8_EES8_jjPS6_PjSD_j.has_dyn_sized_stack, 0
	.set _ZN2at6native6mbtopk10gatherTopKIamLi1EEEvNS_4cuda6detail10TensorInfoIKT_T0_EES8_S8_bjS8_NS5_IS6_S8_EES8_NS5_IlS8_EES8_jjPS6_PjSD_j.has_recursion, 0
	.set _ZN2at6native6mbtopk10gatherTopKIamLi1EEEvNS_4cuda6detail10TensorInfoIKT_T0_EES8_S8_bjS8_NS5_IS6_S8_EES8_NS5_IlS8_EES8_jjPS6_PjSD_j.has_indirect_call, 0
	.section	.AMDGPU.csdata,"",@progbits
; Kernel info:
; codeLenInByte = 2156
; TotalNumSgprs: 48
; NumVgprs: 23
; ScratchSize: 0
; MemoryBound: 0
; FloatMode: 240
; IeeeMode: 1
; LDSByteSize: 1068 bytes/workgroup (compile time only)
; SGPRBlocks: 5
; VGPRBlocks: 5
; NumSGPRsForWavesPerEU: 48
; NumVGPRsForWavesPerEU: 23
; Occupancy: 10
; WaveLimiterHint : 1
; COMPUTE_PGM_RSRC2:SCRATCH_EN: 0
; COMPUTE_PGM_RSRC2:USER_SGPR: 6
; COMPUTE_PGM_RSRC2:TRAP_HANDLER: 0
; COMPUTE_PGM_RSRC2:TGID_X_EN: 1
; COMPUTE_PGM_RSRC2:TGID_Y_EN: 1
; COMPUTE_PGM_RSRC2:TGID_Z_EN: 1
; COMPUTE_PGM_RSRC2:TIDIG_COMP_CNT: 0
	.section	.text._ZN2at6native6sbtopk10gatherTopKIamLi1ELb0EEEvNS_4cuda6detail10TensorInfoIKT_T0_EES8_S8_bS8_S8_NS5_IS6_S8_EES8_NS5_IlS8_EES8_PS6_,"axG",@progbits,_ZN2at6native6sbtopk10gatherTopKIamLi1ELb0EEEvNS_4cuda6detail10TensorInfoIKT_T0_EES8_S8_bS8_S8_NS5_IS6_S8_EES8_NS5_IlS8_EES8_PS6_,comdat
	.protected	_ZN2at6native6sbtopk10gatherTopKIamLi1ELb0EEEvNS_4cuda6detail10TensorInfoIKT_T0_EES8_S8_bS8_S8_NS5_IS6_S8_EES8_NS5_IlS8_EES8_PS6_ ; -- Begin function _ZN2at6native6sbtopk10gatherTopKIamLi1ELb0EEEvNS_4cuda6detail10TensorInfoIKT_T0_EES8_S8_bS8_S8_NS5_IS6_S8_EES8_NS5_IlS8_EES8_PS6_
	.globl	_ZN2at6native6sbtopk10gatherTopKIamLi1ELb0EEEvNS_4cuda6detail10TensorInfoIKT_T0_EES8_S8_bS8_S8_NS5_IS6_S8_EES8_NS5_IlS8_EES8_PS6_
	.p2align	8
	.type	_ZN2at6native6sbtopk10gatherTopKIamLi1ELb0EEEvNS_4cuda6detail10TensorInfoIKT_T0_EES8_S8_bS8_S8_NS5_IS6_S8_EES8_NS5_IlS8_EES8_PS6_,@function
_ZN2at6native6sbtopk10gatherTopKIamLi1ELb0EEEvNS_4cuda6detail10TensorInfoIKT_T0_EES8_S8_bS8_S8_NS5_IS6_S8_EES8_NS5_IlS8_EES8_PS6_: ; @_ZN2at6native6sbtopk10gatherTopKIamLi1ELb0EEEvNS_4cuda6detail10TensorInfoIKT_T0_EES8_S8_bS8_S8_NS5_IS6_S8_EES8_NS5_IlS8_EES8_PS6_
; %bb.0:
	s_load_dwordx2 s[14:15], s[4:5], 0x520
	s_load_dwordx4 s[24:27], s[4:5], 0x1b8
	s_add_u32 s10, s4, 0x520
	s_addc_u32 s11, s5, 0
	s_mov_b32 s17, 0
	s_waitcnt lgkmcnt(0)
	s_mul_i32 s0, s15, s8
	s_add_i32 s0, s0, s7
	s_mul_i32 s0, s0, s14
	s_add_i32 s16, s0, s6
	v_mov_b32_e32 v1, s16
	v_mov_b32_e32 v2, s17
	v_cmp_le_u64_e32 vcc, s[24:25], v[1:2]
	s_cbranch_vccnz .LBB132_474
; %bb.1:
	s_load_dwordx2 s[0:1], s[4:5], 0x440
                                        ; implicit-def: $vgpr54 : SGPR spill to VGPR lane
	v_cmp_eq_u32_e64 s[12:13], 0, v0
	s_waitcnt lgkmcnt(0)
	v_writelane_b32 v54, s0, 0
	v_writelane_b32 v54, s1, 1
	s_load_dwordx2 s[0:1], s[4:5], 0x370
	s_waitcnt lgkmcnt(0)
	v_writelane_b32 v54, s0, 2
	v_writelane_b32 v54, s1, 3
	s_load_dwordx2 s[0:1], s[4:5], 0x298
	s_waitcnt lgkmcnt(0)
	v_writelane_b32 v54, s0, 4
	v_writelane_b32 v54, s1, 5
	s_load_dwordx4 s[28:31], s[4:5], 0x1a0
	s_load_dwordx2 s[0:1], s[4:5], 0x1c8
	s_waitcnt lgkmcnt(0)
	v_writelane_b32 v54, s0, 6
	v_writelane_b32 v54, s1, 7
	s_load_dwordx2 s[0:1], s[4:5], 0xd0
	s_load_dwordx2 s[8:9], s[4:5], 0x0
	s_mov_b64 s[2:3], exec
	v_writelane_b32 v54, s12, 8
	v_writelane_b32 v54, s13, 9
	s_and_b64 s[12:13], s[2:3], s[12:13]
	s_mov_b64 exec, s[12:13]
	s_cbranch_execz .LBB132_3
; %bb.2:
	v_mov_b32_e32 v1, 0
	v_mov_b32_e32 v3, s28
	;; [unrolled: 1-line block ×4, first 2 shown]
	ds_write_b32 v1, v1 offset:5144
	ds_write_b128 v1, v[1:4] offset:5120
.LBB132_3:
	s_or_b64 exec, exec, s[2:3]
	s_mov_b32 s12, s16
	s_waitcnt lgkmcnt(0)
	s_mul_i32 s1, s1, s16
	s_mul_hi_u32 s2, s0, s16
	v_writelane_b32 v54, s12, 10
	s_add_i32 s2, s2, s1
	v_writelane_b32 v54, s13, 11
	s_mul_i32 s0, s0, s16
	v_writelane_b32 v54, s0, 12
	s_add_u32 s46, s8, s0
	v_mad_u64_u32 v[4:5], s[0:1], s26, v0, 0
	v_mov_b32_e32 v1, 0xc00
	v_mov_b32_e32 v2, 0
	;; [unrolled: 1-line block ×3, first 2 shown]
	v_mad_u64_u32 v[6:7], s[0:1], s27, v0, v[3:4]
	s_addc_u32 s47, s9, s2
	v_cmp_gt_u64_e64 s[0:1], s[28:29], v[1:2]
	v_writelane_b32 v54, s2, 13
	v_mov_b32_e32 v1, s47
	v_add_co_u32_e32 v12, vcc, s46, v4
	v_lshlrev_b32_e32 v14, 2, v0
	v_writelane_b32 v54, s0, 14
	v_mov_b32_e32 v5, v6
	v_addc_co_u32_e32 v13, vcc, v1, v6, vcc
	v_or_b32_e32 v6, 3, v14
	v_mbcnt_lo_u32_b32 v8, -1, 0
	v_writelane_b32 v54, s1, 15
	v_mad_u64_u32 v[16:17], s[0:1], s26, v6, 0
	v_or_b32_e32 v7, 2, v14
	v_mbcnt_hi_u32_b32 v31, -1, v8
	v_mad_u64_u32 v[18:19], s[0:1], s26, v7, 0
	v_lshlrev_b64 v[1:2], v31, -1
	v_mov_b32_e32 v3, 0
	v_not_b32_e32 v28, v2
	v_not_b32_e32 v29, v1
	v_add_u32_e32 v2, 2, v0
	v_mov_b32_e32 v1, v17
	v_mad_u64_u32 v[8:9], s[0:1], s27, v6, v[1:2]
	v_mov_b32_e32 v1, v19
	v_mad_u64_u32 v[9:10], s[0:1], s27, v7, v[1:2]
	v_mov_b32_e32 v6, s26
	v_mov_b32_e32 v7, s27
	v_mad_u64_u32 v[19:20], s[0:1], s26, v14, v[6:7]
	v_cmp_gt_u64_e32 vcc, s[28:29], v[2:3]
	v_mov_b32_e32 v1, s29
	v_cndmask_b32_e32 v10, 0, v1, vcc
	v_mov_b32_e32 v1, s28
	v_cndmask_b32_e32 v6, v2, v1, vcc
	v_mov_b32_e32 v1, v20
	v_mad_u64_u32 v[1:2], s[0:1], s27, v14, v[1:2]
	v_writelane_b32 v54, s4, 16
	s_load_dword s0, s[4:5], 0x1b0
	v_not_b32_e32 v7, v0
	v_writelane_b32 v54, s5, 17
	v_add_co_u32_e32 v6, vcc, v6, v7
	s_waitcnt lgkmcnt(0)
	s_bitcmp1_b32 s0, 0
	s_cselect_b64 s[0:1], -1, 0
	v_writelane_b32 v54, s0, 18
	v_addc_co_u32_e32 v7, vcc, -1, v10, vcc
	v_writelane_b32 v54, s1, 19
	s_xor_b64 s[0:1], s[0:1], -1
	v_writelane_b32 v54, s0, 20
	v_cmp_gt_u32_e32 vcc, 64, v0
	v_cmp_gt_i32_e64 s[2:3], 4, v31
	v_writelane_b32 v54, s1, 21
	s_and_b64 s[2:3], vcc, s[2:3]
	v_mov_b32_e32 v34, v1
	v_writelane_b32 v54, s2, 22
	v_mov_b32_e32 v1, v3
	v_writelane_b32 v54, s3, 23
	v_cmp_gt_u64_e64 s[2:3], s[28:29], v[0:1]
	v_writelane_b32 v54, s2, 24
	s_barrier
	v_writelane_b32 v54, s3, 25
	s_load_dword s2, s[10:11], 0xc
	v_cmp_gt_u32_e64 s[4:5], 2, v0
	v_writelane_b32 v54, s4, 26
	v_writelane_b32 v54, s5, 27
	v_and_b32_e32 v20, -4, v6
	s_waitcnt lgkmcnt(0)
	s_and_b32 s33, s2, 0xffff
	s_bfe_u32 s2, s2, 0xa0006
	s_cmp_gt_u32 s33, 63
	s_cselect_b64 s[4:5], -1, 0
	v_writelane_b32 v54, s4, 28
	s_add_u32 s3, s33, -1
	v_writelane_b32 v54, s5, 29
	s_addc_u32 s4, 0, -1
	v_writelane_b32 v54, s3, 30
	s_add_u32 s3, s3, s28
	v_writelane_b32 v54, s3, 31
	v_writelane_b32 v54, s4, 32
	s_addc_u32 s3, s4, s29
	v_writelane_b32 v54, s2, 33
	s_cmp_lt_u32 s6, s14
	v_writelane_b32 v54, s3, 34
	s_cselect_b32 s3, 12, 18
	s_add_u32 s4, s10, s3
	s_addc_u32 s5, s11, 0
	v_writelane_b32 v54, s4, 35
	v_writelane_b32 v54, s5, 36
	v_cmp_lt_u64_e64 s[4:5], 3, v[6:7]
	s_mov_b32 s3, s26
	v_writelane_b32 v54, s4, 37
	v_writelane_b32 v54, s5, 38
	;; [unrolled: 1-line block ×3, first 2 shown]
	s_mov_b32 s3, s27
	v_writelane_b32 v54, s3, 40
	s_add_i32 s3, s2, -1
	s_bfe_u32 s4, s33, 0x30006
	s_and_b32 s3, s3, 0xffff
	s_cmp_gt_u32 s3, 6
	s_cselect_b64 s[6:7], -1, 0
	v_writelane_b32 v54, s6, 41
	s_and_b32 s52, s2, 0x3f8
	v_writelane_b32 v54, s7, 42
	s_cmp_lg_u32 s4, 0
	v_writelane_b32 v54, s4, 43
	s_cselect_b64 s[2:3], -1, 0
	v_writelane_b32 v54, s2, 44
	v_writelane_b32 v54, s3, 45
	s_mul_i32 s2, s27, s33
	s_mul_hi_u32 s3, s26, s33
	s_add_i32 s2, s3, s2
	v_mov_b32_e32 v21, v7
	v_writelane_b32 v54, s2, 46
	s_mov_b32 s2, 0
	v_lshlrev_b32_e32 v2, 2, v31
	v_writelane_b32 v54, s2, 47
	v_cmp_ne_u64_e64 s[2:3], v[6:7], v[20:21]
	v_and_b32_e32 v30, 0x100, v2
	v_lshrrev_b32_e32 v2, 1, v0
	v_and_b32_e32 v2, 0x1e0, v2
	v_writelane_b32 v54, s2, 48
	v_or_b32_e32 v35, 0xc00, v2
	s_mov_b32 s50, s26
	v_lshlrev_b64 v[22:23], 2, v[4:5]
	v_mov_b32_e32 v2, 0xc00
	v_mov_b32_e32 v24, s30
	v_writelane_b32 v54, s3, 49
	v_mov_b32_e32 v32, v8
	v_mov_b32_e32 v33, v9
	s_mov_b32 s51, 0
	v_cmp_eq_u32_e64 s[0:1], 0, v31
	v_mov_b32_e32 v15, v3
	s_mov_b32 s48, s27
	s_mov_b32 s57, s26
	s_mov_b32 s12, s27
	s_mov_b32 s53, 6
	s_lshl_b64 s[64:65], s[26:27], 2
	v_lshl_or_b32 v36, v31, 3, v2
	s_mul_i32 s56, s26, s33
	s_mov_b64 s[66:67], 0
	s_movk_i32 s58, 0x80
	v_mov_b32_e32 v38, 0x4f800000
	v_mov_b32_e32 v39, 8
	;; [unrolled: 1-line block ×3, first 2 shown]
	v_add_co_u32_e32 v17, vcc, v20, v0
	v_mov_b32_e32 v25, s31
	v_mov_b32_e32 v37, 0
	;; [unrolled: 1-line block ×3, first 2 shown]
	v_writelane_b32 v54, s50, 50
                                        ; implicit-def: $sgpr68_sgpr69
                                        ; implicit-def: $sgpr70_sgpr71
                                        ; implicit-def: $sgpr74_sgpr75
                                        ; implicit-def: $sgpr76_sgpr77
                                        ; implicit-def: $sgpr72_sgpr73
                                        ; implicit-def: $sgpr78_sgpr79
                                        ; implicit-def: $sgpr80_sgpr81
                                        ; implicit-def: $sgpr82_sgpr83
                                        ; implicit-def: $sgpr84_sgpr85
                                        ; implicit-def: $sgpr86_sgpr87
	v_writelane_b32 v54, s12, 51
	s_branch .LBB132_6
.LBB132_4:                              ;   in Loop: Header=BB132_6 Depth=1
	s_or_b64 exec, exec, s[8:9]
	s_andn2_b64 s[8:9], s[86:87], exec
	s_and_b64 s[6:7], s[6:7], exec
	v_mov_b32_e32 v25, v5
	s_or_b64 s[86:87], s[8:9], s[6:7]
	s_andn2_b64 s[84:85], s[84:85], exec
	s_andn2_b64 s[82:83], s[82:83], exec
	;; [unrolled: 1-line block ×4, first 2 shown]
	s_orn2_b64 s[4:5], s[4:5], exec
	v_mov_b32_e32 v24, v4
.LBB132_5:                              ;   in Loop: Header=BB132_6 Depth=1
	s_or_b64 exec, exec, s[2:3]
	s_and_b64 s[2:3], exec, s[4:5]
	s_or_b64 s[66:67], s[2:3], s[66:67]
	s_andn2_b64 s[2:3], s[72:73], exec
	s_and_b64 s[4:5], s[86:87], exec
	s_or_b64 s[72:73], s[2:3], s[4:5]
	s_andn2_b64 s[2:3], s[76:77], exec
	s_and_b64 s[4:5], s[84:85], exec
	;; [unrolled: 3-line block ×5, first 2 shown]
	s_or_b64 s[68:69], s[2:3], s[4:5]
	s_andn2_b64 exec, exec, s[66:67]
	s_cbranch_execz .LBB132_470
.LBB132_6:                              ; =>This Loop Header: Depth=1
                                        ;     Child Loop BB132_11 Depth 2
                                        ;     Child Loop BB132_25 Depth 2
                                        ;     Child Loop BB132_29 Depth 2
                                        ;     Child Loop BB132_44 Depth 2
                                        ;     Child Loop BB132_49 Depth 2
                                        ;     Child Loop BB132_56 Depth 2
                                        ;     Child Loop BB132_60 Depth 2
                                        ;     Child Loop BB132_69 Depth 2
                                        ;     Child Loop BB132_75 Depth 2
                                        ;     Child Loop BB132_89 Depth 2
                                        ;     Child Loop BB132_106 Depth 2
                                        ;     Child Loop BB132_135 Depth 2
                                        ;     Child Loop BB132_151 Depth 2
                                        ;     Child Loop BB132_180 Depth 2
                                        ;     Child Loop BB132_196 Depth 2
                                        ;     Child Loop BB132_229 Depth 2
                                        ;     Child Loop BB132_246 Depth 2
                                        ;     Child Loop BB132_285 Depth 2
                                        ;     Child Loop BB132_300 Depth 2
                                        ;     Child Loop BB132_329 Depth 2
                                        ;     Child Loop BB132_345 Depth 2
                                        ;     Child Loop BB132_374 Depth 2
                                        ;     Child Loop BB132_390 Depth 2
                                        ;     Child Loop BB132_423 Depth 2
                                        ;     Child Loop BB132_439 Depth 2
	ds_read_b128 v[4:7], v3 offset:5120
	s_waitcnt lgkmcnt(0)
	v_readfirstlane_b32 s39, v5
	v_readfirstlane_b32 s38, v4
	s_cmp_lg_u64 s[38:39], 0
	s_cbranch_scc1 .LBB132_38
; %bb.7:                                ;   in Loop: Header=BB132_6 Depth=1
	v_readlane_b32 s2, v54, 14
	v_readlane_b32 s3, v54, 15
	s_and_b64 vcc, exec, s[2:3]
	s_cbranch_vccz .LBB132_19
; %bb.8:                                ;   in Loop: Header=BB132_6 Depth=1
	s_mov_b64 s[2:3], 0xc01
	v_cmp_gt_u64_e32 vcc, s[2:3], v[6:7]
	s_mov_b64 s[2:3], 0
	s_and_b64 vcc, exec, vcc
	s_mov_b64 s[4:5], 0
	s_mov_b32 s17, s48
	s_mov_b32 s20, s57
	v_readlane_b32 s21, v54, 51
	s_cbranch_vccz .LBB132_20
; %bb.9:                                ;   in Loop: Header=BB132_6 Depth=1
	v_readlane_b32 s4, v54, 35
	v_readlane_b32 s5, v54, 36
	s_nop 4
	global_load_ushort v6, v3, s[4:5]
	global_load_ubyte v2, v[12:13], off
	v_mov_b32_e32 v4, s46
	v_mov_b32_e32 v5, s47
	s_mov_b64 s[8:9], 0
	s_waitcnt vmcnt(1)
	v_and_b32_e32 v8, 0xffff, v6
	v_readfirstlane_b32 s6, v6
	v_add_co_u32_e32 v6, vcc, v0, v8
	v_addc_co_u32_e64 v7, s[4:5], 0, 0, vcc
	v_mul_lo_u32 v7, s26, v7
	v_mul_lo_u32 v9, s27, v6
	v_mad_u64_u32 v[4:5], s[4:5], s26, v6, v[4:5]
	s_and_b32 s6, 0xffff, s6
	s_mul_i32 s4, s27, s6
	s_mul_hi_u32 s5, s26, s6
	v_add3_u32 v5, v9, v5, v7
	v_mov_b32_e32 v7, v1
	s_mul_i32 s14, s26, s6
	s_add_i32 s15, s5, s4
	v_mov_b32_e32 v6, v0
	s_branch .LBB132_11
.LBB132_10:                             ;   in Loop: Header=BB132_11 Depth=2
	s_or_b64 exec, exec, s[4:5]
	v_mov_b32_e32 v2, s15
	v_add_co_u32_e32 v4, vcc, s14, v4
	v_addc_co_u32_e32 v5, vcc, v5, v2, vcc
	v_mov_b32_e32 v2, v9
	s_andn2_b64 exec, exec, s[8:9]
	s_cbranch_execz .LBB132_93
.LBB132_11:                             ;   Parent Loop BB132_6 Depth=1
                                        ; =>  This Inner Loop Header: Depth=2
	v_add_co_u32_e32 v6, vcc, v6, v8
	v_addc_co_u32_e32 v7, vcc, 0, v7, vcc
	v_cmp_gt_u64_e64 s[6:7], s[28:29], v[6:7]
	v_cmp_le_u64_e32 vcc, s[28:29], v[6:7]
	s_waitcnt lgkmcnt(0)
	v_mov_b32_e32 v10, 0
	v_mov_b32_e32 v9, 0
	s_and_saveexec_b64 s[4:5], s[6:7]
	s_cbranch_execz .LBB132_13
; %bb.12:                               ;   in Loop: Header=BB132_11 Depth=2
	global_load_ubyte v9, v[4:5], off
.LBB132_13:                             ;   in Loop: Header=BB132_11 Depth=2
	s_or_b64 exec, exec, s[4:5]
	s_waitcnt vmcnt(0)
	v_add_u32_sdwa v11, sext(v2), s58 dst_sel:DWORD dst_unused:UNUSED_PAD src0_sel:BYTE_0 src1_sel:DWORD
	v_and_b32_e32 v11, v11, v40
	v_cmp_eq_u32_e64 s[18:19], v11, v37
	s_cmp_lg_u64 s[18:19], 0
	s_cselect_b64 s[4:5], -1, 0
	s_and_b64 s[6:7], s[0:1], s[4:5]
	s_and_saveexec_b64 s[4:5], s[6:7]
	s_cbranch_execz .LBB132_17
; %bb.14:                               ;   in Loop: Header=BB132_11 Depth=2
	s_mov_b64 s[12:13], exec
	v_mbcnt_lo_u32_b32 v10, s12, 0
	v_mbcnt_hi_u32_b32 v10, s13, v10
	s_bcnt1_i32_b64 s16, s[18:19]
	v_cmp_eq_u32_e64 s[6:7], 0, v10
                                        ; implicit-def: $vgpr11
	s_and_saveexec_b64 s[10:11], s[6:7]
; %bb.15:                               ;   in Loop: Header=BB132_11 Depth=2
	s_bcnt1_i32_b64 s6, s[12:13]
	s_mul_i32 s6, s16, s6
	v_mov_b32_e32 v11, s6
	ds_add_rtn_u32 v11, v3, v11 offset:5144
; %bb.16:                               ;   in Loop: Header=BB132_11 Depth=2
	s_or_b64 exec, exec, s[10:11]
	s_waitcnt lgkmcnt(0)
	v_readfirstlane_b32 s6, v11
	v_mov_b32_e32 v11, s6
	v_mad_u32_u24 v10, s16, v10, v11
.LBB132_17:                             ;   in Loop: Header=BB132_11 Depth=2
	s_or_b64 exec, exec, s[4:5]
	ds_bpermute_b32 v10, v30, v10
	s_and_b64 s[4:5], exec, vcc
	s_or_b64 s[8:9], s[4:5], s[8:9]
	s_and_saveexec_b64 s[4:5], s[18:19]
	s_cbranch_execz .LBB132_10
; %bb.18:                               ;   in Loop: Header=BB132_11 Depth=2
	v_and_b32_e32 v26, s18, v29
	v_and_b32_e32 v11, s19, v28
	v_bcnt_u32_b32 v26, v26, 0
	v_bcnt_u32_b32 v11, v11, v26
	s_waitcnt lgkmcnt(0)
	v_add_u32_e32 v10, v10, v11
	ds_write_b8 v10, v2
	s_branch .LBB132_10
.LBB132_19:                             ;   in Loop: Header=BB132_6 Depth=1
	s_mov_b64 s[2:3], -1
	s_mov_b64 s[4:5], 0
	s_mov_b32 s17, s48
	s_mov_b32 s20, s57
	v_readlane_b32 s21, v54, 51
.LBB132_20:                             ;   in Loop: Header=BB132_6 Depth=1
	s_and_b64 vcc, exec, s[2:3]
	s_cbranch_vccz .LBB132_36
.LBB132_21:                             ;   in Loop: Header=BB132_6 Depth=1
	s_mov_b64 s[2:3], exec
	v_readlane_b32 s4, v54, 24
	v_readlane_b32 s5, v54, 25
	s_and_b64 s[4:5], s[2:3], s[4:5]
	s_mov_b64 exec, s[4:5]
	s_cbranch_execz .LBB132_33
; %bb.22:                               ;   in Loop: Header=BB132_6 Depth=1
	v_readlane_b32 s4, v54, 35
	v_readlane_b32 s5, v54, 36
	s_nop 4
	global_load_ushort v2, v3, s[4:5]
	global_load_ubyte v42, v[12:13], off
	v_mov_b32_e32 v6, v0
	s_waitcnt vmcnt(1)
	v_readfirstlane_b32 s4, v2
	v_add_u32_sdwa v2, v2, v0 dst_sel:DWORD dst_unused:UNUSED_PAD src0_sel:WORD_0 src1_sel:DWORD
	v_cmp_gt_u64_e32 vcc, s[28:29], v[2:3]
	s_and_saveexec_b64 s[8:9], vcc
	s_cbranch_execz .LBB132_32
; %bb.23:                               ;   in Loop: Header=BB132_6 Depth=1
	s_and_b32 s12, s4, 0xffff
	s_cmp_eq_u32 s12, 1
	v_readlane_b32 s6, v54, 37
                                        ; implicit-def: $vgpr6_vgpr7
	s_cselect_b64 s[4:5], -1, 0
	v_readlane_b32 s7, v54, 38
	v_mov_b32_e32 v8, v1
	v_mov_b32_e32 v5, v3
	s_and_b64 s[4:5], s[6:7], s[4:5]
	s_mov_b64 s[10:11], -1
	v_mov_b32_e32 v7, v0
	v_mov_b32_e32 v4, v2
	s_and_saveexec_b64 s[6:7], s[4:5]
	s_cbranch_execz .LBB132_27
; %bb.24:                               ;   in Loop: Header=BB132_6 Depth=1
	v_add_co_u32_e32 v8, vcc, 3, v2
	v_addc_co_u32_e64 v9, s[4:5], 0, 0, vcc
	v_add_co_u32_e32 v6, vcc, 2, v2
	v_addc_co_u32_e64 v7, s[4:5], 0, 0, vcc
	;; [unrolled: 2-line block ×3, first 2 shown]
	v_mov_b32_e32 v27, v21
	v_mov_b32_e32 v11, v9
	s_waitcnt vmcnt(0)
	v_lshlrev_b32_e32 v44, 24, v42
	s_mov_b64 s[10:11], 0
	v_mov_b32_e32 v26, v20
	v_mov_b32_e32 v43, v0
	;; [unrolled: 1-line block ×9, first 2 shown]
	v_readlane_b32 s13, v54, 39
	v_readlane_b32 s14, v54, 40
	s_mov_b32 s15, 0xc0c0004
.LBB132_25:                             ;   Parent Loop BB132_6 Depth=1
                                        ; =>  This Inner Loop Header: Depth=2
	v_mul_lo_u32 v42, v9, s20
	v_mul_lo_u32 v47, v8, s21
	v_mad_u64_u32 v[45:46], s[4:5], v8, s20, 0
	v_mul_lo_u32 v48, v7, s26
	v_mul_lo_u32 v49, v6, s27
	v_add3_u32 v42, v46, v47, v42
	v_mad_u64_u32 v[46:47], s[4:5], v6, s26, 0
	v_mul_lo_u32 v51, v4, s17
	v_mul_lo_u32 v53, v11, s13
	v_add3_u32 v50, v47, v49, v48
	v_mul_lo_u32 v49, v5, s50
	v_mad_u64_u32 v[47:48], s[4:5], v4, s50, 0
	v_add3_u32 v48, v48, v51, v49
	v_add_co_u32_e32 v47, vcc, s46, v47
	v_mov_b32_e32 v51, s47
	v_addc_co_u32_e32 v48, vcc, v51, v48, vcc
	v_add_co_u32_e32 v49, vcc, s46, v46
	v_addc_co_u32_e32 v50, vcc, v51, v50, vcc
	v_add_co_u32_e32 v45, vcc, s46, v45
	v_addc_co_u32_e32 v46, vcc, v51, v42, vcc
	v_mov_b32_e32 v52, s47
	v_mov_b32_e32 v51, s46
	v_mad_u64_u32 v[51:52], s[4:5], v10, s13, v[51:52]
	v_mul_lo_u32 v42, v10, s14
	v_add_co_u32_e32 v10, vcc, 4, v10
	v_addc_co_u32_e32 v11, vcc, 0, v11, vcc
	v_add3_u32 v52, v53, v52, v42
	global_load_ubyte v42, v[51:52], off
	s_nop 0
	global_load_ubyte v49, v[49:50], off
	s_nop 0
	global_load_ubyte v47, v[47:48], off
	v_add_co_u32_e32 v8, vcc, 4, v8
	global_load_ubyte v45, v[45:46], off
	v_addc_co_u32_e32 v9, vcc, 0, v9, vcc
	v_add_co_u32_e32 v6, vcc, 4, v6
	v_addc_co_u32_e32 v7, vcc, 0, v7, vcc
	v_add_co_u32_e32 v4, vcc, 4, v4
	v_addc_co_u32_e32 v5, vcc, 0, v5, vcc
	v_add_co_u32_e32 v26, vcc, -4, v26
	s_mov_b32 s4, 0xc0c0007
	v_addc_co_u32_e32 v27, vcc, -1, v27, vcc
	v_cmp_eq_u64_e32 vcc, 0, v[26:27]
	s_or_b64 s[10:11], vcc, s[10:11]
	s_waitcnt vmcnt(1)
	v_perm_b32 v48, v47, v49, s15
	v_perm_b32 v44, v44, v47, s4
	s_waitcnt vmcnt(0)
	v_perm_b32 v46, v45, v42, s15
	v_perm_b32 v45, v49, v45, s15
	v_lshl_or_b32 v46, v46, 16, v48
	v_lshl_or_b32 v44, v45, 16, v44
	ds_write_b32 v43, v44
	v_add_u32_e32 v43, 4, v43
	v_mov_b32_e32 v44, v46
	s_andn2_b64 exec, exec, s[10:11]
	s_cbranch_execnz .LBB132_25
; %bb.26:                               ;   in Loop: Header=BB132_6 Depth=1
	s_or_b64 exec, exec, s[10:11]
	v_readlane_b32 s4, v54, 48
	v_add_co_u32_e32 v4, vcc, v2, v20
	v_readlane_b32 s5, v54, 49
	v_addc_co_u32_e32 v5, vcc, 0, v21, vcc
	v_add_co_u32_e32 v6, vcc, -1, v4
	s_orn2_b64 s[10:11], s[4:5], exec
	v_mov_b32_e32 v7, v17
	v_mov_b32_e32 v8, v18
.LBB132_27:                             ;   in Loop: Header=BB132_6 Depth=1
	s_or_b64 exec, exec, s[6:7]
	s_and_saveexec_b64 s[4:5], s[10:11]
	s_cbranch_execz .LBB132_31
; %bb.28:                               ;   in Loop: Header=BB132_6 Depth=1
	v_mov_b32_e32 v8, s46
	v_mov_b32_e32 v9, s47
	v_mad_u64_u32 v[9:10], s[6:7], s26, v4, v[8:9]
	v_mul_lo_u32 v2, s26, v5
	v_mul_lo_u32 v6, s27, v4
	s_mul_i32 s6, s27, s12
	s_mul_hi_u32 s7, s26, s12
	s_mov_b64 s[10:11], 0
	s_sub_u32 s13, 0, s12
	v_add3_u32 v10, v6, v10, v2
	s_add_i32 s14, s7, s6
.LBB132_29:                             ;   Parent Loop BB132_6 Depth=1
                                        ; =>  This Inner Loop Header: Depth=2
	global_load_ubyte v2, v[9:10], off
	v_mov_b32_e32 v27, v5
	v_mov_b32_e32 v26, v4
	v_add_co_u32_e32 v4, vcc, s12, v26
	s_mul_i32 s6, s26, s12
	v_addc_co_u32_e32 v5, vcc, 0, v27, vcc
	v_mov_b32_e32 v6, s14
	v_add_co_u32_e32 v9, vcc, s6, v9
	v_addc_co_u32_e32 v10, vcc, v10, v6, vcc
	v_cmp_le_u64_e32 vcc, s[28:29], v[4:5]
	s_waitcnt vmcnt(1)
	ds_write_b8 v7, v42
	v_mov_b32_e32 v7, v26
	v_add_co_u32_e64 v6, s[6:7], s13, v4
	s_or_b64 s[10:11], vcc, s[10:11]
	v_mov_b32_e32 v8, v27
	s_waitcnt vmcnt(0)
	v_mov_b32_e32 v42, v2
	s_andn2_b64 exec, exec, s[10:11]
	s_cbranch_execnz .LBB132_29
; %bb.30:                               ;   in Loop: Header=BB132_6 Depth=1
	s_or_b64 exec, exec, s[10:11]
	v_mov_b32_e32 v42, v2
.LBB132_31:                             ;   in Loop: Header=BB132_6 Depth=1
	s_or_b64 exec, exec, s[4:5]
.LBB132_32:                             ;   in Loop: Header=BB132_6 Depth=1
	s_or_b64 exec, exec, s[8:9]
	s_waitcnt vmcnt(0)
	ds_write_b8 v6, v42
.LBB132_33:                             ;   in Loop: Header=BB132_6 Depth=1
	s_or_b64 exec, exec, s[2:3]
	s_waitcnt lgkmcnt(0)
	s_barrier
	s_mov_b64 s[2:3], exec
	v_readlane_b32 s4, v54, 8
	v_readlane_b32 s5, v54, 9
	s_and_b64 s[4:5], s[2:3], s[4:5]
	s_mov_b64 exec, s[4:5]
; %bb.34:                               ;   in Loop: Header=BB132_6 Depth=1
	v_mov_b32_e32 v4, s28
	v_mov_b32_e32 v5, s29
	ds_write_b64 v3, v[4:5] offset:5120
; %bb.35:                               ;   in Loop: Header=BB132_6 Depth=1
	s_or_b64 exec, exec, s[2:3]
	s_mov_b64 s[4:5], -1
	s_waitcnt lgkmcnt(0)
	s_barrier
.LBB132_36:                             ;   in Loop: Header=BB132_6 Depth=1
	s_mov_b64 s[38:39], 0
	s_and_b64 vcc, exec, s[4:5]
	s_cbranch_vccz .LBB132_38
; %bb.37:                               ;   in Loop: Header=BB132_6 Depth=1
	ds_read_b64 v[4:5], v3 offset:5120
	s_waitcnt lgkmcnt(0)
	v_readfirstlane_b32 s38, v4
.LBB132_38:                             ;   in Loop: Header=BB132_6 Depth=1
	s_cmp_lt_i32 s38, 1
	s_mov_b64 s[2:3], -1
                                        ; implicit-def: $vgpr10_vgpr11
                                        ; implicit-def: $vgpr6_vgpr7
	s_cbranch_scc0 .LBB132_53
; %bb.39:                               ;   in Loop: Header=BB132_6 Depth=1
	v_readlane_b32 s2, v54, 35
	v_readlane_b32 s3, v54, 36
	s_nop 4
	global_load_ushort v2, v3, s[2:3]
	s_mov_b32 s2, s51
	s_waitcnt vmcnt(0)
	v_readfirstlane_b32 s3, v2
	s_and_b32 s10, s3, 0xffff
	s_lshl_b32 s8, s10, 2
	s_mov_b32 s3, s29
	s_cmp_lg_u64 s[2:3], 0
	s_cbranch_scc0 .LBB132_71
; %bb.40:                               ;   in Loop: Header=BB132_6 Depth=1
	v_cvt_f32_u32_e32 v2, s8
	s_sub_u32 s4, 0, s8
	s_subb_u32 s5, 0, 0
	v_mac_f32_e32 v2, 0, v38
	v_rcp_f32_e32 v2, v2
	v_mul_f32_e32 v2, 0x5f7ffffc, v2
	v_mul_f32_e32 v4, 0x2f800000, v2
	v_trunc_f32_e32 v4, v4
	v_mac_f32_e32 v2, 0xcf800000, v4
	v_cvt_u32_f32_e32 v4, v4
	v_cvt_u32_f32_e32 v2, v2
	v_readfirstlane_b32 s6, v4
	v_readfirstlane_b32 s2, v2
	s_mul_i32 s3, s4, s6
	s_mul_hi_u32 s9, s4, s2
	s_mul_i32 s7, s5, s2
	s_add_i32 s3, s9, s3
	s_mul_i32 s11, s4, s2
	s_add_i32 s3, s3, s7
	s_mul_hi_u32 s9, s2, s11
	s_mul_i32 s12, s2, s3
	s_mul_hi_u32 s7, s2, s3
	s_add_u32 s9, s9, s12
	s_addc_u32 s7, 0, s7
	s_mul_hi_u32 s13, s6, s11
	s_mul_i32 s11, s6, s11
	s_add_u32 s9, s9, s11
	s_mul_hi_u32 s12, s6, s3
	s_addc_u32 s7, s7, s13
	s_addc_u32 s9, s12, 0
	s_mul_i32 s3, s6, s3
	s_add_u32 s3, s7, s3
	s_addc_u32 s7, 0, s9
	s_add_u32 s9, s2, s3
	s_cselect_b64 s[2:3], -1, 0
	s_cmp_lg_u64 s[2:3], 0
	s_addc_u32 s6, s6, s7
	s_mul_i32 s2, s4, s6
	s_mul_hi_u32 s3, s4, s9
	s_add_i32 s2, s3, s2
	s_mul_i32 s5, s5, s9
	s_add_i32 s2, s2, s5
	s_mul_i32 s4, s4, s9
	s_mul_hi_u32 s5, s6, s4
	s_mul_i32 s7, s6, s4
	s_mul_i32 s12, s9, s2
	s_mul_hi_u32 s4, s9, s4
	s_mul_hi_u32 s11, s9, s2
	s_add_u32 s4, s4, s12
	s_addc_u32 s11, 0, s11
	s_add_u32 s4, s4, s7
	s_mul_hi_u32 s3, s6, s2
	s_addc_u32 s4, s11, s5
	s_addc_u32 s3, s3, 0
	s_mul_i32 s2, s6, s2
	s_add_u32 s2, s4, s2
	s_addc_u32 s4, 0, s3
	s_add_u32 s5, s9, s2
	s_cselect_b64 s[2:3], -1, 0
	s_cmp_lg_u64 s[2:3], 0
	s_addc_u32 s2, s6, s4
	s_mul_i32 s4, s28, s2
	s_mul_hi_u32 s6, s28, s5
	s_mul_hi_u32 s3, s28, s2
	s_add_u32 s4, s6, s4
	s_addc_u32 s3, 0, s3
	s_mul_hi_u32 s7, s29, s5
	s_mul_i32 s5, s29, s5
	s_add_u32 s4, s4, s5
	s_mul_hi_u32 s6, s29, s2
	s_addc_u32 s3, s3, s7
	s_addc_u32 s4, s6, 0
	s_mul_i32 s2, s29, s2
	s_add_u32 s2, s3, s2
	s_addc_u32 s3, 0, s4
	s_mul_i32 s3, s8, s3
	s_mul_hi_u32 s4, s8, s2
	s_add_i32 s4, s4, s3
	s_mul_i32 s2, s8, s2
	s_sub_u32 s5, s28, s2
	s_cselect_b64 s[2:3], -1, 0
	s_cmp_lg_u64 s[2:3], 0
	s_subb_u32 s4, s29, s4
	s_sub_u32 s6, s5, s8
	s_cselect_b64 s[2:3], -1, 0
	s_cmp_lg_u64 s[2:3], 0
	s_subb_u32 s7, s4, 0
	;; [unrolled: 4-line block ×3, first 2 shown]
	s_cmp_ge_u32 s6, s8
	s_cselect_b32 s3, -1, 0
	s_cmp_eq_u32 s7, 0
	s_cselect_b32 s3, s3, -1
	s_cmp_lg_u32 s3, 0
	s_cselect_b32 s2, s2, s7
	s_cselect_b32 s6, s9, s6
	s_cmp_ge_u32 s5, s8
	s_cselect_b32 s3, -1, 0
	s_cmp_eq_u32 s4, 0
	s_cselect_b32 s3, s3, -1
	s_cmp_lg_u32 s3, 0
	s_cselect_b32 s3, s2, s4
	s_cselect_b32 s2, s6, s5
	s_cbranch_execnz .LBB132_42
.LBB132_41:                             ;   in Loop: Header=BB132_6 Depth=1
	v_cvt_f32_u32_e32 v2, s8
	s_sub_i32 s2, 0, s8
	v_rcp_iflag_f32_e32 v2, v2
	v_mul_f32_e32 v2, 0x4f7ffffe, v2
	v_cvt_u32_f32_e32 v2, v2
	v_readfirstlane_b32 s3, v2
	s_mul_i32 s2, s2, s3
	s_mul_hi_u32 s2, s3, s2
	s_add_i32 s3, s3, s2
	s_mul_hi_u32 s2, s28, s3
	s_mul_i32 s2, s2, s8
	s_sub_i32 s2, s28, s2
	s_sub_i32 s3, s2, s8
	s_cmp_ge_u32 s2, s8
	s_cselect_b32 s2, s3, s2
	s_sub_i32 s3, s2, s8
	s_cmp_ge_u32 s2, s8
	s_cselect_b32 s50, s3, s2
	s_mov_b64 s[2:3], s[50:51]
	v_readlane_b32 s50, v54, 50
.LBB132_42:                             ;   in Loop: Header=BB132_6 Depth=1
	s_sub_u32 s2, s28, s2
	s_subb_u32 s3, s29, s3
	v_cmp_gt_u64_e32 vcc, s[2:3], v[14:15]
	v_mov_b32_e32 v4, 0
	v_mov_b32_e32 v6, 0
	;; [unrolled: 1-line block ×8, first 2 shown]
	s_and_saveexec_b64 s[14:15], vcc
	s_cbranch_execz .LBB132_46
; %bb.43:                               ;   in Loop: Header=BB132_6 Depth=1
	s_mul_i32 s4, s65, s10
	s_mul_hi_u32 s5, s64, s10
	v_mov_b32_e32 v27, v15
	s_add_i32 s4, s5, s4
	s_mov_b64 s[16:17], 0
	s_mov_b64 s[20:21], s[46:47]
	;; [unrolled: 1-line block ×6, first 2 shown]
	v_mov_b32_e32 v26, v14
.LBB132_44:                             ;   Parent Loop BB132_6 Depth=1
                                        ; =>  This Inner Loop Header: Depth=2
	v_add_co_u32_e32 v4, vcc, s20, v22
	v_mov_b32_e32 v2, s21
	v_addc_co_u32_e32 v5, vcc, v2, v23, vcc
	global_load_sbyte v6, v[4:5], off
	v_add_co_u32_e32 v4, vcc, s20, v19
	v_addc_co_u32_e32 v5, vcc, v2, v34, vcc
	global_load_sbyte v7, v[4:5], off
	v_add_co_u32_e32 v4, vcc, s20, v18
	;; [unrolled: 3-line block ×3, first 2 shown]
	v_addc_co_u32_e32 v5, vcc, v2, v32, vcc
	global_load_sbyte v2, v[4:5], off
	s_waitcnt vmcnt(3)
	v_add_u32_e32 v4, 0x80, v6
	s_waitcnt vmcnt(2)
	v_add_u32_e32 v5, 0x80, v7
	v_and_b32_e32 v7, v4, v40
	v_bfe_u32 v4, v4, s53, 2
	v_cmp_eq_u32_e32 vcc, v7, v37
	v_and_b32_e32 v7, v5, v40
	s_waitcnt vmcnt(1)
	v_add_u32_e32 v6, 0x80, v8
	v_bfe_u32 v5, v5, s53, 2
	v_cmp_eq_u32_e64 s[24:25], 0, v4
	v_cmp_eq_u32_e64 s[6:7], v7, v37
	v_and_b32_e32 v7, v6, v40
	s_waitcnt vmcnt(0)
	v_add_u32_e32 v2, 0x80, v2
	v_bfe_u32 v6, v6, s53, 2
	s_and_b64 s[12:13], vcc, s[24:25]
	v_cmp_eq_u32_e64 s[24:25], 0, v5
	v_cmp_eq_u32_e64 s[18:19], v7, v37
	v_and_b32_e32 v7, v2, v40
	v_bfe_u32 v2, v2, s53, 2
	s_and_b64 s[36:37], s[6:7], s[24:25]
	v_cmp_eq_u32_e64 s[24:25], 0, v6
	v_cmp_eq_u32_e64 s[22:23], v7, v37
	s_and_b64 s[54:55], s[18:19], s[24:25]
	v_cmp_eq_u32_e64 s[24:25], 0, v2
	v_cndmask_b32_e64 v7, 0, 1, s[12:13]
	s_and_b64 s[60:61], s[22:23], s[24:25]
	v_cmp_ne_u32_e64 s[24:25], 0, v7
	v_cndmask_b32_e64 v7, 0, 1, s[36:37]
	s_bcnt1_i32_b64 s5, s[24:25]
	v_cmp_ne_u32_e64 s[24:25], 0, v7
	v_cndmask_b32_e64 v7, 0, 1, s[54:55]
	s_bcnt1_i32_b64 s9, s[24:25]
	;; [unrolled: 3-line block ×3, first 2 shown]
	v_cmp_ne_u32_e64 s[24:25], 0, v7
	s_bcnt1_i32_b64 s12, s[24:25]
	s_add_u32 s5, s5, s44
	s_addc_u32 s13, 0, s45
	s_add_u32 s5, s5, s9
	s_addc_u32 s9, s13, 0
	;; [unrolled: 2-line block ×3, first 2 shown]
	s_add_u32 s44, s5, s12
	v_cmp_eq_u32_e64 s[24:25], 1, v4
	s_addc_u32 s45, s9, 0
	s_and_b64 s[12:13], vcc, s[24:25]
	v_cmp_eq_u32_e64 s[24:25], 1, v5
	s_and_b64 s[36:37], s[6:7], s[24:25]
	v_cmp_eq_u32_e64 s[24:25], 1, v6
	s_and_b64 s[54:55], s[18:19], s[24:25]
	v_cmp_eq_u32_e64 s[24:25], 1, v2
	v_cndmask_b32_e64 v7, 0, 1, s[12:13]
	s_and_b64 s[60:61], s[22:23], s[24:25]
	v_cmp_ne_u32_e64 s[24:25], 0, v7
	v_cndmask_b32_e64 v7, 0, 1, s[36:37]
	s_bcnt1_i32_b64 s5, s[24:25]
	v_cmp_ne_u32_e64 s[24:25], 0, v7
	v_cndmask_b32_e64 v7, 0, 1, s[54:55]
	s_bcnt1_i32_b64 s9, s[24:25]
	;; [unrolled: 3-line block ×3, first 2 shown]
	v_cmp_ne_u32_e64 s[24:25], 0, v7
	s_bcnt1_i32_b64 s12, s[24:25]
	s_add_u32 s5, s5, s42
	s_addc_u32 s13, 0, s43
	s_add_u32 s5, s5, s9
	s_addc_u32 s9, s13, 0
	;; [unrolled: 2-line block ×3, first 2 shown]
	s_add_u32 s42, s5, s12
	v_cmp_eq_u32_e64 s[24:25], 2, v4
	s_addc_u32 s43, s9, 0
	s_and_b64 s[12:13], vcc, s[24:25]
	v_cmp_eq_u32_e64 s[24:25], 2, v5
	s_and_b64 s[36:37], s[6:7], s[24:25]
	v_cmp_eq_u32_e64 s[24:25], 2, v6
	s_and_b64 s[54:55], s[18:19], s[24:25]
	v_cmp_eq_u32_e64 s[24:25], 2, v2
	v_cndmask_b32_e64 v7, 0, 1, s[12:13]
	s_and_b64 s[60:61], s[22:23], s[24:25]
	v_cmp_ne_u32_e64 s[24:25], 0, v7
	v_cndmask_b32_e64 v7, 0, 1, s[36:37]
	s_bcnt1_i32_b64 s5, s[24:25]
	v_cmp_ne_u32_e64 s[24:25], 0, v7
	v_cndmask_b32_e64 v7, 0, 1, s[54:55]
	s_bcnt1_i32_b64 s9, s[24:25]
	;; [unrolled: 3-line block ×3, first 2 shown]
	v_cmp_ne_u32_e64 s[24:25], 0, v7
	s_bcnt1_i32_b64 s12, s[24:25]
	s_add_u32 s5, s5, s40
	s_addc_u32 s13, 0, s41
	s_add_u32 s5, s5, s9
	s_addc_u32 s9, s13, 0
	;; [unrolled: 2-line block ×3, first 2 shown]
	s_add_u32 s40, s5, s12
	v_cmp_eq_u32_e64 s[24:25], 3, v4
	s_addc_u32 s41, s9, 0
	s_and_b64 s[12:13], vcc, s[24:25]
	v_cmp_eq_u32_e32 vcc, 3, v5
	s_and_b64 s[6:7], s[6:7], vcc
	v_cmp_eq_u32_e32 vcc, 3, v6
	s_and_b64 s[18:19], s[18:19], vcc
	v_cmp_eq_u32_e32 vcc, 3, v2
	v_cndmask_b32_e64 v2, 0, 1, s[12:13]
	s_and_b64 s[22:23], s[22:23], vcc
	v_cmp_ne_u32_e32 vcc, 0, v2
	v_cndmask_b32_e64 v2, 0, 1, s[6:7]
	s_bcnt1_i32_b64 s5, vcc
	v_cmp_ne_u32_e32 vcc, 0, v2
	v_cndmask_b32_e64 v2, 0, 1, s[18:19]
	s_bcnt1_i32_b64 s6, vcc
	;; [unrolled: 3-line block ×3, first 2 shown]
	v_cmp_ne_u32_e32 vcc, 0, v2
	s_bcnt1_i32_b64 s9, vcc
	s_add_u32 s5, s5, s34
	s_addc_u32 s11, 0, s35
	s_add_u32 s5, s5, s6
	s_addc_u32 s6, s11, 0
	;; [unrolled: 2-line block ×3, first 2 shown]
	s_add_u32 s34, s5, s9
	v_add_co_u32_e32 v26, vcc, s8, v26
	s_addc_u32 s35, s6, 0
	v_addc_co_u32_e32 v27, vcc, 0, v27, vcc
	s_mul_i32 s5, s64, s10
	s_add_u32 s20, s20, s5
	v_cmp_le_u64_e32 vcc, s[2:3], v[26:27]
	s_addc_u32 s21, s21, s4
	v_mov_b32_e32 v4, s44
	v_mov_b32_e32 v6, s42
	;; [unrolled: 1-line block ×4, first 2 shown]
	s_or_b64 s[16:17], vcc, s[16:17]
	v_mov_b32_e32 v5, s45
	v_mov_b32_e32 v7, s43
	;; [unrolled: 1-line block ×4, first 2 shown]
	s_andn2_b64 exec, exec, s[16:17]
	s_cbranch_execnz .LBB132_44
; %bb.45:                               ;   in Loop: Header=BB132_6 Depth=1
	s_or_b64 exec, exec, s[16:17]
.LBB132_46:                             ;   in Loop: Header=BB132_6 Depth=1
	s_or_b64 exec, exec, s[14:15]
	v_mov_b32_e32 v2, s3
	v_add_co_u32_e32 v26, vcc, s2, v0
	v_addc_co_u32_e32 v27, vcc, 0, v2, vcc
	v_cmp_gt_u64_e32 vcc, s[28:29], v[26:27]
	s_and_saveexec_b64 s[2:3], vcc
	s_cbranch_execz .LBB132_52
; %bb.47:                               ;   in Loop: Header=BB132_6 Depth=1
	v_mov_b32_e32 v42, s46
	v_mov_b32_e32 v43, s47
	v_mad_u64_u32 v[42:43], s[4:5], v26, s26, v[42:43]
	v_mul_lo_u32 v2, v26, s27
	v_mul_lo_u32 v44, v27, s26
	s_mov_b64 s[8:9], 0
	v_add3_u32 v43, v44, v43, v2
	global_load_ubyte v42, v[42:43], off
	s_branch .LBB132_49
.LBB132_48:                             ;   in Loop: Header=BB132_49 Depth=2
	s_or_b64 exec, exec, s[4:5]
	s_waitcnt vmcnt(0)
	v_add_u32_sdwa v42, sext(v42), s58 dst_sel:DWORD dst_unused:UNUSED_PAD src0_sel:BYTE_0 src1_sel:DWORD
	s_and_b64 s[4:5], exec, vcc
	v_and_b32_e32 v43, v42, v40
	v_bfe_u32 v42, v42, s53, 2
	s_or_b64 s[8:9], s[4:5], s[8:9]
	v_cmp_eq_u32_e32 vcc, v43, v37
	v_cmp_eq_u32_e64 s[6:7], 0, v42
	s_and_b64 s[4:5], vcc, s[6:7]
	v_cndmask_b32_e64 v43, 0, 1, s[4:5]
	v_cmp_ne_u32_e64 s[6:7], 0, v43
	s_bcnt1_i32_b64 s4, s[6:7]
	v_add_co_u32_e64 v4, s[6:7], s4, v4
	v_addc_co_u32_e64 v5, s[6:7], 0, v5, s[6:7]
	v_cmp_eq_u32_e64 s[6:7], 1, v42
	s_and_b64 s[4:5], vcc, s[6:7]
	v_cndmask_b32_e64 v43, 0, 1, s[4:5]
	v_cmp_ne_u32_e64 s[6:7], 0, v43
	s_bcnt1_i32_b64 s4, s[6:7]
	v_add_co_u32_e64 v6, s[6:7], s4, v6
	v_addc_co_u32_e64 v7, s[6:7], 0, v7, s[6:7]
	;; [unrolled: 7-line block ×3, first 2 shown]
	v_cmp_eq_u32_e64 s[6:7], 3, v42
	s_and_b64 s[4:5], vcc, s[6:7]
	v_cndmask_b32_e64 v42, 0, 1, s[4:5]
	v_cmp_ne_u32_e32 vcc, 0, v42
	s_bcnt1_i32_b64 s4, vcc
	v_add_co_u32_e32 v10, vcc, s4, v10
	v_addc_co_u32_e32 v11, vcc, 0, v11, vcc
	v_mov_b32_e32 v42, v2
	s_andn2_b64 exec, exec, s[8:9]
	s_cbranch_execz .LBB132_51
.LBB132_49:                             ;   Parent Loop BB132_6 Depth=1
                                        ; =>  This Inner Loop Header: Depth=2
	v_add_co_u32_e32 v26, vcc, s10, v26
	v_addc_co_u32_e32 v27, vcc, 0, v27, vcc
	v_cmp_gt_u64_e64 s[6:7], s[28:29], v[26:27]
	v_cmp_le_u64_e32 vcc, s[28:29], v[26:27]
	v_mov_b32_e32 v2, 0
	s_and_saveexec_b64 s[4:5], s[6:7]
	s_cbranch_execz .LBB132_48
; %bb.50:                               ;   in Loop: Header=BB132_49 Depth=2
	v_mov_b32_e32 v43, s46
	v_mov_b32_e32 v44, s47
	v_mad_u64_u32 v[43:44], s[6:7], v26, s26, v[43:44]
	v_mul_lo_u32 v2, v26, s27
	v_mul_lo_u32 v45, v27, s26
	v_add3_u32 v44, v45, v44, v2
	global_load_ubyte v2, v[43:44], off
	s_branch .LBB132_48
.LBB132_51:                             ;   in Loop: Header=BB132_6 Depth=1
	s_or_b64 exec, exec, s[8:9]
.LBB132_52:                             ;   in Loop: Header=BB132_6 Depth=1
	s_or_b64 exec, exec, s[2:3]
	s_mov_b64 s[2:3], 0
.LBB132_53:                             ;   in Loop: Header=BB132_6 Depth=1
	s_and_b64 vcc, exec, s[2:3]
	s_cbranch_vccz .LBB132_63
; %bb.54:                               ;   in Loop: Header=BB132_6 Depth=1
	v_readlane_b32 s2, v54, 35
	v_readlane_b32 s3, v54, 36
	v_mov_b32_e32 v8, 0
	v_mov_b32_e32 v9, 0
	s_nop 2
	global_load_ushort v2, v3, s[2:3]
	s_waitcnt vmcnt(0)
	v_readfirstlane_b32 s2, v2
	s_and_b32 s4, 0xffff, s2
	s_lshl_b32 s5, s4, 2
	v_cvt_f32_u32_e32 v4, s5
	s_sub_i32 s2, 0, s5
	v_rcp_iflag_f32_e32 v6, v4
	v_mov_b32_e32 v4, 0
	v_mov_b32_e32 v5, 0
	v_mul_f32_e32 v6, 0x4f7ffffe, v6
	v_cvt_u32_f32_e32 v10, v6
	v_mov_b32_e32 v6, 0
	v_mov_b32_e32 v7, 0
	v_readfirstlane_b32 s3, v10
	s_mul_i32 s2, s2, s3
	s_mul_hi_u32 s2, s3, s2
	s_add_i32 s3, s3, s2
	s_mul_hi_u32 s2, s38, s3
	s_mul_i32 s3, s2, s5
	s_sub_i32 s3, s38, s3
	s_add_i32 s6, s2, 1
	s_sub_i32 s7, s3, s5
	s_cmp_ge_u32 s3, s5
	s_cselect_b32 s2, s6, s2
	s_cselect_b32 s3, s7, s3
	s_add_i32 s6, s2, 1
	s_cmp_ge_u32 s3, s5
	s_cselect_b32 s2, s6, s2
	s_mul_hi_u32 s3, s4, s2
	s_mul_i32 s2, s4, s2
	s_lshl_b64 s[14:15], s[2:3], 2
	v_cmp_gt_u64_e32 vcc, s[14:15], v[14:15]
	v_mov_b32_e32 v10, 0
	v_mov_b32_e32 v11, 0
	s_and_saveexec_b64 s[16:17], vcc
	s_cbranch_execz .LBB132_58
; %bb.55:                               ;   in Loop: Header=BB132_6 Depth=1
	v_mov_b32_e32 v27, v15
	s_mov_b64 s[20:21], 0
	v_mov_b32_e32 v42, v14
	s_mov_b64 s[34:35], 0
	s_mov_b64 s[40:41], 0
	;; [unrolled: 1-line block ×4, first 2 shown]
	v_mov_b32_e32 v26, v14
.LBB132_56:                             ;   Parent Loop BB132_6 Depth=1
                                        ; =>  This Inner Loop Header: Depth=2
	ds_read_b32 v4, v42
	v_add_u32_e32 v42, s5, v42
	s_waitcnt lgkmcnt(0)
	v_add_u32_sdwa v5, sext(v4), s58 dst_sel:DWORD dst_unused:UNUSED_PAD src0_sel:BYTE_0 src1_sel:DWORD
	v_add_u32_sdwa v6, sext(v4), s58 dst_sel:DWORD dst_unused:UNUSED_PAD src0_sel:BYTE_1 src1_sel:DWORD
	v_and_b32_e32 v8, v5, v40
	v_bfe_u32 v5, v5, s53, 2
	v_add_u32_sdwa v7, sext(v4), s58 dst_sel:DWORD dst_unused:UNUSED_PAD src0_sel:BYTE_2 src1_sel:DWORD
	v_cmp_eq_u32_e32 vcc, v8, v37
	v_and_b32_e32 v8, v6, v40
	v_bfe_u32 v6, v6, s53, 2
	v_cmp_eq_u32_e64 s[24:25], 0, v5
	v_add_u32_sdwa v4, sext(v4), s58 dst_sel:DWORD dst_unused:UNUSED_PAD src0_sel:BYTE_3 src1_sel:DWORD
	v_cmp_eq_u32_e64 s[6:7], v8, v37
	v_and_b32_e32 v8, v7, v40
	v_bfe_u32 v7, v7, s53, 2
	s_and_b64 s[8:9], vcc, s[24:25]
	v_cmp_eq_u32_e64 s[24:25], 0, v6
	v_cmp_eq_u32_e64 s[18:19], v8, v37
	v_and_b32_e32 v8, v4, v40
	v_bfe_u32 v4, v4, s53, 2
	s_and_b64 s[10:11], s[6:7], s[24:25]
	v_cmp_eq_u32_e64 s[24:25], 0, v7
	v_cmp_eq_u32_e64 s[22:23], v8, v37
	s_and_b64 s[12:13], s[18:19], s[24:25]
	v_cmp_eq_u32_e64 s[24:25], 0, v4
	v_cndmask_b32_e64 v8, 0, 1, s[8:9]
	s_and_b64 s[36:37], s[22:23], s[24:25]
	v_cmp_ne_u32_e64 s[24:25], 0, v8
	v_cndmask_b32_e64 v8, 0, 1, s[10:11]
	s_bcnt1_i32_b64 s3, s[24:25]
	v_cmp_ne_u32_e64 s[24:25], 0, v8
	v_cndmask_b32_e64 v8, 0, 1, s[12:13]
	s_bcnt1_i32_b64 s8, s[24:25]
	;; [unrolled: 3-line block ×3, first 2 shown]
	v_cmp_ne_u32_e64 s[24:25], 0, v8
	s_bcnt1_i32_b64 s10, s[24:25]
	s_add_u32 s3, s3, s44
	s_addc_u32 s11, 0, s45
	s_add_u32 s3, s3, s8
	s_addc_u32 s8, s11, 0
	;; [unrolled: 2-line block ×3, first 2 shown]
	s_add_u32 s44, s3, s10
	v_cmp_eq_u32_e64 s[24:25], 1, v5
	s_addc_u32 s45, s8, 0
	s_and_b64 s[8:9], vcc, s[24:25]
	v_cmp_eq_u32_e64 s[24:25], 1, v6
	s_and_b64 s[10:11], s[6:7], s[24:25]
	v_cmp_eq_u32_e64 s[24:25], 1, v7
	s_and_b64 s[12:13], s[18:19], s[24:25]
	v_cmp_eq_u32_e64 s[24:25], 1, v4
	v_cndmask_b32_e64 v8, 0, 1, s[8:9]
	s_and_b64 s[36:37], s[22:23], s[24:25]
	v_cmp_ne_u32_e64 s[24:25], 0, v8
	v_cndmask_b32_e64 v8, 0, 1, s[10:11]
	s_bcnt1_i32_b64 s3, s[24:25]
	v_cmp_ne_u32_e64 s[24:25], 0, v8
	v_cndmask_b32_e64 v8, 0, 1, s[12:13]
	s_bcnt1_i32_b64 s8, s[24:25]
	;; [unrolled: 3-line block ×3, first 2 shown]
	v_cmp_ne_u32_e64 s[24:25], 0, v8
	s_bcnt1_i32_b64 s10, s[24:25]
	s_add_u32 s3, s3, s42
	s_addc_u32 s11, 0, s43
	s_add_u32 s3, s3, s8
	s_addc_u32 s8, s11, 0
	;; [unrolled: 2-line block ×3, first 2 shown]
	s_add_u32 s42, s3, s10
	v_cmp_eq_u32_e64 s[24:25], 2, v5
	s_addc_u32 s43, s8, 0
	s_and_b64 s[8:9], vcc, s[24:25]
	v_cmp_eq_u32_e64 s[24:25], 2, v6
	s_and_b64 s[10:11], s[6:7], s[24:25]
	v_cmp_eq_u32_e64 s[24:25], 2, v7
	s_and_b64 s[12:13], s[18:19], s[24:25]
	v_cmp_eq_u32_e64 s[24:25], 2, v4
	v_cndmask_b32_e64 v8, 0, 1, s[8:9]
	s_and_b64 s[36:37], s[22:23], s[24:25]
	v_cmp_ne_u32_e64 s[24:25], 0, v8
	v_cndmask_b32_e64 v8, 0, 1, s[10:11]
	s_bcnt1_i32_b64 s3, s[24:25]
	v_cmp_ne_u32_e64 s[24:25], 0, v8
	v_cndmask_b32_e64 v8, 0, 1, s[12:13]
	s_bcnt1_i32_b64 s8, s[24:25]
	;; [unrolled: 3-line block ×3, first 2 shown]
	v_cmp_ne_u32_e64 s[24:25], 0, v8
	s_bcnt1_i32_b64 s10, s[24:25]
	s_add_u32 s3, s3, s40
	s_addc_u32 s11, 0, s41
	s_add_u32 s3, s3, s8
	s_addc_u32 s8, s11, 0
	;; [unrolled: 2-line block ×3, first 2 shown]
	s_add_u32 s40, s3, s10
	v_cmp_eq_u32_e64 s[24:25], 3, v5
	s_addc_u32 s41, s8, 0
	s_and_b64 s[8:9], vcc, s[24:25]
	v_cmp_eq_u32_e32 vcc, 3, v6
	s_and_b64 s[6:7], s[6:7], vcc
	v_cmp_eq_u32_e32 vcc, 3, v7
	s_and_b64 s[10:11], s[18:19], vcc
	v_cmp_eq_u32_e32 vcc, 3, v4
	v_cndmask_b32_e64 v4, 0, 1, s[8:9]
	s_and_b64 s[12:13], s[22:23], vcc
	v_cmp_ne_u32_e32 vcc, 0, v4
	v_cndmask_b32_e64 v4, 0, 1, s[6:7]
	s_bcnt1_i32_b64 s3, vcc
	v_cmp_ne_u32_e32 vcc, 0, v4
	v_cndmask_b32_e64 v4, 0, 1, s[10:11]
	s_bcnt1_i32_b64 s6, vcc
	;; [unrolled: 3-line block ×3, first 2 shown]
	v_cmp_ne_u32_e32 vcc, 0, v4
	s_bcnt1_i32_b64 s8, vcc
	s_add_u32 s3, s3, s34
	s_addc_u32 s9, 0, s35
	s_add_u32 s3, s3, s6
	s_addc_u32 s6, s9, 0
	s_add_u32 s3, s3, s7
	v_add_co_u32_e32 v26, vcc, s5, v26
	s_addc_u32 s6, s6, 0
	v_addc_co_u32_e32 v27, vcc, 0, v27, vcc
	s_add_u32 s34, s3, s8
	v_cmp_le_u64_e32 vcc, s[14:15], v[26:27]
	s_addc_u32 s35, s6, 0
	v_mov_b32_e32 v4, s44
	v_mov_b32_e32 v6, s42
	;; [unrolled: 1-line block ×4, first 2 shown]
	s_or_b64 s[20:21], vcc, s[20:21]
	v_mov_b32_e32 v5, s45
	v_mov_b32_e32 v7, s43
	;; [unrolled: 1-line block ×4, first 2 shown]
	s_andn2_b64 exec, exec, s[20:21]
	s_cbranch_execnz .LBB132_56
; %bb.57:                               ;   in Loop: Header=BB132_6 Depth=1
	s_or_b64 exec, exec, s[20:21]
.LBB132_58:                             ;   in Loop: Header=BB132_6 Depth=1
	s_or_b64 exec, exec, s[16:17]
	v_mov_b32_e32 v27, s15
	v_add_co_u32_e32 v26, vcc, s14, v0
	s_and_b32 s50, s38, 0x7fffffff
	v_addc_co_u32_e32 v27, vcc, 0, v27, vcc
	v_cmp_gt_u64_e32 vcc, s[50:51], v[26:27]
	s_and_saveexec_b64 s[8:9], vcc
	s_cbranch_execz .LBB132_62
; %bb.59:                               ;   in Loop: Header=BB132_6 Depth=1
	v_lshl_add_u32 v42, s2, 2, v0
	s_mov_b64 s[2:3], 0
.LBB132_60:                             ;   Parent Loop BB132_6 Depth=1
                                        ; =>  This Inner Loop Header: Depth=2
	ds_read_i8 v43, v42
	v_add_u32_e32 v42, s4, v42
	s_waitcnt lgkmcnt(0)
	v_add_u32_e32 v43, 0x80, v43
	v_and_b32_e32 v44, v43, v40
	v_bfe_u32 v43, v43, s53, 2
	v_cmp_eq_u32_e32 vcc, v44, v37
	v_cmp_eq_u32_e64 s[6:7], 0, v43
	s_and_b64 s[6:7], vcc, s[6:7]
	v_cndmask_b32_e64 v44, 0, 1, s[6:7]
	v_cmp_ne_u32_e64 s[6:7], 0, v44
	s_bcnt1_i32_b64 s5, s[6:7]
	v_add_co_u32_e64 v4, s[6:7], s5, v4
	v_addc_co_u32_e64 v5, s[6:7], 0, v5, s[6:7]
	v_cmp_eq_u32_e64 s[6:7], 1, v43
	s_and_b64 s[6:7], vcc, s[6:7]
	v_cndmask_b32_e64 v44, 0, 1, s[6:7]
	v_cmp_ne_u32_e64 s[6:7], 0, v44
	s_bcnt1_i32_b64 s5, s[6:7]
	v_add_co_u32_e64 v6, s[6:7], s5, v6
	v_addc_co_u32_e64 v7, s[6:7], 0, v7, s[6:7]
	v_cmp_eq_u32_e64 s[6:7], 2, v43
	s_and_b64 s[6:7], vcc, s[6:7]
	v_cndmask_b32_e64 v44, 0, 1, s[6:7]
	v_cmp_ne_u32_e64 s[6:7], 0, v44
	s_bcnt1_i32_b64 s5, s[6:7]
	v_add_co_u32_e64 v8, s[6:7], s5, v8
	v_addc_co_u32_e64 v9, s[6:7], 0, v9, s[6:7]
	v_cmp_eq_u32_e64 s[6:7], 3, v43
	s_and_b64 s[6:7], vcc, s[6:7]
	v_cndmask_b32_e64 v43, 0, 1, s[6:7]
	v_cmp_ne_u32_e32 vcc, 0, v43
	s_bcnt1_i32_b64 s5, vcc
	v_add_co_u32_e32 v10, vcc, s5, v10
	v_addc_co_u32_e32 v11, vcc, 0, v11, vcc
	v_add_co_u32_sdwa v26, vcc, v26, v2 dst_sel:DWORD dst_unused:UNUSED_PAD src0_sel:DWORD src1_sel:WORD_0
	v_addc_co_u32_e32 v27, vcc, 0, v27, vcc
	v_cmp_le_u64_e32 vcc, s[50:51], v[26:27]
	s_or_b64 s[2:3], vcc, s[2:3]
	s_andn2_b64 exec, exec, s[2:3]
	s_cbranch_execnz .LBB132_60
; %bb.61:                               ;   in Loop: Header=BB132_6 Depth=1
	s_or_b64 exec, exec, s[2:3]
.LBB132_62:                             ;   in Loop: Header=BB132_6 Depth=1
	s_or_b64 exec, exec, s[8:9]
	v_readlane_b32 s50, v54, 50
.LBB132_63:                             ;   in Loop: Header=BB132_6 Depth=1
	v_readlane_b32 s2, v54, 47
	s_lshl_b32 s4, s2, 6
	s_and_saveexec_b64 s[2:3], s[0:1]
	s_cbranch_execz .LBB132_65
; %bb.64:                               ;   in Loop: Header=BB132_6 Depth=1
	v_lshl_add_u32 v2, s4, 3, v35
	ds_write_b128 v2, v[4:7]
	ds_write_b128 v2, v[8:11] offset:16
.LBB132_65:                             ;   in Loop: Header=BB132_6 Depth=1
	s_or_b64 exec, exec, s[2:3]
	s_waitcnt lgkmcnt(0)
	s_barrier
	s_mov_b64 s[2:3], exec
	v_readlane_b32 s6, v54, 22
	v_readlane_b32 s7, v54, 23
	s_and_b64 s[6:7], s[2:3], s[6:7]
	s_mov_b64 exec, s[6:7]
	s_cbranch_execz .LBB132_77
; %bb.66:                               ;   in Loop: Header=BB132_6 Depth=1
	v_readlane_b32 s6, v54, 28
	v_mov_b32_e32 v4, 0
	v_readlane_b32 s7, v54, 29
	v_mov_b32_e32 v5, 0
	s_andn2_b64 vcc, exec, s[6:7]
	s_cbranch_vccnz .LBB132_76
; %bb.67:                               ;   in Loop: Header=BB132_6 Depth=1
	v_readlane_b32 s6, v54, 41
	v_readlane_b32 s7, v54, 42
	s_andn2_b64 vcc, exec, s[6:7]
	s_cbranch_vccnz .LBB132_72
; %bb.68:                               ;   in Loop: Header=BB132_6 Depth=1
	v_readlane_b32 s5, v54, 47
	v_mov_b32_e32 v4, 0
	v_lshl_add_u32 v2, s5, 9, v36
	v_mov_b32_e32 v5, 0
	s_mov_b32 s5, 0
.LBB132_69:                             ;   Parent Loop BB132_6 Depth=1
                                        ; =>  This Inner Loop Header: Depth=2
	ds_read2_b64 v[6:9], v2 offset1:4
	s_add_i32 s5, s5, 8
	s_cmp_eq_u32 s52, s5
	s_waitcnt lgkmcnt(0)
	v_add_co_u32_e32 v4, vcc, v6, v4
	v_addc_co_u32_e32 v5, vcc, v7, v5, vcc
	v_add_co_u32_e32 v8, vcc, v8, v4
	v_addc_co_u32_e32 v9, vcc, v9, v5, vcc
	ds_read2_b64 v[4:7], v2 offset0:8 offset1:12
	s_waitcnt lgkmcnt(0)
	v_add_co_u32_e32 v4, vcc, v4, v8
	v_addc_co_u32_e32 v5, vcc, v5, v9, vcc
	v_add_co_u32_e32 v8, vcc, v6, v4
	v_addc_co_u32_e32 v9, vcc, v7, v5, vcc
	ds_read2_b64 v[4:7], v2 offset0:16 offset1:20
	;; [unrolled: 6-line block ×3, first 2 shown]
	v_add_u32_e32 v2, 0x100, v2
	s_waitcnt lgkmcnt(0)
	v_add_co_u32_e32 v4, vcc, v4, v8
	v_addc_co_u32_e32 v5, vcc, v5, v9, vcc
	v_add_co_u32_e32 v4, vcc, v6, v4
	v_addc_co_u32_e32 v5, vcc, v7, v5, vcc
	s_cbranch_scc0 .LBB132_69
; %bb.70:                               ;   in Loop: Header=BB132_6 Depth=1
	s_mov_b32 s5, s52
	s_branch .LBB132_73
.LBB132_71:                             ;   in Loop: Header=BB132_6 Depth=1
                                        ; implicit-def: $sgpr2_sgpr3
	s_branch .LBB132_41
.LBB132_72:                             ;   in Loop: Header=BB132_6 Depth=1
	v_mov_b32_e32 v4, 0
	v_mov_b32_e32 v5, 0
	s_mov_b32 s5, 0
.LBB132_73:                             ;   in Loop: Header=BB132_6 Depth=1
	v_readlane_b32 s6, v54, 44
	v_readlane_b32 s7, v54, 45
	s_andn2_b64 vcc, exec, s[6:7]
	s_cbranch_vccnz .LBB132_76
; %bb.74:                               ;   in Loop: Header=BB132_6 Depth=1
	v_readlane_b32 s6, v54, 47
	s_lshl_b32 s6, s6, 9
	s_lshl_b32 s5, s5, 5
	s_add_i32 s6, s6, s5
	v_add_u32_e32 v2, s6, v36
	v_readlane_b32 s5, v54, 43
.LBB132_75:                             ;   Parent Loop BB132_6 Depth=1
                                        ; =>  This Inner Loop Header: Depth=2
	ds_read_b64 v[6:7], v2
	s_add_i32 s5, s5, -1
	v_add_u32_e32 v2, 32, v2
	s_cmp_lg_u32 s5, 0
	s_waitcnt lgkmcnt(0)
	v_add_co_u32_e32 v4, vcc, v6, v4
	v_addc_co_u32_e32 v5, vcc, v7, v5, vcc
	s_cbranch_scc1 .LBB132_75
.LBB132_76:                             ;   in Loop: Header=BB132_6 Depth=1
	v_add_lshl_u32 v2, s4, v31, 3
	ds_write_b64 v2, v[4:5] offset:3072
.LBB132_77:                             ;   in Loop: Header=BB132_6 Depth=1
	s_or_b64 exec, exec, s[2:3]
	s_lshl_b32 s2, s4, 3
	v_mov_b32_e32 v2, s2
	s_waitcnt lgkmcnt(0)
	s_barrier
	ds_read_b128 v[4:7], v2 offset:3072
	ds_read_b128 v[8:11], v2 offset:3088
	v_readlane_b32 s2, v54, 20
	s_lshl_b32 s59, 3, s53
	v_cmp_eq_u64_e64 s[18:19], 1, v[24:25]
	v_readlane_b32 s3, v54, 21
	s_waitcnt lgkmcnt(1)
	v_readfirstlane_b32 s23, v5
	v_readfirstlane_b32 s22, v4
	;; [unrolled: 1-line block ×4, first 2 shown]
	s_waitcnt lgkmcnt(0)
	v_readfirstlane_b32 s91, v9
	v_readfirstlane_b32 s90, v8
	;; [unrolled: 1-line block ×4, first 2 shown]
	s_not_b32 s49, s59
	s_mov_b64 s[44:45], -1
	s_mov_b64 s[24:25], 0
	s_andn2_b64 vcc, exec, s[2:3]
	s_mov_b64 s[38:39], 0
	s_mov_b64 s[94:95], 0
                                        ; implicit-def: $sgpr42_sgpr43
                                        ; implicit-def: $sgpr40_sgpr41
                                        ; implicit-def: $vgpr4_vgpr5
                                        ; implicit-def: $vgpr2
                                        ; implicit-def: $vgpr11
                                        ; implicit-def: $vgpr10
                                        ; implicit-def: $vgpr8
	s_cbranch_vccnz .LBB132_273
; %bb.78:                               ;   in Loop: Header=BB132_6 Depth=1
	s_cmp_eq_u64 s[22:23], 1
	s_cselect_b64 s[2:3], -1, 0
	s_and_b64 s[2:3], s[2:3], s[18:19]
	s_mov_b64 s[4:5], -1
	v_mov_b32_e32 v11, v37
	v_mov_b32_e32 v10, v40
	;; [unrolled: 1-line block ×3, first 2 shown]
                                        ; implicit-def: $sgpr40_sgpr41
                                        ; implicit-def: $sgpr42_sgpr43
	s_and_saveexec_b64 s[6:7], s[2:3]
	s_cbranch_execz .LBB132_113
; %bb.79:                               ;   in Loop: Header=BB132_6 Depth=1
	ds_read_b64 v[4:5], v3 offset:5120
	s_waitcnt lgkmcnt(0)
	s_barrier
	v_readfirstlane_b32 s10, v4
	v_readfirstlane_b32 s11, v5
	s_mov_b64 s[4:5], exec
	v_readlane_b32 s8, v54, 26
	v_readlane_b32 s9, v54, 27
	s_and_b64 s[8:9], s[4:5], s[8:9]
	s_mov_b64 exec, s[8:9]
; %bb.80:                               ;   in Loop: Header=BB132_6 Depth=1
	ds_write_b8 v0, v3 offset:3072
; %bb.81:                               ;   in Loop: Header=BB132_6 Depth=1
	s_or_b64 exec, exec, s[4:5]
	v_and_b32_e32 v11, s49, v37
	v_or_b32_e32 v10, s59, v40
	s_mov_b64 s[42:43], -1
	s_mov_b64 s[40:41], 0
	s_cmp_eq_u64 s[10:11], 0
	s_mov_b64 s[8:9], 0
	s_mov_b64 s[14:15], -1
	s_waitcnt lgkmcnt(0)
	s_barrier
                                        ; implicit-def: $vgpr8
	s_cbranch_scc1 .LBB132_98
; %bb.82:                               ;   in Loop: Header=BB132_6 Depth=1
	v_readlane_b32 s4, v54, 30
	s_add_u32 s14, s10, s4
	v_readlane_b32 s4, v54, 32
	s_addc_u32 s9, s11, s4
	s_mov_b32 s8, s51
	s_cmp_lg_u64 s[8:9], 0
	s_cbranch_scc0 .LBB132_139
; %bb.83:                               ;   in Loop: Header=BB132_6 Depth=1
	v_cvt_f32_u32_e32 v2, s33
	s_sub_u32 s8, 0, s33
	s_subb_u32 s12, 0, 0
	v_mac_f32_e32 v2, 0, v38
	v_rcp_f32_e32 v2, v2
	v_mul_f32_e32 v2, 0x5f7ffffc, v2
	v_mul_f32_e32 v4, 0x2f800000, v2
	v_trunc_f32_e32 v4, v4
	v_mac_f32_e32 v2, 0xcf800000, v4
	v_cvt_u32_f32_e32 v4, v4
	v_cvt_u32_f32_e32 v2, v2
	v_readfirstlane_b32 s13, v4
	v_readfirstlane_b32 s4, v2
	s_mul_i32 s5, s8, s13
	s_mul_hi_u32 s16, s8, s4
	s_mul_i32 s15, s12, s4
	s_add_i32 s5, s16, s5
	s_mul_i32 s17, s8, s4
	s_add_i32 s5, s5, s15
	s_mul_hi_u32 s16, s4, s17
	s_mul_i32 s20, s4, s5
	s_mul_hi_u32 s15, s4, s5
	s_add_u32 s16, s16, s20
	s_addc_u32 s15, 0, s15
	s_mul_hi_u32 s21, s13, s17
	s_mul_i32 s17, s13, s17
	s_add_u32 s16, s16, s17
	s_mul_hi_u32 s20, s13, s5
	s_addc_u32 s15, s15, s21
	s_addc_u32 s16, s20, 0
	s_mul_i32 s5, s13, s5
	s_add_u32 s5, s15, s5
	s_addc_u32 s15, 0, s16
	s_add_u32 s16, s4, s5
	s_cselect_b64 s[4:5], -1, 0
	s_cmp_lg_u64 s[4:5], 0
	s_addc_u32 s13, s13, s15
	s_mul_i32 s4, s8, s13
	s_mul_hi_u32 s5, s8, s16
	s_add_i32 s4, s5, s4
	s_mul_i32 s12, s12, s16
	s_add_i32 s4, s4, s12
	s_mul_i32 s8, s8, s16
	s_mul_hi_u32 s12, s13, s8
	s_mul_i32 s15, s13, s8
	s_mul_i32 s20, s16, s4
	s_mul_hi_u32 s8, s16, s8
	s_mul_hi_u32 s17, s16, s4
	s_add_u32 s8, s8, s20
	s_addc_u32 s17, 0, s17
	s_add_u32 s8, s8, s15
	s_mul_hi_u32 s5, s13, s4
	s_addc_u32 s8, s17, s12
	s_addc_u32 s5, s5, 0
	s_mul_i32 s4, s13, s4
	s_add_u32 s4, s8, s4
	s_addc_u32 s8, 0, s5
	s_add_u32 s12, s16, s4
	s_cselect_b64 s[4:5], -1, 0
	s_cmp_lg_u64 s[4:5], 0
	s_addc_u32 s4, s13, s8
	s_mul_i32 s8, s14, s4
	s_mul_hi_u32 s13, s14, s12
	s_mul_hi_u32 s5, s14, s4
	s_add_u32 s8, s13, s8
	s_addc_u32 s5, 0, s5
	s_mul_hi_u32 s15, s9, s12
	s_mul_i32 s12, s9, s12
	s_add_u32 s8, s8, s12
	s_mul_hi_u32 s13, s9, s4
	s_addc_u32 s5, s5, s15
	s_addc_u32 s8, s13, 0
	s_mul_i32 s4, s9, s4
	s_add_u32 s4, s5, s4
	s_addc_u32 s5, 0, s8
	s_mul_i32 s5, s33, s5
	s_mul_hi_u32 s8, s33, s4
	s_add_i32 s8, s8, s5
	s_mul_i32 s4, s33, s4
	s_sub_u32 s12, s14, s4
	s_cselect_b64 s[4:5], -1, 0
	s_cmp_lg_u64 s[4:5], 0
	s_subb_u32 s8, s9, s8
	s_sub_u32 s13, s12, s33
	s_cselect_b64 s[4:5], -1, 0
	s_cmp_lg_u64 s[4:5], 0
	s_subb_u32 s15, s8, 0
	;; [unrolled: 4-line block ×3, first 2 shown]
	s_cmp_ge_u32 s13, s33
	s_cselect_b32 s5, -1, 0
	s_cmp_eq_u32 s15, 0
	s_cselect_b32 s5, s5, -1
	s_cmp_lg_u32 s5, 0
	s_cselect_b32 s4, s4, s15
	s_cselect_b32 s13, s16, s13
	s_cmp_ge_u32 s12, s33
	s_cselect_b32 s5, -1, 0
	s_cmp_eq_u32 s8, 0
	s_cselect_b32 s5, s5, -1
	s_cmp_lg_u32 s5, 0
	s_cselect_b32 s5, s4, s8
	s_cselect_b32 s4, s13, s12
	s_cbranch_execnz .LBB132_85
.LBB132_84:                             ;   in Loop: Header=BB132_6 Depth=1
	v_cvt_f32_u32_e32 v2, s33
	s_sub_i32 s4, 0, s33
	v_rcp_iflag_f32_e32 v2, v2
	v_mul_f32_e32 v2, 0x4f7ffffe, v2
	v_cvt_u32_f32_e32 v2, v2
	v_readfirstlane_b32 s5, v2
	s_mul_i32 s4, s4, s5
	s_mul_hi_u32 s4, s5, s4
	s_add_i32 s5, s5, s4
	s_mul_hi_u32 s4, s14, s5
	s_mul_i32 s4, s4, s33
	s_sub_i32 s4, s14, s4
	s_sub_i32 s5, s4, s33
	s_cmp_ge_u32 s4, s33
	s_cselect_b32 s4, s5, s4
	s_sub_i32 s5, s4, s33
	s_cmp_ge_u32 s4, s33
	s_cselect_b32 s50, s5, s4
	s_mov_b64 s[4:5], s[50:51]
	v_readlane_b32 s50, v54, 50
.LBB132_85:                             ;   in Loop: Header=BB132_6 Depth=1
	s_sub_u32 s12, s14, s4
	s_subb_u32 s13, s9, s5
	v_cmp_gt_u64_e32 vcc, s[12:13], v[0:1]
	s_mov_b64 s[14:15], 0
	s_mov_b64 s[8:9], 0
                                        ; implicit-def: $vgpr8
	s_and_saveexec_b64 s[16:17], vcc
	s_cbranch_execz .LBB132_97
; %bb.86:                               ;   in Loop: Header=BB132_6 Depth=1
	v_mov_b32_e32 v5, v1
	v_mov_b32_e32 v2, v0
	v_mov_b32_e32 v4, v0
                                        ; implicit-def: $sgpr4_sgpr5
	s_branch .LBB132_89
.LBB132_87:                             ;   in Loop: Header=BB132_89 Depth=2
	s_or_b64 exec, exec, s[20:21]
	s_waitcnt lgkmcnt(0)
	s_barrier
	ds_read_u16 v6, v3 offset:3072
	s_mov_b64 s[20:21], -1
	s_waitcnt lgkmcnt(0)
	s_barrier
	v_cmp_ne_u32_sdwa s[34:35], v6, v3 src0_sel:BYTE_0 src1_sel:DWORD
	s_and_b64 vcc, exec, s[34:35]
	s_mov_b64 s[34:35], -1
	s_cbranch_vccz .LBB132_92
.LBB132_88:                             ;   in Loop: Header=BB132_89 Depth=2
	s_and_b64 s[20:21], exec, s[20:21]
	s_or_b64 s[8:9], s[20:21], s[8:9]
	s_andn2_b64 s[4:5], s[4:5], exec
	s_and_b64 s[20:21], s[34:35], exec
	s_or_b64 s[4:5], s[4:5], s[20:21]
	s_andn2_b64 exec, exec, s[8:9]
	s_cbranch_execz .LBB132_96
.LBB132_89:                             ;   Parent Loop BB132_6 Depth=1
                                        ; =>  This Inner Loop Header: Depth=2
	v_cmp_gt_u64_e32 vcc, s[10:11], v[4:5]
	s_and_saveexec_b64 s[20:21], vcc
	s_cbranch_execz .LBB132_87
; %bb.90:                               ;   in Loop: Header=BB132_89 Depth=2
	ds_read_u8 v6, v2
	s_waitcnt lgkmcnt(0)
	v_add_u32_sdwa v7, sext(v6), s58 dst_sel:DWORD dst_unused:UNUSED_PAD src0_sel:BYTE_0 src1_sel:DWORD
	v_and_b32_e32 v7, v7, v10
	v_cmp_eq_u32_e32 vcc, v7, v11
	s_and_b64 exec, exec, vcc
	s_cbranch_execz .LBB132_87
; %bb.91:                               ;   in Loop: Header=BB132_89 Depth=2
	v_lshlrev_b16_e32 v6, 8, v6
	v_or_b32_e32 v6, 1, v6
	ds_write_b16 v3, v6 offset:3072
	s_branch .LBB132_87
.LBB132_92:                             ;   in Loop: Header=BB132_89 Depth=2
	v_add_co_u32_e32 v4, vcc, s33, v4
	v_addc_co_u32_e32 v5, vcc, 0, v5, vcc
	v_cmp_le_u64_e32 vcc, s[12:13], v[4:5]
	v_add_u32_e32 v2, s33, v2
	s_mov_b64 s[34:35], 0
	s_orn2_b64 s[20:21], vcc, exec
	s_branch .LBB132_88
.LBB132_93:                             ;   in Loop: Header=BB132_6 Depth=1
	s_or_b64 exec, exec, s[8:9]
	s_waitcnt lgkmcnt(0)
	s_barrier
	s_mov_b64 s[4:5], exec
	v_readlane_b32 s6, v54, 8
	v_readlane_b32 s7, v54, 9
	s_and_b64 s[6:7], s[4:5], s[6:7]
	s_mov_b64 exec, s[6:7]
	s_cbranch_execz .LBB132_95
; %bb.94:                               ;   in Loop: Header=BB132_6 Depth=1
	ds_read_b32 v4, v3 offset:5144
	s_waitcnt lgkmcnt(0)
	v_ashrrev_i32_e32 v5, 31, v4
	ds_write_b64 v3, v[4:5] offset:5120
.LBB132_95:                             ;   in Loop: Header=BB132_6 Depth=1
	s_or_b64 exec, exec, s[4:5]
	s_waitcnt lgkmcnt(0)
	s_barrier
	s_mov_b64 s[4:5], -1
	s_and_b64 vcc, exec, s[2:3]
	s_cbranch_vccnz .LBB132_21
	s_branch .LBB132_36
.LBB132_96:                             ;   in Loop: Header=BB132_6 Depth=1
	s_or_b64 exec, exec, s[8:9]
	v_lshrrev_b32_sdwa v8, v39, v6 dst_sel:DWORD dst_unused:UNUSED_PAD src0_sel:DWORD src1_sel:WORD_0
	s_and_b64 s[8:9], s[4:5], exec
.LBB132_97:                             ;   in Loop: Header=BB132_6 Depth=1
	s_or_b64 exec, exec, s[16:17]
.LBB132_98:                             ;   in Loop: Header=BB132_6 Depth=1
	s_and_b64 vcc, exec, s[14:15]
	s_cbranch_vccz .LBB132_112
; %bb.99:                               ;   in Loop: Header=BB132_6 Depth=1
	v_readlane_b32 s20, v54, 33
	v_readlane_b32 s21, v54, 34
	s_mov_b32 s20, s51
	s_cmp_lg_u64 s[20:21], 0
	v_writelane_b32 v54, s20, 33
	v_writelane_b32 v54, s21, 34
	s_cbranch_scc0 .LBB132_140
; %bb.100:                              ;   in Loop: Header=BB132_6 Depth=1
	v_cvt_f32_u32_e32 v2, s33
	s_sub_u32 s10, 0, s33
	s_subb_u32 s11, 0, 0
	v_mac_f32_e32 v2, 0, v38
	v_rcp_f32_e32 v2, v2
	v_mul_f32_e32 v2, 0x5f7ffffc, v2
	v_mul_f32_e32 v4, 0x2f800000, v2
	v_trunc_f32_e32 v4, v4
	v_mac_f32_e32 v2, 0xcf800000, v4
	v_cvt_u32_f32_e32 v4, v4
	v_cvt_u32_f32_e32 v2, v2
	v_readfirstlane_b32 s12, v4
	v_readfirstlane_b32 s4, v2
	s_mul_i32 s5, s10, s12
	s_mul_hi_u32 s14, s10, s4
	s_mul_i32 s13, s11, s4
	s_add_i32 s5, s14, s5
	s_mul_i32 s15, s10, s4
	s_add_i32 s5, s5, s13
	s_mul_hi_u32 s14, s4, s15
	s_mul_i32 s16, s4, s5
	s_mul_hi_u32 s13, s4, s5
	s_add_u32 s14, s14, s16
	s_addc_u32 s13, 0, s13
	s_mul_hi_u32 s17, s12, s15
	s_mul_i32 s15, s12, s15
	s_add_u32 s14, s14, s15
	s_mul_hi_u32 s16, s12, s5
	s_addc_u32 s13, s13, s17
	s_addc_u32 s14, s16, 0
	s_mul_i32 s5, s12, s5
	s_add_u32 s5, s13, s5
	s_addc_u32 s13, 0, s14
	s_add_u32 s14, s4, s5
	s_cselect_b64 s[4:5], -1, 0
	s_cmp_lg_u64 s[4:5], 0
	s_addc_u32 s12, s12, s13
	s_mul_i32 s4, s10, s12
	s_mul_hi_u32 s5, s10, s14
	s_add_i32 s4, s5, s4
	s_mul_i32 s11, s11, s14
	s_add_i32 s4, s4, s11
	s_mul_i32 s10, s10, s14
	s_mul_hi_u32 s11, s12, s10
	s_mul_i32 s13, s12, s10
	s_mul_i32 s16, s14, s4
	s_mul_hi_u32 s10, s14, s10
	s_mul_hi_u32 s15, s14, s4
	s_add_u32 s10, s10, s16
	s_addc_u32 s15, 0, s15
	s_add_u32 s10, s10, s13
	s_mul_hi_u32 s5, s12, s4
	s_addc_u32 s10, s15, s11
	s_addc_u32 s5, s5, 0
	s_mul_i32 s4, s12, s4
	s_add_u32 s4, s10, s4
	s_addc_u32 s10, 0, s5
	s_add_u32 s11, s14, s4
	s_cselect_b64 s[4:5], -1, 0
	s_cmp_lg_u64 s[4:5], 0
	s_addc_u32 s4, s12, s10
	v_readlane_b32 s14, v54, 31
	s_mul_i32 s10, s14, s4
	s_mul_hi_u32 s12, s14, s11
	s_mul_hi_u32 s5, s14, s4
	s_add_u32 s10, s12, s10
	s_addc_u32 s5, 0, s5
	s_mul_hi_u32 s13, s21, s11
	s_mul_i32 s11, s21, s11
	s_add_u32 s10, s10, s11
	s_mul_hi_u32 s12, s21, s4
	s_addc_u32 s5, s5, s13
	s_addc_u32 s10, s12, 0
	s_mul_i32 s4, s21, s4
	s_add_u32 s4, s5, s4
	s_addc_u32 s5, 0, s10
	s_mul_i32 s5, s33, s5
	s_mul_hi_u32 s10, s33, s4
	s_add_i32 s10, s10, s5
	s_mul_i32 s4, s33, s4
	s_sub_u32 s11, s14, s4
	s_cselect_b64 s[4:5], -1, 0
	s_cmp_lg_u64 s[4:5], 0
	s_subb_u32 s10, s21, s10
	s_sub_u32 s12, s11, s33
	s_cselect_b64 s[4:5], -1, 0
	s_cmp_lg_u64 s[4:5], 0
	s_subb_u32 s13, s10, 0
	;; [unrolled: 4-line block ×3, first 2 shown]
	s_cmp_ge_u32 s12, s33
	s_cselect_b32 s5, -1, 0
	s_cmp_eq_u32 s13, 0
	s_cselect_b32 s5, s5, -1
	s_cmp_lg_u32 s5, 0
	s_cselect_b32 s4, s4, s13
	s_cselect_b32 s12, s14, s12
	s_cmp_ge_u32 s11, s33
	s_cselect_b32 s5, -1, 0
	s_cmp_eq_u32 s10, 0
	s_cselect_b32 s5, s5, -1
	s_cmp_lg_u32 s5, 0
	s_cselect_b32 s5, s4, s10
	s_cselect_b32 s4, s12, s11
	s_mul_i32 s56, s26, s33
	s_cbranch_execnz .LBB132_102
.LBB132_101:                            ;   in Loop: Header=BB132_6 Depth=1
	v_cvt_f32_u32_e32 v2, s33
	s_sub_i32 s4, 0, s33
	v_readlane_b32 s10, v54, 31
	v_rcp_iflag_f32_e32 v2, v2
	v_mul_f32_e32 v2, 0x4f7ffffe, v2
	v_cvt_u32_f32_e32 v2, v2
	v_readfirstlane_b32 s5, v2
	s_mul_i32 s4, s4, s5
	s_mul_hi_u32 s4, s5, s4
	s_add_i32 s5, s5, s4
	s_mul_hi_u32 s4, s10, s5
	s_mul_i32 s4, s4, s33
	s_sub_i32 s4, s10, s4
	s_sub_i32 s5, s4, s33
	s_cmp_ge_u32 s4, s33
	s_cselect_b32 s4, s5, s4
	s_sub_i32 s5, s4, s33
	s_cmp_ge_u32 s4, s33
	s_cselect_b32 s50, s5, s4
	s_mov_b64 s[4:5], s[50:51]
	v_readlane_b32 s50, v54, 50
.LBB132_102:                            ;   in Loop: Header=BB132_6 Depth=1
	v_readlane_b32 s10, v54, 31
	s_sub_u32 s14, s10, s4
	v_readlane_b32 s10, v54, 33
	v_readlane_b32 s11, v54, 34
	s_subb_u32 s15, s11, s5
	v_cmp_gt_u64_e32 vcc, s[14:15], v[0:1]
                                        ; implicit-def: $vgpr8
	s_and_saveexec_b64 s[10:11], vcc
	s_cbranch_execz .LBB132_111
; %bb.103:                              ;   in Loop: Header=BB132_6 Depth=1
	v_mov_b32_e32 v4, v12
	v_mov_b32_e32 v7, v1
	s_mov_b64 s[12:13], 0
	v_mov_b32_e32 v5, v13
	v_mov_b32_e32 v6, v0
                                        ; implicit-def: $sgpr16_sgpr17
	s_branch .LBB132_106
.LBB132_104:                            ;   in Loop: Header=BB132_106 Depth=2
	s_or_b64 exec, exec, s[4:5]
	s_waitcnt lgkmcnt(0)
	s_barrier
	ds_read_u16 v2, v3 offset:3072
	s_mov_b64 s[4:5], -1
	s_waitcnt lgkmcnt(0)
	s_barrier
	v_cmp_ne_u32_sdwa s[20:21], v2, v3 src0_sel:BYTE_0 src1_sel:DWORD
	s_and_b64 vcc, exec, s[20:21]
	s_mov_b64 s[20:21], -1
	s_cbranch_vccz .LBB132_109
.LBB132_105:                            ;   in Loop: Header=BB132_106 Depth=2
	s_and_b64 s[4:5], exec, s[4:5]
	s_or_b64 s[12:13], s[4:5], s[12:13]
	s_andn2_b64 s[4:5], s[16:17], exec
	s_and_b64 s[16:17], s[20:21], exec
	s_or_b64 s[16:17], s[4:5], s[16:17]
	s_andn2_b64 exec, exec, s[12:13]
	s_cbranch_execz .LBB132_110
.LBB132_106:                            ;   Parent Loop BB132_6 Depth=1
                                        ; =>  This Inner Loop Header: Depth=2
	v_cmp_gt_u64_e32 vcc, s[28:29], v[6:7]
	s_and_saveexec_b64 s[4:5], vcc
	s_cbranch_execz .LBB132_104
; %bb.107:                              ;   in Loop: Header=BB132_106 Depth=2
	global_load_ubyte v2, v[4:5], off
	s_waitcnt vmcnt(0)
	v_add_u32_sdwa v8, sext(v2), s58 dst_sel:DWORD dst_unused:UNUSED_PAD src0_sel:BYTE_0 src1_sel:DWORD
	v_and_b32_e32 v8, v8, v10
	v_cmp_eq_u32_e32 vcc, v8, v11
	s_and_b64 exec, exec, vcc
	s_cbranch_execz .LBB132_104
; %bb.108:                              ;   in Loop: Header=BB132_106 Depth=2
	v_lshlrev_b16_e32 v2, 8, v2
	v_or_b32_e32 v2, 1, v2
	ds_write_b16 v3, v2 offset:3072
	s_branch .LBB132_104
.LBB132_109:                            ;   in Loop: Header=BB132_106 Depth=2
	v_add_co_u32_e32 v6, vcc, s33, v6
	v_addc_co_u32_e32 v7, vcc, 0, v7, vcc
	v_readlane_b32 s4, v54, 46
	v_mov_b32_e32 v8, s4
	v_add_co_u32_e32 v4, vcc, s56, v4
	v_addc_co_u32_e32 v5, vcc, v5, v8, vcc
	v_cmp_le_u64_e32 vcc, s[14:15], v[6:7]
	s_mov_b64 s[20:21], 0
	s_orn2_b64 s[4:5], vcc, exec
	s_branch .LBB132_105
.LBB132_110:                            ;   in Loop: Header=BB132_6 Depth=1
	s_or_b64 exec, exec, s[12:13]
	s_andn2_b64 s[4:5], s[8:9], exec
	s_and_b64 s[8:9], s[16:17], exec
	v_lshrrev_b32_sdwa v8, v39, v2 dst_sel:DWORD dst_unused:UNUSED_PAD src0_sel:DWORD src1_sel:WORD_0
	s_or_b64 s[8:9], s[4:5], s[8:9]
.LBB132_111:                            ;   in Loop: Header=BB132_6 Depth=1
	s_or_b64 exec, exec, s[10:11]
	s_mov_b64 s[42:43], 0
	s_mov_b64 s[40:41], -1
.LBB132_112:                            ;   in Loop: Header=BB132_6 Depth=1
	s_orn2_b64 s[4:5], s[8:9], exec
.LBB132_113:                            ;   in Loop: Header=BB132_6 Depth=1
	s_or_b64 exec, exec, s[6:7]
	s_mov_b64 s[44:45], 0
	s_mov_b64 s[38:39], 0
	;; [unrolled: 1-line block ×3, first 2 shown]
                                        ; implicit-def: $vgpr4_vgpr5
                                        ; implicit-def: $vgpr2
	s_and_saveexec_b64 s[16:17], s[4:5]
	s_cbranch_execz .LBB132_272
; %bb.114:                              ;   in Loop: Header=BB132_6 Depth=1
	v_mov_b32_e32 v4, 1
	s_xor_b64 s[6:7], s[2:3], -1
	v_mov_b32_e32 v2, 1
	v_mov_b32_e32 v5, 0
	s_mov_b64 s[4:5], 0
	s_and_saveexec_b64 s[2:3], s[6:7]
	s_cbranch_execz .LBB132_123
; %bb.115:                              ;   in Loop: Header=BB132_6 Depth=1
	v_cmp_ge_u64_e32 vcc, s[22:23], v[24:25]
	s_and_saveexec_b64 s[4:5], vcc
	s_xor_b64 s[4:5], exec, s[4:5]
	s_cbranch_execz .LBB132_120
; %bb.116:                              ;   in Loop: Header=BB132_6 Depth=1
	ds_read_b64 v[4:5], v3 offset:5120
	v_and_b32_e32 v11, s49, v11
	v_or_b32_e32 v10, s59, v10
	s_waitcnt lgkmcnt(0)
	v_cmp_ne_u64_e32 vcc, 0, v[4:5]
	s_cbranch_vccnz .LBB132_120
; %bb.117:                              ;   in Loop: Header=BB132_6 Depth=1
	s_mov_b64 s[6:7], exec
	v_readlane_b32 s8, v54, 8
	v_readlane_b32 s9, v54, 9
	s_and_b64 s[8:9], s[6:7], s[8:9]
	s_mov_b64 exec, s[8:9]
; %bb.118:                              ;   in Loop: Header=BB132_6 Depth=1
	v_mov_b32_e32 v4, s22
	v_mov_b32_e32 v5, s23
	ds_write_b64 v3, v[4:5] offset:5128
; %bb.119:                              ;   in Loop: Header=BB132_6 Depth=1
	s_or_b64 exec, exec, s[6:7]
	s_waitcnt lgkmcnt(0)
	s_barrier
.LBB132_120:                            ;   in Loop: Header=BB132_6 Depth=1
	s_or_saveexec_b64 s[4:5], s[4:5]
	v_mov_b32_e32 v4, v24
	s_mov_b64 s[6:7], 0
	v_mov_b32_e32 v2, 8
	v_mov_b32_e32 v5, v25
	s_xor_b64 exec, exec, s[4:5]
; %bb.121:                              ;   in Loop: Header=BB132_6 Depth=1
	v_subrev_co_u32_e32 v4, vcc, s22, v24
	v_mov_b32_e32 v2, s23
	v_subb_co_u32_e32 v5, vcc, v25, v2, vcc
	v_mov_b32_e32 v2, 0
	s_mov_b64 s[6:7], exec
; %bb.122:                              ;   in Loop: Header=BB132_6 Depth=1
	s_or_b64 exec, exec, s[4:5]
	s_and_b64 s[4:5], s[6:7], exec
.LBB132_123:                            ;   in Loop: Header=BB132_6 Depth=1
	s_or_b64 exec, exec, s[2:3]
	s_mov_b64 s[2:3], -1
                                        ; implicit-def: $sgpr38_sgpr39
                                        ; implicit-def: $sgpr94_sgpr95
	s_and_saveexec_b64 s[6:7], s[4:5]
	s_xor_b64 s[6:7], exec, s[6:7]
	s_cbranch_execz .LBB132_269
; %bb.124:                              ;   in Loop: Header=BB132_6 Depth=1
	s_cmp_eq_u64 s[88:89], 1
	v_cmp_eq_u64_e32 vcc, 1, v[4:5]
	s_cselect_b64 s[2:3], -1, 0
	s_and_b64 s[2:3], s[2:3], vcc
	s_mov_b64 s[4:5], -1
                                        ; implicit-def: $sgpr94_sgpr95
                                        ; implicit-def: $sgpr38_sgpr39
	s_and_saveexec_b64 s[14:15], s[2:3]
	s_cbranch_execz .LBB132_158
; %bb.125:                              ;   in Loop: Header=BB132_6 Depth=1
	ds_read_b64 v[6:7], v3 offset:5120
	s_waitcnt lgkmcnt(0)
	s_barrier
	v_readfirstlane_b32 s10, v6
	v_readfirstlane_b32 s11, v7
	s_mov_b64 s[4:5], exec
	v_readlane_b32 s8, v54, 26
	v_readlane_b32 s9, v54, 27
	s_and_b64 s[8:9], s[4:5], s[8:9]
	s_mov_b64 exec, s[8:9]
; %bb.126:                              ;   in Loop: Header=BB132_6 Depth=1
	ds_write_b8 v0, v3 offset:3072
; %bb.127:                              ;   in Loop: Header=BB132_6 Depth=1
	s_or_b64 exec, exec, s[4:5]
	v_and_b32_e32 v6, s49, v11
	v_lshl_or_b32 v11, 1, s53, v6
	v_or_b32_e32 v10, s59, v10
	s_mov_b64 s[38:39], -1
	s_mov_b64 s[94:95], 0
	s_cmp_eq_u64 s[10:11], 0
	s_mov_b64 s[8:9], 0
	s_mov_b64 s[20:21], -1
	s_waitcnt lgkmcnt(0)
	s_barrier
                                        ; implicit-def: $vgpr8
	s_cbranch_scc1 .LBB132_143
; %bb.128:                              ;   in Loop: Header=BB132_6 Depth=1
	v_readlane_b32 s4, v54, 30
	s_add_u32 s20, s10, s4
	v_readlane_b32 s4, v54, 32
	s_addc_u32 s9, s11, s4
	s_mov_b32 s8, s51
	s_cmp_lg_u64 s[8:9], 0
	s_cbranch_scc0 .LBB132_184
; %bb.129:                              ;   in Loop: Header=BB132_6 Depth=1
	v_cvt_f32_u32_e32 v6, s33
	s_sub_u32 s8, 0, s33
	s_subb_u32 s12, 0, 0
	v_mac_f32_e32 v6, 0, v38
	v_rcp_f32_e32 v6, v6
	v_mul_f32_e32 v6, 0x5f7ffffc, v6
	v_mul_f32_e32 v7, 0x2f800000, v6
	v_trunc_f32_e32 v7, v7
	v_mac_f32_e32 v6, 0xcf800000, v7
	v_cvt_u32_f32_e32 v7, v7
	v_cvt_u32_f32_e32 v6, v6
	v_readfirstlane_b32 s13, v7
	v_readfirstlane_b32 s4, v6
	s_mul_i32 s5, s8, s13
	s_mul_hi_u32 s34, s8, s4
	s_mul_i32 s21, s12, s4
	s_add_i32 s5, s34, s5
	s_mul_i32 s35, s8, s4
	s_add_i32 s5, s5, s21
	s_mul_hi_u32 s34, s4, s35
	s_mul_i32 s36, s4, s5
	s_mul_hi_u32 s21, s4, s5
	s_add_u32 s34, s34, s36
	s_addc_u32 s21, 0, s21
	s_mul_hi_u32 s37, s13, s35
	s_mul_i32 s35, s13, s35
	s_add_u32 s34, s34, s35
	s_mul_hi_u32 s36, s13, s5
	s_addc_u32 s21, s21, s37
	s_addc_u32 s34, s36, 0
	s_mul_i32 s5, s13, s5
	s_add_u32 s5, s21, s5
	s_addc_u32 s21, 0, s34
	s_add_u32 s34, s4, s5
	s_cselect_b64 s[4:5], -1, 0
	s_cmp_lg_u64 s[4:5], 0
	s_addc_u32 s13, s13, s21
	s_mul_i32 s4, s8, s13
	s_mul_hi_u32 s5, s8, s34
	s_add_i32 s4, s5, s4
	s_mul_i32 s12, s12, s34
	s_add_i32 s4, s4, s12
	s_mul_i32 s8, s8, s34
	s_mul_hi_u32 s12, s13, s8
	s_mul_i32 s21, s13, s8
	s_mul_i32 s36, s34, s4
	s_mul_hi_u32 s8, s34, s8
	s_mul_hi_u32 s35, s34, s4
	s_add_u32 s8, s8, s36
	s_addc_u32 s35, 0, s35
	s_add_u32 s8, s8, s21
	s_mul_hi_u32 s5, s13, s4
	s_addc_u32 s8, s35, s12
	s_addc_u32 s5, s5, 0
	s_mul_i32 s4, s13, s4
	s_add_u32 s4, s8, s4
	s_addc_u32 s8, 0, s5
	s_add_u32 s12, s34, s4
	s_cselect_b64 s[4:5], -1, 0
	s_cmp_lg_u64 s[4:5], 0
	s_addc_u32 s4, s13, s8
	s_mul_i32 s8, s20, s4
	s_mul_hi_u32 s13, s20, s12
	s_mul_hi_u32 s5, s20, s4
	s_add_u32 s8, s13, s8
	s_addc_u32 s5, 0, s5
	s_mul_hi_u32 s21, s9, s12
	s_mul_i32 s12, s9, s12
	s_add_u32 s8, s8, s12
	s_mul_hi_u32 s13, s9, s4
	s_addc_u32 s5, s5, s21
	s_addc_u32 s8, s13, 0
	s_mul_i32 s4, s9, s4
	s_add_u32 s4, s5, s4
	s_addc_u32 s5, 0, s8
	s_mul_i32 s5, s33, s5
	s_mul_hi_u32 s8, s33, s4
	s_add_i32 s8, s8, s5
	s_mul_i32 s4, s33, s4
	s_sub_u32 s12, s20, s4
	s_cselect_b64 s[4:5], -1, 0
	s_cmp_lg_u64 s[4:5], 0
	s_subb_u32 s8, s9, s8
	s_sub_u32 s13, s12, s33
	s_cselect_b64 s[4:5], -1, 0
	s_cmp_lg_u64 s[4:5], 0
	s_subb_u32 s21, s8, 0
	;; [unrolled: 4-line block ×3, first 2 shown]
	s_cmp_ge_u32 s13, s33
	s_cselect_b32 s5, -1, 0
	s_cmp_eq_u32 s21, 0
	s_cselect_b32 s5, s5, -1
	s_cmp_lg_u32 s5, 0
	s_cselect_b32 s4, s4, s21
	s_cselect_b32 s13, s34, s13
	s_cmp_ge_u32 s12, s33
	s_cselect_b32 s5, -1, 0
	s_cmp_eq_u32 s8, 0
	s_cselect_b32 s5, s5, -1
	s_cmp_lg_u32 s5, 0
	s_cselect_b32 s5, s4, s8
	s_cselect_b32 s4, s13, s12
	s_cbranch_execnz .LBB132_131
.LBB132_130:                            ;   in Loop: Header=BB132_6 Depth=1
	v_cvt_f32_u32_e32 v6, s33
	s_sub_i32 s4, 0, s33
	v_rcp_iflag_f32_e32 v6, v6
	v_mul_f32_e32 v6, 0x4f7ffffe, v6
	v_cvt_u32_f32_e32 v6, v6
	v_readfirstlane_b32 s5, v6
	s_mul_i32 s4, s4, s5
	s_mul_hi_u32 s4, s5, s4
	s_add_i32 s5, s5, s4
	s_mul_hi_u32 s4, s20, s5
	s_mul_i32 s4, s4, s33
	s_sub_i32 s4, s20, s4
	s_sub_i32 s5, s4, s33
	s_cmp_ge_u32 s4, s33
	s_cselect_b32 s4, s5, s4
	s_sub_i32 s5, s4, s33
	s_cmp_ge_u32 s4, s33
	s_cselect_b32 s50, s5, s4
	s_mov_b64 s[4:5], s[50:51]
	v_readlane_b32 s50, v54, 50
.LBB132_131:                            ;   in Loop: Header=BB132_6 Depth=1
	s_sub_u32 s36, s20, s4
	s_subb_u32 s37, s9, s5
	v_cmp_gt_u64_e32 vcc, s[36:37], v[0:1]
	s_mov_b64 s[20:21], 0
	s_mov_b64 s[8:9], 0
                                        ; implicit-def: $vgpr8
	s_and_saveexec_b64 s[34:35], vcc
	s_cbranch_execz .LBB132_142
; %bb.132:                              ;   in Loop: Header=BB132_6 Depth=1
	v_mov_b32_e32 v7, v1
	v_mov_b32_e32 v8, v0
	;; [unrolled: 1-line block ×3, first 2 shown]
                                        ; implicit-def: $sgpr12_sgpr13
	s_branch .LBB132_135
.LBB132_133:                            ;   in Loop: Header=BB132_135 Depth=2
	s_or_b64 exec, exec, s[4:5]
	s_waitcnt lgkmcnt(0)
	s_barrier
	ds_read_u16 v9, v3 offset:3072
	s_mov_b64 s[4:5], -1
	s_waitcnt lgkmcnt(0)
	s_barrier
	v_cmp_ne_u32_sdwa s[54:55], v9, v3 src0_sel:BYTE_0 src1_sel:DWORD
	s_and_b64 vcc, exec, s[54:55]
	s_mov_b64 s[54:55], -1
	s_cbranch_vccz .LBB132_138
.LBB132_134:                            ;   in Loop: Header=BB132_135 Depth=2
	s_and_b64 s[4:5], exec, s[4:5]
	s_or_b64 s[8:9], s[4:5], s[8:9]
	s_andn2_b64 s[4:5], s[12:13], exec
	s_and_b64 s[12:13], s[54:55], exec
	s_or_b64 s[12:13], s[4:5], s[12:13]
	s_andn2_b64 exec, exec, s[8:9]
	s_cbranch_execz .LBB132_141
.LBB132_135:                            ;   Parent Loop BB132_6 Depth=1
                                        ; =>  This Inner Loop Header: Depth=2
	v_cmp_gt_u64_e32 vcc, s[10:11], v[6:7]
	s_and_saveexec_b64 s[4:5], vcc
	s_cbranch_execz .LBB132_133
; %bb.136:                              ;   in Loop: Header=BB132_135 Depth=2
	ds_read_u8 v9, v8
	s_waitcnt lgkmcnt(0)
	v_add_u32_sdwa v26, sext(v9), s58 dst_sel:DWORD dst_unused:UNUSED_PAD src0_sel:BYTE_0 src1_sel:DWORD
	v_and_b32_e32 v26, v26, v10
	v_cmp_eq_u32_e32 vcc, v26, v11
	s_and_b64 exec, exec, vcc
	s_cbranch_execz .LBB132_133
; %bb.137:                              ;   in Loop: Header=BB132_135 Depth=2
	v_lshlrev_b16_e32 v9, 8, v9
	v_or_b32_e32 v9, 1, v9
	ds_write_b16 v3, v9 offset:3072
	s_branch .LBB132_133
.LBB132_138:                            ;   in Loop: Header=BB132_135 Depth=2
	v_add_co_u32_e32 v6, vcc, s33, v6
	v_addc_co_u32_e32 v7, vcc, 0, v7, vcc
	v_cmp_le_u64_e32 vcc, s[36:37], v[6:7]
	v_add_u32_e32 v8, s33, v8
	s_mov_b64 s[54:55], 0
	s_orn2_b64 s[4:5], vcc, exec
	s_branch .LBB132_134
.LBB132_139:                            ;   in Loop: Header=BB132_6 Depth=1
                                        ; implicit-def: $sgpr4_sgpr5
	s_branch .LBB132_84
.LBB132_140:                            ;   in Loop: Header=BB132_6 Depth=1
                                        ; implicit-def: $sgpr4_sgpr5
	s_mul_i32 s56, s26, s33
	s_branch .LBB132_101
.LBB132_141:                            ;   in Loop: Header=BB132_6 Depth=1
	s_or_b64 exec, exec, s[8:9]
	v_lshrrev_b32_sdwa v8, v39, v9 dst_sel:DWORD dst_unused:UNUSED_PAD src0_sel:DWORD src1_sel:WORD_0
	s_and_b64 s[8:9], s[12:13], exec
.LBB132_142:                            ;   in Loop: Header=BB132_6 Depth=1
	s_or_b64 exec, exec, s[34:35]
.LBB132_143:                            ;   in Loop: Header=BB132_6 Depth=1
	s_and_b64 vcc, exec, s[20:21]
	s_cbranch_vccz .LBB132_157
; %bb.144:                              ;   in Loop: Header=BB132_6 Depth=1
	v_readlane_b32 s36, v54, 33
	v_readlane_b32 s37, v54, 34
	s_mov_b32 s36, s51
	s_cmp_lg_u64 s[36:37], 0
	v_writelane_b32 v54, s36, 33
	v_writelane_b32 v54, s37, 34
	s_cbranch_scc0 .LBB132_185
; %bb.145:                              ;   in Loop: Header=BB132_6 Depth=1
	v_cvt_f32_u32_e32 v6, s33
	s_sub_u32 s10, 0, s33
	s_subb_u32 s11, 0, 0
	v_mac_f32_e32 v6, 0, v38
	v_rcp_f32_e32 v6, v6
	v_mul_f32_e32 v6, 0x5f7ffffc, v6
	v_mul_f32_e32 v7, 0x2f800000, v6
	v_trunc_f32_e32 v7, v7
	v_mac_f32_e32 v6, 0xcf800000, v7
	v_cvt_u32_f32_e32 v7, v7
	v_cvt_u32_f32_e32 v6, v6
	v_readfirstlane_b32 s12, v7
	v_readfirstlane_b32 s4, v6
	s_mul_i32 s5, s10, s12
	s_mul_hi_u32 s20, s10, s4
	s_mul_i32 s13, s11, s4
	s_add_i32 s5, s20, s5
	s_mul_i32 s21, s10, s4
	s_add_i32 s5, s5, s13
	s_mul_hi_u32 s20, s4, s21
	s_mul_i32 s34, s4, s5
	s_mul_hi_u32 s13, s4, s5
	s_add_u32 s20, s20, s34
	s_addc_u32 s13, 0, s13
	s_mul_hi_u32 s35, s12, s21
	s_mul_i32 s21, s12, s21
	s_add_u32 s20, s20, s21
	s_mul_hi_u32 s34, s12, s5
	s_addc_u32 s13, s13, s35
	s_addc_u32 s20, s34, 0
	s_mul_i32 s5, s12, s5
	s_add_u32 s5, s13, s5
	s_addc_u32 s13, 0, s20
	s_add_u32 s20, s4, s5
	s_cselect_b64 s[4:5], -1, 0
	s_cmp_lg_u64 s[4:5], 0
	s_addc_u32 s12, s12, s13
	s_mul_i32 s4, s10, s12
	s_mul_hi_u32 s5, s10, s20
	s_add_i32 s4, s5, s4
	s_mul_i32 s11, s11, s20
	s_add_i32 s4, s4, s11
	s_mul_i32 s10, s10, s20
	s_mul_hi_u32 s11, s12, s10
	s_mul_i32 s13, s12, s10
	s_mul_i32 s34, s20, s4
	s_mul_hi_u32 s10, s20, s10
	s_mul_hi_u32 s21, s20, s4
	s_add_u32 s10, s10, s34
	s_addc_u32 s21, 0, s21
	s_add_u32 s10, s10, s13
	s_mul_hi_u32 s5, s12, s4
	s_addc_u32 s10, s21, s11
	s_addc_u32 s5, s5, 0
	s_mul_i32 s4, s12, s4
	s_add_u32 s4, s10, s4
	s_addc_u32 s10, 0, s5
	s_add_u32 s11, s20, s4
	s_cselect_b64 s[4:5], -1, 0
	s_cmp_lg_u64 s[4:5], 0
	s_addc_u32 s4, s12, s10
	v_readlane_b32 s20, v54, 31
	s_mul_i32 s10, s20, s4
	s_mul_hi_u32 s12, s20, s11
	s_mul_hi_u32 s5, s20, s4
	s_add_u32 s10, s12, s10
	s_addc_u32 s5, 0, s5
	s_mul_hi_u32 s13, s37, s11
	s_mul_i32 s11, s37, s11
	s_add_u32 s10, s10, s11
	s_mul_hi_u32 s12, s37, s4
	s_addc_u32 s5, s5, s13
	s_addc_u32 s10, s12, 0
	s_mul_i32 s4, s37, s4
	s_add_u32 s4, s5, s4
	s_addc_u32 s5, 0, s10
	s_mul_i32 s5, s33, s5
	s_mul_hi_u32 s10, s33, s4
	s_add_i32 s10, s10, s5
	s_mul_i32 s4, s33, s4
	s_sub_u32 s11, s20, s4
	s_cselect_b64 s[4:5], -1, 0
	s_cmp_lg_u64 s[4:5], 0
	s_subb_u32 s10, s37, s10
	s_sub_u32 s12, s11, s33
	s_cselect_b64 s[4:5], -1, 0
	s_cmp_lg_u64 s[4:5], 0
	s_subb_u32 s13, s10, 0
	;; [unrolled: 4-line block ×3, first 2 shown]
	s_cmp_ge_u32 s12, s33
	s_cselect_b32 s5, -1, 0
	s_cmp_eq_u32 s13, 0
	s_cselect_b32 s5, s5, -1
	s_cmp_lg_u32 s5, 0
	s_cselect_b32 s4, s4, s13
	s_cselect_b32 s12, s20, s12
	s_cmp_ge_u32 s11, s33
	s_cselect_b32 s5, -1, 0
	s_cmp_eq_u32 s10, 0
	s_cselect_b32 s5, s5, -1
	s_cmp_lg_u32 s5, 0
	s_cselect_b32 s5, s4, s10
	s_cselect_b32 s4, s12, s11
	s_mul_i32 s56, s26, s33
	s_cbranch_execnz .LBB132_147
.LBB132_146:                            ;   in Loop: Header=BB132_6 Depth=1
	v_cvt_f32_u32_e32 v6, s33
	s_sub_i32 s4, 0, s33
	v_readlane_b32 s10, v54, 31
	v_rcp_iflag_f32_e32 v6, v6
	v_mul_f32_e32 v6, 0x4f7ffffe, v6
	v_cvt_u32_f32_e32 v6, v6
	v_readfirstlane_b32 s5, v6
	s_mul_i32 s4, s4, s5
	s_mul_hi_u32 s4, s5, s4
	s_add_i32 s5, s5, s4
	s_mul_hi_u32 s4, s10, s5
	s_mul_i32 s4, s4, s33
	s_sub_i32 s4, s10, s4
	s_sub_i32 s5, s4, s33
	s_cmp_ge_u32 s4, s33
	s_cselect_b32 s4, s5, s4
	s_sub_i32 s5, s4, s33
	s_cmp_ge_u32 s4, s33
	s_cselect_b32 s50, s5, s4
	s_mov_b64 s[4:5], s[50:51]
	v_readlane_b32 s50, v54, 50
.LBB132_147:                            ;   in Loop: Header=BB132_6 Depth=1
	v_readlane_b32 s10, v54, 31
	s_sub_u32 s20, s10, s4
	v_readlane_b32 s10, v54, 33
	v_readlane_b32 s11, v54, 34
	s_subb_u32 s21, s11, s5
	v_cmp_gt_u64_e32 vcc, s[20:21], v[0:1]
                                        ; implicit-def: $vgpr8
	s_and_saveexec_b64 s[10:11], vcc
	s_cbranch_execz .LBB132_156
; %bb.148:                              ;   in Loop: Header=BB132_6 Depth=1
	v_mov_b32_e32 v6, v12
	v_mov_b32_e32 v9, v1
	s_mov_b64 s[12:13], 0
	v_mov_b32_e32 v7, v13
	v_mov_b32_e32 v8, v0
                                        ; implicit-def: $sgpr34_sgpr35
	s_branch .LBB132_151
.LBB132_149:                            ;   in Loop: Header=BB132_151 Depth=2
	s_or_b64 exec, exec, s[4:5]
	s_waitcnt lgkmcnt(0)
	s_barrier
	ds_read_u16 v26, v3 offset:3072
	s_mov_b64 s[4:5], -1
	s_waitcnt lgkmcnt(0)
	s_barrier
	v_cmp_eq_u32_sdwa s[36:37], v26, v3 src0_sel:BYTE_0 src1_sel:DWORD
	s_and_b64 vcc, exec, s[36:37]
	s_mov_b64 s[36:37], -1
	s_cbranch_vccnz .LBB132_154
.LBB132_150:                            ;   in Loop: Header=BB132_151 Depth=2
	s_and_b64 s[4:5], exec, s[4:5]
	s_or_b64 s[12:13], s[4:5], s[12:13]
	s_andn2_b64 s[4:5], s[34:35], exec
	s_and_b64 s[34:35], s[36:37], exec
	s_or_b64 s[34:35], s[4:5], s[34:35]
	s_andn2_b64 exec, exec, s[12:13]
	s_cbranch_execz .LBB132_155
.LBB132_151:                            ;   Parent Loop BB132_6 Depth=1
                                        ; =>  This Inner Loop Header: Depth=2
	v_cmp_gt_u64_e32 vcc, s[28:29], v[8:9]
	s_and_saveexec_b64 s[4:5], vcc
	s_cbranch_execz .LBB132_149
; %bb.152:                              ;   in Loop: Header=BB132_151 Depth=2
	global_load_ubyte v26, v[6:7], off
	s_waitcnt vmcnt(0)
	v_add_u32_sdwa v27, sext(v26), s58 dst_sel:DWORD dst_unused:UNUSED_PAD src0_sel:BYTE_0 src1_sel:DWORD
	v_and_b32_e32 v27, v27, v10
	v_cmp_eq_u32_e32 vcc, v27, v11
	s_and_b64 exec, exec, vcc
	s_cbranch_execz .LBB132_149
; %bb.153:                              ;   in Loop: Header=BB132_151 Depth=2
	v_lshlrev_b16_e32 v26, 8, v26
	v_or_b32_e32 v26, 1, v26
	ds_write_b16 v3, v26 offset:3072
	s_branch .LBB132_149
.LBB132_154:                            ;   in Loop: Header=BB132_151 Depth=2
	v_add_co_u32_e32 v8, vcc, s33, v8
	v_addc_co_u32_e32 v9, vcc, 0, v9, vcc
	v_readlane_b32 s4, v54, 46
	v_mov_b32_e32 v27, s4
	v_add_co_u32_e32 v6, vcc, s56, v6
	v_addc_co_u32_e32 v7, vcc, v7, v27, vcc
	v_cmp_le_u64_e32 vcc, s[20:21], v[8:9]
	s_mov_b64 s[36:37], 0
	s_orn2_b64 s[4:5], vcc, exec
	s_branch .LBB132_150
.LBB132_155:                            ;   in Loop: Header=BB132_6 Depth=1
	s_or_b64 exec, exec, s[12:13]
	s_andn2_b64 s[4:5], s[8:9], exec
	s_and_b64 s[8:9], s[34:35], exec
	v_lshrrev_b32_sdwa v8, v39, v26 dst_sel:DWORD dst_unused:UNUSED_PAD src0_sel:DWORD src1_sel:WORD_0
	s_or_b64 s[8:9], s[4:5], s[8:9]
.LBB132_156:                            ;   in Loop: Header=BB132_6 Depth=1
	s_or_b64 exec, exec, s[10:11]
	s_mov_b64 s[38:39], 0
	s_mov_b64 s[94:95], -1
.LBB132_157:                            ;   in Loop: Header=BB132_6 Depth=1
	s_orn2_b64 s[4:5], s[8:9], exec
.LBB132_158:                            ;   in Loop: Header=BB132_6 Depth=1
	s_or_b64 exec, exec, s[14:15]
	s_mov_b64 s[8:9], 0
	s_and_saveexec_b64 s[14:15], s[4:5]
	s_cbranch_execz .LBB132_268
; %bb.159:                              ;   in Loop: Header=BB132_6 Depth=1
	v_mov_b32_e32 v6, 1
	s_xor_b64 s[4:5], s[2:3], -1
	v_mov_b32_e32 v2, 1
	v_mov_b32_e32 v7, 0
	s_and_saveexec_b64 s[2:3], s[4:5]
	s_cbranch_execz .LBB132_168
; %bb.160:                              ;   in Loop: Header=BB132_6 Depth=1
	v_cmp_ge_u64_e32 vcc, s[88:89], v[4:5]
	s_and_saveexec_b64 s[4:5], vcc
	s_xor_b64 s[4:5], exec, s[4:5]
	s_cbranch_execz .LBB132_165
; %bb.161:                              ;   in Loop: Header=BB132_6 Depth=1
	ds_read_b64 v[6:7], v3 offset:5120
	v_and_b32_e32 v2, s49, v11
	v_lshl_or_b32 v11, 1, s53, v2
	v_or_b32_e32 v10, s59, v10
	s_waitcnt lgkmcnt(0)
	v_cmp_ne_u64_e32 vcc, 0, v[6:7]
	s_cbranch_vccnz .LBB132_165
; %bb.162:                              ;   in Loop: Header=BB132_6 Depth=1
	s_mov_b64 s[8:9], exec
	v_readlane_b32 s10, v54, 8
	v_readlane_b32 s11, v54, 9
	s_and_b64 s[10:11], s[8:9], s[10:11]
	s_mov_b64 exec, s[10:11]
; %bb.163:                              ;   in Loop: Header=BB132_6 Depth=1
	v_mov_b32_e32 v6, s88
	v_mov_b32_e32 v7, s89
	ds_write_b64 v3, v[6:7] offset:5128
; %bb.164:                              ;   in Loop: Header=BB132_6 Depth=1
	s_or_b64 exec, exec, s[8:9]
	s_waitcnt lgkmcnt(0)
	s_barrier
.LBB132_165:                            ;   in Loop: Header=BB132_6 Depth=1
	s_or_saveexec_b64 s[4:5], s[4:5]
	s_mov_b64 s[8:9], 0
	v_mov_b32_e32 v2, 8
	s_xor_b64 exec, exec, s[4:5]
; %bb.166:                              ;   in Loop: Header=BB132_6 Depth=1
	v_subrev_co_u32_e32 v4, vcc, s88, v4
	v_mov_b32_e32 v2, s89
	v_subb_co_u32_e32 v5, vcc, v5, v2, vcc
	v_mov_b32_e32 v2, 0
	s_mov_b64 s[8:9], exec
; %bb.167:                              ;   in Loop: Header=BB132_6 Depth=1
	s_or_b64 exec, exec, s[4:5]
	v_mov_b32_e32 v7, v5
	s_and_b64 s[8:9], s[8:9], exec
	v_mov_b32_e32 v6, v4
.LBB132_168:                            ;   in Loop: Header=BB132_6 Depth=1
	s_or_b64 exec, exec, s[2:3]
	s_mov_b64 s[4:5], -1
                                        ; implicit-def: $sgpr2_sgpr3
                                        ; kill: killed $sgpr2_sgpr3
                                        ; implicit-def: $sgpr2_sgpr3
                                        ; kill: killed $sgpr2_sgpr3
	s_and_saveexec_b64 s[20:21], s[8:9]
	s_cbranch_execz .LBB132_267
; %bb.169:                              ;   in Loop: Header=BB132_6 Depth=1
	s_cmp_eq_u64 s[90:91], 1
	v_cmp_eq_u64_e32 vcc, 1, v[6:7]
	s_cselect_b64 s[2:3], -1, 0
	s_and_b64 s[62:63], s[2:3], vcc
                                        ; implicit-def: $sgpr2_sgpr3
                                        ; kill: killed $sgpr2_sgpr3
                                        ; implicit-def: $sgpr2_sgpr3
                                        ; kill: killed $sgpr2_sgpr3
	s_and_saveexec_b64 s[60:61], s[62:63]
	s_cbranch_execz .LBB132_203
; %bb.170:                              ;   in Loop: Header=BB132_6 Depth=1
	ds_read_b64 v[4:5], v3 offset:5120
	s_waitcnt lgkmcnt(0)
	s_barrier
	v_readfirstlane_b32 s10, v4
	v_readfirstlane_b32 s11, v5
	s_mov_b64 s[2:3], exec
	v_readlane_b32 s4, v54, 26
	v_readlane_b32 s5, v54, 27
	s_and_b64 s[4:5], s[2:3], s[4:5]
	s_mov_b64 exec, s[4:5]
; %bb.171:                              ;   in Loop: Header=BB132_6 Depth=1
	ds_write_b8 v0, v3 offset:3072
; %bb.172:                              ;   in Loop: Header=BB132_6 Depth=1
	s_or_b64 exec, exec, s[2:3]
	s_mov_b64 s[2:3], -1
	v_writelane_b32 v54, s2, 52
	v_and_b32_e32 v4, s49, v11
	v_writelane_b32 v54, s3, 53
	s_mov_b64 s[2:3], 0
	v_lshl_or_b32 v11, 2, s53, v4
	v_or_b32_e32 v10, s59, v10
	v_writelane_b32 v54, s2, 54
	s_cmp_eq_u64 s[10:11], 0
	s_mov_b64 s[8:9], 0
	s_mov_b64 s[36:37], -1
	s_waitcnt lgkmcnt(0)
	s_barrier
	v_writelane_b32 v54, s3, 55
                                        ; implicit-def: $vgpr8
	s_cbranch_scc1 .LBB132_188
; %bb.173:                              ;   in Loop: Header=BB132_6 Depth=1
	v_readlane_b32 s2, v54, 30
	s_add_u32 s12, s10, s2
	v_readlane_b32 s2, v54, 32
	s_addc_u32 s9, s11, s2
	s_mov_b32 s8, s51
	s_cmp_lg_u64 s[8:9], 0
	s_cbranch_scc0 .LBB132_220
; %bb.174:                              ;   in Loop: Header=BB132_6 Depth=1
	v_cvt_f32_u32_e32 v4, s33
	s_sub_u32 s4, 0, s33
	s_subb_u32 s5, 0, 0
	v_mac_f32_e32 v4, 0, v38
	v_rcp_f32_e32 v4, v4
	v_mul_f32_e32 v4, 0x5f7ffffc, v4
	v_mul_f32_e32 v5, 0x2f800000, v4
	v_trunc_f32_e32 v5, v5
	v_mac_f32_e32 v4, 0xcf800000, v5
	v_cvt_u32_f32_e32 v5, v5
	v_cvt_u32_f32_e32 v4, v4
	v_readfirstlane_b32 s8, v5
	v_readfirstlane_b32 s2, v4
	s_mul_i32 s3, s4, s8
	s_mul_hi_u32 s34, s4, s2
	s_mul_i32 s13, s5, s2
	s_add_i32 s3, s34, s3
	s_mul_i32 s35, s4, s2
	s_add_i32 s3, s3, s13
	s_mul_hi_u32 s34, s2, s35
	s_mul_i32 s36, s2, s3
	s_mul_hi_u32 s13, s2, s3
	s_add_u32 s34, s34, s36
	s_addc_u32 s13, 0, s13
	s_mul_hi_u32 s37, s8, s35
	s_mul_i32 s35, s8, s35
	s_add_u32 s34, s34, s35
	s_mul_hi_u32 s36, s8, s3
	s_addc_u32 s13, s13, s37
	s_addc_u32 s34, s36, 0
	s_mul_i32 s3, s8, s3
	s_add_u32 s3, s13, s3
	s_addc_u32 s13, 0, s34
	s_add_u32 s34, s2, s3
	s_cselect_b64 s[2:3], -1, 0
	s_cmp_lg_u64 s[2:3], 0
	s_addc_u32 s8, s8, s13
	s_mul_i32 s2, s4, s8
	s_mul_hi_u32 s3, s4, s34
	s_add_i32 s2, s3, s2
	s_mul_i32 s5, s5, s34
	s_add_i32 s2, s2, s5
	s_mul_i32 s4, s4, s34
	s_mul_hi_u32 s5, s8, s4
	s_mul_i32 s13, s8, s4
	s_mul_i32 s36, s34, s2
	s_mul_hi_u32 s4, s34, s4
	s_mul_hi_u32 s35, s34, s2
	s_add_u32 s4, s4, s36
	s_addc_u32 s35, 0, s35
	s_add_u32 s4, s4, s13
	s_mul_hi_u32 s3, s8, s2
	s_addc_u32 s4, s35, s5
	s_addc_u32 s3, s3, 0
	s_mul_i32 s2, s8, s2
	s_add_u32 s2, s4, s2
	s_addc_u32 s4, 0, s3
	s_add_u32 s5, s34, s2
	s_cselect_b64 s[2:3], -1, 0
	s_cmp_lg_u64 s[2:3], 0
	s_addc_u32 s2, s8, s4
	s_mul_i32 s4, s12, s2
	s_mul_hi_u32 s8, s12, s5
	s_mul_hi_u32 s3, s12, s2
	s_add_u32 s4, s8, s4
	s_addc_u32 s3, 0, s3
	s_mul_hi_u32 s13, s9, s5
	s_mul_i32 s5, s9, s5
	s_add_u32 s4, s4, s5
	s_mul_hi_u32 s8, s9, s2
	s_addc_u32 s3, s3, s13
	s_addc_u32 s4, s8, 0
	s_mul_i32 s2, s9, s2
	s_add_u32 s2, s3, s2
	s_addc_u32 s3, 0, s4
	s_mul_i32 s3, s33, s3
	s_mul_hi_u32 s4, s33, s2
	s_add_i32 s4, s4, s3
	s_mul_i32 s2, s33, s2
	s_sub_u32 s8, s12, s2
	s_cselect_b64 s[2:3], -1, 0
	s_cmp_lg_u64 s[2:3], 0
	s_subb_u32 s4, s9, s4
	s_sub_u32 s5, s8, s33
	s_cselect_b64 s[2:3], -1, 0
	s_cmp_lg_u64 s[2:3], 0
	s_subb_u32 s13, s4, 0
	;; [unrolled: 4-line block ×3, first 2 shown]
	s_cmp_ge_u32 s5, s33
	s_cselect_b32 s3, -1, 0
	s_cmp_eq_u32 s13, 0
	s_cselect_b32 s3, s3, -1
	s_cmp_lg_u32 s3, 0
	s_cselect_b32 s2, s2, s13
	s_cselect_b32 s3, s34, s5
	s_cmp_ge_u32 s8, s33
	s_cselect_b32 s5, -1, 0
	s_cmp_eq_u32 s4, 0
	s_cselect_b32 s5, s5, -1
	s_cmp_lg_u32 s5, 0
	s_cselect_b32 s5, s2, s4
	s_cselect_b32 s4, s3, s8
	s_cbranch_execnz .LBB132_176
.LBB132_175:                            ;   in Loop: Header=BB132_6 Depth=1
	v_cvt_f32_u32_e32 v4, s33
	s_sub_i32 s2, 0, s33
	v_rcp_iflag_f32_e32 v4, v4
	v_mul_f32_e32 v4, 0x4f7ffffe, v4
	v_cvt_u32_f32_e32 v4, v4
	v_readfirstlane_b32 s3, v4
	s_mul_i32 s2, s2, s3
	s_mul_hi_u32 s2, s3, s2
	s_add_i32 s3, s3, s2
	s_mul_hi_u32 s2, s12, s3
	s_mul_i32 s2, s2, s33
	s_sub_i32 s2, s12, s2
	s_sub_i32 s3, s2, s33
	s_cmp_ge_u32 s2, s33
	s_cselect_b32 s2, s3, s2
	s_sub_i32 s3, s2, s33
	s_cmp_ge_u32 s2, s33
	s_cselect_b32 s50, s3, s2
	s_mov_b64 s[4:5], s[50:51]
	v_readlane_b32 s50, v54, 50
.LBB132_176:                            ;   in Loop: Header=BB132_6 Depth=1
	s_sub_u32 s12, s12, s4
	s_subb_u32 s13, s9, s5
	v_cmp_gt_u64_e32 vcc, s[12:13], v[0:1]
	s_mov_b64 s[36:37], 0
	s_mov_b64 s[8:9], 0
                                        ; implicit-def: $vgpr8
	s_and_saveexec_b64 s[54:55], vcc
	s_cbranch_execz .LBB132_187
; %bb.177:                              ;   in Loop: Header=BB132_6 Depth=1
	v_mov_b32_e32 v5, v1
	v_mov_b32_e32 v8, v0
	;; [unrolled: 1-line block ×3, first 2 shown]
                                        ; implicit-def: $sgpr4_sgpr5
	s_branch .LBB132_180
.LBB132_178:                            ;   in Loop: Header=BB132_180 Depth=2
	s_or_b64 exec, exec, s[34:35]
	s_waitcnt lgkmcnt(0)
	s_barrier
	ds_read_u16 v9, v3 offset:3072
	s_mov_b64 s[34:35], -1
	s_waitcnt lgkmcnt(0)
	s_barrier
	v_cmp_ne_u32_sdwa s[2:3], v9, v3 src0_sel:BYTE_0 src1_sel:DWORD
	s_and_b64 vcc, exec, s[2:3]
	s_mov_b64 s[2:3], -1
	s_cbranch_vccz .LBB132_183
.LBB132_179:                            ;   in Loop: Header=BB132_180 Depth=2
	s_and_b64 s[34:35], exec, s[34:35]
	s_or_b64 s[8:9], s[34:35], s[8:9]
	s_andn2_b64 s[4:5], s[4:5], exec
	s_and_b64 s[2:3], s[2:3], exec
	s_or_b64 s[4:5], s[4:5], s[2:3]
	s_andn2_b64 exec, exec, s[8:9]
	s_cbranch_execz .LBB132_186
.LBB132_180:                            ;   Parent Loop BB132_6 Depth=1
                                        ; =>  This Inner Loop Header: Depth=2
	v_cmp_gt_u64_e32 vcc, s[10:11], v[4:5]
	s_and_saveexec_b64 s[34:35], vcc
	s_cbranch_execz .LBB132_178
; %bb.181:                              ;   in Loop: Header=BB132_180 Depth=2
	ds_read_u8 v9, v8
	s_waitcnt lgkmcnt(0)
	v_add_u32_sdwa v26, sext(v9), s58 dst_sel:DWORD dst_unused:UNUSED_PAD src0_sel:BYTE_0 src1_sel:DWORD
	v_and_b32_e32 v26, v26, v10
	v_cmp_eq_u32_e32 vcc, v26, v11
	s_and_b64 exec, exec, vcc
	s_cbranch_execz .LBB132_178
; %bb.182:                              ;   in Loop: Header=BB132_180 Depth=2
	v_lshlrev_b16_e32 v9, 8, v9
	v_or_b32_e32 v9, 1, v9
	ds_write_b16 v3, v9 offset:3072
	s_branch .LBB132_178
.LBB132_183:                            ;   in Loop: Header=BB132_180 Depth=2
	v_add_co_u32_e32 v4, vcc, s33, v4
	v_addc_co_u32_e32 v5, vcc, 0, v5, vcc
	v_cmp_le_u64_e32 vcc, s[12:13], v[4:5]
	v_add_u32_e32 v8, s33, v8
	s_mov_b64 s[2:3], 0
	s_orn2_b64 s[34:35], vcc, exec
	s_branch .LBB132_179
.LBB132_184:                            ;   in Loop: Header=BB132_6 Depth=1
                                        ; implicit-def: $sgpr4_sgpr5
	s_branch .LBB132_130
.LBB132_185:                            ;   in Loop: Header=BB132_6 Depth=1
                                        ; implicit-def: $sgpr4_sgpr5
	s_mul_i32 s56, s26, s33
	s_branch .LBB132_146
.LBB132_186:                            ;   in Loop: Header=BB132_6 Depth=1
	s_or_b64 exec, exec, s[8:9]
	v_lshrrev_b32_sdwa v8, v39, v9 dst_sel:DWORD dst_unused:UNUSED_PAD src0_sel:DWORD src1_sel:WORD_0
	s_and_b64 s[8:9], s[4:5], exec
.LBB132_187:                            ;   in Loop: Header=BB132_6 Depth=1
	s_or_b64 exec, exec, s[54:55]
.LBB132_188:                            ;   in Loop: Header=BB132_6 Depth=1
	s_and_b64 vcc, exec, s[36:37]
	s_cbranch_vccz .LBB132_202
; %bb.189:                              ;   in Loop: Header=BB132_6 Depth=1
	v_readlane_b32 s36, v54, 33
	v_readlane_b32 s37, v54, 34
	s_mov_b32 s36, s51
	s_cmp_lg_u64 s[36:37], 0
	v_writelane_b32 v54, s36, 33
	v_writelane_b32 v54, s37, 34
	s_cbranch_scc0 .LBB132_221
; %bb.190:                              ;   in Loop: Header=BB132_6 Depth=1
	v_cvt_f32_u32_e32 v4, s33
	s_sub_u32 s4, 0, s33
	s_subb_u32 s5, 0, 0
	v_mac_f32_e32 v4, 0, v38
	v_rcp_f32_e32 v4, v4
	v_mul_f32_e32 v4, 0x5f7ffffc, v4
	v_mul_f32_e32 v5, 0x2f800000, v4
	v_trunc_f32_e32 v5, v5
	v_mac_f32_e32 v4, 0xcf800000, v5
	v_cvt_u32_f32_e32 v5, v5
	v_cvt_u32_f32_e32 v4, v4
	v_readfirstlane_b32 s10, v5
	v_readfirstlane_b32 s2, v4
	s_mul_i32 s3, s4, s10
	s_mul_hi_u32 s12, s4, s2
	s_mul_i32 s11, s5, s2
	s_add_i32 s3, s12, s3
	s_mul_i32 s13, s4, s2
	s_add_i32 s3, s3, s11
	s_mul_hi_u32 s12, s2, s13
	s_mul_i32 s34, s2, s3
	s_mul_hi_u32 s11, s2, s3
	s_add_u32 s12, s12, s34
	s_addc_u32 s11, 0, s11
	s_mul_hi_u32 s35, s10, s13
	s_mul_i32 s13, s10, s13
	s_add_u32 s12, s12, s13
	s_mul_hi_u32 s34, s10, s3
	s_addc_u32 s11, s11, s35
	s_addc_u32 s12, s34, 0
	s_mul_i32 s3, s10, s3
	s_add_u32 s3, s11, s3
	s_addc_u32 s11, 0, s12
	s_add_u32 s12, s2, s3
	s_cselect_b64 s[2:3], -1, 0
	s_cmp_lg_u64 s[2:3], 0
	s_addc_u32 s10, s10, s11
	s_mul_i32 s2, s4, s10
	s_mul_hi_u32 s3, s4, s12
	s_add_i32 s2, s3, s2
	s_mul_i32 s5, s5, s12
	s_add_i32 s2, s2, s5
	s_mul_i32 s4, s4, s12
	s_mul_hi_u32 s5, s10, s4
	s_mul_i32 s11, s10, s4
	s_mul_i32 s34, s12, s2
	s_mul_hi_u32 s4, s12, s4
	s_mul_hi_u32 s13, s12, s2
	s_add_u32 s4, s4, s34
	s_addc_u32 s13, 0, s13
	s_add_u32 s4, s4, s11
	s_mul_hi_u32 s3, s10, s2
	s_addc_u32 s4, s13, s5
	s_addc_u32 s3, s3, 0
	s_mul_i32 s2, s10, s2
	s_add_u32 s2, s4, s2
	s_addc_u32 s4, 0, s3
	s_add_u32 s5, s12, s2
	s_cselect_b64 s[2:3], -1, 0
	s_cmp_lg_u64 s[2:3], 0
	s_addc_u32 s2, s10, s4
	v_readlane_b32 s12, v54, 31
	s_mul_i32 s4, s12, s2
	s_mul_hi_u32 s10, s12, s5
	s_mul_hi_u32 s3, s12, s2
	s_add_u32 s4, s10, s4
	s_addc_u32 s3, 0, s3
	s_mul_hi_u32 s11, s37, s5
	s_mul_i32 s5, s37, s5
	s_add_u32 s4, s4, s5
	s_mul_hi_u32 s10, s37, s2
	s_addc_u32 s3, s3, s11
	s_addc_u32 s4, s10, 0
	s_mul_i32 s2, s37, s2
	s_add_u32 s2, s3, s2
	s_addc_u32 s3, 0, s4
	s_mul_i32 s3, s33, s3
	s_mul_hi_u32 s4, s33, s2
	s_add_i32 s4, s4, s3
	s_mul_i32 s2, s33, s2
	s_sub_u32 s5, s12, s2
	s_cselect_b64 s[2:3], -1, 0
	s_cmp_lg_u64 s[2:3], 0
	s_subb_u32 s4, s37, s4
	s_sub_u32 s10, s5, s33
	s_cselect_b64 s[2:3], -1, 0
	s_cmp_lg_u64 s[2:3], 0
	s_subb_u32 s11, s4, 0
	;; [unrolled: 4-line block ×3, first 2 shown]
	s_cmp_ge_u32 s10, s33
	s_cselect_b32 s3, -1, 0
	s_cmp_eq_u32 s11, 0
	s_cselect_b32 s3, s3, -1
	s_cmp_lg_u32 s3, 0
	s_cselect_b32 s2, s2, s11
	s_cselect_b32 s10, s12, s10
	s_cmp_ge_u32 s5, s33
	s_cselect_b32 s3, -1, 0
	s_cmp_eq_u32 s4, 0
	s_cselect_b32 s3, s3, -1
	s_cmp_lg_u32 s3, 0
	s_cselect_b32 s3, s2, s4
	s_cselect_b32 s2, s10, s5
	s_mul_i32 s56, s26, s33
	s_cbranch_execnz .LBB132_192
.LBB132_191:                            ;   in Loop: Header=BB132_6 Depth=1
	v_cvt_f32_u32_e32 v4, s33
	s_sub_i32 s2, 0, s33
	v_readlane_b32 s4, v54, 31
	v_rcp_iflag_f32_e32 v4, v4
	v_mul_f32_e32 v4, 0x4f7ffffe, v4
	v_cvt_u32_f32_e32 v4, v4
	v_readfirstlane_b32 s3, v4
	s_mul_i32 s2, s2, s3
	s_mul_hi_u32 s2, s3, s2
	s_add_i32 s3, s3, s2
	s_mul_hi_u32 s2, s4, s3
	s_mul_i32 s2, s2, s33
	s_sub_i32 s2, s4, s2
	s_sub_i32 s3, s2, s33
	s_cmp_ge_u32 s2, s33
	s_cselect_b32 s2, s3, s2
	s_sub_i32 s3, s2, s33
	s_cmp_ge_u32 s2, s33
	s_cselect_b32 s50, s3, s2
	s_mov_b64 s[2:3], s[50:51]
	v_readlane_b32 s50, v54, 50
.LBB132_192:                            ;   in Loop: Header=BB132_6 Depth=1
	v_readlane_b32 s4, v54, 31
	s_sub_u32 s10, s4, s2
	v_readlane_b32 s4, v54, 33
	v_readlane_b32 s5, v54, 34
	s_subb_u32 s11, s5, s3
	v_cmp_gt_u64_e32 vcc, s[10:11], v[0:1]
                                        ; implicit-def: $vgpr8
	s_and_saveexec_b64 s[2:3], vcc
	s_cbranch_execz .LBB132_201
; %bb.193:                              ;   in Loop: Header=BB132_6 Depth=1
	v_mov_b32_e32 v4, v12
	v_mov_b32_e32 v9, v1
	s_mov_b64 s[12:13], 0
	v_mov_b32_e32 v5, v13
	v_mov_b32_e32 v8, v0
                                        ; implicit-def: $sgpr34_sgpr35
	s_branch .LBB132_196
.LBB132_194:                            ;   in Loop: Header=BB132_196 Depth=2
	s_or_b64 exec, exec, s[4:5]
	s_waitcnt lgkmcnt(0)
	s_barrier
	ds_read_u16 v26, v3 offset:3072
	s_mov_b64 s[4:5], -1
	s_waitcnt lgkmcnt(0)
	s_barrier
	v_cmp_eq_u32_sdwa s[36:37], v26, v3 src0_sel:BYTE_0 src1_sel:DWORD
	s_and_b64 vcc, exec, s[36:37]
	s_mov_b64 s[36:37], -1
	s_cbranch_vccnz .LBB132_199
.LBB132_195:                            ;   in Loop: Header=BB132_196 Depth=2
	s_and_b64 s[4:5], exec, s[4:5]
	s_or_b64 s[12:13], s[4:5], s[12:13]
	s_andn2_b64 s[4:5], s[34:35], exec
	s_and_b64 s[34:35], s[36:37], exec
	s_or_b64 s[34:35], s[4:5], s[34:35]
	s_andn2_b64 exec, exec, s[12:13]
	s_cbranch_execz .LBB132_200
.LBB132_196:                            ;   Parent Loop BB132_6 Depth=1
                                        ; =>  This Inner Loop Header: Depth=2
	v_cmp_gt_u64_e32 vcc, s[28:29], v[8:9]
	s_and_saveexec_b64 s[4:5], vcc
	s_cbranch_execz .LBB132_194
; %bb.197:                              ;   in Loop: Header=BB132_196 Depth=2
	global_load_ubyte v26, v[4:5], off
	s_waitcnt vmcnt(0)
	v_add_u32_sdwa v27, sext(v26), s58 dst_sel:DWORD dst_unused:UNUSED_PAD src0_sel:BYTE_0 src1_sel:DWORD
	v_and_b32_e32 v27, v27, v10
	v_cmp_eq_u32_e32 vcc, v27, v11
	s_and_b64 exec, exec, vcc
	s_cbranch_execz .LBB132_194
; %bb.198:                              ;   in Loop: Header=BB132_196 Depth=2
	v_lshlrev_b16_e32 v26, 8, v26
	v_or_b32_e32 v26, 1, v26
	ds_write_b16 v3, v26 offset:3072
	s_branch .LBB132_194
.LBB132_199:                            ;   in Loop: Header=BB132_196 Depth=2
	v_add_co_u32_e32 v8, vcc, s33, v8
	v_addc_co_u32_e32 v9, vcc, 0, v9, vcc
	v_readlane_b32 s4, v54, 46
	v_mov_b32_e32 v27, s4
	v_add_co_u32_e32 v4, vcc, s56, v4
	v_addc_co_u32_e32 v5, vcc, v5, v27, vcc
	v_cmp_le_u64_e32 vcc, s[10:11], v[8:9]
	s_mov_b64 s[36:37], 0
	s_orn2_b64 s[4:5], vcc, exec
	s_branch .LBB132_195
.LBB132_200:                            ;   in Loop: Header=BB132_6 Depth=1
	s_or_b64 exec, exec, s[12:13]
	s_andn2_b64 s[4:5], s[8:9], exec
	s_and_b64 s[8:9], s[34:35], exec
	v_lshrrev_b32_sdwa v8, v39, v26 dst_sel:DWORD dst_unused:UNUSED_PAD src0_sel:DWORD src1_sel:WORD_0
	s_or_b64 s[8:9], s[4:5], s[8:9]
.LBB132_201:                            ;   in Loop: Header=BB132_6 Depth=1
	s_or_b64 exec, exec, s[2:3]
	s_mov_b64 s[2:3], 0
	v_writelane_b32 v54, s2, 52
	v_writelane_b32 v54, s3, 53
	s_mov_b64 s[2:3], -1
	v_writelane_b32 v54, s2, 54
	v_writelane_b32 v54, s3, 55
.LBB132_202:                            ;   in Loop: Header=BB132_6 Depth=1
	s_orn2_b64 s[4:5], s[8:9], exec
.LBB132_203:                            ;   in Loop: Header=BB132_6 Depth=1
	s_or_b64 exec, exec, s[60:61]
	s_mov_b64 s[8:9], 0
	s_and_saveexec_b64 s[60:61], s[4:5]
	s_cbranch_execz .LBB132_266
; %bb.204:                              ;   in Loop: Header=BB132_6 Depth=1
	v_mov_b32_e32 v4, 1
	s_xor_b64 s[2:3], s[62:63], -1
	v_mov_b32_e32 v2, 1
	v_mov_b32_e32 v5, 0
	s_mov_b64 s[10:11], 0
	s_and_saveexec_b64 s[8:9], s[2:3]
	s_cbranch_execz .LBB132_213
; %bb.205:                              ;   in Loop: Header=BB132_6 Depth=1
	v_cmp_ge_u64_e32 vcc, s[90:91], v[6:7]
	s_and_saveexec_b64 s[2:3], vcc
	s_xor_b64 s[4:5], exec, s[2:3]
	s_cbranch_execz .LBB132_210
; %bb.206:                              ;   in Loop: Header=BB132_6 Depth=1
	ds_read_b64 v[4:5], v3 offset:5120
	v_and_b32_e32 v2, s49, v11
	v_lshl_or_b32 v11, 2, s53, v2
	v_or_b32_e32 v10, s59, v10
	s_waitcnt lgkmcnt(0)
	v_cmp_ne_u64_e32 vcc, 0, v[4:5]
	s_cbranch_vccnz .LBB132_210
; %bb.207:                              ;   in Loop: Header=BB132_6 Depth=1
	s_mov_b64 s[2:3], exec
	v_readlane_b32 s10, v54, 8
	v_readlane_b32 s11, v54, 9
	s_and_b64 s[10:11], s[2:3], s[10:11]
	s_mov_b64 exec, s[10:11]
; %bb.208:                              ;   in Loop: Header=BB132_6 Depth=1
	v_mov_b32_e32 v4, s90
	v_mov_b32_e32 v5, s91
	ds_write_b64 v3, v[4:5] offset:5128
; %bb.209:                              ;   in Loop: Header=BB132_6 Depth=1
	s_or_b64 exec, exec, s[2:3]
	s_waitcnt lgkmcnt(0)
	s_barrier
.LBB132_210:                            ;   in Loop: Header=BB132_6 Depth=1
	s_or_saveexec_b64 s[4:5], s[4:5]
	s_mov_b64 s[10:11], 0
	v_mov_b32_e32 v2, 8
	s_xor_b64 exec, exec, s[4:5]
; %bb.211:                              ;   in Loop: Header=BB132_6 Depth=1
	v_subrev_co_u32_e32 v6, vcc, s90, v6
	v_mov_b32_e32 v2, s91
	v_subb_co_u32_e32 v7, vcc, v7, v2, vcc
	v_mov_b32_e32 v2, 0
	s_mov_b64 s[10:11], exec
; %bb.212:                              ;   in Loop: Header=BB132_6 Depth=1
	s_or_b64 exec, exec, s[4:5]
	v_mov_b32_e32 v4, v6
	s_and_b64 s[10:11], s[10:11], exec
	v_mov_b32_e32 v5, v7
.LBB132_213:                            ;   in Loop: Header=BB132_6 Depth=1
	s_or_b64 exec, exec, s[8:9]
	s_mov_b64 s[4:5], -1
                                        ; implicit-def: $sgpr36_sgpr37
                                        ; implicit-def: $sgpr34_sgpr35
	s_and_saveexec_b64 s[62:63], s[10:11]
	s_cbranch_execz .LBB132_265
; %bb.214:                              ;   in Loop: Header=BB132_6 Depth=1
	s_cmp_eq_u64 s[92:93], 1
	v_cmp_eq_u64_e32 vcc, 1, v[4:5]
	s_cselect_b64 s[2:3], -1, 0
	s_and_b64 s[2:3], s[2:3], vcc
                                        ; implicit-def: $sgpr36_sgpr37
                                        ; implicit-def: $sgpr34_sgpr35
	s_mov_b64 s[8:9], exec
	v_writelane_b32 v54, s2, 56
	v_writelane_b32 v54, s3, 57
	;; [unrolled: 1-line block ×3, first 2 shown]
	s_and_b64 s[2:3], s[8:9], s[2:3]
	v_writelane_b32 v54, s9, 59
	s_mov_b64 exec, s[2:3]
	s_cbranch_execz .LBB132_253
; %bb.215:                              ;   in Loop: Header=BB132_6 Depth=1
	ds_read_b64 v[6:7], v3 offset:5120
	s_waitcnt lgkmcnt(0)
	s_barrier
	v_readfirstlane_b32 s36, v6
	v_readfirstlane_b32 s37, v7
	s_mov_b64 s[2:3], exec
	v_readlane_b32 s4, v54, 26
	v_readlane_b32 s5, v54, 27
	s_and_b64 s[4:5], s[2:3], s[4:5]
	s_mov_b64 exec, s[4:5]
; %bb.216:                              ;   in Loop: Header=BB132_6 Depth=1
	ds_write_b8 v0, v3 offset:3072
; %bb.217:                              ;   in Loop: Header=BB132_6 Depth=1
	s_or_b64 exec, exec, s[2:3]
	v_or_b32_e32 v11, s59, v11
	v_or_b32_e32 v10, s59, v10
	s_mov_b64 s[34:35], -1
	s_cmp_eq_u64 s[36:37], 0
	s_mov_b64 s[12:13], 0
	s_mov_b64 s[8:9], -1
	s_waitcnt lgkmcnt(0)
	s_barrier
                                        ; implicit-def: $vgpr8
	s_cbranch_scc1 .LBB132_235
; %bb.218:                              ;   in Loop: Header=BB132_6 Depth=1
	v_readlane_b32 s2, v54, 30
	s_add_u32 s10, s36, s2
	v_readlane_b32 s2, v54, 32
	s_addc_u32 s9, s37, s2
	s_mov_b32 s8, s51
	s_cmp_lg_u64 s[8:9], 0
	s_cbranch_scc0 .LBB132_222
; %bb.219:                              ;   in Loop: Header=BB132_6 Depth=1
	v_cvt_f32_u32_e32 v6, s33
	s_sub_u32 s4, 0, s33
	s_subb_u32 s5, 0, 0
	v_mac_f32_e32 v6, 0, v38
	v_rcp_f32_e32 v6, v6
	v_mul_f32_e32 v6, 0x5f7ffffc, v6
	v_mul_f32_e32 v7, 0x2f800000, v6
	v_trunc_f32_e32 v7, v7
	v_mac_f32_e32 v6, 0xcf800000, v7
	v_cvt_u32_f32_e32 v7, v7
	v_cvt_u32_f32_e32 v6, v6
	v_readfirstlane_b32 s8, v7
	v_readfirstlane_b32 s2, v6
	s_mul_i32 s3, s4, s8
	s_mul_hi_u32 s12, s4, s2
	s_mul_i32 s11, s5, s2
	s_add_i32 s3, s12, s3
	s_mul_i32 s13, s4, s2
	s_add_i32 s3, s3, s11
	s_mul_hi_u32 s12, s2, s13
	s_mul_i32 s34, s2, s3
	s_mul_hi_u32 s11, s2, s3
	s_add_u32 s12, s12, s34
	s_addc_u32 s11, 0, s11
	s_mul_hi_u32 s35, s8, s13
	s_mul_i32 s13, s8, s13
	s_add_u32 s12, s12, s13
	s_mul_hi_u32 s34, s8, s3
	s_addc_u32 s11, s11, s35
	s_addc_u32 s12, s34, 0
	s_mul_i32 s3, s8, s3
	s_add_u32 s3, s11, s3
	s_addc_u32 s11, 0, s12
	s_add_u32 s12, s2, s3
	s_cselect_b64 s[2:3], -1, 0
	s_cmp_lg_u64 s[2:3], 0
	s_addc_u32 s8, s8, s11
	s_mul_i32 s2, s4, s8
	s_mul_hi_u32 s3, s4, s12
	s_add_i32 s2, s3, s2
	s_mul_i32 s5, s5, s12
	s_add_i32 s2, s2, s5
	s_mul_i32 s4, s4, s12
	s_mul_hi_u32 s5, s8, s4
	s_mul_i32 s11, s8, s4
	s_mul_i32 s34, s12, s2
	s_mul_hi_u32 s4, s12, s4
	s_mul_hi_u32 s13, s12, s2
	s_add_u32 s4, s4, s34
	s_addc_u32 s13, 0, s13
	s_add_u32 s4, s4, s11
	s_mul_hi_u32 s3, s8, s2
	s_addc_u32 s4, s13, s5
	s_addc_u32 s3, s3, 0
	s_mul_i32 s2, s8, s2
	s_add_u32 s2, s4, s2
	s_addc_u32 s4, 0, s3
	s_add_u32 s5, s12, s2
	s_cselect_b64 s[2:3], -1, 0
	s_cmp_lg_u64 s[2:3], 0
	s_addc_u32 s2, s8, s4
	s_mul_i32 s4, s10, s2
	s_mul_hi_u32 s8, s10, s5
	s_mul_hi_u32 s3, s10, s2
	s_add_u32 s4, s8, s4
	s_addc_u32 s3, 0, s3
	s_mul_hi_u32 s11, s9, s5
	s_mul_i32 s5, s9, s5
	s_add_u32 s4, s4, s5
	s_mul_hi_u32 s8, s9, s2
	s_addc_u32 s3, s3, s11
	s_addc_u32 s4, s8, 0
	s_mul_i32 s2, s9, s2
	s_add_u32 s2, s3, s2
	s_addc_u32 s3, 0, s4
	s_mul_i32 s3, s33, s3
	s_mul_hi_u32 s4, s33, s2
	s_add_i32 s4, s4, s3
	s_mul_i32 s2, s33, s2
	s_sub_u32 s8, s10, s2
	s_cselect_b64 s[2:3], -1, 0
	s_cmp_lg_u64 s[2:3], 0
	s_subb_u32 s4, s9, s4
	s_sub_u32 s5, s8, s33
	s_cselect_b64 s[2:3], -1, 0
	s_cmp_lg_u64 s[2:3], 0
	s_subb_u32 s11, s4, 0
	;; [unrolled: 4-line block ×3, first 2 shown]
	s_cmp_ge_u32 s5, s33
	s_cselect_b32 s3, -1, 0
	s_cmp_eq_u32 s11, 0
	s_cselect_b32 s3, s3, -1
	s_cmp_lg_u32 s3, 0
	s_cselect_b32 s2, s2, s11
	s_cselect_b32 s3, s12, s5
	s_cmp_ge_u32 s8, s33
	s_cselect_b32 s5, -1, 0
	s_cmp_eq_u32 s4, 0
	s_cselect_b32 s5, s5, -1
	s_cmp_lg_u32 s5, 0
	s_cselect_b32 s5, s2, s4
	s_cselect_b32 s4, s3, s8
	s_mov_b64 s[2:3], 0
	s_branch .LBB132_223
.LBB132_220:                            ;   in Loop: Header=BB132_6 Depth=1
                                        ; implicit-def: $sgpr4_sgpr5
	s_branch .LBB132_175
.LBB132_221:                            ;   in Loop: Header=BB132_6 Depth=1
                                        ; implicit-def: $sgpr2_sgpr3
	s_mul_i32 s56, s26, s33
	s_branch .LBB132_191
.LBB132_222:                            ;   in Loop: Header=BB132_6 Depth=1
	s_mov_b64 s[2:3], -1
                                        ; implicit-def: $sgpr4_sgpr5
.LBB132_223:                            ;   in Loop: Header=BB132_6 Depth=1
	s_andn2_b64 vcc, exec, s[2:3]
	s_cbranch_vccnz .LBB132_225
; %bb.224:                              ;   in Loop: Header=BB132_6 Depth=1
	v_cvt_f32_u32_e32 v6, s33
	s_sub_i32 s2, 0, s33
	v_rcp_iflag_f32_e32 v6, v6
	v_mul_f32_e32 v6, 0x4f7ffffe, v6
	v_cvt_u32_f32_e32 v6, v6
	v_readfirstlane_b32 s3, v6
	s_mul_i32 s2, s2, s3
	s_mul_hi_u32 s2, s3, s2
	s_add_i32 s3, s3, s2
	s_mul_hi_u32 s2, s10, s3
	s_mul_i32 s2, s2, s33
	s_sub_i32 s2, s10, s2
	s_sub_i32 s3, s2, s33
	s_cmp_ge_u32 s2, s33
	s_cselect_b32 s2, s3, s2
	s_sub_i32 s3, s2, s33
	s_cmp_ge_u32 s2, s33
	s_cselect_b32 s50, s3, s2
	s_mov_b64 s[4:5], s[50:51]
	v_readlane_b32 s50, v54, 50
.LBB132_225:                            ;   in Loop: Header=BB132_6 Depth=1
	s_sub_u32 s12, s10, s4
	s_subb_u32 s13, s9, s5
	v_cmp_gt_u64_e32 vcc, s[12:13], v[0:1]
	s_mov_b64 s[8:9], 0
	s_mov_b64 s[4:5], 0
                                        ; implicit-def: $vgpr8
	s_and_saveexec_b64 s[54:55], vcc
	s_cbranch_execz .LBB132_234
; %bb.226:                              ;   in Loop: Header=BB132_6 Depth=1
	v_mov_b32_e32 v7, v1
	s_mov_b64 s[10:11], 0
	v_mov_b32_e32 v8, v0
	v_mov_b32_e32 v6, v0
                                        ; implicit-def: $sgpr4_sgpr5
	s_branch .LBB132_229
.LBB132_227:                            ;   in Loop: Header=BB132_229 Depth=2
	s_or_b64 exec, exec, s[34:35]
	s_waitcnt lgkmcnt(0)
	s_barrier
	ds_read_u16 v9, v3 offset:3072
	s_mov_b64 s[34:35], -1
	s_waitcnt lgkmcnt(0)
	s_barrier
	v_cmp_ne_u32_sdwa s[2:3], v9, v3 src0_sel:BYTE_0 src1_sel:DWORD
	s_and_b64 vcc, exec, s[2:3]
	s_mov_b64 s[2:3], -1
	s_cbranch_vccz .LBB132_232
.LBB132_228:                            ;   in Loop: Header=BB132_229 Depth=2
	s_and_b64 s[34:35], exec, s[34:35]
	s_or_b64 s[10:11], s[34:35], s[10:11]
	s_andn2_b64 s[4:5], s[4:5], exec
	s_and_b64 s[2:3], s[2:3], exec
	s_or_b64 s[4:5], s[4:5], s[2:3]
	s_andn2_b64 exec, exec, s[10:11]
	s_cbranch_execz .LBB132_233
.LBB132_229:                            ;   Parent Loop BB132_6 Depth=1
                                        ; =>  This Inner Loop Header: Depth=2
	v_cmp_gt_u64_e32 vcc, s[36:37], v[6:7]
	s_and_saveexec_b64 s[34:35], vcc
	s_cbranch_execz .LBB132_227
; %bb.230:                              ;   in Loop: Header=BB132_229 Depth=2
	ds_read_u8 v9, v8
	s_waitcnt lgkmcnt(0)
	v_add_u32_sdwa v26, sext(v9), s58 dst_sel:DWORD dst_unused:UNUSED_PAD src0_sel:BYTE_0 src1_sel:DWORD
	v_and_b32_e32 v26, v26, v10
	v_cmp_eq_u32_e32 vcc, v26, v11
	s_and_b64 exec, exec, vcc
	s_cbranch_execz .LBB132_227
; %bb.231:                              ;   in Loop: Header=BB132_229 Depth=2
	v_lshlrev_b16_e32 v9, 8, v9
	v_or_b32_e32 v9, 1, v9
	ds_write_b16 v3, v9 offset:3072
	s_branch .LBB132_227
.LBB132_232:                            ;   in Loop: Header=BB132_229 Depth=2
	v_add_co_u32_e32 v6, vcc, s33, v6
	v_addc_co_u32_e32 v7, vcc, 0, v7, vcc
	v_cmp_le_u64_e32 vcc, s[12:13], v[6:7]
	v_add_u32_e32 v8, s33, v8
	s_mov_b64 s[2:3], 0
	s_orn2_b64 s[34:35], vcc, exec
	s_branch .LBB132_228
.LBB132_233:                            ;   in Loop: Header=BB132_6 Depth=1
	s_or_b64 exec, exec, s[10:11]
	v_lshrrev_b32_sdwa v8, v39, v9 dst_sel:DWORD dst_unused:UNUSED_PAD src0_sel:DWORD src1_sel:WORD_0
	s_and_b64 s[4:5], s[4:5], exec
.LBB132_234:                            ;   in Loop: Header=BB132_6 Depth=1
	s_or_b64 exec, exec, s[54:55]
	s_mov_b64 s[34:35], -1
	s_mov_b64 s[12:13], s[4:5]
.LBB132_235:                            ;   in Loop: Header=BB132_6 Depth=1
	s_and_b64 vcc, exec, s[8:9]
	s_cbranch_vccz .LBB132_238
; %bb.236:                              ;   in Loop: Header=BB132_6 Depth=1
	v_readlane_b32 s34, v54, 33
	v_readlane_b32 s35, v54, 34
	s_mov_b32 s34, s51
	s_cmp_lg_u64 s[34:35], 0
	v_writelane_b32 v54, s34, 33
	v_writelane_b32 v54, s35, 34
	s_cbranch_scc0 .LBB132_239
; %bb.237:                              ;   in Loop: Header=BB132_6 Depth=1
	v_cvt_f32_u32_e32 v6, s33
	s_sub_u32 s4, 0, s33
	s_subb_u32 s5, 0, 0
	s_mov_b64 s[36:37], s[12:13]
	v_mac_f32_e32 v6, 0, v38
	v_rcp_f32_e32 v6, v6
	v_mul_f32_e32 v6, 0x5f7ffffc, v6
	v_mul_f32_e32 v7, 0x2f800000, v6
	v_trunc_f32_e32 v7, v7
	v_mac_f32_e32 v6, 0xcf800000, v7
	v_cvt_u32_f32_e32 v7, v7
	v_cvt_u32_f32_e32 v6, v6
	v_readfirstlane_b32 s8, v7
	v_readfirstlane_b32 s2, v6
	s_mul_i32 s3, s4, s8
	s_mul_hi_u32 s10, s4, s2
	s_mul_i32 s9, s5, s2
	s_add_i32 s3, s10, s3
	s_mul_i32 s11, s4, s2
	s_add_i32 s3, s3, s9
	s_mul_hi_u32 s10, s2, s11
	s_mul_i32 s12, s2, s3
	s_mul_hi_u32 s9, s2, s3
	s_add_u32 s10, s10, s12
	s_addc_u32 s9, 0, s9
	s_mul_hi_u32 s13, s8, s11
	s_mul_i32 s11, s8, s11
	s_add_u32 s10, s10, s11
	s_mul_hi_u32 s12, s8, s3
	s_addc_u32 s9, s9, s13
	s_addc_u32 s10, s12, 0
	s_mul_i32 s3, s8, s3
	s_add_u32 s3, s9, s3
	s_addc_u32 s9, 0, s10
	s_add_u32 s10, s2, s3
	s_cselect_b64 s[2:3], -1, 0
	s_cmp_lg_u64 s[2:3], 0
	s_addc_u32 s8, s8, s9
	s_mul_i32 s2, s4, s8
	s_mul_hi_u32 s3, s4, s10
	s_add_i32 s2, s3, s2
	s_mul_i32 s5, s5, s10
	s_add_i32 s2, s2, s5
	s_mul_i32 s4, s4, s10
	s_mul_hi_u32 s5, s8, s4
	s_mul_i32 s9, s8, s4
	s_mul_i32 s12, s10, s2
	s_mul_hi_u32 s4, s10, s4
	s_mul_hi_u32 s11, s10, s2
	s_add_u32 s4, s4, s12
	s_addc_u32 s11, 0, s11
	s_add_u32 s4, s4, s9
	s_mul_hi_u32 s3, s8, s2
	s_addc_u32 s4, s11, s5
	s_addc_u32 s3, s3, 0
	s_mul_i32 s2, s8, s2
	s_add_u32 s2, s4, s2
	s_addc_u32 s4, 0, s3
	s_add_u32 s5, s10, s2
	s_cselect_b64 s[2:3], -1, 0
	s_cmp_lg_u64 s[2:3], 0
	s_addc_u32 s2, s8, s4
	v_readlane_b32 s10, v54, 31
	s_mul_i32 s4, s10, s2
	s_mul_hi_u32 s8, s10, s5
	s_mul_hi_u32 s3, s10, s2
	s_add_u32 s4, s8, s4
	s_addc_u32 s3, 0, s3
	s_mul_hi_u32 s9, s35, s5
	s_mul_i32 s5, s35, s5
	s_add_u32 s4, s4, s5
	s_mul_hi_u32 s8, s35, s2
	s_addc_u32 s3, s3, s9
	s_addc_u32 s4, s8, 0
	s_mul_i32 s2, s35, s2
	s_add_u32 s2, s3, s2
	s_addc_u32 s3, 0, s4
	s_mul_i32 s3, s33, s3
	s_mul_hi_u32 s4, s33, s2
	s_add_i32 s4, s4, s3
	s_mul_i32 s2, s33, s2
	s_sub_u32 s8, s10, s2
	s_cselect_b64 s[2:3], -1, 0
	s_cmp_lg_u64 s[2:3], 0
	s_subb_u32 s4, s35, s4
	s_sub_u32 s5, s8, s33
	s_cselect_b64 s[2:3], -1, 0
	s_cmp_lg_u64 s[2:3], 0
	s_subb_u32 s9, s4, 0
	;; [unrolled: 4-line block ×3, first 2 shown]
	s_cmp_ge_u32 s5, s33
	s_cselect_b32 s3, -1, 0
	s_cmp_eq_u32 s9, 0
	s_cselect_b32 s3, s3, -1
	s_cmp_lg_u32 s3, 0
	s_cselect_b32 s2, s2, s9
	s_cselect_b32 s3, s10, s5
	s_cmp_ge_u32 s8, s33
	s_cselect_b32 s5, -1, 0
	s_cmp_eq_u32 s4, 0
	s_cselect_b32 s5, s5, -1
	s_cmp_lg_u32 s5, 0
	s_mov_b64 s[12:13], s[36:37]
	s_cselect_b32 s5, s2, s4
	s_cselect_b32 s4, s3, s8
	s_mov_b64 s[2:3], 0
	s_branch .LBB132_240
.LBB132_238:                            ;   in Loop: Header=BB132_6 Depth=1
	s_mov_b64 s[36:37], 0
	s_branch .LBB132_252
.LBB132_239:                            ;   in Loop: Header=BB132_6 Depth=1
	s_mov_b64 s[2:3], -1
                                        ; implicit-def: $sgpr4_sgpr5
.LBB132_240:                            ;   in Loop: Header=BB132_6 Depth=1
	s_mul_i32 s56, s26, s33
	s_andn2_b64 vcc, exec, s[2:3]
	s_cbranch_vccnz .LBB132_242
; %bb.241:                              ;   in Loop: Header=BB132_6 Depth=1
	v_cvt_f32_u32_e32 v6, s33
	s_sub_i32 s2, 0, s33
	v_readlane_b32 s4, v54, 31
	v_rcp_iflag_f32_e32 v6, v6
	v_mul_f32_e32 v6, 0x4f7ffffe, v6
	v_cvt_u32_f32_e32 v6, v6
	v_readfirstlane_b32 s3, v6
	s_mul_i32 s2, s2, s3
	s_mul_hi_u32 s2, s3, s2
	s_add_i32 s3, s3, s2
	s_mul_hi_u32 s2, s4, s3
	s_mul_i32 s2, s2, s33
	s_sub_i32 s2, s4, s2
	s_sub_i32 s3, s2, s33
	s_cmp_ge_u32 s2, s33
	s_cselect_b32 s2, s3, s2
	s_sub_i32 s3, s2, s33
	s_cmp_ge_u32 s2, s33
	s_cselect_b32 s50, s3, s2
	s_mov_b64 s[4:5], s[50:51]
	v_readlane_b32 s50, v54, 50
.LBB132_242:                            ;   in Loop: Header=BB132_6 Depth=1
	v_readlane_b32 s2, v54, 31
	s_sub_u32 s10, s2, s4
	v_readlane_b32 s2, v54, 33
	v_readlane_b32 s3, v54, 34
	s_subb_u32 s11, s3, s5
	v_cmp_gt_u64_e32 vcc, s[10:11], v[0:1]
                                        ; implicit-def: $vgpr8
	s_and_saveexec_b64 s[8:9], vcc
	s_cbranch_execz .LBB132_251
; %bb.243:                              ;   in Loop: Header=BB132_6 Depth=1
	v_mov_b32_e32 v6, v12
	v_mov_b32_e32 v9, v1
	s_mov_b64 s[34:35], s[12:13]
	s_mov_b64 s[12:13], 0
	v_mov_b32_e32 v7, v13
	v_mov_b32_e32 v8, v0
                                        ; implicit-def: $sgpr36_sgpr37
	s_branch .LBB132_246
.LBB132_244:                            ;   in Loop: Header=BB132_246 Depth=2
	s_or_b64 exec, exec, s[4:5]
	s_waitcnt lgkmcnt(0)
	s_barrier
	ds_read_u16 v26, v3 offset:3072
	s_mov_b64 s[4:5], -1
	s_waitcnt lgkmcnt(0)
	s_barrier
	v_cmp_eq_u32_sdwa s[2:3], v26, v3 src0_sel:BYTE_0 src1_sel:DWORD
	s_and_b64 vcc, exec, s[2:3]
	s_mov_b64 s[2:3], -1
	s_cbranch_vccnz .LBB132_249
.LBB132_245:                            ;   in Loop: Header=BB132_246 Depth=2
	s_and_b64 s[4:5], exec, s[4:5]
	s_or_b64 s[12:13], s[4:5], s[12:13]
	s_andn2_b64 s[4:5], s[36:37], exec
	s_and_b64 s[2:3], s[2:3], exec
	s_or_b64 s[36:37], s[4:5], s[2:3]
	s_andn2_b64 exec, exec, s[12:13]
	s_cbranch_execz .LBB132_250
.LBB132_246:                            ;   Parent Loop BB132_6 Depth=1
                                        ; =>  This Inner Loop Header: Depth=2
	v_cmp_gt_u64_e32 vcc, s[28:29], v[8:9]
	s_and_saveexec_b64 s[4:5], vcc
	s_cbranch_execz .LBB132_244
; %bb.247:                              ;   in Loop: Header=BB132_246 Depth=2
	global_load_ubyte v26, v[6:7], off
	s_waitcnt vmcnt(0)
	v_add_u32_sdwa v27, sext(v26), s58 dst_sel:DWORD dst_unused:UNUSED_PAD src0_sel:BYTE_0 src1_sel:DWORD
	v_and_b32_e32 v27, v27, v10
	v_cmp_eq_u32_e32 vcc, v27, v11
	s_and_b64 exec, exec, vcc
	s_cbranch_execz .LBB132_244
; %bb.248:                              ;   in Loop: Header=BB132_246 Depth=2
	v_lshlrev_b16_e32 v26, 8, v26
	v_or_b32_e32 v26, 1, v26
	ds_write_b16 v3, v26 offset:3072
	s_branch .LBB132_244
.LBB132_249:                            ;   in Loop: Header=BB132_246 Depth=2
	v_add_co_u32_e32 v8, vcc, s33, v8
	v_addc_co_u32_e32 v9, vcc, 0, v9, vcc
	v_readlane_b32 s2, v54, 46
	v_mov_b32_e32 v27, s2
	v_add_co_u32_e32 v6, vcc, s56, v6
	v_addc_co_u32_e32 v7, vcc, v7, v27, vcc
	v_cmp_le_u64_e32 vcc, s[10:11], v[8:9]
	s_mov_b64 s[2:3], 0
	s_orn2_b64 s[4:5], vcc, exec
	s_branch .LBB132_245
.LBB132_250:                            ;   in Loop: Header=BB132_6 Depth=1
	s_or_b64 exec, exec, s[12:13]
	s_andn2_b64 s[2:3], s[34:35], exec
	s_and_b64 s[4:5], s[36:37], exec
	v_lshrrev_b32_sdwa v8, v39, v26 dst_sel:DWORD dst_unused:UNUSED_PAD src0_sel:DWORD src1_sel:WORD_0
	s_or_b64 s[12:13], s[2:3], s[4:5]
.LBB132_251:                            ;   in Loop: Header=BB132_6 Depth=1
	s_or_b64 exec, exec, s[8:9]
	s_mov_b64 s[34:35], 0
	s_mov_b64 s[36:37], -1
.LBB132_252:                            ;   in Loop: Header=BB132_6 Depth=1
	s_orn2_b64 s[4:5], s[12:13], exec
.LBB132_253:                            ;   in Loop: Header=BB132_6 Depth=1
	v_readlane_b32 s2, v54, 58
	v_readlane_b32 s3, v54, 59
	s_or_b64 exec, exec, s[2:3]
	s_mov_b64 s[10:11], 0
	s_and_saveexec_b64 s[8:9], s[4:5]
	s_cbranch_execz .LBB132_264
; %bb.254:                              ;   in Loop: Header=BB132_6 Depth=1
	v_readlane_b32 s2, v54, 56
	v_readlane_b32 s3, v54, 57
	v_mov_b32_e32 v6, 1
	s_xor_b64 s[2:3], s[2:3], -1
	v_mov_b32_e32 v7, 0
	v_mov_b32_e32 v2, 1
	s_and_saveexec_b64 s[12:13], s[2:3]
	s_cbranch_execz .LBB132_263
; %bb.255:                              ;   in Loop: Header=BB132_6 Depth=1
	v_cmp_ge_u64_e32 vcc, s[92:93], v[4:5]
	s_and_saveexec_b64 s[2:3], vcc
	s_xor_b64 s[4:5], exec, s[2:3]
	s_cbranch_execz .LBB132_260
; %bb.256:                              ;   in Loop: Header=BB132_6 Depth=1
	ds_read_b64 v[6:7], v3 offset:5120
	v_or_b32_e32 v11, s59, v11
	v_or_b32_e32 v10, s59, v10
	s_waitcnt lgkmcnt(0)
	v_cmp_ne_u64_e32 vcc, 0, v[6:7]
	s_cbranch_vccnz .LBB132_260
; %bb.257:                              ;   in Loop: Header=BB132_6 Depth=1
	s_mov_b64 s[2:3], exec
	v_readlane_b32 s10, v54, 8
	v_readlane_b32 s11, v54, 9
	s_and_b64 s[10:11], s[2:3], s[10:11]
	s_mov_b64 exec, s[10:11]
; %bb.258:                              ;   in Loop: Header=BB132_6 Depth=1
	v_mov_b32_e32 v6, s92
	v_mov_b32_e32 v7, s93
	ds_write_b64 v3, v[6:7] offset:5128
; %bb.259:                              ;   in Loop: Header=BB132_6 Depth=1
	s_or_b64 exec, exec, s[2:3]
	s_waitcnt lgkmcnt(0)
	s_barrier
.LBB132_260:                            ;   in Loop: Header=BB132_6 Depth=1
	s_andn2_saveexec_b64 s[4:5], s[4:5]
; %bb.261:                              ;   in Loop: Header=BB132_6 Depth=1
	v_mov_b32_e32 v2, s93
	v_subrev_co_u32_e32 v4, vcc, s92, v4
	v_subb_co_u32_e32 v5, vcc, v5, v2, vcc
; %bb.262:                              ;   in Loop: Header=BB132_6 Depth=1
	s_or_b64 exec, exec, s[4:5]
	v_mov_b32_e32 v7, v5
	v_mov_b32_e32 v2, 8
	v_mov_b32_e32 v6, v4
.LBB132_263:                            ;   in Loop: Header=BB132_6 Depth=1
	s_or_b64 exec, exec, s[12:13]
	v_mov_b32_e32 v4, v6
	s_mov_b64 s[10:11], exec
	v_mov_b32_e32 v5, v7
.LBB132_264:                            ;   in Loop: Header=BB132_6 Depth=1
	s_or_b64 exec, exec, s[8:9]
	s_orn2_b64 s[4:5], s[10:11], exec
.LBB132_265:                            ;   in Loop: Header=BB132_6 Depth=1
	s_or_b64 exec, exec, s[62:63]
	v_readlane_b32 s2, v54, 54
	v_readlane_b32 s3, v54, 55
	s_andn2_b64 s[2:3], s[2:3], exec
	s_and_b64 s[8:9], s[36:37], exec
	s_or_b64 s[2:3], s[2:3], s[8:9]
	v_writelane_b32 v54, s2, 54
	v_writelane_b32 v54, s3, 55
	v_readlane_b32 s2, v54, 52
	v_readlane_b32 s3, v54, 53
	s_andn2_b64 s[2:3], s[2:3], exec
	s_and_b64 s[8:9], s[34:35], exec
	s_or_b64 s[2:3], s[2:3], s[8:9]
	v_mov_b32_e32 v7, v5
	v_writelane_b32 v54, s2, 52
	s_and_b64 s[8:9], s[4:5], exec
	v_mov_b32_e32 v6, v4
	v_writelane_b32 v54, s3, 53
.LBB132_266:                            ;   in Loop: Header=BB132_6 Depth=1
	s_or_b64 exec, exec, s[60:61]
	s_orn2_b64 s[4:5], s[8:9], exec
.LBB132_267:                            ;   in Loop: Header=BB132_6 Depth=1
	s_or_b64 exec, exec, s[20:21]
	v_readlane_b32 s8, v54, 54
	v_readlane_b32 s9, v54, 55
	s_andn2_b64 s[2:3], s[94:95], exec
	s_and_b64 s[8:9], s[8:9], exec
	s_or_b64 s[94:95], s[2:3], s[8:9]
	v_readlane_b32 s8, v54, 52
	v_readlane_b32 s9, v54, 53
	s_andn2_b64 s[2:3], s[38:39], exec
	s_and_b64 s[8:9], s[8:9], exec
	v_mov_b32_e32 v4, v6
	s_or_b64 s[38:39], s[2:3], s[8:9]
	s_and_b64 s[8:9], s[4:5], exec
	v_mov_b32_e32 v5, v7
.LBB132_268:                            ;   in Loop: Header=BB132_6 Depth=1
	s_or_b64 exec, exec, s[14:15]
	s_orn2_b64 s[2:3], s[8:9], exec
.LBB132_269:                            ;   in Loop: Header=BB132_6 Depth=1
	s_or_b64 exec, exec, s[6:7]
	s_mov_b64 s[4:5], 0
	s_mov_b64 s[6:7], 0
	s_and_saveexec_b64 s[8:9], s[2:3]
	s_xor_b64 s[2:3], exec, s[8:9]
; %bb.270:                              ;   in Loop: Header=BB132_6 Depth=1
	v_cmp_eq_u32_e32 vcc, 8, v2
	v_cmp_ne_u32_e64 s[6:7], 8, v2
	s_and_b64 s[6:7], s[6:7], exec
	s_and_b64 s[4:5], vcc, exec
; %bb.271:                              ;   in Loop: Header=BB132_6 Depth=1
	s_or_b64 exec, exec, s[2:3]
	s_andn2_b64 s[2:3], s[40:41], exec
	s_and_b64 s[8:9], s[94:95], exec
	s_or_b64 s[40:41], s[2:3], s[8:9]
	s_andn2_b64 s[2:3], s[42:43], exec
	s_and_b64 s[8:9], s[38:39], exec
	s_or_b64 s[42:43], s[2:3], s[8:9]
	s_and_b64 s[94:95], s[6:7], exec
	s_and_b64 s[38:39], s[4:5], exec
.LBB132_272:                            ;   in Loop: Header=BB132_6 Depth=1
	s_or_b64 exec, exec, s[16:17]
.LBB132_273:                            ;   in Loop: Header=BB132_6 Depth=1
	s_and_b64 vcc, exec, s[44:45]
	s_cbranch_vccz .LBB132_289
; %bb.274:                              ;   in Loop: Header=BB132_6 Depth=1
	s_cmp_eq_u64 s[92:93], 1
	s_cselect_b64 s[2:3], -1, 0
	s_and_b64 s[2:3], s[2:3], s[18:19]
	s_mov_b64 s[4:5], -1
                                        ; implicit-def: $sgpr18_sgpr19
                                        ; implicit-def: $sgpr24_sgpr25
	s_and_saveexec_b64 s[6:7], s[2:3]
	s_cbranch_execz .LBB132_307
; %bb.275:                              ;   in Loop: Header=BB132_6 Depth=1
	ds_read_b64 v[4:5], v3 offset:5120
	s_waitcnt lgkmcnt(0)
	s_barrier
	v_readfirstlane_b32 s10, v4
	v_readfirstlane_b32 s11, v5
	s_mov_b64 s[4:5], exec
	v_readlane_b32 s8, v54, 26
	v_readlane_b32 s9, v54, 27
	s_and_b64 s[8:9], s[4:5], s[8:9]
	s_mov_b64 exec, s[8:9]
; %bb.276:                              ;   in Loop: Header=BB132_6 Depth=1
	ds_write_b8 v0, v3 offset:3072
; %bb.277:                              ;   in Loop: Header=BB132_6 Depth=1
	s_or_b64 exec, exec, s[4:5]
	v_or_b32_e32 v37, s59, v37
	v_or_b32_e32 v40, s59, v40
	s_mov_b64 s[24:25], -1
	s_mov_b64 s[18:19], 0
	s_cmp_eq_u64 s[10:11], 0
	s_mov_b64 s[8:9], 0
	s_mov_b64 s[14:15], -1
	s_waitcnt lgkmcnt(0)
	s_barrier
                                        ; implicit-def: $vgpr41
	s_cbranch_scc1 .LBB132_292
; %bb.278:                              ;   in Loop: Header=BB132_6 Depth=1
	v_readlane_b32 s4, v54, 30
	s_add_u32 s14, s10, s4
	v_readlane_b32 s4, v54, 32
	s_addc_u32 s9, s11, s4
	s_mov_b32 s8, s51
	s_cmp_lg_u64 s[8:9], 0
	s_cbranch_scc0 .LBB132_333
; %bb.279:                              ;   in Loop: Header=BB132_6 Depth=1
	v_cvt_f32_u32_e32 v2, s33
	s_sub_u32 s8, 0, s33
	s_subb_u32 s12, 0, 0
	v_mac_f32_e32 v2, 0, v38
	v_rcp_f32_e32 v2, v2
	v_mul_f32_e32 v2, 0x5f7ffffc, v2
	v_mul_f32_e32 v4, 0x2f800000, v2
	v_trunc_f32_e32 v4, v4
	v_mac_f32_e32 v2, 0xcf800000, v4
	v_cvt_u32_f32_e32 v4, v4
	v_cvt_u32_f32_e32 v2, v2
	v_readfirstlane_b32 s13, v4
	v_readfirstlane_b32 s4, v2
	s_mul_i32 s5, s8, s13
	s_mul_hi_u32 s16, s8, s4
	s_mul_i32 s15, s12, s4
	s_add_i32 s5, s16, s5
	s_mul_i32 s17, s8, s4
	s_add_i32 s5, s5, s15
	s_mul_hi_u32 s16, s4, s17
	s_mul_i32 s20, s4, s5
	s_mul_hi_u32 s15, s4, s5
	s_add_u32 s16, s16, s20
	s_addc_u32 s15, 0, s15
	s_mul_hi_u32 s21, s13, s17
	s_mul_i32 s17, s13, s17
	s_add_u32 s16, s16, s17
	s_mul_hi_u32 s20, s13, s5
	s_addc_u32 s15, s15, s21
	s_addc_u32 s16, s20, 0
	s_mul_i32 s5, s13, s5
	s_add_u32 s5, s15, s5
	s_addc_u32 s15, 0, s16
	s_add_u32 s16, s4, s5
	s_cselect_b64 s[4:5], -1, 0
	s_cmp_lg_u64 s[4:5], 0
	s_addc_u32 s13, s13, s15
	s_mul_i32 s4, s8, s13
	s_mul_hi_u32 s5, s8, s16
	s_add_i32 s4, s5, s4
	s_mul_i32 s12, s12, s16
	s_add_i32 s4, s4, s12
	s_mul_i32 s8, s8, s16
	s_mul_hi_u32 s12, s13, s8
	s_mul_i32 s15, s13, s8
	s_mul_i32 s20, s16, s4
	s_mul_hi_u32 s8, s16, s8
	s_mul_hi_u32 s17, s16, s4
	s_add_u32 s8, s8, s20
	s_addc_u32 s17, 0, s17
	s_add_u32 s8, s8, s15
	s_mul_hi_u32 s5, s13, s4
	s_addc_u32 s8, s17, s12
	s_addc_u32 s5, s5, 0
	s_mul_i32 s4, s13, s4
	s_add_u32 s4, s8, s4
	s_addc_u32 s8, 0, s5
	s_add_u32 s12, s16, s4
	s_cselect_b64 s[4:5], -1, 0
	s_cmp_lg_u64 s[4:5], 0
	s_addc_u32 s4, s13, s8
	s_mul_i32 s8, s14, s4
	s_mul_hi_u32 s13, s14, s12
	s_mul_hi_u32 s5, s14, s4
	s_add_u32 s8, s13, s8
	s_addc_u32 s5, 0, s5
	s_mul_hi_u32 s15, s9, s12
	s_mul_i32 s12, s9, s12
	s_add_u32 s8, s8, s12
	s_mul_hi_u32 s13, s9, s4
	s_addc_u32 s5, s5, s15
	s_addc_u32 s8, s13, 0
	s_mul_i32 s4, s9, s4
	s_add_u32 s4, s5, s4
	s_addc_u32 s5, 0, s8
	s_mul_i32 s5, s33, s5
	s_mul_hi_u32 s8, s33, s4
	s_add_i32 s8, s8, s5
	s_mul_i32 s4, s33, s4
	s_sub_u32 s12, s14, s4
	s_cselect_b64 s[4:5], -1, 0
	s_cmp_lg_u64 s[4:5], 0
	s_subb_u32 s8, s9, s8
	s_sub_u32 s13, s12, s33
	s_cselect_b64 s[4:5], -1, 0
	s_cmp_lg_u64 s[4:5], 0
	s_subb_u32 s15, s8, 0
	;; [unrolled: 4-line block ×3, first 2 shown]
	s_cmp_ge_u32 s13, s33
	s_cselect_b32 s5, -1, 0
	s_cmp_eq_u32 s15, 0
	s_cselect_b32 s5, s5, -1
	s_cmp_lg_u32 s5, 0
	s_cselect_b32 s4, s4, s15
	s_cselect_b32 s13, s16, s13
	s_cmp_ge_u32 s12, s33
	s_cselect_b32 s5, -1, 0
	s_cmp_eq_u32 s8, 0
	s_cselect_b32 s5, s5, -1
	s_cmp_lg_u32 s5, 0
	s_cselect_b32 s5, s4, s8
	s_cselect_b32 s4, s13, s12
	s_cbranch_execnz .LBB132_281
.LBB132_280:                            ;   in Loop: Header=BB132_6 Depth=1
	v_cvt_f32_u32_e32 v2, s33
	s_sub_i32 s4, 0, s33
	v_rcp_iflag_f32_e32 v2, v2
	v_mul_f32_e32 v2, 0x4f7ffffe, v2
	v_cvt_u32_f32_e32 v2, v2
	v_readfirstlane_b32 s5, v2
	s_mul_i32 s4, s4, s5
	s_mul_hi_u32 s4, s5, s4
	s_add_i32 s5, s5, s4
	s_mul_hi_u32 s4, s14, s5
	s_mul_i32 s4, s4, s33
	s_sub_i32 s4, s14, s4
	s_sub_i32 s5, s4, s33
	s_cmp_ge_u32 s4, s33
	s_cselect_b32 s4, s5, s4
	s_sub_i32 s5, s4, s33
	s_cmp_ge_u32 s4, s33
	s_cselect_b32 s50, s5, s4
	s_mov_b64 s[4:5], s[50:51]
	v_readlane_b32 s50, v54, 50
.LBB132_281:                            ;   in Loop: Header=BB132_6 Depth=1
	s_sub_u32 s20, s14, s4
	s_subb_u32 s21, s9, s5
	v_cmp_gt_u64_e32 vcc, s[20:21], v[0:1]
	s_mov_b64 s[14:15], 0
	s_mov_b64 s[8:9], 0
                                        ; implicit-def: $vgpr41
	s_and_saveexec_b64 s[16:17], vcc
	s_cbranch_execz .LBB132_291
; %bb.282:                              ;   in Loop: Header=BB132_6 Depth=1
	v_mov_b32_e32 v5, v1
	v_mov_b32_e32 v2, v0
	;; [unrolled: 1-line block ×3, first 2 shown]
                                        ; implicit-def: $sgpr12_sgpr13
	s_branch .LBB132_285
.LBB132_283:                            ;   in Loop: Header=BB132_285 Depth=2
	s_or_b64 exec, exec, s[4:5]
	s_waitcnt lgkmcnt(0)
	s_barrier
	ds_read_u16 v6, v3 offset:3072
	s_mov_b64 s[4:5], -1
	s_waitcnt lgkmcnt(0)
	s_barrier
	v_cmp_ne_u32_sdwa s[34:35], v6, v3 src0_sel:BYTE_0 src1_sel:DWORD
	s_and_b64 vcc, exec, s[34:35]
	s_mov_b64 s[34:35], -1
	s_cbranch_vccz .LBB132_288
.LBB132_284:                            ;   in Loop: Header=BB132_285 Depth=2
	s_and_b64 s[4:5], exec, s[4:5]
	s_or_b64 s[8:9], s[4:5], s[8:9]
	s_andn2_b64 s[4:5], s[12:13], exec
	s_and_b64 s[12:13], s[34:35], exec
	s_or_b64 s[12:13], s[4:5], s[12:13]
	s_andn2_b64 exec, exec, s[8:9]
	s_cbranch_execz .LBB132_290
.LBB132_285:                            ;   Parent Loop BB132_6 Depth=1
                                        ; =>  This Inner Loop Header: Depth=2
	v_cmp_gt_u64_e32 vcc, s[10:11], v[4:5]
	s_and_saveexec_b64 s[4:5], vcc
	s_cbranch_execz .LBB132_283
; %bb.286:                              ;   in Loop: Header=BB132_285 Depth=2
	ds_read_u8 v6, v2
	s_waitcnt lgkmcnt(0)
	v_add_u32_sdwa v7, sext(v6), s58 dst_sel:DWORD dst_unused:UNUSED_PAD src0_sel:BYTE_0 src1_sel:DWORD
	v_and_b32_e32 v7, v7, v40
	v_cmp_eq_u32_e32 vcc, v7, v37
	s_and_b64 exec, exec, vcc
	s_cbranch_execz .LBB132_283
; %bb.287:                              ;   in Loop: Header=BB132_285 Depth=2
	v_lshlrev_b16_e32 v6, 8, v6
	v_or_b32_e32 v6, 1, v6
	ds_write_b16 v3, v6 offset:3072
	s_branch .LBB132_283
.LBB132_288:                            ;   in Loop: Header=BB132_285 Depth=2
	v_add_co_u32_e32 v4, vcc, s33, v4
	v_addc_co_u32_e32 v5, vcc, 0, v5, vcc
	v_cmp_le_u64_e32 vcc, s[20:21], v[4:5]
	v_add_u32_e32 v2, s33, v2
	s_mov_b64 s[34:35], 0
	s_orn2_b64 s[4:5], vcc, exec
	s_branch .LBB132_284
.LBB132_289:                            ;   in Loop: Header=BB132_6 Depth=1
	s_mov_b64 s[18:19], 0
	v_mov_b32_e32 v37, v11
	v_mov_b32_e32 v40, v10
	;; [unrolled: 1-line block ×3, first 2 shown]
	s_and_saveexec_b64 s[2:3], s[38:39]
	s_cbranch_execnz .LBB132_466
	s_branch .LBB132_467
.LBB132_290:                            ;   in Loop: Header=BB132_6 Depth=1
	s_or_b64 exec, exec, s[8:9]
	v_lshrrev_b32_sdwa v41, v39, v6 dst_sel:DWORD dst_unused:UNUSED_PAD src0_sel:DWORD src1_sel:WORD_0
	s_and_b64 s[8:9], s[12:13], exec
.LBB132_291:                            ;   in Loop: Header=BB132_6 Depth=1
	s_or_b64 exec, exec, s[16:17]
.LBB132_292:                            ;   in Loop: Header=BB132_6 Depth=1
	s_and_b64 vcc, exec, s[14:15]
	s_cbranch_vccz .LBB132_306
; %bb.293:                              ;   in Loop: Header=BB132_6 Depth=1
	v_readlane_b32 s18, v54, 33
	v_readlane_b32 s19, v54, 34
	s_mov_b32 s18, s51
	s_cmp_lg_u64 s[18:19], 0
	v_writelane_b32 v54, s18, 33
	v_writelane_b32 v54, s19, 34
	s_cbranch_scc0 .LBB132_334
; %bb.294:                              ;   in Loop: Header=BB132_6 Depth=1
	v_cvt_f32_u32_e32 v2, s33
	s_sub_u32 s10, 0, s33
	s_subb_u32 s11, 0, 0
	v_mac_f32_e32 v2, 0, v38
	v_rcp_f32_e32 v2, v2
	v_mul_f32_e32 v2, 0x5f7ffffc, v2
	v_mul_f32_e32 v4, 0x2f800000, v2
	v_trunc_f32_e32 v4, v4
	v_mac_f32_e32 v2, 0xcf800000, v4
	v_cvt_u32_f32_e32 v4, v4
	v_cvt_u32_f32_e32 v2, v2
	v_readfirstlane_b32 s12, v4
	v_readfirstlane_b32 s4, v2
	s_mul_i32 s5, s10, s12
	s_mul_hi_u32 s14, s10, s4
	s_mul_i32 s13, s11, s4
	s_add_i32 s5, s14, s5
	s_mul_i32 s15, s10, s4
	s_add_i32 s5, s5, s13
	s_mul_hi_u32 s14, s4, s15
	s_mul_i32 s16, s4, s5
	s_mul_hi_u32 s13, s4, s5
	s_add_u32 s14, s14, s16
	s_addc_u32 s13, 0, s13
	s_mul_hi_u32 s17, s12, s15
	s_mul_i32 s15, s12, s15
	s_add_u32 s14, s14, s15
	s_mul_hi_u32 s16, s12, s5
	s_addc_u32 s13, s13, s17
	s_addc_u32 s14, s16, 0
	s_mul_i32 s5, s12, s5
	s_add_u32 s5, s13, s5
	s_addc_u32 s13, 0, s14
	s_add_u32 s14, s4, s5
	s_cselect_b64 s[4:5], -1, 0
	s_cmp_lg_u64 s[4:5], 0
	s_addc_u32 s12, s12, s13
	s_mul_i32 s4, s10, s12
	s_mul_hi_u32 s5, s10, s14
	s_add_i32 s4, s5, s4
	s_mul_i32 s11, s11, s14
	s_add_i32 s4, s4, s11
	s_mul_i32 s10, s10, s14
	s_mul_hi_u32 s11, s12, s10
	s_mul_i32 s13, s12, s10
	s_mul_i32 s16, s14, s4
	s_mul_hi_u32 s10, s14, s10
	s_mul_hi_u32 s15, s14, s4
	s_add_u32 s10, s10, s16
	s_addc_u32 s15, 0, s15
	s_add_u32 s10, s10, s13
	s_mul_hi_u32 s5, s12, s4
	s_addc_u32 s10, s15, s11
	s_addc_u32 s5, s5, 0
	s_mul_i32 s4, s12, s4
	s_add_u32 s4, s10, s4
	s_addc_u32 s10, 0, s5
	s_add_u32 s11, s14, s4
	s_cselect_b64 s[4:5], -1, 0
	s_cmp_lg_u64 s[4:5], 0
	s_addc_u32 s4, s12, s10
	v_readlane_b32 s14, v54, 31
	s_mul_i32 s10, s14, s4
	s_mul_hi_u32 s12, s14, s11
	s_mul_hi_u32 s5, s14, s4
	s_add_u32 s10, s12, s10
	s_addc_u32 s5, 0, s5
	s_mul_hi_u32 s13, s19, s11
	s_mul_i32 s11, s19, s11
	s_add_u32 s10, s10, s11
	s_mul_hi_u32 s12, s19, s4
	s_addc_u32 s5, s5, s13
	s_addc_u32 s10, s12, 0
	s_mul_i32 s4, s19, s4
	s_add_u32 s4, s5, s4
	s_addc_u32 s5, 0, s10
	s_mul_i32 s5, s33, s5
	s_mul_hi_u32 s10, s33, s4
	s_add_i32 s10, s10, s5
	s_mul_i32 s4, s33, s4
	s_sub_u32 s11, s14, s4
	s_cselect_b64 s[4:5], -1, 0
	s_cmp_lg_u64 s[4:5], 0
	s_subb_u32 s10, s19, s10
	s_sub_u32 s12, s11, s33
	s_cselect_b64 s[4:5], -1, 0
	s_cmp_lg_u64 s[4:5], 0
	s_subb_u32 s13, s10, 0
	;; [unrolled: 4-line block ×3, first 2 shown]
	s_cmp_ge_u32 s12, s33
	s_cselect_b32 s5, -1, 0
	s_cmp_eq_u32 s13, 0
	s_cselect_b32 s5, s5, -1
	s_cmp_lg_u32 s5, 0
	s_cselect_b32 s4, s4, s13
	s_cselect_b32 s12, s14, s12
	s_cmp_ge_u32 s11, s33
	s_cselect_b32 s5, -1, 0
	s_cmp_eq_u32 s10, 0
	s_cselect_b32 s5, s5, -1
	s_cmp_lg_u32 s5, 0
	s_cselect_b32 s5, s4, s10
	s_cselect_b32 s4, s12, s11
	s_mul_i32 s56, s26, s33
	s_cbranch_execnz .LBB132_296
.LBB132_295:                            ;   in Loop: Header=BB132_6 Depth=1
	v_cvt_f32_u32_e32 v2, s33
	s_sub_i32 s4, 0, s33
	v_readlane_b32 s10, v54, 31
	v_rcp_iflag_f32_e32 v2, v2
	v_mul_f32_e32 v2, 0x4f7ffffe, v2
	v_cvt_u32_f32_e32 v2, v2
	v_readfirstlane_b32 s5, v2
	s_mul_i32 s4, s4, s5
	s_mul_hi_u32 s4, s5, s4
	s_add_i32 s5, s5, s4
	s_mul_hi_u32 s4, s10, s5
	s_mul_i32 s4, s4, s33
	s_sub_i32 s4, s10, s4
	s_sub_i32 s5, s4, s33
	s_cmp_ge_u32 s4, s33
	s_cselect_b32 s4, s5, s4
	s_sub_i32 s5, s4, s33
	s_cmp_ge_u32 s4, s33
	s_cselect_b32 s50, s5, s4
	s_mov_b64 s[4:5], s[50:51]
	v_readlane_b32 s50, v54, 50
.LBB132_296:                            ;   in Loop: Header=BB132_6 Depth=1
	v_readlane_b32 s10, v54, 31
	s_sub_u32 s14, s10, s4
	v_readlane_b32 s10, v54, 33
	v_readlane_b32 s11, v54, 34
	s_subb_u32 s15, s11, s5
	v_cmp_gt_u64_e32 vcc, s[14:15], v[0:1]
                                        ; implicit-def: $vgpr41
	s_and_saveexec_b64 s[10:11], vcc
	s_cbranch_execz .LBB132_305
; %bb.297:                              ;   in Loop: Header=BB132_6 Depth=1
	v_mov_b32_e32 v4, v12
	v_mov_b32_e32 v7, v1
	s_mov_b64 s[12:13], 0
	v_mov_b32_e32 v5, v13
	v_mov_b32_e32 v6, v0
                                        ; implicit-def: $sgpr16_sgpr17
	s_branch .LBB132_300
.LBB132_298:                            ;   in Loop: Header=BB132_300 Depth=2
	s_or_b64 exec, exec, s[4:5]
	s_waitcnt lgkmcnt(0)
	s_barrier
	ds_read_u16 v2, v3 offset:3072
	s_mov_b64 s[4:5], -1
	s_waitcnt lgkmcnt(0)
	s_barrier
	v_cmp_ne_u32_sdwa s[18:19], v2, v3 src0_sel:BYTE_0 src1_sel:DWORD
	s_and_b64 vcc, exec, s[18:19]
	s_mov_b64 s[18:19], -1
	s_cbranch_vccz .LBB132_303
.LBB132_299:                            ;   in Loop: Header=BB132_300 Depth=2
	s_and_b64 s[4:5], exec, s[4:5]
	s_or_b64 s[12:13], s[4:5], s[12:13]
	s_andn2_b64 s[4:5], s[16:17], exec
	s_and_b64 s[16:17], s[18:19], exec
	s_or_b64 s[16:17], s[4:5], s[16:17]
	s_andn2_b64 exec, exec, s[12:13]
	s_cbranch_execz .LBB132_304
.LBB132_300:                            ;   Parent Loop BB132_6 Depth=1
                                        ; =>  This Inner Loop Header: Depth=2
	v_cmp_gt_u64_e32 vcc, s[28:29], v[6:7]
	s_and_saveexec_b64 s[4:5], vcc
	s_cbranch_execz .LBB132_298
; %bb.301:                              ;   in Loop: Header=BB132_300 Depth=2
	global_load_ubyte v2, v[4:5], off
	s_waitcnt vmcnt(0)
	v_add_u32_sdwa v8, sext(v2), s58 dst_sel:DWORD dst_unused:UNUSED_PAD src0_sel:BYTE_0 src1_sel:DWORD
	v_and_b32_e32 v8, v8, v40
	v_cmp_eq_u32_e32 vcc, v8, v37
	s_and_b64 exec, exec, vcc
	s_cbranch_execz .LBB132_298
; %bb.302:                              ;   in Loop: Header=BB132_300 Depth=2
	v_lshlrev_b16_e32 v2, 8, v2
	v_or_b32_e32 v2, 1, v2
	ds_write_b16 v3, v2 offset:3072
	s_branch .LBB132_298
.LBB132_303:                            ;   in Loop: Header=BB132_300 Depth=2
	v_add_co_u32_e32 v6, vcc, s33, v6
	v_addc_co_u32_e32 v7, vcc, 0, v7, vcc
	v_readlane_b32 s4, v54, 46
	v_mov_b32_e32 v8, s4
	v_add_co_u32_e32 v4, vcc, s56, v4
	v_addc_co_u32_e32 v5, vcc, v5, v8, vcc
	v_cmp_le_u64_e32 vcc, s[14:15], v[6:7]
	s_mov_b64 s[18:19], 0
	s_orn2_b64 s[4:5], vcc, exec
	s_branch .LBB132_299
.LBB132_304:                            ;   in Loop: Header=BB132_6 Depth=1
	s_or_b64 exec, exec, s[12:13]
	s_andn2_b64 s[4:5], s[8:9], exec
	s_and_b64 s[8:9], s[16:17], exec
	v_lshrrev_b32_sdwa v41, v39, v2 dst_sel:DWORD dst_unused:UNUSED_PAD src0_sel:DWORD src1_sel:WORD_0
	s_or_b64 s[8:9], s[4:5], s[8:9]
.LBB132_305:                            ;   in Loop: Header=BB132_6 Depth=1
	s_or_b64 exec, exec, s[10:11]
	s_mov_b64 s[24:25], 0
	s_mov_b64 s[18:19], -1
.LBB132_306:                            ;   in Loop: Header=BB132_6 Depth=1
	s_orn2_b64 s[4:5], s[8:9], exec
.LBB132_307:                            ;   in Loop: Header=BB132_6 Depth=1
	s_or_b64 exec, exec, s[6:7]
                                        ; implicit-def: $vgpr4_vgpr5
                                        ; implicit-def: $vgpr2
	s_and_saveexec_b64 s[40:41], s[4:5]
	s_cbranch_execz .LBB132_465
; %bb.308:                              ;   in Loop: Header=BB132_6 Depth=1
	v_mov_b32_e32 v4, 1
	s_xor_b64 s[6:7], s[2:3], -1
	v_mov_b32_e32 v2, 1
	v_mov_b32_e32 v5, 0
	s_mov_b64 s[4:5], 0
	s_and_saveexec_b64 s[2:3], s[6:7]
	s_cbranch_execz .LBB132_317
; %bb.309:                              ;   in Loop: Header=BB132_6 Depth=1
	v_cmp_ge_u64_e32 vcc, s[92:93], v[24:25]
	s_and_saveexec_b64 s[4:5], vcc
	s_xor_b64 s[4:5], exec, s[4:5]
	s_cbranch_execz .LBB132_314
; %bb.310:                              ;   in Loop: Header=BB132_6 Depth=1
	ds_read_b64 v[4:5], v3 offset:5120
	v_or_b32_e32 v37, s59, v37
	v_or_b32_e32 v40, s59, v40
	s_waitcnt lgkmcnt(0)
	v_cmp_ne_u64_e32 vcc, 0, v[4:5]
	s_cbranch_vccnz .LBB132_314
; %bb.311:                              ;   in Loop: Header=BB132_6 Depth=1
	s_mov_b64 s[6:7], exec
	v_readlane_b32 s8, v54, 8
	v_readlane_b32 s9, v54, 9
	s_and_b64 s[8:9], s[6:7], s[8:9]
	s_mov_b64 exec, s[8:9]
; %bb.312:                              ;   in Loop: Header=BB132_6 Depth=1
	v_mov_b32_e32 v4, s92
	v_mov_b32_e32 v5, s93
	ds_write_b64 v3, v[4:5] offset:5128
; %bb.313:                              ;   in Loop: Header=BB132_6 Depth=1
	s_or_b64 exec, exec, s[6:7]
	s_waitcnt lgkmcnt(0)
	s_barrier
.LBB132_314:                            ;   in Loop: Header=BB132_6 Depth=1
	s_or_saveexec_b64 s[4:5], s[4:5]
	s_mov_b64 s[6:7], 0
	v_mov_b32_e32 v2, 5
	s_xor_b64 exec, exec, s[4:5]
; %bb.315:                              ;   in Loop: Header=BB132_6 Depth=1
	v_subrev_co_u32_e32 v24, vcc, s92, v24
	v_mov_b32_e32 v2, s93
	v_subb_co_u32_e32 v25, vcc, v25, v2, vcc
	v_mov_b32_e32 v2, 0
	s_mov_b64 s[6:7], exec
; %bb.316:                              ;   in Loop: Header=BB132_6 Depth=1
	s_or_b64 exec, exec, s[4:5]
	v_mov_b32_e32 v4, v24
	s_and_b64 s[4:5], s[6:7], exec
	v_mov_b32_e32 v5, v25
.LBB132_317:                            ;   in Loop: Header=BB132_6 Depth=1
	s_or_b64 exec, exec, s[2:3]
	s_mov_b64 s[2:3], -1
                                        ; implicit-def: $sgpr16_sgpr17
                                        ; implicit-def: $sgpr42_sgpr43
	s_and_saveexec_b64 s[6:7], s[4:5]
	s_xor_b64 s[6:7], exec, s[6:7]
	s_cbranch_execz .LBB132_462
; %bb.318:                              ;   in Loop: Header=BB132_6 Depth=1
	s_cmp_eq_u64 s[90:91], 1
	v_cmp_eq_u64_e32 vcc, 1, v[4:5]
	s_cselect_b64 s[2:3], -1, 0
	s_and_b64 s[2:3], s[2:3], vcc
	s_mov_b64 s[4:5], -1
                                        ; implicit-def: $sgpr42_sgpr43
                                        ; implicit-def: $sgpr16_sgpr17
	s_and_saveexec_b64 s[14:15], s[2:3]
	s_cbranch_execz .LBB132_352
; %bb.319:                              ;   in Loop: Header=BB132_6 Depth=1
	ds_read_b64 v[6:7], v3 offset:5120
	s_waitcnt lgkmcnt(0)
	s_barrier
	v_readfirstlane_b32 s10, v6
	v_readfirstlane_b32 s11, v7
	s_mov_b64 s[4:5], exec
	v_readlane_b32 s8, v54, 26
	v_readlane_b32 s9, v54, 27
	s_and_b64 s[8:9], s[4:5], s[8:9]
	s_mov_b64 exec, s[8:9]
; %bb.320:                              ;   in Loop: Header=BB132_6 Depth=1
	ds_write_b8 v0, v3 offset:3072
; %bb.321:                              ;   in Loop: Header=BB132_6 Depth=1
	s_or_b64 exec, exec, s[4:5]
	v_and_b32_e32 v6, s49, v37
	v_lshl_or_b32 v37, 2, s53, v6
	v_or_b32_e32 v40, s59, v40
	s_mov_b64 s[16:17], -1
	s_mov_b64 s[42:43], 0
	s_cmp_eq_u64 s[10:11], 0
	s_mov_b64 s[8:9], 0
	s_mov_b64 s[20:21], -1
	s_waitcnt lgkmcnt(0)
	s_barrier
                                        ; implicit-def: $vgpr41
	s_cbranch_scc1 .LBB132_337
; %bb.322:                              ;   in Loop: Header=BB132_6 Depth=1
	v_readlane_b32 s4, v54, 30
	s_add_u32 s20, s10, s4
	v_readlane_b32 s4, v54, 32
	s_addc_u32 s9, s11, s4
	s_mov_b32 s8, s51
	s_cmp_lg_u64 s[8:9], 0
	s_cbranch_scc0 .LBB132_378
; %bb.323:                              ;   in Loop: Header=BB132_6 Depth=1
	v_cvt_f32_u32_e32 v6, s33
	s_sub_u32 s8, 0, s33
	s_subb_u32 s12, 0, 0
	v_mac_f32_e32 v6, 0, v38
	v_rcp_f32_e32 v6, v6
	v_mul_f32_e32 v6, 0x5f7ffffc, v6
	v_mul_f32_e32 v7, 0x2f800000, v6
	v_trunc_f32_e32 v7, v7
	v_mac_f32_e32 v6, 0xcf800000, v7
	v_cvt_u32_f32_e32 v7, v7
	v_cvt_u32_f32_e32 v6, v6
	v_readfirstlane_b32 s13, v7
	v_readfirstlane_b32 s4, v6
	s_mul_i32 s5, s8, s13
	s_mul_hi_u32 s34, s8, s4
	s_mul_i32 s21, s12, s4
	s_add_i32 s5, s34, s5
	s_mul_i32 s35, s8, s4
	s_add_i32 s5, s5, s21
	s_mul_hi_u32 s34, s4, s35
	s_mul_i32 s36, s4, s5
	s_mul_hi_u32 s21, s4, s5
	s_add_u32 s34, s34, s36
	s_addc_u32 s21, 0, s21
	s_mul_hi_u32 s37, s13, s35
	s_mul_i32 s35, s13, s35
	s_add_u32 s34, s34, s35
	s_mul_hi_u32 s36, s13, s5
	s_addc_u32 s21, s21, s37
	s_addc_u32 s34, s36, 0
	s_mul_i32 s5, s13, s5
	s_add_u32 s5, s21, s5
	s_addc_u32 s21, 0, s34
	s_add_u32 s34, s4, s5
	s_cselect_b64 s[4:5], -1, 0
	s_cmp_lg_u64 s[4:5], 0
	s_addc_u32 s13, s13, s21
	s_mul_i32 s4, s8, s13
	s_mul_hi_u32 s5, s8, s34
	s_add_i32 s4, s5, s4
	s_mul_i32 s12, s12, s34
	s_add_i32 s4, s4, s12
	s_mul_i32 s8, s8, s34
	s_mul_hi_u32 s12, s13, s8
	s_mul_i32 s21, s13, s8
	s_mul_i32 s36, s34, s4
	s_mul_hi_u32 s8, s34, s8
	s_mul_hi_u32 s35, s34, s4
	s_add_u32 s8, s8, s36
	s_addc_u32 s35, 0, s35
	s_add_u32 s8, s8, s21
	s_mul_hi_u32 s5, s13, s4
	s_addc_u32 s8, s35, s12
	s_addc_u32 s5, s5, 0
	s_mul_i32 s4, s13, s4
	s_add_u32 s4, s8, s4
	s_addc_u32 s8, 0, s5
	s_add_u32 s12, s34, s4
	s_cselect_b64 s[4:5], -1, 0
	s_cmp_lg_u64 s[4:5], 0
	s_addc_u32 s4, s13, s8
	s_mul_i32 s8, s20, s4
	s_mul_hi_u32 s13, s20, s12
	s_mul_hi_u32 s5, s20, s4
	s_add_u32 s8, s13, s8
	s_addc_u32 s5, 0, s5
	s_mul_hi_u32 s21, s9, s12
	s_mul_i32 s12, s9, s12
	s_add_u32 s8, s8, s12
	s_mul_hi_u32 s13, s9, s4
	s_addc_u32 s5, s5, s21
	s_addc_u32 s8, s13, 0
	s_mul_i32 s4, s9, s4
	s_add_u32 s4, s5, s4
	s_addc_u32 s5, 0, s8
	s_mul_i32 s5, s33, s5
	s_mul_hi_u32 s8, s33, s4
	s_add_i32 s8, s8, s5
	s_mul_i32 s4, s33, s4
	s_sub_u32 s12, s20, s4
	s_cselect_b64 s[4:5], -1, 0
	s_cmp_lg_u64 s[4:5], 0
	s_subb_u32 s8, s9, s8
	s_sub_u32 s13, s12, s33
	s_cselect_b64 s[4:5], -1, 0
	s_cmp_lg_u64 s[4:5], 0
	s_subb_u32 s21, s8, 0
	;; [unrolled: 4-line block ×3, first 2 shown]
	s_cmp_ge_u32 s13, s33
	s_cselect_b32 s5, -1, 0
	s_cmp_eq_u32 s21, 0
	s_cselect_b32 s5, s5, -1
	s_cmp_lg_u32 s5, 0
	s_cselect_b32 s4, s4, s21
	s_cselect_b32 s13, s34, s13
	s_cmp_ge_u32 s12, s33
	s_cselect_b32 s5, -1, 0
	s_cmp_eq_u32 s8, 0
	s_cselect_b32 s5, s5, -1
	s_cmp_lg_u32 s5, 0
	s_cselect_b32 s5, s4, s8
	s_cselect_b32 s4, s13, s12
	s_cbranch_execnz .LBB132_325
.LBB132_324:                            ;   in Loop: Header=BB132_6 Depth=1
	v_cvt_f32_u32_e32 v6, s33
	s_sub_i32 s4, 0, s33
	v_rcp_iflag_f32_e32 v6, v6
	v_mul_f32_e32 v6, 0x4f7ffffe, v6
	v_cvt_u32_f32_e32 v6, v6
	v_readfirstlane_b32 s5, v6
	s_mul_i32 s4, s4, s5
	s_mul_hi_u32 s4, s5, s4
	s_add_i32 s5, s5, s4
	s_mul_hi_u32 s4, s20, s5
	s_mul_i32 s4, s4, s33
	s_sub_i32 s4, s20, s4
	s_sub_i32 s5, s4, s33
	s_cmp_ge_u32 s4, s33
	s_cselect_b32 s4, s5, s4
	s_sub_i32 s5, s4, s33
	s_cmp_ge_u32 s4, s33
	s_cselect_b32 s50, s5, s4
	s_mov_b64 s[4:5], s[50:51]
	v_readlane_b32 s50, v54, 50
.LBB132_325:                            ;   in Loop: Header=BB132_6 Depth=1
	s_sub_u32 s36, s20, s4
	s_subb_u32 s37, s9, s5
	v_cmp_gt_u64_e32 vcc, s[36:37], v[0:1]
	s_mov_b64 s[20:21], 0
	s_mov_b64 s[8:9], 0
                                        ; implicit-def: $vgpr41
	s_and_saveexec_b64 s[34:35], vcc
	s_cbranch_execz .LBB132_336
; %bb.326:                              ;   in Loop: Header=BB132_6 Depth=1
	v_mov_b32_e32 v7, v1
	v_mov_b32_e32 v8, v0
	;; [unrolled: 1-line block ×3, first 2 shown]
                                        ; implicit-def: $sgpr12_sgpr13
	s_branch .LBB132_329
.LBB132_327:                            ;   in Loop: Header=BB132_329 Depth=2
	s_or_b64 exec, exec, s[4:5]
	s_waitcnt lgkmcnt(0)
	s_barrier
	ds_read_u16 v9, v3 offset:3072
	s_mov_b64 s[4:5], -1
	s_waitcnt lgkmcnt(0)
	s_barrier
	v_cmp_ne_u32_sdwa s[44:45], v9, v3 src0_sel:BYTE_0 src1_sel:DWORD
	s_and_b64 vcc, exec, s[44:45]
	s_mov_b64 s[44:45], -1
	s_cbranch_vccz .LBB132_332
.LBB132_328:                            ;   in Loop: Header=BB132_329 Depth=2
	s_and_b64 s[4:5], exec, s[4:5]
	s_or_b64 s[8:9], s[4:5], s[8:9]
	s_andn2_b64 s[4:5], s[12:13], exec
	s_and_b64 s[12:13], s[44:45], exec
	s_or_b64 s[12:13], s[4:5], s[12:13]
	s_andn2_b64 exec, exec, s[8:9]
	s_cbranch_execz .LBB132_335
.LBB132_329:                            ;   Parent Loop BB132_6 Depth=1
                                        ; =>  This Inner Loop Header: Depth=2
	v_cmp_gt_u64_e32 vcc, s[10:11], v[6:7]
	s_and_saveexec_b64 s[4:5], vcc
	s_cbranch_execz .LBB132_327
; %bb.330:                              ;   in Loop: Header=BB132_329 Depth=2
	ds_read_u8 v9, v8
	s_waitcnt lgkmcnt(0)
	v_add_u32_sdwa v10, sext(v9), s58 dst_sel:DWORD dst_unused:UNUSED_PAD src0_sel:BYTE_0 src1_sel:DWORD
	v_and_b32_e32 v10, v10, v40
	v_cmp_eq_u32_e32 vcc, v10, v37
	s_and_b64 exec, exec, vcc
	s_cbranch_execz .LBB132_327
; %bb.331:                              ;   in Loop: Header=BB132_329 Depth=2
	v_lshlrev_b16_e32 v9, 8, v9
	v_or_b32_e32 v9, 1, v9
	ds_write_b16 v3, v9 offset:3072
	s_branch .LBB132_327
.LBB132_332:                            ;   in Loop: Header=BB132_329 Depth=2
	v_add_co_u32_e32 v6, vcc, s33, v6
	v_addc_co_u32_e32 v7, vcc, 0, v7, vcc
	v_cmp_le_u64_e32 vcc, s[36:37], v[6:7]
	v_add_u32_e32 v8, s33, v8
	s_mov_b64 s[44:45], 0
	s_orn2_b64 s[4:5], vcc, exec
	s_branch .LBB132_328
.LBB132_333:                            ;   in Loop: Header=BB132_6 Depth=1
                                        ; implicit-def: $sgpr4_sgpr5
	s_branch .LBB132_280
.LBB132_334:                            ;   in Loop: Header=BB132_6 Depth=1
                                        ; implicit-def: $sgpr4_sgpr5
	s_mul_i32 s56, s26, s33
	s_branch .LBB132_295
.LBB132_335:                            ;   in Loop: Header=BB132_6 Depth=1
	s_or_b64 exec, exec, s[8:9]
	v_lshrrev_b32_sdwa v41, v39, v9 dst_sel:DWORD dst_unused:UNUSED_PAD src0_sel:DWORD src1_sel:WORD_0
	s_and_b64 s[8:9], s[12:13], exec
.LBB132_336:                            ;   in Loop: Header=BB132_6 Depth=1
	s_or_b64 exec, exec, s[34:35]
.LBB132_337:                            ;   in Loop: Header=BB132_6 Depth=1
	s_and_b64 vcc, exec, s[20:21]
	s_cbranch_vccz .LBB132_351
; %bb.338:                              ;   in Loop: Header=BB132_6 Depth=1
	v_readlane_b32 s34, v54, 33
	v_readlane_b32 s35, v54, 34
	s_mov_b32 s34, s51
	s_cmp_lg_u64 s[34:35], 0
	v_writelane_b32 v54, s34, 33
	v_writelane_b32 v54, s35, 34
	s_cbranch_scc0 .LBB132_379
; %bb.339:                              ;   in Loop: Header=BB132_6 Depth=1
	v_cvt_f32_u32_e32 v6, s33
	s_sub_u32 s10, 0, s33
	s_subb_u32 s11, 0, 0
	v_mac_f32_e32 v6, 0, v38
	v_rcp_f32_e32 v6, v6
	v_mul_f32_e32 v6, 0x5f7ffffc, v6
	v_mul_f32_e32 v7, 0x2f800000, v6
	v_trunc_f32_e32 v7, v7
	v_mac_f32_e32 v6, 0xcf800000, v7
	v_cvt_u32_f32_e32 v7, v7
	v_cvt_u32_f32_e32 v6, v6
	v_readfirstlane_b32 s12, v7
	v_readfirstlane_b32 s4, v6
	s_mul_i32 s5, s10, s12
	s_mul_hi_u32 s16, s10, s4
	s_mul_i32 s13, s11, s4
	s_add_i32 s5, s16, s5
	s_mul_i32 s17, s10, s4
	s_add_i32 s5, s5, s13
	s_mul_hi_u32 s16, s4, s17
	s_mul_i32 s20, s4, s5
	s_mul_hi_u32 s13, s4, s5
	s_add_u32 s16, s16, s20
	s_addc_u32 s13, 0, s13
	s_mul_hi_u32 s21, s12, s17
	s_mul_i32 s17, s12, s17
	s_add_u32 s16, s16, s17
	s_mul_hi_u32 s20, s12, s5
	s_addc_u32 s13, s13, s21
	s_addc_u32 s16, s20, 0
	s_mul_i32 s5, s12, s5
	s_add_u32 s5, s13, s5
	s_addc_u32 s13, 0, s16
	s_add_u32 s16, s4, s5
	s_cselect_b64 s[4:5], -1, 0
	s_cmp_lg_u64 s[4:5], 0
	s_addc_u32 s12, s12, s13
	s_mul_i32 s4, s10, s12
	s_mul_hi_u32 s5, s10, s16
	s_add_i32 s4, s5, s4
	s_mul_i32 s11, s11, s16
	s_add_i32 s4, s4, s11
	s_mul_i32 s10, s10, s16
	s_mul_hi_u32 s11, s12, s10
	s_mul_i32 s13, s12, s10
	s_mul_i32 s20, s16, s4
	s_mul_hi_u32 s10, s16, s10
	s_mul_hi_u32 s17, s16, s4
	s_add_u32 s10, s10, s20
	s_addc_u32 s17, 0, s17
	s_add_u32 s10, s10, s13
	s_mul_hi_u32 s5, s12, s4
	s_addc_u32 s10, s17, s11
	s_addc_u32 s5, s5, 0
	s_mul_i32 s4, s12, s4
	s_add_u32 s4, s10, s4
	s_addc_u32 s10, 0, s5
	s_add_u32 s11, s16, s4
	s_cselect_b64 s[4:5], -1, 0
	s_cmp_lg_u64 s[4:5], 0
	s_addc_u32 s4, s12, s10
	v_readlane_b32 s16, v54, 31
	s_mul_i32 s10, s16, s4
	s_mul_hi_u32 s12, s16, s11
	s_mul_hi_u32 s5, s16, s4
	s_add_u32 s10, s12, s10
	s_addc_u32 s5, 0, s5
	s_mul_hi_u32 s13, s35, s11
	s_mul_i32 s11, s35, s11
	s_add_u32 s10, s10, s11
	s_mul_hi_u32 s12, s35, s4
	s_addc_u32 s5, s5, s13
	s_addc_u32 s10, s12, 0
	s_mul_i32 s4, s35, s4
	s_add_u32 s4, s5, s4
	s_addc_u32 s5, 0, s10
	s_mul_i32 s5, s33, s5
	s_mul_hi_u32 s10, s33, s4
	s_add_i32 s10, s10, s5
	s_mul_i32 s4, s33, s4
	s_sub_u32 s11, s16, s4
	s_cselect_b64 s[4:5], -1, 0
	s_cmp_lg_u64 s[4:5], 0
	s_subb_u32 s10, s35, s10
	s_sub_u32 s12, s11, s33
	s_cselect_b64 s[4:5], -1, 0
	s_cmp_lg_u64 s[4:5], 0
	s_subb_u32 s13, s10, 0
	;; [unrolled: 4-line block ×3, first 2 shown]
	s_cmp_ge_u32 s12, s33
	s_cselect_b32 s5, -1, 0
	s_cmp_eq_u32 s13, 0
	s_cselect_b32 s5, s5, -1
	s_cmp_lg_u32 s5, 0
	s_cselect_b32 s4, s4, s13
	s_cselect_b32 s12, s16, s12
	s_cmp_ge_u32 s11, s33
	s_cselect_b32 s5, -1, 0
	s_cmp_eq_u32 s10, 0
	s_cselect_b32 s5, s5, -1
	s_cmp_lg_u32 s5, 0
	s_cselect_b32 s5, s4, s10
	s_cselect_b32 s4, s12, s11
	s_mul_i32 s56, s26, s33
	s_cbranch_execnz .LBB132_341
.LBB132_340:                            ;   in Loop: Header=BB132_6 Depth=1
	v_cvt_f32_u32_e32 v6, s33
	s_sub_i32 s4, 0, s33
	v_readlane_b32 s10, v54, 31
	v_rcp_iflag_f32_e32 v6, v6
	v_mul_f32_e32 v6, 0x4f7ffffe, v6
	v_cvt_u32_f32_e32 v6, v6
	v_readfirstlane_b32 s5, v6
	s_mul_i32 s4, s4, s5
	s_mul_hi_u32 s4, s5, s4
	s_add_i32 s5, s5, s4
	s_mul_hi_u32 s4, s10, s5
	s_mul_i32 s4, s4, s33
	s_sub_i32 s4, s10, s4
	s_sub_i32 s5, s4, s33
	s_cmp_ge_u32 s4, s33
	s_cselect_b32 s4, s5, s4
	s_sub_i32 s5, s4, s33
	s_cmp_ge_u32 s4, s33
	s_cselect_b32 s50, s5, s4
	s_mov_b64 s[4:5], s[50:51]
	v_readlane_b32 s50, v54, 50
.LBB132_341:                            ;   in Loop: Header=BB132_6 Depth=1
	v_readlane_b32 s10, v54, 31
	s_sub_u32 s16, s10, s4
	v_readlane_b32 s10, v54, 33
	v_readlane_b32 s11, v54, 34
	s_subb_u32 s17, s11, s5
	v_cmp_gt_u64_e32 vcc, s[16:17], v[0:1]
                                        ; implicit-def: $vgpr41
	s_and_saveexec_b64 s[10:11], vcc
	s_cbranch_execz .LBB132_350
; %bb.342:                              ;   in Loop: Header=BB132_6 Depth=1
	v_mov_b32_e32 v6, v12
	v_mov_b32_e32 v9, v1
	s_mov_b64 s[12:13], 0
	v_mov_b32_e32 v7, v13
	v_mov_b32_e32 v8, v0
                                        ; implicit-def: $sgpr20_sgpr21
	s_branch .LBB132_345
.LBB132_343:                            ;   in Loop: Header=BB132_345 Depth=2
	s_or_b64 exec, exec, s[4:5]
	s_waitcnt lgkmcnt(0)
	s_barrier
	ds_read_u16 v10, v3 offset:3072
	s_mov_b64 s[4:5], -1
	s_waitcnt lgkmcnt(0)
	s_barrier
	v_cmp_eq_u32_sdwa s[34:35], v10, v3 src0_sel:BYTE_0 src1_sel:DWORD
	s_and_b64 vcc, exec, s[34:35]
	s_mov_b64 s[34:35], -1
	s_cbranch_vccnz .LBB132_348
.LBB132_344:                            ;   in Loop: Header=BB132_345 Depth=2
	s_and_b64 s[4:5], exec, s[4:5]
	s_or_b64 s[12:13], s[4:5], s[12:13]
	s_andn2_b64 s[4:5], s[20:21], exec
	s_and_b64 s[20:21], s[34:35], exec
	s_or_b64 s[20:21], s[4:5], s[20:21]
	s_andn2_b64 exec, exec, s[12:13]
	s_cbranch_execz .LBB132_349
.LBB132_345:                            ;   Parent Loop BB132_6 Depth=1
                                        ; =>  This Inner Loop Header: Depth=2
	v_cmp_gt_u64_e32 vcc, s[28:29], v[8:9]
	s_and_saveexec_b64 s[4:5], vcc
	s_cbranch_execz .LBB132_343
; %bb.346:                              ;   in Loop: Header=BB132_345 Depth=2
	global_load_ubyte v10, v[6:7], off
	s_waitcnt vmcnt(0)
	v_add_u32_sdwa v11, sext(v10), s58 dst_sel:DWORD dst_unused:UNUSED_PAD src0_sel:BYTE_0 src1_sel:DWORD
	v_and_b32_e32 v11, v11, v40
	v_cmp_eq_u32_e32 vcc, v11, v37
	s_and_b64 exec, exec, vcc
	s_cbranch_execz .LBB132_343
; %bb.347:                              ;   in Loop: Header=BB132_345 Depth=2
	v_lshlrev_b16_e32 v10, 8, v10
	v_or_b32_e32 v10, 1, v10
	ds_write_b16 v3, v10 offset:3072
	s_branch .LBB132_343
.LBB132_348:                            ;   in Loop: Header=BB132_345 Depth=2
	v_add_co_u32_e32 v8, vcc, s33, v8
	v_addc_co_u32_e32 v9, vcc, 0, v9, vcc
	v_readlane_b32 s4, v54, 46
	v_mov_b32_e32 v11, s4
	v_add_co_u32_e32 v6, vcc, s56, v6
	v_addc_co_u32_e32 v7, vcc, v7, v11, vcc
	v_cmp_le_u64_e32 vcc, s[16:17], v[8:9]
	s_mov_b64 s[34:35], 0
	s_orn2_b64 s[4:5], vcc, exec
	s_branch .LBB132_344
.LBB132_349:                            ;   in Loop: Header=BB132_6 Depth=1
	s_or_b64 exec, exec, s[12:13]
	s_andn2_b64 s[4:5], s[8:9], exec
	s_and_b64 s[8:9], s[20:21], exec
	v_lshrrev_b32_sdwa v41, v39, v10 dst_sel:DWORD dst_unused:UNUSED_PAD src0_sel:DWORD src1_sel:WORD_0
	s_or_b64 s[8:9], s[4:5], s[8:9]
.LBB132_350:                            ;   in Loop: Header=BB132_6 Depth=1
	s_or_b64 exec, exec, s[10:11]
	s_mov_b64 s[16:17], 0
	s_mov_b64 s[42:43], -1
.LBB132_351:                            ;   in Loop: Header=BB132_6 Depth=1
	s_orn2_b64 s[4:5], s[8:9], exec
.LBB132_352:                            ;   in Loop: Header=BB132_6 Depth=1
	s_or_b64 exec, exec, s[14:15]
	s_mov_b64 s[8:9], 0
	s_and_saveexec_b64 s[44:45], s[4:5]
	s_cbranch_execz .LBB132_461
; %bb.353:                              ;   in Loop: Header=BB132_6 Depth=1
	v_mov_b32_e32 v6, 1
	s_xor_b64 s[8:9], s[2:3], -1
	v_mov_b32_e32 v2, 1
	v_mov_b32_e32 v7, 0
	s_mov_b64 s[4:5], 0
	s_and_saveexec_b64 s[2:3], s[8:9]
	s_cbranch_execz .LBB132_362
; %bb.354:                              ;   in Loop: Header=BB132_6 Depth=1
	v_cmp_ge_u64_e32 vcc, s[90:91], v[4:5]
	s_and_saveexec_b64 s[4:5], vcc
	s_xor_b64 s[4:5], exec, s[4:5]
	s_cbranch_execz .LBB132_359
; %bb.355:                              ;   in Loop: Header=BB132_6 Depth=1
	ds_read_b64 v[6:7], v3 offset:5120
	v_and_b32_e32 v2, s49, v37
	v_lshl_or_b32 v37, 2, s53, v2
	v_or_b32_e32 v40, s59, v40
	s_waitcnt lgkmcnt(0)
	v_cmp_ne_u64_e32 vcc, 0, v[6:7]
	s_cbranch_vccnz .LBB132_359
; %bb.356:                              ;   in Loop: Header=BB132_6 Depth=1
	s_mov_b64 s[8:9], exec
	v_readlane_b32 s10, v54, 8
	v_readlane_b32 s11, v54, 9
	s_and_b64 s[10:11], s[8:9], s[10:11]
	s_mov_b64 exec, s[10:11]
; %bb.357:                              ;   in Loop: Header=BB132_6 Depth=1
	v_mov_b32_e32 v6, s90
	v_mov_b32_e32 v7, s91
	ds_write_b64 v3, v[6:7] offset:5128
; %bb.358:                              ;   in Loop: Header=BB132_6 Depth=1
	s_or_b64 exec, exec, s[8:9]
	s_waitcnt lgkmcnt(0)
	s_barrier
.LBB132_359:                            ;   in Loop: Header=BB132_6 Depth=1
	s_or_saveexec_b64 s[4:5], s[4:5]
	s_mov_b64 s[8:9], 0
	v_mov_b32_e32 v2, 5
	s_xor_b64 exec, exec, s[4:5]
; %bb.360:                              ;   in Loop: Header=BB132_6 Depth=1
	v_subrev_co_u32_e32 v4, vcc, s90, v4
	v_mov_b32_e32 v2, s91
	v_subb_co_u32_e32 v5, vcc, v5, v2, vcc
	v_mov_b32_e32 v2, 0
	s_mov_b64 s[8:9], exec
; %bb.361:                              ;   in Loop: Header=BB132_6 Depth=1
	s_or_b64 exec, exec, s[4:5]
	v_mov_b32_e32 v7, v5
	s_and_b64 s[4:5], s[8:9], exec
	v_mov_b32_e32 v6, v4
.LBB132_362:                            ;   in Loop: Header=BB132_6 Depth=1
	s_or_b64 exec, exec, s[2:3]
	s_mov_b64 s[2:3], -1
                                        ; implicit-def: $sgpr20_sgpr21
                                        ; implicit-def: $sgpr90_sgpr91
	s_and_saveexec_b64 s[14:15], s[4:5]
	s_cbranch_execz .LBB132_460
; %bb.363:                              ;   in Loop: Header=BB132_6 Depth=1
	s_cmp_eq_u64 s[88:89], 1
	v_cmp_eq_u64_e32 vcc, 1, v[6:7]
	s_cselect_b64 s[2:3], -1, 0
	s_and_b64 s[34:35], s[2:3], vcc
	s_mov_b64 s[4:5], -1
                                        ; implicit-def: $sgpr90_sgpr91
                                        ; implicit-def: $sgpr20_sgpr21
	s_and_saveexec_b64 s[2:3], s[34:35]
	s_cbranch_execz .LBB132_397
; %bb.364:                              ;   in Loop: Header=BB132_6 Depth=1
	ds_read_b64 v[4:5], v3 offset:5120
	s_waitcnt lgkmcnt(0)
	s_barrier
	v_readfirstlane_b32 s10, v4
	v_readfirstlane_b32 s11, v5
	s_mov_b64 s[4:5], exec
	v_readlane_b32 s8, v54, 26
	v_readlane_b32 s9, v54, 27
	s_and_b64 s[8:9], s[4:5], s[8:9]
	s_mov_b64 exec, s[8:9]
; %bb.365:                              ;   in Loop: Header=BB132_6 Depth=1
	ds_write_b8 v0, v3 offset:3072
; %bb.366:                              ;   in Loop: Header=BB132_6 Depth=1
	s_or_b64 exec, exec, s[4:5]
	v_and_b32_e32 v4, s49, v37
	v_lshl_or_b32 v37, 1, s53, v4
	v_or_b32_e32 v40, s59, v40
	s_mov_b64 s[20:21], -1
	s_mov_b64 s[90:91], 0
	s_cmp_eq_u64 s[10:11], 0
	s_mov_b64 s[8:9], 0
	s_mov_b64 s[36:37], -1
	s_waitcnt lgkmcnt(0)
	s_barrier
                                        ; implicit-def: $vgpr41
	s_cbranch_scc1 .LBB132_382
; %bb.367:                              ;   in Loop: Header=BB132_6 Depth=1
	v_readlane_b32 s4, v54, 30
	s_add_u32 s36, s10, s4
	v_readlane_b32 s4, v54, 32
	s_addc_u32 s9, s11, s4
	s_mov_b32 s8, s51
	s_cmp_lg_u64 s[8:9], 0
	s_cbranch_scc0 .LBB132_414
; %bb.368:                              ;   in Loop: Header=BB132_6 Depth=1
	v_cvt_f32_u32_e32 v4, s33
	s_sub_u32 s8, 0, s33
	s_subb_u32 s12, 0, 0
	v_mac_f32_e32 v4, 0, v38
	v_rcp_f32_e32 v4, v4
	v_mul_f32_e32 v4, 0x5f7ffffc, v4
	v_mul_f32_e32 v5, 0x2f800000, v4
	v_trunc_f32_e32 v5, v5
	v_mac_f32_e32 v4, 0xcf800000, v5
	v_cvt_u32_f32_e32 v5, v5
	v_cvt_u32_f32_e32 v4, v4
	v_readfirstlane_b32 s13, v5
	v_readfirstlane_b32 s4, v4
	s_mul_i32 s5, s8, s13
	s_mul_hi_u32 s50, s8, s4
	s_mul_i32 s37, s12, s4
	s_add_i32 s5, s50, s5
	s_mul_i32 s54, s8, s4
	s_add_i32 s5, s5, s37
	s_mul_hi_u32 s50, s4, s54
	s_mul_i32 s55, s4, s5
	s_mul_hi_u32 s37, s4, s5
	s_add_u32 s50, s50, s55
	s_addc_u32 s37, 0, s37
	s_mul_hi_u32 s56, s13, s54
	s_mul_i32 s54, s13, s54
	s_add_u32 s50, s50, s54
	s_mul_hi_u32 s55, s13, s5
	s_addc_u32 s37, s37, s56
	s_addc_u32 s50, s55, 0
	s_mul_i32 s5, s13, s5
	s_add_u32 s5, s37, s5
	s_addc_u32 s37, 0, s50
	s_add_u32 s50, s4, s5
	s_cselect_b64 s[4:5], -1, 0
	s_cmp_lg_u64 s[4:5], 0
	s_addc_u32 s13, s13, s37
	s_mul_i32 s4, s8, s13
	s_mul_hi_u32 s5, s8, s50
	s_add_i32 s4, s5, s4
	s_mul_i32 s12, s12, s50
	s_add_i32 s4, s4, s12
	s_mul_i32 s8, s8, s50
	s_mul_hi_u32 s12, s13, s8
	s_mul_i32 s37, s13, s8
	s_mul_i32 s55, s50, s4
	s_mul_hi_u32 s8, s50, s8
	s_mul_hi_u32 s54, s50, s4
	s_add_u32 s8, s8, s55
	s_addc_u32 s54, 0, s54
	s_add_u32 s8, s8, s37
	s_mul_hi_u32 s5, s13, s4
	s_addc_u32 s8, s54, s12
	s_addc_u32 s5, s5, 0
	s_mul_i32 s4, s13, s4
	s_add_u32 s4, s8, s4
	s_addc_u32 s8, 0, s5
	s_add_u32 s12, s50, s4
	s_cselect_b64 s[4:5], -1, 0
	s_cmp_lg_u64 s[4:5], 0
	s_addc_u32 s4, s13, s8
	s_mul_i32 s8, s36, s4
	s_mul_hi_u32 s13, s36, s12
	s_mul_hi_u32 s5, s36, s4
	s_add_u32 s8, s13, s8
	s_addc_u32 s5, 0, s5
	s_mul_hi_u32 s37, s9, s12
	s_mul_i32 s12, s9, s12
	s_add_u32 s8, s8, s12
	s_mul_hi_u32 s13, s9, s4
	s_addc_u32 s5, s5, s37
	s_addc_u32 s8, s13, 0
	s_mul_i32 s4, s9, s4
	s_add_u32 s4, s5, s4
	s_addc_u32 s5, 0, s8
	s_mul_i32 s5, s33, s5
	s_mul_hi_u32 s8, s33, s4
	s_add_i32 s8, s8, s5
	s_mul_i32 s4, s33, s4
	s_sub_u32 s12, s36, s4
	s_cselect_b64 s[4:5], -1, 0
	s_cmp_lg_u64 s[4:5], 0
	s_subb_u32 s8, s9, s8
	s_sub_u32 s13, s12, s33
	s_cselect_b64 s[4:5], -1, 0
	s_cmp_lg_u64 s[4:5], 0
	s_subb_u32 s37, s8, 0
	s_sub_u32 s50, s13, s33
	s_cselect_b64 s[4:5], -1, 0
	s_cmp_lg_u64 s[4:5], 0
	s_subb_u32 s4, s37, 0
	s_cmp_ge_u32 s13, s33
	s_cselect_b32 s5, -1, 0
	s_cmp_eq_u32 s37, 0
	s_cselect_b32 s5, s5, -1
	s_cmp_lg_u32 s5, 0
	s_cselect_b32 s4, s4, s37
	s_cselect_b32 s13, s50, s13
	s_cmp_ge_u32 s12, s33
	s_cselect_b32 s5, -1, 0
	s_cmp_eq_u32 s8, 0
	s_cselect_b32 s5, s5, -1
	s_cmp_lg_u32 s5, 0
	s_cselect_b32 s5, s4, s8
	s_cselect_b32 s4, s13, s12
	s_cbranch_execnz .LBB132_370
.LBB132_369:                            ;   in Loop: Header=BB132_6 Depth=1
	v_cvt_f32_u32_e32 v4, s33
	s_sub_i32 s4, 0, s33
	v_rcp_iflag_f32_e32 v4, v4
	v_mul_f32_e32 v4, 0x4f7ffffe, v4
	v_cvt_u32_f32_e32 v4, v4
	v_readfirstlane_b32 s5, v4
	s_mul_i32 s4, s4, s5
	s_mul_hi_u32 s4, s5, s4
	s_add_i32 s5, s5, s4
	s_mul_hi_u32 s4, s36, s5
	s_mul_i32 s4, s4, s33
	s_sub_i32 s4, s36, s4
	s_sub_i32 s5, s4, s33
	s_cmp_ge_u32 s4, s33
	s_cselect_b32 s4, s5, s4
	s_sub_i32 s5, s4, s33
	s_cmp_ge_u32 s4, s33
	s_cselect_b32 s50, s5, s4
	s_mov_b64 s[4:5], s[50:51]
.LBB132_370:                            ;   in Loop: Header=BB132_6 Depth=1
	s_sub_u32 s54, s36, s4
	s_subb_u32 s55, s9, s5
	v_cmp_gt_u64_e32 vcc, s[54:55], v[0:1]
	s_mov_b64 s[36:37], 0
	s_mov_b64 s[8:9], 0
                                        ; implicit-def: $vgpr41
	s_and_saveexec_b64 s[60:61], vcc
	s_mul_i32 s56, s26, s33
	v_readlane_b32 s50, v54, 50
	s_cbranch_execz .LBB132_381
; %bb.371:                              ;   in Loop: Header=BB132_6 Depth=1
	v_mov_b32_e32 v5, v1
	v_mov_b32_e32 v8, v0
	v_mov_b32_e32 v4, v0
                                        ; implicit-def: $sgpr12_sgpr13
	s_branch .LBB132_374
.LBB132_372:                            ;   in Loop: Header=BB132_374 Depth=2
	s_or_b64 exec, exec, s[4:5]
	s_waitcnt lgkmcnt(0)
	s_barrier
	ds_read_u16 v9, v3 offset:3072
	s_mov_b64 s[4:5], -1
	s_waitcnt lgkmcnt(0)
	s_barrier
	v_cmp_ne_u32_sdwa s[62:63], v9, v3 src0_sel:BYTE_0 src1_sel:DWORD
	s_and_b64 vcc, exec, s[62:63]
	s_mov_b64 s[62:63], -1
	s_cbranch_vccz .LBB132_377
.LBB132_373:                            ;   in Loop: Header=BB132_374 Depth=2
	s_and_b64 s[4:5], exec, s[4:5]
	s_or_b64 s[8:9], s[4:5], s[8:9]
	s_andn2_b64 s[4:5], s[12:13], exec
	s_and_b64 s[12:13], s[62:63], exec
	s_or_b64 s[12:13], s[4:5], s[12:13]
	s_andn2_b64 exec, exec, s[8:9]
	s_cbranch_execz .LBB132_380
.LBB132_374:                            ;   Parent Loop BB132_6 Depth=1
                                        ; =>  This Inner Loop Header: Depth=2
	v_cmp_gt_u64_e32 vcc, s[10:11], v[4:5]
	s_and_saveexec_b64 s[4:5], vcc
	s_cbranch_execz .LBB132_372
; %bb.375:                              ;   in Loop: Header=BB132_374 Depth=2
	ds_read_u8 v9, v8
	s_waitcnt lgkmcnt(0)
	v_add_u32_sdwa v10, sext(v9), s58 dst_sel:DWORD dst_unused:UNUSED_PAD src0_sel:BYTE_0 src1_sel:DWORD
	v_and_b32_e32 v10, v10, v40
	v_cmp_eq_u32_e32 vcc, v10, v37
	s_and_b64 exec, exec, vcc
	s_cbranch_execz .LBB132_372
; %bb.376:                              ;   in Loop: Header=BB132_374 Depth=2
	v_lshlrev_b16_e32 v9, 8, v9
	v_or_b32_e32 v9, 1, v9
	ds_write_b16 v3, v9 offset:3072
	s_branch .LBB132_372
.LBB132_377:                            ;   in Loop: Header=BB132_374 Depth=2
	v_add_co_u32_e32 v4, vcc, s33, v4
	v_addc_co_u32_e32 v5, vcc, 0, v5, vcc
	v_cmp_le_u64_e32 vcc, s[54:55], v[4:5]
	v_add_u32_e32 v8, s33, v8
	s_mov_b64 s[62:63], 0
	s_orn2_b64 s[4:5], vcc, exec
	s_branch .LBB132_373
.LBB132_378:                            ;   in Loop: Header=BB132_6 Depth=1
                                        ; implicit-def: $sgpr4_sgpr5
	s_branch .LBB132_324
.LBB132_379:                            ;   in Loop: Header=BB132_6 Depth=1
                                        ; implicit-def: $sgpr4_sgpr5
	s_mul_i32 s56, s26, s33
	s_branch .LBB132_340
.LBB132_380:                            ;   in Loop: Header=BB132_6 Depth=1
	s_or_b64 exec, exec, s[8:9]
	v_lshrrev_b32_sdwa v41, v39, v9 dst_sel:DWORD dst_unused:UNUSED_PAD src0_sel:DWORD src1_sel:WORD_0
	s_and_b64 s[8:9], s[12:13], exec
.LBB132_381:                            ;   in Loop: Header=BB132_6 Depth=1
	s_or_b64 exec, exec, s[60:61]
.LBB132_382:                            ;   in Loop: Header=BB132_6 Depth=1
	s_and_b64 vcc, exec, s[36:37]
	s_cbranch_vccz .LBB132_396
; %bb.383:                              ;   in Loop: Header=BB132_6 Depth=1
	v_readlane_b32 s54, v54, 33
	v_readlane_b32 s55, v54, 34
	s_mov_b32 s54, s51
	s_cmp_lg_u64 s[54:55], 0
	v_writelane_b32 v54, s54, 33
	v_writelane_b32 v54, s55, 34
	s_cbranch_scc0 .LBB132_415
; %bb.384:                              ;   in Loop: Header=BB132_6 Depth=1
	v_cvt_f32_u32_e32 v4, s33
	s_sub_u32 s10, 0, s33
	s_subb_u32 s11, 0, 0
	v_mac_f32_e32 v4, 0, v38
	v_rcp_f32_e32 v4, v4
	v_mul_f32_e32 v4, 0x5f7ffffc, v4
	v_mul_f32_e32 v5, 0x2f800000, v4
	v_trunc_f32_e32 v5, v5
	v_mac_f32_e32 v4, 0xcf800000, v5
	v_cvt_u32_f32_e32 v5, v5
	v_cvt_u32_f32_e32 v4, v4
	v_readfirstlane_b32 s12, v5
	v_readfirstlane_b32 s4, v4
	s_mul_i32 s5, s10, s12
	s_mul_hi_u32 s20, s10, s4
	s_mul_i32 s13, s11, s4
	s_add_i32 s5, s20, s5
	s_mul_i32 s21, s10, s4
	s_add_i32 s5, s5, s13
	s_mul_hi_u32 s20, s4, s21
	s_mul_i32 s36, s4, s5
	s_mul_hi_u32 s13, s4, s5
	s_add_u32 s20, s20, s36
	s_addc_u32 s13, 0, s13
	s_mul_hi_u32 s37, s12, s21
	s_mul_i32 s21, s12, s21
	s_add_u32 s20, s20, s21
	s_mul_hi_u32 s36, s12, s5
	s_addc_u32 s13, s13, s37
	s_addc_u32 s20, s36, 0
	s_mul_i32 s5, s12, s5
	s_add_u32 s5, s13, s5
	s_addc_u32 s13, 0, s20
	s_add_u32 s20, s4, s5
	s_cselect_b64 s[4:5], -1, 0
	s_cmp_lg_u64 s[4:5], 0
	s_addc_u32 s12, s12, s13
	s_mul_i32 s4, s10, s12
	s_mul_hi_u32 s5, s10, s20
	s_add_i32 s4, s5, s4
	s_mul_i32 s11, s11, s20
	s_add_i32 s4, s4, s11
	s_mul_i32 s10, s10, s20
	s_mul_hi_u32 s11, s12, s10
	s_mul_i32 s13, s12, s10
	s_mul_i32 s36, s20, s4
	s_mul_hi_u32 s10, s20, s10
	s_mul_hi_u32 s21, s20, s4
	s_add_u32 s10, s10, s36
	s_addc_u32 s21, 0, s21
	s_add_u32 s10, s10, s13
	s_mul_hi_u32 s5, s12, s4
	s_addc_u32 s10, s21, s11
	s_addc_u32 s5, s5, 0
	s_mul_i32 s4, s12, s4
	s_add_u32 s4, s10, s4
	s_addc_u32 s10, 0, s5
	s_add_u32 s11, s20, s4
	s_cselect_b64 s[4:5], -1, 0
	s_cmp_lg_u64 s[4:5], 0
	s_addc_u32 s4, s12, s10
	v_readlane_b32 s20, v54, 31
	s_mul_i32 s10, s20, s4
	s_mul_hi_u32 s12, s20, s11
	s_mul_hi_u32 s5, s20, s4
	s_add_u32 s10, s12, s10
	s_addc_u32 s5, 0, s5
	s_mul_hi_u32 s13, s55, s11
	s_mul_i32 s11, s55, s11
	s_add_u32 s10, s10, s11
	s_mul_hi_u32 s12, s55, s4
	s_addc_u32 s5, s5, s13
	s_addc_u32 s10, s12, 0
	s_mul_i32 s4, s55, s4
	s_add_u32 s4, s5, s4
	s_addc_u32 s5, 0, s10
	s_mul_i32 s5, s33, s5
	s_mul_hi_u32 s10, s33, s4
	s_add_i32 s10, s10, s5
	s_mul_i32 s4, s33, s4
	s_sub_u32 s11, s20, s4
	s_cselect_b64 s[4:5], -1, 0
	s_cmp_lg_u64 s[4:5], 0
	s_subb_u32 s10, s55, s10
	s_sub_u32 s12, s11, s33
	s_cselect_b64 s[4:5], -1, 0
	s_cmp_lg_u64 s[4:5], 0
	s_subb_u32 s13, s10, 0
	;; [unrolled: 4-line block ×3, first 2 shown]
	s_cmp_ge_u32 s12, s33
	s_cselect_b32 s5, -1, 0
	s_cmp_eq_u32 s13, 0
	s_cselect_b32 s5, s5, -1
	s_cmp_lg_u32 s5, 0
	s_cselect_b32 s4, s4, s13
	s_cselect_b32 s12, s20, s12
	s_cmp_ge_u32 s11, s33
	s_cselect_b32 s5, -1, 0
	s_cmp_eq_u32 s10, 0
	s_cselect_b32 s5, s5, -1
	s_cmp_lg_u32 s5, 0
	s_cselect_b32 s5, s4, s10
	s_cselect_b32 s4, s12, s11
	s_mul_i32 s56, s26, s33
	s_cbranch_execnz .LBB132_386
.LBB132_385:                            ;   in Loop: Header=BB132_6 Depth=1
	v_cvt_f32_u32_e32 v4, s33
	s_sub_i32 s4, 0, s33
	v_readlane_b32 s10, v54, 31
	v_rcp_iflag_f32_e32 v4, v4
	v_mul_f32_e32 v4, 0x4f7ffffe, v4
	v_cvt_u32_f32_e32 v4, v4
	v_readfirstlane_b32 s5, v4
	s_mul_i32 s4, s4, s5
	s_mul_hi_u32 s4, s5, s4
	s_add_i32 s5, s5, s4
	s_mul_hi_u32 s4, s10, s5
	s_mul_i32 s4, s4, s33
	s_sub_i32 s4, s10, s4
	s_sub_i32 s5, s4, s33
	s_cmp_ge_u32 s4, s33
	s_cselect_b32 s4, s5, s4
	s_sub_i32 s5, s4, s33
	s_cmp_ge_u32 s4, s33
	s_cselect_b32 s50, s5, s4
	s_mov_b64 s[4:5], s[50:51]
	v_readlane_b32 s50, v54, 50
.LBB132_386:                            ;   in Loop: Header=BB132_6 Depth=1
	v_readlane_b32 s10, v54, 31
	s_sub_u32 s20, s10, s4
	v_readlane_b32 s10, v54, 33
	v_readlane_b32 s11, v54, 34
	s_subb_u32 s21, s11, s5
	v_cmp_gt_u64_e32 vcc, s[20:21], v[0:1]
                                        ; implicit-def: $vgpr41
	s_and_saveexec_b64 s[10:11], vcc
	s_cbranch_execz .LBB132_395
; %bb.387:                              ;   in Loop: Header=BB132_6 Depth=1
	v_mov_b32_e32 v4, v12
	v_mov_b32_e32 v9, v1
	s_mov_b64 s[12:13], 0
	v_mov_b32_e32 v5, v13
	v_mov_b32_e32 v8, v0
                                        ; implicit-def: $sgpr36_sgpr37
	s_branch .LBB132_390
.LBB132_388:                            ;   in Loop: Header=BB132_390 Depth=2
	s_or_b64 exec, exec, s[4:5]
	s_waitcnt lgkmcnt(0)
	s_barrier
	ds_read_u16 v10, v3 offset:3072
	s_mov_b64 s[4:5], -1
	s_waitcnt lgkmcnt(0)
	s_barrier
	v_cmp_eq_u32_sdwa s[54:55], v10, v3 src0_sel:BYTE_0 src1_sel:DWORD
	s_and_b64 vcc, exec, s[54:55]
	s_mov_b64 s[54:55], -1
	s_cbranch_vccnz .LBB132_393
.LBB132_389:                            ;   in Loop: Header=BB132_390 Depth=2
	s_and_b64 s[4:5], exec, s[4:5]
	s_or_b64 s[12:13], s[4:5], s[12:13]
	s_andn2_b64 s[4:5], s[36:37], exec
	s_and_b64 s[36:37], s[54:55], exec
	s_or_b64 s[36:37], s[4:5], s[36:37]
	s_andn2_b64 exec, exec, s[12:13]
	s_cbranch_execz .LBB132_394
.LBB132_390:                            ;   Parent Loop BB132_6 Depth=1
                                        ; =>  This Inner Loop Header: Depth=2
	v_cmp_gt_u64_e32 vcc, s[28:29], v[8:9]
	s_and_saveexec_b64 s[4:5], vcc
	s_cbranch_execz .LBB132_388
; %bb.391:                              ;   in Loop: Header=BB132_390 Depth=2
	global_load_ubyte v10, v[4:5], off
	s_waitcnt vmcnt(0)
	v_add_u32_sdwa v11, sext(v10), s58 dst_sel:DWORD dst_unused:UNUSED_PAD src0_sel:BYTE_0 src1_sel:DWORD
	v_and_b32_e32 v11, v11, v40
	v_cmp_eq_u32_e32 vcc, v11, v37
	s_and_b64 exec, exec, vcc
	s_cbranch_execz .LBB132_388
; %bb.392:                              ;   in Loop: Header=BB132_390 Depth=2
	v_lshlrev_b16_e32 v10, 8, v10
	v_or_b32_e32 v10, 1, v10
	ds_write_b16 v3, v10 offset:3072
	s_branch .LBB132_388
.LBB132_393:                            ;   in Loop: Header=BB132_390 Depth=2
	v_add_co_u32_e32 v8, vcc, s33, v8
	v_addc_co_u32_e32 v9, vcc, 0, v9, vcc
	v_readlane_b32 s4, v54, 46
	v_mov_b32_e32 v11, s4
	v_add_co_u32_e32 v4, vcc, s56, v4
	v_addc_co_u32_e32 v5, vcc, v5, v11, vcc
	v_cmp_le_u64_e32 vcc, s[20:21], v[8:9]
	s_mov_b64 s[54:55], 0
	s_orn2_b64 s[4:5], vcc, exec
	s_branch .LBB132_389
.LBB132_394:                            ;   in Loop: Header=BB132_6 Depth=1
	s_or_b64 exec, exec, s[12:13]
	s_andn2_b64 s[4:5], s[8:9], exec
	s_and_b64 s[8:9], s[36:37], exec
	v_lshrrev_b32_sdwa v41, v39, v10 dst_sel:DWORD dst_unused:UNUSED_PAD src0_sel:DWORD src1_sel:WORD_0
	s_or_b64 s[8:9], s[4:5], s[8:9]
.LBB132_395:                            ;   in Loop: Header=BB132_6 Depth=1
	s_or_b64 exec, exec, s[10:11]
	s_mov_b64 s[20:21], 0
	s_mov_b64 s[90:91], -1
.LBB132_396:                            ;   in Loop: Header=BB132_6 Depth=1
	s_orn2_b64 s[4:5], s[8:9], exec
.LBB132_397:                            ;   in Loop: Header=BB132_6 Depth=1
	s_or_b64 exec, exec, s[2:3]
	s_mov_b64 s[8:9], 0
	s_and_saveexec_b64 s[2:3], s[4:5]
	s_cbranch_execz .LBB132_459
; %bb.398:                              ;   in Loop: Header=BB132_6 Depth=1
	v_mov_b32_e32 v4, 1
	s_xor_b64 s[4:5], s[34:35], -1
	v_mov_b32_e32 v2, 1
	v_mov_b32_e32 v5, 0
	s_mov_b64 s[10:11], 0
	s_and_saveexec_b64 s[8:9], s[4:5]
	s_cbranch_execz .LBB132_407
; %bb.399:                              ;   in Loop: Header=BB132_6 Depth=1
	v_cmp_ge_u64_e32 vcc, s[88:89], v[6:7]
	s_and_saveexec_b64 s[4:5], vcc
	s_xor_b64 s[4:5], exec, s[4:5]
	s_cbranch_execz .LBB132_404
; %bb.400:                              ;   in Loop: Header=BB132_6 Depth=1
	ds_read_b64 v[4:5], v3 offset:5120
	v_and_b32_e32 v2, s49, v37
	v_lshl_or_b32 v37, 1, s53, v2
	v_or_b32_e32 v40, s59, v40
	s_waitcnt lgkmcnt(0)
	v_cmp_ne_u64_e32 vcc, 0, v[4:5]
	s_cbranch_vccnz .LBB132_404
; %bb.401:                              ;   in Loop: Header=BB132_6 Depth=1
	s_mov_b64 s[10:11], exec
	v_readlane_b32 s12, v54, 8
	v_readlane_b32 s13, v54, 9
	s_and_b64 s[12:13], s[10:11], s[12:13]
	s_mov_b64 exec, s[12:13]
; %bb.402:                              ;   in Loop: Header=BB132_6 Depth=1
	v_mov_b32_e32 v4, s88
	v_mov_b32_e32 v5, s89
	ds_write_b64 v3, v[4:5] offset:5128
; %bb.403:                              ;   in Loop: Header=BB132_6 Depth=1
	s_or_b64 exec, exec, s[10:11]
	s_waitcnt lgkmcnt(0)
	s_barrier
.LBB132_404:                            ;   in Loop: Header=BB132_6 Depth=1
	s_or_saveexec_b64 s[4:5], s[4:5]
	s_mov_b64 s[10:11], 0
	v_mov_b32_e32 v2, 5
	s_xor_b64 exec, exec, s[4:5]
; %bb.405:                              ;   in Loop: Header=BB132_6 Depth=1
	v_subrev_co_u32_e32 v6, vcc, s88, v6
	v_mov_b32_e32 v2, s89
	v_subb_co_u32_e32 v7, vcc, v7, v2, vcc
	v_mov_b32_e32 v2, 0
	s_mov_b64 s[10:11], exec
; %bb.406:                              ;   in Loop: Header=BB132_6 Depth=1
	s_or_b64 exec, exec, s[4:5]
	v_mov_b32_e32 v4, v6
	s_and_b64 s[10:11], s[10:11], exec
	v_mov_b32_e32 v5, v7
.LBB132_407:                            ;   in Loop: Header=BB132_6 Depth=1
	s_or_b64 exec, exec, s[8:9]
	s_mov_b64 s[4:5], -1
                                        ; implicit-def: $sgpr88_sgpr89
                                        ; implicit-def: $sgpr36_sgpr37
	s_and_saveexec_b64 s[34:35], s[10:11]
	s_cbranch_execz .LBB132_458
; %bb.408:                              ;   in Loop: Header=BB132_6 Depth=1
	s_cmp_eq_u64 s[22:23], 1
	v_cmp_eq_u64_e32 vcc, 1, v[4:5]
	s_cselect_b64 s[4:5], -1, 0
	s_and_b64 s[62:63], s[4:5], vcc
	s_mov_b64 s[4:5], -1
                                        ; implicit-def: $sgpr88_sgpr89
                                        ; implicit-def: $sgpr36_sgpr37
	s_mov_b64 s[8:9], exec
	v_writelane_b32 v54, s8, 52
	v_writelane_b32 v54, s9, 53
	s_and_b64 s[8:9], s[8:9], s[62:63]
	s_mov_b64 exec, s[8:9]
	s_cbranch_execz .LBB132_446
; %bb.409:                              ;   in Loop: Header=BB132_6 Depth=1
	ds_read_b64 v[6:7], v3 offset:5120
	s_waitcnt lgkmcnt(0)
	s_barrier
	v_readfirstlane_b32 s10, v6
	v_readfirstlane_b32 s11, v7
	s_mov_b64 s[4:5], exec
	v_readlane_b32 s8, v54, 26
	v_readlane_b32 s9, v54, 27
	s_and_b64 s[8:9], s[4:5], s[8:9]
	s_mov_b64 exec, s[8:9]
; %bb.410:                              ;   in Loop: Header=BB132_6 Depth=1
	ds_write_b8 v0, v3 offset:3072
; %bb.411:                              ;   in Loop: Header=BB132_6 Depth=1
	s_or_b64 exec, exec, s[4:5]
	v_and_b32_e32 v37, s49, v37
	v_or_b32_e32 v40, s59, v40
	s_mov_b64 s[36:37], -1
	s_mov_b64 s[88:89], 0
	s_cmp_eq_u64 s[10:11], 0
	s_mov_b64 s[8:9], 0
	s_mov_b64 s[92:93], -1
	s_waitcnt lgkmcnt(0)
	s_barrier
                                        ; implicit-def: $vgpr41
	s_cbranch_scc1 .LBB132_429
; %bb.412:                              ;   in Loop: Header=BB132_6 Depth=1
	v_readlane_b32 s4, v54, 30
	s_add_u32 s54, s10, s4
	v_readlane_b32 s4, v54, 32
	s_addc_u32 s9, s11, s4
	s_mov_b32 s8, s51
	s_cmp_lg_u64 s[8:9], 0
	s_cbranch_scc0 .LBB132_416
; %bb.413:                              ;   in Loop: Header=BB132_6 Depth=1
	v_cvt_f32_u32_e32 v6, s33
	s_sub_u32 s8, 0, s33
	s_subb_u32 s12, 0, 0
	v_mac_f32_e32 v6, 0, v38
	v_rcp_f32_e32 v6, v6
	v_mul_f32_e32 v6, 0x5f7ffffc, v6
	v_mul_f32_e32 v7, 0x2f800000, v6
	v_trunc_f32_e32 v7, v7
	v_mac_f32_e32 v6, 0xcf800000, v7
	v_cvt_u32_f32_e32 v7, v7
	v_cvt_u32_f32_e32 v6, v6
	v_readfirstlane_b32 s13, v7
	v_readfirstlane_b32 s4, v6
	s_mul_i32 s5, s8, s13
	s_mul_hi_u32 s55, s8, s4
	s_mul_i32 s50, s12, s4
	s_add_i32 s5, s55, s5
	s_mul_i32 s56, s8, s4
	s_add_i32 s5, s5, s50
	s_mul_hi_u32 s55, s4, s56
	s_mul_i32 s60, s4, s5
	s_mul_hi_u32 s50, s4, s5
	s_add_u32 s55, s55, s60
	s_addc_u32 s50, 0, s50
	s_mul_hi_u32 s61, s13, s56
	s_mul_i32 s56, s13, s56
	s_add_u32 s55, s55, s56
	s_mul_hi_u32 s60, s13, s5
	s_addc_u32 s50, s50, s61
	s_addc_u32 s55, s60, 0
	s_mul_i32 s5, s13, s5
	s_add_u32 s5, s50, s5
	s_addc_u32 s50, 0, s55
	s_add_u32 s55, s4, s5
	s_cselect_b64 s[4:5], -1, 0
	s_cmp_lg_u64 s[4:5], 0
	s_addc_u32 s13, s13, s50
	s_mul_i32 s4, s8, s13
	s_mul_hi_u32 s5, s8, s55
	s_add_i32 s4, s5, s4
	s_mul_i32 s12, s12, s55
	s_add_i32 s4, s4, s12
	s_mul_i32 s8, s8, s55
	s_mul_hi_u32 s12, s13, s8
	s_mul_i32 s50, s13, s8
	s_mul_i32 s60, s55, s4
	s_mul_hi_u32 s8, s55, s8
	s_mul_hi_u32 s56, s55, s4
	s_add_u32 s8, s8, s60
	s_addc_u32 s56, 0, s56
	s_add_u32 s8, s8, s50
	s_mul_hi_u32 s5, s13, s4
	s_addc_u32 s8, s56, s12
	s_addc_u32 s5, s5, 0
	s_mul_i32 s4, s13, s4
	s_add_u32 s4, s8, s4
	s_addc_u32 s8, 0, s5
	s_add_u32 s12, s55, s4
	s_cselect_b64 s[4:5], -1, 0
	s_cmp_lg_u64 s[4:5], 0
	s_addc_u32 s4, s13, s8
	s_mul_i32 s8, s54, s4
	s_mul_hi_u32 s13, s54, s12
	s_mul_hi_u32 s5, s54, s4
	s_add_u32 s8, s13, s8
	s_addc_u32 s5, 0, s5
	s_mul_hi_u32 s50, s9, s12
	s_mul_i32 s12, s9, s12
	s_add_u32 s8, s8, s12
	s_mul_hi_u32 s13, s9, s4
	s_addc_u32 s5, s5, s50
	s_addc_u32 s8, s13, 0
	s_mul_i32 s4, s9, s4
	s_add_u32 s4, s5, s4
	s_addc_u32 s5, 0, s8
	s_mul_i32 s5, s33, s5
	s_mul_hi_u32 s8, s33, s4
	s_add_i32 s8, s8, s5
	s_mul_i32 s4, s33, s4
	s_sub_u32 s12, s54, s4
	s_cselect_b64 s[4:5], -1, 0
	s_cmp_lg_u64 s[4:5], 0
	s_subb_u32 s8, s9, s8
	s_sub_u32 s13, s12, s33
	s_cselect_b64 s[4:5], -1, 0
	s_cmp_lg_u64 s[4:5], 0
	s_subb_u32 s50, s8, 0
	;; [unrolled: 4-line block ×3, first 2 shown]
	s_cmp_ge_u32 s13, s33
	s_cselect_b32 s5, -1, 0
	s_cmp_eq_u32 s50, 0
	s_cselect_b32 s5, s5, -1
	s_cmp_lg_u32 s5, 0
	s_cselect_b32 s4, s4, s50
	s_cselect_b32 s13, s55, s13
	s_cmp_ge_u32 s12, s33
	s_cselect_b32 s5, -1, 0
	s_cmp_eq_u32 s8, 0
	s_cselect_b32 s5, s5, -1
	s_cmp_lg_u32 s5, 0
	s_cselect_b32 s5, s4, s8
	s_cselect_b32 s4, s13, s12
	s_mov_b64 s[12:13], 0
	s_branch .LBB132_417
.LBB132_414:                            ;   in Loop: Header=BB132_6 Depth=1
                                        ; implicit-def: $sgpr4_sgpr5
	s_branch .LBB132_369
.LBB132_415:                            ;   in Loop: Header=BB132_6 Depth=1
                                        ; implicit-def: $sgpr4_sgpr5
	s_mul_i32 s56, s26, s33
	s_branch .LBB132_385
.LBB132_416:                            ;   in Loop: Header=BB132_6 Depth=1
	s_mov_b64 s[12:13], -1
                                        ; implicit-def: $sgpr4_sgpr5
.LBB132_417:                            ;   in Loop: Header=BB132_6 Depth=1
	s_andn2_b64 vcc, exec, s[12:13]
	s_cbranch_vccnz .LBB132_419
; %bb.418:                              ;   in Loop: Header=BB132_6 Depth=1
	v_cvt_f32_u32_e32 v6, s33
	s_sub_i32 s4, 0, s33
	v_rcp_iflag_f32_e32 v6, v6
	v_mul_f32_e32 v6, 0x4f7ffffe, v6
	v_cvt_u32_f32_e32 v6, v6
	v_readfirstlane_b32 s5, v6
	s_mul_i32 s4, s4, s5
	s_mul_hi_u32 s4, s5, s4
	s_add_i32 s5, s5, s4
	s_mul_hi_u32 s4, s54, s5
	s_mul_i32 s4, s4, s33
	s_sub_i32 s4, s54, s4
	s_sub_i32 s5, s4, s33
	s_cmp_ge_u32 s4, s33
	s_cselect_b32 s4, s5, s4
	s_sub_i32 s5, s4, s33
	s_cmp_ge_u32 s4, s33
	s_cselect_b32 s50, s5, s4
	s_mov_b64 s[4:5], s[50:51]
.LBB132_419:                            ;   in Loop: Header=BB132_6 Depth=1
	s_sub_u32 s54, s54, s4
	s_subb_u32 s55, s9, s5
	v_cmp_gt_u64_e32 vcc, s[54:55], v[0:1]
	s_mov_b64 s[92:93], 0
	s_mov_b64 s[8:9], 0
                                        ; implicit-def: $vgpr41
	s_and_saveexec_b64 s[60:61], vcc
	s_mul_i32 s56, s26, s33
	v_readlane_b32 s50, v54, 50
	s_cbranch_execz .LBB132_428
; %bb.420:                              ;   in Loop: Header=BB132_6 Depth=1
	v_mov_b32_e32 v7, v1
	v_writelane_b32 v54, s62, 54
	v_mov_b32_e32 v8, v0
	v_mov_b32_e32 v6, v0
	v_writelane_b32 v54, s63, 55
                                        ; implicit-def: $sgpr12_sgpr13
	s_branch .LBB132_423
.LBB132_421:                            ;   in Loop: Header=BB132_423 Depth=2
	s_or_b64 exec, exec, s[4:5]
	s_waitcnt lgkmcnt(0)
	s_barrier
	ds_read_u16 v9, v3 offset:3072
	s_mov_b64 s[4:5], -1
	s_waitcnt lgkmcnt(0)
	s_barrier
	v_cmp_ne_u32_sdwa s[62:63], v9, v3 src0_sel:BYTE_0 src1_sel:DWORD
	s_and_b64 vcc, exec, s[62:63]
	s_mov_b64 s[62:63], -1
	s_cbranch_vccz .LBB132_426
.LBB132_422:                            ;   in Loop: Header=BB132_423 Depth=2
	s_and_b64 s[4:5], exec, s[4:5]
	s_or_b64 s[8:9], s[4:5], s[8:9]
	s_andn2_b64 s[4:5], s[12:13], exec
	s_and_b64 s[12:13], s[62:63], exec
	s_or_b64 s[12:13], s[4:5], s[12:13]
	s_andn2_b64 exec, exec, s[8:9]
	s_cbranch_execz .LBB132_427
.LBB132_423:                            ;   Parent Loop BB132_6 Depth=1
                                        ; =>  This Inner Loop Header: Depth=2
	v_cmp_gt_u64_e32 vcc, s[10:11], v[6:7]
	s_and_saveexec_b64 s[4:5], vcc
	s_cbranch_execz .LBB132_421
; %bb.424:                              ;   in Loop: Header=BB132_423 Depth=2
	ds_read_u8 v9, v8
	s_waitcnt lgkmcnt(0)
	v_add_u32_sdwa v10, sext(v9), s58 dst_sel:DWORD dst_unused:UNUSED_PAD src0_sel:BYTE_0 src1_sel:DWORD
	v_and_b32_e32 v10, v10, v40
	v_cmp_eq_u32_e32 vcc, v10, v37
	s_and_b64 exec, exec, vcc
	s_cbranch_execz .LBB132_421
; %bb.425:                              ;   in Loop: Header=BB132_423 Depth=2
	v_lshlrev_b16_e32 v9, 8, v9
	v_or_b32_e32 v9, 1, v9
	ds_write_b16 v3, v9 offset:3072
	s_branch .LBB132_421
.LBB132_426:                            ;   in Loop: Header=BB132_423 Depth=2
	v_add_co_u32_e32 v6, vcc, s33, v6
	v_addc_co_u32_e32 v7, vcc, 0, v7, vcc
	v_cmp_le_u64_e32 vcc, s[54:55], v[6:7]
	v_add_u32_e32 v8, s33, v8
	s_mov_b64 s[62:63], 0
	s_orn2_b64 s[4:5], vcc, exec
	s_branch .LBB132_422
.LBB132_427:                            ;   in Loop: Header=BB132_6 Depth=1
	s_or_b64 exec, exec, s[8:9]
	v_readlane_b32 s62, v54, 54
	v_lshrrev_b32_sdwa v41, v39, v9 dst_sel:DWORD dst_unused:UNUSED_PAD src0_sel:DWORD src1_sel:WORD_0
	s_and_b64 s[8:9], s[12:13], exec
	v_readlane_b32 s63, v54, 55
.LBB132_428:                            ;   in Loop: Header=BB132_6 Depth=1
	s_or_b64 exec, exec, s[60:61]
.LBB132_429:                            ;   in Loop: Header=BB132_6 Depth=1
	s_and_b64 vcc, exec, s[92:93]
	s_cbranch_vccz .LBB132_445
; %bb.430:                              ;   in Loop: Header=BB132_6 Depth=1
	v_readlane_b32 s54, v54, 33
	v_readlane_b32 s55, v54, 34
	s_mov_b32 s54, s51
	s_cmp_lg_u64 s[54:55], 0
	v_writelane_b32 v54, s54, 33
	v_writelane_b32 v54, s55, 34
	s_cbranch_scc0 .LBB132_432
; %bb.431:                              ;   in Loop: Header=BB132_6 Depth=1
	v_cvt_f32_u32_e32 v6, s33
	s_sub_u32 s10, 0, s33
	s_subb_u32 s11, 0, 0
	v_mac_f32_e32 v6, 0, v38
	v_rcp_f32_e32 v6, v6
	v_mul_f32_e32 v6, 0x5f7ffffc, v6
	v_mul_f32_e32 v7, 0x2f800000, v6
	v_trunc_f32_e32 v7, v7
	v_mac_f32_e32 v6, 0xcf800000, v7
	v_cvt_u32_f32_e32 v7, v7
	v_cvt_u32_f32_e32 v6, v6
	v_readfirstlane_b32 s12, v7
	v_readfirstlane_b32 s4, v6
	s_mul_i32 s5, s10, s12
	s_mul_hi_u32 s36, s10, s4
	s_mul_i32 s13, s11, s4
	s_add_i32 s5, s36, s5
	s_mul_i32 s37, s10, s4
	s_add_i32 s5, s5, s13
	s_mul_hi_u32 s36, s4, s37
	s_mul_i32 s50, s4, s5
	s_mul_hi_u32 s13, s4, s5
	s_add_u32 s36, s36, s50
	s_addc_u32 s13, 0, s13
	s_mul_hi_u32 s54, s12, s37
	s_mul_i32 s37, s12, s37
	s_add_u32 s36, s36, s37
	s_mul_hi_u32 s50, s12, s5
	s_addc_u32 s13, s13, s54
	s_addc_u32 s36, s50, 0
	s_mul_i32 s5, s12, s5
	s_add_u32 s5, s13, s5
	s_addc_u32 s13, 0, s36
	s_add_u32 s36, s4, s5
	s_cselect_b64 s[4:5], -1, 0
	s_cmp_lg_u64 s[4:5], 0
	s_addc_u32 s12, s12, s13
	s_mul_i32 s4, s10, s12
	s_mul_hi_u32 s5, s10, s36
	s_add_i32 s4, s5, s4
	s_mul_i32 s11, s11, s36
	s_add_i32 s4, s4, s11
	s_mul_i32 s10, s10, s36
	s_mul_hi_u32 s11, s12, s10
	s_mul_i32 s13, s12, s10
	s_mul_i32 s50, s36, s4
	s_mul_hi_u32 s10, s36, s10
	s_mul_hi_u32 s37, s36, s4
	s_add_u32 s10, s10, s50
	s_addc_u32 s37, 0, s37
	s_add_u32 s10, s10, s13
	s_mul_hi_u32 s5, s12, s4
	s_addc_u32 s10, s37, s11
	s_addc_u32 s5, s5, 0
	s_mul_i32 s4, s12, s4
	s_add_u32 s4, s10, s4
	s_addc_u32 s10, 0, s5
	s_add_u32 s11, s36, s4
	s_cselect_b64 s[4:5], -1, 0
	s_cmp_lg_u64 s[4:5], 0
	s_addc_u32 s4, s12, s10
	v_readlane_b32 s36, v54, 31
	s_mul_i32 s10, s36, s4
	s_mul_hi_u32 s12, s36, s11
	s_mul_hi_u32 s5, s36, s4
	s_add_u32 s10, s12, s10
	s_addc_u32 s5, 0, s5
	s_mul_hi_u32 s13, s55, s11
	s_mul_i32 s11, s55, s11
	s_add_u32 s10, s10, s11
	s_mul_hi_u32 s12, s55, s4
	s_addc_u32 s5, s5, s13
	s_addc_u32 s10, s12, 0
	s_mul_i32 s4, s55, s4
	s_add_u32 s4, s5, s4
	s_addc_u32 s5, 0, s10
	s_mul_i32 s5, s33, s5
	s_mul_hi_u32 s10, s33, s4
	s_add_i32 s10, s10, s5
	s_mul_i32 s4, s33, s4
	s_sub_u32 s11, s36, s4
	s_cselect_b64 s[4:5], -1, 0
	s_cmp_lg_u64 s[4:5], 0
	s_subb_u32 s10, s55, s10
	s_sub_u32 s12, s11, s33
	s_cselect_b64 s[4:5], -1, 0
	s_cmp_lg_u64 s[4:5], 0
	s_subb_u32 s13, s10, 0
	;; [unrolled: 4-line block ×3, first 2 shown]
	s_cmp_ge_u32 s12, s33
	s_cselect_b32 s5, -1, 0
	s_cmp_eq_u32 s13, 0
	s_cselect_b32 s5, s5, -1
	s_cmp_lg_u32 s5, 0
	s_cselect_b32 s4, s4, s13
	s_cselect_b32 s12, s36, s12
	s_cmp_ge_u32 s11, s33
	s_cselect_b32 s5, -1, 0
	s_cmp_eq_u32 s10, 0
	s_cselect_b32 s5, s5, -1
	s_cmp_lg_u32 s5, 0
	s_cselect_b32 s5, s4, s10
	s_cselect_b32 s4, s12, s11
	s_mov_b64 s[10:11], 0
	s_branch .LBB132_433
.LBB132_432:                            ;   in Loop: Header=BB132_6 Depth=1
	s_mov_b64 s[10:11], -1
                                        ; implicit-def: $sgpr4_sgpr5
.LBB132_433:                            ;   in Loop: Header=BB132_6 Depth=1
	s_mul_i32 s56, s26, s33
	s_andn2_b64 vcc, exec, s[10:11]
	s_cbranch_vccnz .LBB132_435
; %bb.434:                              ;   in Loop: Header=BB132_6 Depth=1
	v_cvt_f32_u32_e32 v6, s33
	s_sub_i32 s4, 0, s33
	v_readlane_b32 s10, v54, 31
	v_rcp_iflag_f32_e32 v6, v6
	v_mul_f32_e32 v6, 0x4f7ffffe, v6
	v_cvt_u32_f32_e32 v6, v6
	v_readfirstlane_b32 s5, v6
	s_mul_i32 s4, s4, s5
	s_mul_hi_u32 s4, s5, s4
	s_add_i32 s5, s5, s4
	s_mul_hi_u32 s4, s10, s5
	s_mul_i32 s4, s4, s33
	s_sub_i32 s4, s10, s4
	s_sub_i32 s5, s4, s33
	s_cmp_ge_u32 s4, s33
	s_cselect_b32 s4, s5, s4
	s_sub_i32 s5, s4, s33
	s_cmp_ge_u32 s4, s33
	s_cselect_b32 s50, s5, s4
	s_mov_b64 s[4:5], s[50:51]
.LBB132_435:                            ;   in Loop: Header=BB132_6 Depth=1
	v_readlane_b32 s10, v54, 31
	s_sub_u32 s36, s10, s4
	v_readlane_b32 s10, v54, 33
	v_readlane_b32 s11, v54, 34
	s_subb_u32 s37, s11, s5
	v_cmp_gt_u64_e32 vcc, s[36:37], v[0:1]
                                        ; implicit-def: $vgpr41
	s_and_saveexec_b64 s[10:11], vcc
	v_readlane_b32 s50, v54, 50
	s_cbranch_execz .LBB132_444
; %bb.436:                              ;   in Loop: Header=BB132_6 Depth=1
	v_mov_b32_e32 v6, v12
	v_mov_b32_e32 v9, v1
	s_mov_b64 s[12:13], 0
	v_mov_b32_e32 v7, v13
	v_mov_b32_e32 v8, v0
                                        ; implicit-def: $sgpr54_sgpr55
	s_branch .LBB132_439
.LBB132_437:                            ;   in Loop: Header=BB132_439 Depth=2
	s_or_b64 exec, exec, s[4:5]
	s_waitcnt lgkmcnt(0)
	s_barrier
	ds_read_u16 v10, v3 offset:3072
	s_mov_b64 s[4:5], -1
	s_waitcnt lgkmcnt(0)
	s_barrier
	v_cmp_eq_u32_sdwa s[60:61], v10, v3 src0_sel:BYTE_0 src1_sel:DWORD
	s_and_b64 vcc, exec, s[60:61]
	s_mov_b64 s[60:61], -1
	s_cbranch_vccnz .LBB132_442
.LBB132_438:                            ;   in Loop: Header=BB132_439 Depth=2
	s_and_b64 s[4:5], exec, s[4:5]
	s_or_b64 s[12:13], s[4:5], s[12:13]
	s_andn2_b64 s[4:5], s[54:55], exec
	s_and_b64 s[54:55], s[60:61], exec
	s_or_b64 s[54:55], s[4:5], s[54:55]
	s_andn2_b64 exec, exec, s[12:13]
	s_cbranch_execz .LBB132_443
.LBB132_439:                            ;   Parent Loop BB132_6 Depth=1
                                        ; =>  This Inner Loop Header: Depth=2
	v_cmp_gt_u64_e32 vcc, s[28:29], v[8:9]
	s_and_saveexec_b64 s[4:5], vcc
	s_cbranch_execz .LBB132_437
; %bb.440:                              ;   in Loop: Header=BB132_439 Depth=2
	global_load_ubyte v10, v[6:7], off
	s_waitcnt vmcnt(0)
	v_add_u32_sdwa v11, sext(v10), s58 dst_sel:DWORD dst_unused:UNUSED_PAD src0_sel:BYTE_0 src1_sel:DWORD
	v_and_b32_e32 v11, v11, v40
	v_cmp_eq_u32_e32 vcc, v11, v37
	s_and_b64 exec, exec, vcc
	s_cbranch_execz .LBB132_437
; %bb.441:                              ;   in Loop: Header=BB132_439 Depth=2
	v_lshlrev_b16_e32 v10, 8, v10
	v_or_b32_e32 v10, 1, v10
	ds_write_b16 v3, v10 offset:3072
	s_branch .LBB132_437
.LBB132_442:                            ;   in Loop: Header=BB132_439 Depth=2
	v_add_co_u32_e32 v8, vcc, s33, v8
	v_addc_co_u32_e32 v9, vcc, 0, v9, vcc
	v_readlane_b32 s4, v54, 46
	v_mov_b32_e32 v11, s4
	v_add_co_u32_e32 v6, vcc, s56, v6
	v_addc_co_u32_e32 v7, vcc, v7, v11, vcc
	v_cmp_le_u64_e32 vcc, s[36:37], v[8:9]
	s_mov_b64 s[60:61], 0
	s_orn2_b64 s[4:5], vcc, exec
	s_branch .LBB132_438
.LBB132_443:                            ;   in Loop: Header=BB132_6 Depth=1
	s_or_b64 exec, exec, s[12:13]
	s_andn2_b64 s[4:5], s[8:9], exec
	s_and_b64 s[8:9], s[54:55], exec
	v_lshrrev_b32_sdwa v41, v39, v10 dst_sel:DWORD dst_unused:UNUSED_PAD src0_sel:DWORD src1_sel:WORD_0
	s_or_b64 s[8:9], s[4:5], s[8:9]
.LBB132_444:                            ;   in Loop: Header=BB132_6 Depth=1
	s_or_b64 exec, exec, s[10:11]
	s_mov_b64 s[36:37], 0
	s_mov_b64 s[88:89], -1
.LBB132_445:                            ;   in Loop: Header=BB132_6 Depth=1
	s_orn2_b64 s[4:5], s[8:9], exec
.LBB132_446:                            ;   in Loop: Header=BB132_6 Depth=1
	v_readlane_b32 s8, v54, 52
	v_readlane_b32 s9, v54, 53
	s_or_b64 exec, exec, s[8:9]
	s_mov_b64 s[10:11], 0
	s_and_saveexec_b64 s[8:9], s[4:5]
	s_cbranch_execz .LBB132_457
; %bb.447:                              ;   in Loop: Header=BB132_6 Depth=1
	v_mov_b32_e32 v6, 1
	s_xor_b64 s[4:5], s[62:63], -1
	v_mov_b32_e32 v7, 0
	v_mov_b32_e32 v2, 1
	s_and_saveexec_b64 s[10:11], s[4:5]
	s_cbranch_execz .LBB132_456
; %bb.448:                              ;   in Loop: Header=BB132_6 Depth=1
	v_cmp_ge_u64_e32 vcc, s[22:23], v[4:5]
	s_and_saveexec_b64 s[4:5], vcc
	s_xor_b64 s[4:5], exec, s[4:5]
	s_cbranch_execz .LBB132_453
; %bb.449:                              ;   in Loop: Header=BB132_6 Depth=1
	ds_read_b64 v[6:7], v3 offset:5120
	v_and_b32_e32 v37, s49, v37
	v_or_b32_e32 v40, s59, v40
	s_waitcnt lgkmcnt(0)
	v_cmp_ne_u64_e32 vcc, 0, v[6:7]
	s_cbranch_vccnz .LBB132_453
; %bb.450:                              ;   in Loop: Header=BB132_6 Depth=1
	s_mov_b64 s[12:13], exec
	v_readlane_b32 s54, v54, 8
	v_readlane_b32 s55, v54, 9
	s_and_b64 s[54:55], s[12:13], s[54:55]
	s_mov_b64 exec, s[54:55]
; %bb.451:                              ;   in Loop: Header=BB132_6 Depth=1
	v_mov_b32_e32 v6, s22
	v_mov_b32_e32 v7, s23
	ds_write_b64 v3, v[6:7] offset:5128
; %bb.452:                              ;   in Loop: Header=BB132_6 Depth=1
	s_or_b64 exec, exec, s[12:13]
	s_waitcnt lgkmcnt(0)
	s_barrier
.LBB132_453:                            ;   in Loop: Header=BB132_6 Depth=1
	s_andn2_saveexec_b64 s[4:5], s[4:5]
; %bb.454:                              ;   in Loop: Header=BB132_6 Depth=1
	v_mov_b32_e32 v2, s23
	v_subrev_co_u32_e32 v4, vcc, s22, v4
	v_subb_co_u32_e32 v5, vcc, v5, v2, vcc
; %bb.455:                              ;   in Loop: Header=BB132_6 Depth=1
	s_or_b64 exec, exec, s[4:5]
	v_mov_b32_e32 v7, v5
	v_mov_b32_e32 v2, 5
	v_mov_b32_e32 v6, v4
.LBB132_456:                            ;   in Loop: Header=BB132_6 Depth=1
	s_or_b64 exec, exec, s[10:11]
	v_mov_b32_e32 v4, v6
	s_mov_b64 s[10:11], exec
	v_mov_b32_e32 v5, v7
.LBB132_457:                            ;   in Loop: Header=BB132_6 Depth=1
	s_or_b64 exec, exec, s[8:9]
	s_orn2_b64 s[4:5], s[10:11], exec
.LBB132_458:                            ;   in Loop: Header=BB132_6 Depth=1
	s_or_b64 exec, exec, s[34:35]
	s_andn2_b64 s[8:9], s[90:91], exec
	s_and_b64 s[10:11], s[88:89], exec
	s_or_b64 s[90:91], s[8:9], s[10:11]
	s_andn2_b64 s[8:9], s[20:21], exec
	s_and_b64 s[10:11], s[36:37], exec
	v_mov_b32_e32 v7, v5
	s_or_b64 s[20:21], s[8:9], s[10:11]
	s_and_b64 s[8:9], s[4:5], exec
	v_mov_b32_e32 v6, v4
.LBB132_459:                            ;   in Loop: Header=BB132_6 Depth=1
	s_or_b64 exec, exec, s[2:3]
	s_orn2_b64 s[2:3], s[8:9], exec
.LBB132_460:                            ;   in Loop: Header=BB132_6 Depth=1
	s_or_b64 exec, exec, s[14:15]
	s_andn2_b64 s[4:5], s[42:43], exec
	s_and_b64 s[8:9], s[90:91], exec
	s_or_b64 s[42:43], s[4:5], s[8:9]
	s_andn2_b64 s[4:5], s[16:17], exec
	s_and_b64 s[8:9], s[20:21], exec
	v_mov_b32_e32 v4, v6
	s_or_b64 s[16:17], s[4:5], s[8:9]
	s_and_b64 s[8:9], s[2:3], exec
	v_mov_b32_e32 v5, v7
.LBB132_461:                            ;   in Loop: Header=BB132_6 Depth=1
	s_or_b64 exec, exec, s[44:45]
	s_orn2_b64 s[2:3], s[8:9], exec
.LBB132_462:                            ;   in Loop: Header=BB132_6 Depth=1
	s_or_b64 exec, exec, s[6:7]
	s_mov_b64 s[4:5], s[38:39]
	s_mov_b64 s[6:7], s[94:95]
	s_and_saveexec_b64 s[8:9], s[2:3]
; %bb.463:                              ;   in Loop: Header=BB132_6 Depth=1
	v_cmp_ne_u32_e64 s[6:7], 5, v2
	v_cmp_eq_u32_e32 vcc, 5, v2
	s_andn2_b64 s[2:3], s[94:95], exec
	s_and_b64 s[4:5], s[6:7], exec
	s_or_b64 s[6:7], s[2:3], s[4:5]
	s_andn2_b64 s[2:3], s[38:39], exec
	s_and_b64 s[4:5], vcc, exec
	s_or_b64 s[4:5], s[2:3], s[4:5]
; %bb.464:                              ;   in Loop: Header=BB132_6 Depth=1
	s_or_b64 exec, exec, s[8:9]
	s_andn2_b64 s[2:3], s[18:19], exec
	s_and_b64 s[8:9], s[42:43], exec
	s_or_b64 s[18:19], s[2:3], s[8:9]
	s_andn2_b64 s[2:3], s[24:25], exec
	s_and_b64 s[8:9], s[16:17], exec
	s_or_b64 s[24:25], s[2:3], s[8:9]
	;; [unrolled: 3-line block ×4, first 2 shown]
.LBB132_465:                            ;   in Loop: Header=BB132_6 Depth=1
	s_or_b64 exec, exec, s[40:41]
	s_mov_b64 s[42:43], 0
	s_mov_b64 s[40:41], 0
	s_and_saveexec_b64 s[2:3], s[38:39]
.LBB132_466:                            ;   in Loop: Header=BB132_6 Depth=1
	v_mov_b32_e32 v2, 0
	s_or_b64 s[94:95], s[94:95], exec
.LBB132_467:                            ;   in Loop: Header=BB132_6 Depth=1
	s_or_b64 exec, exec, s[2:3]
	s_andn2_b64 s[2:3], s[84:85], exec
	s_and_b64 s[6:7], s[18:19], exec
	s_or_b64 s[84:85], s[2:3], s[6:7]
	s_andn2_b64 s[2:3], s[82:83], exec
	s_and_b64 s[6:7], s[24:25], exec
	s_or_b64 s[82:83], s[2:3], s[6:7]
	;; [unrolled: 3-line block ×3, first 2 shown]
	s_andn2_b64 s[2:3], s[78:79], exec
	s_and_b64 s[6:7], s[42:43], exec
	v_mov_b32_e32 v25, v5
	s_mov_b64 s[4:5], -1
	s_andn2_b64 s[86:87], s[86:87], exec
	s_or_b64 s[78:79], s[2:3], s[6:7]
	v_mov_b32_e32 v24, v4
	s_and_saveexec_b64 s[2:3], s[94:95]
	s_xor_b64 s[2:3], exec, s[2:3]
	v_readlane_b32 s12, v54, 51
	s_cbranch_execz .LBB132_5
; %bb.468:                              ;   in Loop: Header=BB132_6 Depth=1
	v_cmp_eq_u32_e32 vcc, 0, v2
	s_mov_b64 s[6:7], -1
	s_and_saveexec_b64 s[8:9], vcc
	s_cbranch_execz .LBB132_4
; %bb.469:                              ;   in Loop: Header=BB132_6 Depth=1
	v_readlane_b32 s4, v54, 47
	s_xor_b32 s4, s4, 1
	s_add_i32 s10, s53, -2
	s_cmp_eq_u32 s53, 0
	v_writelane_b32 v54, s4, 47
	s_cselect_b64 s[4:5], -1, 0
	s_xor_b64 s[6:7], exec, -1
	s_orn2_b64 s[4:5], s[4:5], exec
	s_mov_b32 s53, s10
	s_branch .LBB132_4
.LBB132_470:
	s_or_b64 exec, exec, s[66:67]
	s_xor_b64 s[4:5], s[76:77], -1
	s_xor_b64 s[8:9], s[74:75], -1
	;; [unrolled: 1-line block ×5, first 2 shown]
	s_mov_b64 s[6:7], 0
	s_and_saveexec_b64 s[14:15], s[10:11]
	s_xor_b64 s[10:11], exec, s[14:15]
	s_cbranch_execnz .LBB132_475
; %bb.471:
	s_andn2_saveexec_b64 s[0:1], s[10:11]
	s_cbranch_execnz .LBB132_494
.LBB132_472:
	s_or_b64 exec, exec, s[0:1]
	s_and_saveexec_b64 s[0:1], s[6:7]
.LBB132_473:
	; divergent unreachable
.LBB132_474:
	s_endpgm
.LBB132_475:
	s_and_saveexec_b64 s[14:15], s[12:13]
	s_xor_b64 s[12:13], exec, s[14:15]
	s_cbranch_execz .LBB132_492
; %bb.476:
	s_and_saveexec_b64 s[14:15], s[8:9]
	s_xor_b64 s[14:15], exec, s[14:15]
	s_cbranch_execz .LBB132_490
; %bb.477:
	;; [unrolled: 4-line block ×3, first 2 shown]
	s_and_saveexec_b64 s[4:5], s[2:3]
	s_xor_b64 s[2:3], exec, s[4:5]
; %bb.479:
	v_xor_b32_e32 v41, 0xffffff80, v37
; %bb.480:
	s_or_b64 exec, exec, s[2:3]
	s_mov_b64 s[2:3], exec
	v_readlane_b32 s6, v54, 16
	v_readlane_b32 s7, v54, 17
	s_load_dwordx2 s[52:53], s[6:7], 0x0
	v_readlane_b32 s4, v54, 8
	v_readlane_b32 s5, v54, 9
	;; [unrolled: 1-line block ×3, first 2 shown]
	s_and_b64 s[4:5], s[2:3], s[4:5]
	v_readlane_b32 s55, v54, 19
	v_readlane_b32 s18, v54, 10
	;; [unrolled: 1-line block ×3, first 2 shown]
	s_mov_b64 exec, s[4:5]
; %bb.481:
	v_mov_b32_e32 v2, 0
	v_mov_b32_e32 v3, v2
	ds_write_b64 v2, v[2:3] offset:5136
; %bb.482:
	s_or_b64 exec, exec, s[2:3]
	v_mov_b32_e32 v16, 0
	s_waitcnt lgkmcnt(0)
	s_barrier
	s_mov_b64 s[2:3], exec
	v_readlane_b32 s4, v54, 24
	v_readlane_b32 s5, v54, 25
	s_and_b64 s[4:5], s[2:3], s[4:5]
	s_mov_b64 exec, s[4:5]
	s_cbranch_execz .LBB132_484
; %bb.483:
	global_load_ubyte v16, v[12:13], off
.LBB132_484:
	s_or_b64 exec, exec, s[2:3]
	v_readlane_b32 s20, v54, 4
	s_add_u32 s2, s28, 63
	v_readlane_b32 s21, v54, 5
	s_addc_u32 s9, s29, 0
	s_and_b32 s8, s2, 0xffffffc0
	s_mul_i32 s2, s21, s18
	s_mul_hi_u32 s3, s20, s18
	s_mul_i32 s5, s20, s18
	v_readlane_b32 s20, v54, 0
	v_readlane_b32 s21, v54, 1
	s_add_i32 s4, s3, s2
	s_mul_i32 s2, s21, s18
	s_mul_hi_u32 s3, s20, s18
	s_add_i32 s3, s3, s2
	s_mul_i32 s2, s20, s18
	v_readlane_b32 s18, v54, 6
	s_load_dwordx2 s[20:21], s[6:7], 0x368
	s_load_dwordx2 s[22:23], s[6:7], 0x510
	v_readlane_b32 s19, v54, 7
	s_add_u32 s18, s18, s5
	s_addc_u32 s19, s19, s4
	s_lshl_b64 s[2:3], s[2:3], 3
	v_readlane_b32 s4, v54, 2
	v_readlane_b32 s5, v54, 3
	s_add_u32 s46, s4, s2
	v_cmp_gt_u64_e32 vcc, s[8:9], v[0:1]
	s_addc_u32 s47, s5, s3
	s_mov_b64 s[34:35], -1
	s_mov_b64 s[2:3], 0
	s_mov_b64 s[4:5], 0
	s_and_saveexec_b64 s[24:25], vcc
	s_cbranch_execnz .LBB132_495
; %bb.485:
	s_or_b64 exec, exec, s[24:25]
	s_and_saveexec_b64 s[6:7], s[34:35]
	s_cbranch_execnz .LBB132_510
.LBB132_486:
	s_or_b64 exec, exec, s[6:7]
	s_and_saveexec_b64 s[0:1], s[4:5]
	s_xor_b64 s[0:1], exec, s[0:1]
	s_cbranch_execnz .LBB132_533
.LBB132_487:
	s_or_b64 exec, exec, s[0:1]
	s_and_b64 s[6:7], s[2:3], exec
.LBB132_488:
	s_andn2_saveexec_b64 s[0:1], s[16:17]
	s_cbranch_execnz .LBB132_535
.LBB132_489:
	s_or_b64 exec, exec, s[0:1]
	s_and_b64 s[6:7], s[6:7], exec
.LBB132_490:
	s_andn2_saveexec_b64 s[0:1], s[14:15]
	s_cbranch_execnz .LBB132_534
.LBB132_491:
	s_or_b64 exec, exec, s[0:1]
	s_and_b64 s[6:7], s[6:7], exec
.LBB132_492:
	s_andn2_saveexec_b64 s[0:1], s[12:13]
	s_cbranch_execnz .LBB132_529
.LBB132_493:
	s_or_b64 exec, exec, s[0:1]
	s_and_b64 s[6:7], s[6:7], exec
	s_andn2_saveexec_b64 s[0:1], s[10:11]
	s_cbranch_execz .LBB132_472
.LBB132_494:
	s_or_b64 s[6:7], s[6:7], exec
	s_trap 2
	s_or_b64 exec, exec, s[0:1]
	s_and_saveexec_b64 s[0:1], s[6:7]
	s_cbranch_execnz .LBB132_473
	s_branch .LBB132_474
.LBB132_495:
	v_add_co_u32_e64 v4, s[4:5], s33, v0
	v_addc_co_u32_e64 v5, s[4:5], 0, 0, s[4:5]
	v_readlane_b32 s4, v54, 12
	s_add_u32 s4, s52, s4
	v_readlane_b32 s5, v54, 13
	s_addc_u32 s5, s53, s5
	v_mov_b32_e32 v2, s4
	v_mov_b32_e32 v3, s5
	v_mad_u64_u32 v[2:3], s[4:5], s26, v4, v[2:3]
	v_mul_lo_u32 v5, s26, v5
	v_mul_lo_u32 v4, s27, v4
	s_movk_i32 s49, 0x80
	v_mov_b32_e32 v11, v1
	v_add_u32_sdwa v17, sext(v41), s49 dst_sel:DWORD dst_unused:UNUSED_PAD src0_sel:BYTE_0 src1_sel:DWORD
	v_add3_u32 v3, v4, v3, v5
	s_mov_b64 s[34:35], 0
	v_mov_b32_e32 v5, 0
	v_mov_b32_e32 v10, v0
                                        ; implicit-def: $sgpr36_sgpr37
                                        ; implicit-def: $vgpr8_vgpr9
	s_branch .LBB132_497
.LBB132_496:                            ;   in Loop: Header=BB132_497 Depth=1
	s_or_b64 exec, exec, s[38:39]
	s_xor_b64 s[4:5], s[40:41], -1
	s_and_b64 s[6:7], exec, s[6:7]
	s_or_b64 s[34:35], s[6:7], s[34:35]
	s_andn2_b64 s[6:7], s[36:37], exec
	s_and_b64 s[4:5], s[4:5], exec
	v_mov_b32_e32 v11, v7
	s_or_b64 s[36:37], s[6:7], s[4:5]
	v_mov_b32_e32 v16, v18
	v_mov_b32_e32 v10, v6
	s_andn2_b64 exec, exec, s[34:35]
	s_cbranch_execz .LBB132_509
.LBB132_497:                            ; =>This Inner Loop Header: Depth=1
	v_add_co_u32_e64 v6, s[4:5], s33, v10
	v_addc_co_u32_e64 v7, s[4:5], 0, v11, s[4:5]
	v_cmp_gt_u64_e64 s[4:5], s[28:29], v[6:7]
	v_mov_b32_e32 v18, 0
	s_and_saveexec_b64 s[6:7], s[4:5]
	s_cbranch_execz .LBB132_499
; %bb.498:                              ;   in Loop: Header=BB132_497 Depth=1
	global_load_ubyte v18, v[2:3], off
.LBB132_499:                            ;   in Loop: Header=BB132_497 Depth=1
	s_or_b64 exec, exec, s[6:7]
	s_waitcnt vmcnt(0)
	v_add_u32_sdwa v4, sext(v16), s49 dst_sel:DWORD dst_unused:UNUSED_PAD src0_sel:BYTE_0 src1_sel:DWORD
	v_cmp_gt_u32_e64 s[6:7], v4, v17
	v_cndmask_b32_e64 v14, 0, 1, s[6:7]
	v_cmp_lt_u32_e64 s[6:7], v4, v17
	v_cndmask_b32_e64 v4, 0, 1, s[6:7]
	v_cndmask_b32_e64 v4, v4, v14, s[54:55]
	v_cmp_gt_u64_e64 s[4:5], s[28:29], v[10:11]
	v_and_b32_e32 v4, 1, v4
	v_cmp_eq_u32_e64 s[6:7], 1, v4
	s_and_b64 s[38:39], s[4:5], s[6:7]
	v_cndmask_b32_e64 v4, 0, 1, s[38:39]
	v_cmp_ne_u32_e64 s[4:5], 0, v4
	s_cmp_lg_u64 s[4:5], 0
	s_cselect_b64 s[6:7], -1, 0
	s_and_b64 s[6:7], s[0:1], s[6:7]
	s_and_saveexec_b64 s[40:41], s[6:7]
	s_cbranch_execz .LBB132_503
; %bb.500:                              ;   in Loop: Header=BB132_497 Depth=1
	s_mov_b64 s[44:45], exec
	v_mbcnt_lo_u32_b32 v4, s44, 0
	v_mbcnt_hi_u32_b32 v14, s45, v4
	s_bcnt1_i32_b64 s50, s[4:5]
	v_cmp_eq_u32_e64 s[6:7], 0, v14
                                        ; implicit-def: $vgpr8_vgpr9
	s_and_saveexec_b64 s[42:43], s[6:7]
	s_cbranch_execz .LBB132_502
; %bb.501:                              ;   in Loop: Header=BB132_497 Depth=1
	s_bcnt1_i32_b64 s6, s[44:45]
	s_mul_i32 s6, s50, s6
	v_mov_b32_e32 v4, s6
	s_waitcnt lgkmcnt(0)
	ds_add_rtn_u64 v[8:9], v5, v[4:5] offset:5136
.LBB132_502:                            ;   in Loop: Header=BB132_497 Depth=1
	s_or_b64 exec, exec, s[42:43]
	s_waitcnt lgkmcnt(0)
	v_readfirstlane_b32 s6, v9
	v_readfirstlane_b32 s7, v8
	v_mov_b32_e32 v8, s7
	v_mov_b32_e32 v9, s6
	v_mad_u64_u32 v[8:9], s[6:7], s50, v14, v[8:9]
.LBB132_503:                            ;   in Loop: Header=BB132_497 Depth=1
	s_or_b64 exec, exec, s[40:41]
	s_waitcnt lgkmcnt(0)
	ds_bpermute_b32 v8, v30, v8
	ds_bpermute_b32 v9, v30, v9
	s_mov_b64 s[6:7], -1
	s_mov_b64 s[42:43], -1
	s_and_saveexec_b64 s[40:41], s[38:39]
	s_cbranch_execz .LBB132_507
; %bb.504:                              ;   in Loop: Header=BB132_497 Depth=1
	v_and_b32_e32 v14, s4, v29
	v_and_b32_e32 v4, s5, v28
	v_bcnt_u32_b32 v14, v14, 0
	v_bcnt_u32_b32 v4, v4, v14
	s_waitcnt lgkmcnt(0)
	v_add_co_u32_e64 v14, s[4:5], v8, v4
	v_addc_co_u32_e64 v15, s[4:5], 0, v9, s[4:5]
	v_cmp_gt_u64_e64 s[4:5], s[30:31], v[14:15]
	s_mov_b64 s[38:39], 0
	s_and_saveexec_b64 s[42:43], s[4:5]
; %bb.505:                              ;   in Loop: Header=BB132_497 Depth=1
	v_mov_b32_e32 v22, s19
	v_mul_lo_u32 v4, v15, s22
	v_mul_lo_u32 v23, v14, s23
	v_mad_u64_u32 v[19:20], s[4:5], v14, s22, 0
	v_mov_b32_e32 v21, s18
	v_mad_u64_u32 v[21:22], s[4:5], v14, s20, v[21:22]
	v_mul_lo_u32 v14, v14, s21
	v_mul_lo_u32 v15, v15, s20
	v_add3_u32 v20, v20, v23, v4
	v_mov_b32_e32 v4, s47
	s_mov_b64 s[38:39], exec
	v_add3_u32 v22, v15, v22, v14
	v_lshlrev_b64 v[14:15], 3, v[19:20]
	global_store_byte v[21:22], v16, off
	v_add_co_u32_e64 v14, s[4:5], s46, v14
	v_addc_co_u32_e64 v15, s[4:5], v4, v15, s[4:5]
	global_store_dwordx2 v[14:15], v[10:11], off
; %bb.506:                              ;   in Loop: Header=BB132_497 Depth=1
	s_or_b64 exec, exec, s[42:43]
	s_orn2_b64 s[42:43], s[38:39], exec
.LBB132_507:                            ;   in Loop: Header=BB132_497 Depth=1
	s_or_b64 exec, exec, s[40:41]
	s_mov_b64 s[40:41], -1
	s_and_saveexec_b64 s[38:39], s[42:43]
	s_cbranch_execz .LBB132_496
; %bb.508:                              ;   in Loop: Header=BB132_497 Depth=1
	v_readlane_b32 s4, v54, 46
	v_mov_b32_e32 v4, s4
	v_add_co_u32_e64 v2, s[4:5], s56, v2
	v_addc_co_u32_e64 v3, s[4:5], v3, v4, s[4:5]
	v_cmp_le_u64_e64 s[4:5], s[8:9], v[6:7]
	s_xor_b64 s[40:41], exec, -1
	s_orn2_b64 s[6:7], s[4:5], exec
	s_branch .LBB132_496
.LBB132_509:
	s_or_b64 exec, exec, s[34:35]
	s_mov_b64 s[4:5], exec
	s_orn2_b64 s[34:35], s[36:37], exec
	s_or_b64 exec, exec, s[24:25]
	s_and_saveexec_b64 s[6:7], s[34:35]
	s_cbranch_execz .LBB132_486
.LBB132_510:
	v_mov_b32_e32 v4, 0
	s_waitcnt vmcnt(0) lgkmcnt(0)
	s_barrier
	s_mov_b64 s[2:3], exec
	v_readlane_b32 s24, v54, 24
	v_readlane_b32 s25, v54, 25
	s_and_b64 s[24:25], s[2:3], s[24:25]
	s_mov_b64 exec, s[24:25]
	s_cbranch_execz .LBB132_512
; %bb.511:
	global_load_ubyte v4, v[12:13], off
.LBB132_512:
	s_or_b64 exec, exec, s[2:3]
	s_mov_b64 s[2:3], 0
	s_and_saveexec_b64 s[24:25], vcc
	s_cbranch_execz .LBB132_532
; %bb.513:
	v_add_co_u32_e32 v5, vcc, s33, v0
	v_addc_co_u32_e64 v6, s[2:3], 0, 0, vcc
	v_readlane_b32 s2, v54, 12
	s_add_u32 s2, s52, s2
	v_readlane_b32 s3, v54, 13
	s_addc_u32 s3, s53, s3
	v_mov_b32_e32 v2, s2
	v_mov_b32_e32 v3, s3
	v_mad_u64_u32 v[2:3], s[2:3], s26, v5, v[2:3]
	v_mul_lo_u32 v6, s26, v6
	v_mul_lo_u32 v5, s27, v5
	s_mov_b64 s[26:27], 0
                                        ; implicit-def: $sgpr34_sgpr35
                                        ; implicit-def: $vgpr8_vgpr9
	v_add3_u32 v3, v5, v3, v6
	v_mov_b32_e32 v5, 0
	s_branch .LBB132_516
.LBB132_514:                            ;   in Loop: Header=BB132_516 Depth=1
	s_or_b64 exec, exec, s[38:39]
	s_orn2_b64 s[40:41], s[40:41], exec
	s_orn2_b64 s[38:39], s[36:37], exec
.LBB132_515:                            ;   in Loop: Header=BB132_516 Depth=1
	s_or_b64 exec, exec, s[2:3]
	s_xor_b64 s[2:3], s[40:41], -1
	s_and_b64 s[36:37], exec, s[38:39]
	s_or_b64 s[26:27], s[36:37], s[26:27]
	s_andn2_b64 s[34:35], s[34:35], exec
	s_and_b64 s[2:3], s[2:3], exec
	v_mov_b32_e32 v0, v6
	s_or_b64 s[34:35], s[34:35], s[2:3]
	v_mov_b32_e32 v1, v7
	v_mov_b32_e32 v4, v12
	s_andn2_b64 exec, exec, s[26:27]
	s_cbranch_execz .LBB132_530
.LBB132_516:                            ; =>This Inner Loop Header: Depth=1
	v_add_co_u32_e32 v6, vcc, s33, v0
	v_addc_co_u32_e32 v7, vcc, 0, v1, vcc
	v_cmp_gt_u64_e32 vcc, s[28:29], v[6:7]
	v_mov_b32_e32 v12, 0
	s_and_saveexec_b64 s[2:3], vcc
	s_cbranch_execz .LBB132_518
; %bb.517:                              ;   in Loop: Header=BB132_516 Depth=1
	global_load_ubyte v12, v[2:3], off
.LBB132_518:                            ;   in Loop: Header=BB132_516 Depth=1
	s_or_b64 exec, exec, s[2:3]
	v_cmp_gt_u64_e32 vcc, s[28:29], v[0:1]
	s_waitcnt vmcnt(0)
	v_cmp_eq_u16_sdwa s[2:3], v4, v41 src0_sel:BYTE_0 src1_sel:BYTE_0
	s_and_b64 s[36:37], vcc, s[2:3]
	v_cndmask_b32_e64 v4, 0, 1, s[36:37]
	v_cmp_ne_u32_e32 vcc, 0, v4
	s_cmp_lg_u64 vcc, 0
	s_cselect_b64 s[2:3], -1, 0
	s_and_b64 s[2:3], s[0:1], s[2:3]
	s_and_saveexec_b64 s[38:39], s[2:3]
	s_cbranch_execz .LBB132_522
; %bb.519:                              ;   in Loop: Header=BB132_516 Depth=1
	s_mov_b64 s[42:43], exec
	v_mbcnt_lo_u32_b32 v4, s42, 0
	v_mbcnt_hi_u32_b32 v10, s43, v4
	s_bcnt1_i32_b64 s44, vcc
	v_cmp_eq_u32_e64 s[2:3], 0, v10
                                        ; implicit-def: $vgpr8_vgpr9
	s_and_saveexec_b64 s[40:41], s[2:3]
; %bb.520:                              ;   in Loop: Header=BB132_516 Depth=1
	s_bcnt1_i32_b64 s2, s[42:43]
	s_mul_i32 s2, s44, s2
	v_mov_b32_e32 v4, s2
	ds_add_rtn_u64 v[8:9], v5, v[4:5] offset:5136
; %bb.521:                              ;   in Loop: Header=BB132_516 Depth=1
	s_or_b64 exec, exec, s[40:41]
	s_waitcnt lgkmcnt(0)
	v_readfirstlane_b32 s2, v9
	v_readfirstlane_b32 s3, v8
	v_mov_b32_e32 v8, s3
	v_mov_b32_e32 v9, s2
	v_mad_u64_u32 v[8:9], s[2:3], s44, v10, v[8:9]
.LBB132_522:                            ;   in Loop: Header=BB132_516 Depth=1
	s_or_b64 exec, exec, s[38:39]
	ds_bpermute_b32 v8, v30, v8
	ds_bpermute_b32 v9, v30, v9
	s_cmp_eq_u64 vcc, 0
	s_cselect_b64 s[40:41], -1, 0
	s_mov_b64 s[38:39], -1
	s_waitcnt lgkmcnt(0)
	v_cmp_gt_u64_e64 s[2:3], s[30:31], v[8:9]
	s_or_b64 s[42:43], s[40:41], s[2:3]
	s_mov_b64 s[40:41], -1
	s_and_saveexec_b64 s[2:3], s[42:43]
	s_cbranch_execz .LBB132_515
; %bb.523:                              ;   in Loop: Header=BB132_516 Depth=1
	v_and_b32_e32 v10, vcc_lo, v29
	v_and_b32_e32 v4, vcc_hi, v28
	v_bcnt_u32_b32 v10, v10, 0
	v_bcnt_u32_b32 v4, v4, v10
	v_mov_b32_e32 v11, s31
	v_sub_co_u32_e32 v10, vcc, s30, v8
	v_subb_co_u32_e32 v11, vcc, v11, v9, vcc
	v_cmp_gt_u64_e32 vcc, v[10:11], v[4:5]
	s_mov_b64 s[42:43], -1
	s_and_b64 s[44:45], s[36:37], vcc
	s_mov_b64 s[36:37], -1
	s_and_saveexec_b64 s[38:39], s[44:45]
	s_cbranch_execz .LBB132_527
; %bb.524:                              ;   in Loop: Header=BB132_516 Depth=1
	v_add_co_u32_e32 v10, vcc, v8, v4
	v_addc_co_u32_e32 v11, vcc, 0, v9, vcc
	v_cmp_gt_u64_e32 vcc, s[30:31], v[10:11]
	s_mov_b64 s[42:43], 0
	s_and_saveexec_b64 s[40:41], vcc
; %bb.525:                              ;   in Loop: Header=BB132_516 Depth=1
	v_mov_b32_e32 v15, s18
	v_mul_lo_u32 v4, v11, s22
	v_mul_lo_u32 v17, v10, s23
	v_mad_u64_u32 v[13:14], s[44:45], v10, s22, 0
	v_mov_b32_e32 v16, s19
	v_mad_u64_u32 v[15:16], s[44:45], v10, s20, v[15:16]
	v_mul_lo_u32 v10, v10, s21
	v_mul_lo_u32 v11, v11, s20
	v_add3_u32 v14, v14, v17, v4
	v_mov_b32_e32 v4, s47
	s_mov_b64 s[42:43], exec
	v_add3_u32 v16, v11, v16, v10
	v_lshlrev_b64 v[10:11], 3, v[13:14]
	global_store_byte v[15:16], v41, off
	v_add_co_u32_e32 v10, vcc, s46, v10
	v_addc_co_u32_e32 v11, vcc, v4, v11, vcc
	global_store_dwordx2 v[10:11], v[0:1], off
; %bb.526:                              ;   in Loop: Header=BB132_516 Depth=1
	s_or_b64 exec, exec, s[40:41]
	s_xor_b64 s[40:41], exec, -1
	s_orn2_b64 s[42:43], s[42:43], exec
.LBB132_527:                            ;   in Loop: Header=BB132_516 Depth=1
	s_or_b64 exec, exec, s[38:39]
	s_and_saveexec_b64 s[38:39], s[42:43]
	s_cbranch_execz .LBB132_514
; %bb.528:                              ;   in Loop: Header=BB132_516 Depth=1
	v_readlane_b32 s36, v54, 46
	v_mov_b32_e32 v0, s36
	v_add_co_u32_e32 v2, vcc, s56, v2
	v_addc_co_u32_e32 v3, vcc, v3, v0, vcc
	v_cmp_le_u64_e32 vcc, s[8:9], v[6:7]
	s_or_b64 s[40:41], s[40:41], exec
	s_orn2_b64 s[36:37], vcc, exec
	s_branch .LBB132_514
.LBB132_529:
	s_or_b64 s[6:7], s[6:7], exec
	s_trap 2
	s_branch .LBB132_493
.LBB132_530:
	s_or_b64 exec, exec, s[26:27]
	s_mov_b64 s[0:1], 0
	s_and_saveexec_b64 s[2:3], s[34:35]
	s_xor_b64 s[2:3], exec, s[2:3]
	s_cbranch_execnz .LBB132_536
.LBB132_531:
	s_or_b64 exec, exec, s[2:3]
	s_and_b64 s[2:3], s[0:1], exec
.LBB132_532:
	s_or_b64 exec, exec, s[24:25]
	s_and_b64 s[2:3], s[2:3], exec
	s_andn2_b64 s[4:5], s[4:5], exec
	s_or_b64 exec, exec, s[6:7]
	s_and_saveexec_b64 s[0:1], s[4:5]
	s_xor_b64 s[0:1], exec, s[0:1]
	s_cbranch_execz .LBB132_487
.LBB132_533:
	s_trap 2
	s_or_b64 s[2:3], s[2:3], exec
	s_branch .LBB132_487
.LBB132_534:
	s_or_b64 s[6:7], s[6:7], exec
	s_trap 2
	s_branch .LBB132_491
.LBB132_535:
	s_trap 2
	s_or_b64 s[6:7], s[6:7], exec
	s_branch .LBB132_489
.LBB132_536:
	s_mov_b64 s[0:1], exec
	s_trap 2
	s_branch .LBB132_531
	.section	.rodata,"a",@progbits
	.p2align	6, 0x0
	.amdhsa_kernel _ZN2at6native6sbtopk10gatherTopKIamLi1ELb0EEEvNS_4cuda6detail10TensorInfoIKT_T0_EES8_S8_bS8_S8_NS5_IS6_S8_EES8_NS5_IlS8_EES8_PS6_
		.amdhsa_group_segment_fixed_size 5152
		.amdhsa_private_segment_fixed_size 0
		.amdhsa_kernarg_size 1568
		.amdhsa_user_sgpr_count 6
		.amdhsa_user_sgpr_private_segment_buffer 1
		.amdhsa_user_sgpr_dispatch_ptr 0
		.amdhsa_user_sgpr_queue_ptr 0
		.amdhsa_user_sgpr_kernarg_segment_ptr 1
		.amdhsa_user_sgpr_dispatch_id 0
		.amdhsa_user_sgpr_flat_scratch_init 0
		.amdhsa_user_sgpr_private_segment_size 0
		.amdhsa_uses_dynamic_stack 0
		.amdhsa_system_sgpr_private_segment_wavefront_offset 0
		.amdhsa_system_sgpr_workgroup_id_x 1
		.amdhsa_system_sgpr_workgroup_id_y 1
		.amdhsa_system_sgpr_workgroup_id_z 1
		.amdhsa_system_sgpr_workgroup_info 0
		.amdhsa_system_vgpr_workitem_id 0
		.amdhsa_next_free_vgpr 55
		.amdhsa_next_free_sgpr 96
		.amdhsa_reserve_vcc 1
		.amdhsa_reserve_flat_scratch 0
		.amdhsa_float_round_mode_32 0
		.amdhsa_float_round_mode_16_64 0
		.amdhsa_float_denorm_mode_32 3
		.amdhsa_float_denorm_mode_16_64 3
		.amdhsa_dx10_clamp 1
		.amdhsa_ieee_mode 1
		.amdhsa_fp16_overflow 0
		.amdhsa_exception_fp_ieee_invalid_op 0
		.amdhsa_exception_fp_denorm_src 0
		.amdhsa_exception_fp_ieee_div_zero 0
		.amdhsa_exception_fp_ieee_overflow 0
		.amdhsa_exception_fp_ieee_underflow 0
		.amdhsa_exception_fp_ieee_inexact 0
		.amdhsa_exception_int_div_zero 0
	.end_amdhsa_kernel
	.section	.text._ZN2at6native6sbtopk10gatherTopKIamLi1ELb0EEEvNS_4cuda6detail10TensorInfoIKT_T0_EES8_S8_bS8_S8_NS5_IS6_S8_EES8_NS5_IlS8_EES8_PS6_,"axG",@progbits,_ZN2at6native6sbtopk10gatherTopKIamLi1ELb0EEEvNS_4cuda6detail10TensorInfoIKT_T0_EES8_S8_bS8_S8_NS5_IS6_S8_EES8_NS5_IlS8_EES8_PS6_,comdat
.Lfunc_end132:
	.size	_ZN2at6native6sbtopk10gatherTopKIamLi1ELb0EEEvNS_4cuda6detail10TensorInfoIKT_T0_EES8_S8_bS8_S8_NS5_IS6_S8_EES8_NS5_IlS8_EES8_PS6_, .Lfunc_end132-_ZN2at6native6sbtopk10gatherTopKIamLi1ELb0EEEvNS_4cuda6detail10TensorInfoIKT_T0_EES8_S8_bS8_S8_NS5_IS6_S8_EES8_NS5_IlS8_EES8_PS6_
                                        ; -- End function
	.set _ZN2at6native6sbtopk10gatherTopKIamLi1ELb0EEEvNS_4cuda6detail10TensorInfoIKT_T0_EES8_S8_bS8_S8_NS5_IS6_S8_EES8_NS5_IlS8_EES8_PS6_.num_vgpr, 55
	.set _ZN2at6native6sbtopk10gatherTopKIamLi1ELb0EEEvNS_4cuda6detail10TensorInfoIKT_T0_EES8_S8_bS8_S8_NS5_IS6_S8_EES8_NS5_IlS8_EES8_PS6_.num_agpr, 0
	.set _ZN2at6native6sbtopk10gatherTopKIamLi1ELb0EEEvNS_4cuda6detail10TensorInfoIKT_T0_EES8_S8_bS8_S8_NS5_IS6_S8_EES8_NS5_IlS8_EES8_PS6_.numbered_sgpr, 96
	.set _ZN2at6native6sbtopk10gatherTopKIamLi1ELb0EEEvNS_4cuda6detail10TensorInfoIKT_T0_EES8_S8_bS8_S8_NS5_IS6_S8_EES8_NS5_IlS8_EES8_PS6_.num_named_barrier, 0
	.set _ZN2at6native6sbtopk10gatherTopKIamLi1ELb0EEEvNS_4cuda6detail10TensorInfoIKT_T0_EES8_S8_bS8_S8_NS5_IS6_S8_EES8_NS5_IlS8_EES8_PS6_.private_seg_size, 0
	.set _ZN2at6native6sbtopk10gatherTopKIamLi1ELb0EEEvNS_4cuda6detail10TensorInfoIKT_T0_EES8_S8_bS8_S8_NS5_IS6_S8_EES8_NS5_IlS8_EES8_PS6_.uses_vcc, 1
	.set _ZN2at6native6sbtopk10gatherTopKIamLi1ELb0EEEvNS_4cuda6detail10TensorInfoIKT_T0_EES8_S8_bS8_S8_NS5_IS6_S8_EES8_NS5_IlS8_EES8_PS6_.uses_flat_scratch, 0
	.set _ZN2at6native6sbtopk10gatherTopKIamLi1ELb0EEEvNS_4cuda6detail10TensorInfoIKT_T0_EES8_S8_bS8_S8_NS5_IS6_S8_EES8_NS5_IlS8_EES8_PS6_.has_dyn_sized_stack, 0
	.set _ZN2at6native6sbtopk10gatherTopKIamLi1ELb0EEEvNS_4cuda6detail10TensorInfoIKT_T0_EES8_S8_bS8_S8_NS5_IS6_S8_EES8_NS5_IlS8_EES8_PS6_.has_recursion, 0
	.set _ZN2at6native6sbtopk10gatherTopKIamLi1ELb0EEEvNS_4cuda6detail10TensorInfoIKT_T0_EES8_S8_bS8_S8_NS5_IS6_S8_EES8_NS5_IlS8_EES8_PS6_.has_indirect_call, 0
	.section	.AMDGPU.csdata,"",@progbits
; Kernel info:
; codeLenInByte = 26388
; TotalNumSgprs: 100
; NumVgprs: 55
; ScratchSize: 0
; MemoryBound: 0
; FloatMode: 240
; IeeeMode: 1
; LDSByteSize: 5152 bytes/workgroup (compile time only)
; SGPRBlocks: 12
; VGPRBlocks: 13
; NumSGPRsForWavesPerEU: 100
; NumVGPRsForWavesPerEU: 55
; Occupancy: 4
; WaveLimiterHint : 1
; COMPUTE_PGM_RSRC2:SCRATCH_EN: 0
; COMPUTE_PGM_RSRC2:USER_SGPR: 6
; COMPUTE_PGM_RSRC2:TRAP_HANDLER: 0
; COMPUTE_PGM_RSRC2:TGID_X_EN: 1
; COMPUTE_PGM_RSRC2:TGID_Y_EN: 1
; COMPUTE_PGM_RSRC2:TGID_Z_EN: 1
; COMPUTE_PGM_RSRC2:TIDIG_COMP_CNT: 0
	.section	.text._ZN2at6native6mbtopk23computeBlockDigitCountsIamjLi2EEEvNS_4cuda6detail10TensorInfoIKT_T0_EEjPjjS8_iijT1_PSB_Ps,"axG",@progbits,_ZN2at6native6mbtopk23computeBlockDigitCountsIamjLi2EEEvNS_4cuda6detail10TensorInfoIKT_T0_EEjPjjS8_iijT1_PSB_Ps,comdat
	.protected	_ZN2at6native6mbtopk23computeBlockDigitCountsIamjLi2EEEvNS_4cuda6detail10TensorInfoIKT_T0_EEjPjjS8_iijT1_PSB_Ps ; -- Begin function _ZN2at6native6mbtopk23computeBlockDigitCountsIamjLi2EEEvNS_4cuda6detail10TensorInfoIKT_T0_EEjPjjS8_iijT1_PSB_Ps
	.globl	_ZN2at6native6mbtopk23computeBlockDigitCountsIamjLi2EEEvNS_4cuda6detail10TensorInfoIKT_T0_EEjPjjS8_iijT1_PSB_Ps
	.p2align	8
	.type	_ZN2at6native6mbtopk23computeBlockDigitCountsIamjLi2EEEvNS_4cuda6detail10TensorInfoIKT_T0_EEjPjjS8_iijT1_PSB_Ps,@function
_ZN2at6native6mbtopk23computeBlockDigitCountsIamjLi2EEEvNS_4cuda6detail10TensorInfoIKT_T0_EEjPjjS8_iijT1_PSB_Ps: ; @_ZN2at6native6mbtopk23computeBlockDigitCountsIamjLi2EEEvNS_4cuda6detail10TensorInfoIKT_T0_EEjPjjS8_iijT1_PSB_Ps
; %bb.0:
	s_load_dwordx4 s[0:3], s[4:5], 0x1c0
	s_load_dword s9, s[4:5], 0x1b0
	s_load_dwordx2 s[10:11], s[4:5], 0x1e0
	s_waitcnt lgkmcnt(0)
	v_cvt_f32_u32_e32 v1, s2
	s_mul_i32 s8, s11, s8
	s_add_i32 s7, s8, s7
	v_rcp_iflag_f32_e32 v1, v1
	s_mul_i32 s18, s7, s10
	s_sub_i32 s11, 0, s2
	s_add_i32 s18, s18, s6
	v_mul_f32_e32 v1, 0x4f7ffffe, v1
	v_cvt_u32_f32_e32 v1, v1
	v_readfirstlane_b32 s6, v1
	s_mul_i32 s11, s11, s6
	s_mul_hi_u32 s7, s6, s11
	s_add_i32 s6, s6, s7
	s_mul_hi_u32 s6, s18, s6
	s_mul_i32 s7, s6, s2
	s_sub_i32 s7, s18, s7
	s_add_i32 s8, s6, 1
	s_sub_i32 s10, s7, s2
	s_cmp_ge_u32 s7, s2
	s_cselect_b32 s6, s8, s6
	s_cselect_b32 s7, s10, s7
	s_add_i32 s8, s6, 1
	s_cmp_ge_u32 s7, s2
	s_cselect_b32 s6, s8, s6
	s_cmp_ge_u32 s6, s9
	s_mov_b32 s7, 0
	s_cbranch_scc1 .LBB133_23
; %bb.1:
	s_load_dwordx4 s[8:11], s[4:5], 0x1d0
	s_load_dwordx2 s[12:13], s[4:5], 0x10
	s_lshl_b64 s[14:15], s[6:7], 2
	s_waitcnt lgkmcnt(0)
	s_add_u32 s8, s8, s14
	v_mov_b32_e32 v1, s12
	v_mov_b32_e32 v2, s13
	v_cmp_lt_u64_e32 vcc, s[6:7], v[1:2]
	s_addc_u32 s9, s9, s15
	s_mov_b64 s[14:15], 0
	s_cbranch_vccnz .LBB133_3
; %bb.2:
	v_cvt_f32_u32_e32 v1, s12
	s_sub_i32 s7, 0, s12
	v_rcp_iflag_f32_e32 v1, v1
	v_mul_f32_e32 v1, 0x4f7ffffe, v1
	v_cvt_u32_f32_e32 v1, v1
	v_readfirstlane_b32 s14, v1
	s_mul_i32 s7, s7, s14
	s_mul_hi_u32 s7, s14, s7
	s_add_i32 s14, s14, s7
	s_mul_hi_u32 s7, s6, s14
	s_mul_i32 s15, s7, s12
	s_sub_i32 s15, s6, s15
	s_add_i32 s14, s7, 1
	s_sub_i32 s16, s15, s12
	s_cmp_ge_u32 s15, s12
	s_cselect_b32 s7, s14, s7
	s_cselect_b32 s15, s16, s15
	s_add_i32 s14, s7, 1
	s_cmp_ge_u32 s15, s12
	s_cselect_b32 s14, s14, s7
.LBB133_3:
	s_movk_i32 s7, 0x100
	v_cmp_gt_u32_e32 vcc, s7, v0
	v_lshlrev_b32_e32 v1, 2, v0
	s_and_saveexec_b64 s[16:17], vcc
; %bb.4:
	v_mov_b32_e32 v2, 0
	ds_write_b32 v1, v2
; %bb.5:
	s_or_b64 exec, exec, s[16:17]
	s_load_dword s15, s[4:5], 0x1a0
	s_mul_i32 s7, s6, s2
	s_sub_i32 s7, s18, s7
	s_add_i32 s16, s7, 1
	s_mul_i32 s7, s1, s7
	s_lshl_b32 s17, s7, 8
	s_waitcnt lgkmcnt(0)
	s_sub_i32 s7, s15, s17
	s_add_u32 s20, s7, 0xff
	s_addc_u32 s21, 0, 0
	s_lshr_b64 s[20:21], s[20:21], 8
	s_cmp_lt_u32 s16, s2
	s_cselect_b32 s16, s1, s20
	s_cmp_lt_i32 s16, 1
	s_mov_b32 s1, 0
	s_barrier
	s_cbranch_scc1 .LBB133_21
; %bb.6:
	s_load_dwordx2 s[24:25], s[4:5], 0x0
	s_load_dwordx4 s[20:23], s[4:5], 0xd0
	s_load_dword s2, s[8:9], 0x0
	s_mul_i32 s7, s14, s13
	s_mul_hi_u32 s8, s14, s12
	s_add_i32 s8, s8, s7
	s_mul_i32 s7, s14, s12
	s_sub_u32 s6, s6, s7
	s_subb_u32 s7, 0, s8
	s_waitcnt lgkmcnt(0)
	s_mul_i32 s8, s6, s23
	s_mul_hi_u32 s9, s6, s22
	s_add_i32 s8, s9, s8
	s_mul_i32 s7, s7, s22
	s_add_i32 s8, s8, s7
	s_mul_i32 s7, s14, s21
	s_mul_hi_u32 s9, s14, s20
	s_add_i32 s9, s9, s7
	s_mul_i32 s7, s14, s20
	s_add_u32 s7, s24, s7
	s_load_dwordx2 s[4:5], s[4:5], 0x1b8
	s_mul_i32 s6, s6, s22
	s_addc_u32 s9, s25, s9
	s_add_u32 s6, s7, s6
	s_addc_u32 s7, s9, s8
	s_and_b32 s12, s0, 0xff
	s_cmp_eq_u32 s16, 1
	v_add_u32_e32 v2, s17, v0
	s_cbranch_scc1 .LBB133_16
; %bb.7:
	s_and_b32 s13, s16, 0x7ffffffe
	s_mov_b32 s14, 0
	v_mov_b32_e32 v3, 1
	v_mov_b32_e32 v4, v2
	s_branch .LBB133_9
.LBB133_8:                              ;   in Loop: Header=BB133_9 Depth=1
	s_or_b64 exec, exec, s[8:9]
	s_add_i32 s14, s14, 2
	s_cmp_eq_u32 s13, s14
	v_add_u32_e32 v4, 0x200, v4
	s_cbranch_scc1 .LBB133_15
.LBB133_9:                              ; =>This Inner Loop Header: Depth=1
	v_cmp_gt_u32_e64 s[0:1], s15, v4
	s_and_saveexec_b64 s[8:9], s[0:1]
	s_cbranch_execz .LBB133_12
; %bb.10:                               ;   in Loop: Header=BB133_9 Depth=1
	v_mov_b32_e32 v5, s6
	v_mov_b32_e32 v6, s7
	s_waitcnt lgkmcnt(0)
	v_mad_u64_u32 v[5:6], s[0:1], s4, v4, v[5:6]
	v_mad_u64_u32 v[6:7], s[0:1], s5, v4, v[6:7]
	global_load_sbyte v5, v[5:6], off
	s_waitcnt vmcnt(0)
	v_add_u32_e32 v5, 0x80, v5
	v_xor_b32_e32 v6, s2, v5
	v_and_b32_e32 v6, s3, v6
	v_cmp_eq_u32_e64 s[0:1], 0, v6
	s_and_b64 exec, exec, s[0:1]
; %bb.11:                               ;   in Loop: Header=BB133_9 Depth=1
	v_lshrrev_b32_e32 v5, s12, v5
	v_lshlrev_b32_e32 v5, 2, v5
	ds_add_u32 v5, v3
.LBB133_12:                             ;   in Loop: Header=BB133_9 Depth=1
	s_or_b64 exec, exec, s[8:9]
	v_add_u32_e32 v5, 0x100, v4
	v_cmp_gt_u32_e64 s[0:1], s15, v5
	s_and_saveexec_b64 s[8:9], s[0:1]
	s_cbranch_execz .LBB133_8
; %bb.13:                               ;   in Loop: Header=BB133_9 Depth=1
	v_mov_b32_e32 v6, s6
	v_mov_b32_e32 v7, s7
	s_waitcnt lgkmcnt(0)
	v_mad_u64_u32 v[6:7], s[0:1], s4, v5, v[6:7]
	v_mad_u64_u32 v[7:8], s[0:1], s5, v5, v[7:8]
	global_load_sbyte v5, v[6:7], off
	s_waitcnt vmcnt(0)
	v_add_u32_e32 v5, 0x80, v5
	v_xor_b32_e32 v6, s2, v5
	v_and_b32_e32 v6, s3, v6
	v_cmp_eq_u32_e64 s[0:1], 0, v6
	s_and_b64 exec, exec, s[0:1]
	s_cbranch_execz .LBB133_8
; %bb.14:                               ;   in Loop: Header=BB133_9 Depth=1
	v_lshrrev_b32_e32 v5, s12, v5
	v_lshlrev_b32_e32 v5, 2, v5
	ds_add_u32 v5, v3
	s_branch .LBB133_8
.LBB133_15:
	s_lshl_b32 s1, s13, 8
.LBB133_16:
	s_bitcmp0_b32 s16, 0
	s_cbranch_scc1 .LBB133_21
; %bb.17:
	v_add_u32_e32 v2, s1, v2
	v_cmp_gt_u32_e64 s[0:1], s15, v2
	s_and_saveexec_b64 s[8:9], s[0:1]
	s_cbranch_execz .LBB133_20
; %bb.18:
	v_mov_b32_e32 v3, s6
	v_mov_b32_e32 v4, s7
	s_waitcnt lgkmcnt(0)
	v_mad_u64_u32 v[3:4], s[0:1], s4, v2, v[3:4]
	v_mad_u64_u32 v[4:5], s[0:1], s5, v2, v[4:5]
	global_load_sbyte v2, v[3:4], off
	s_waitcnt vmcnt(0)
	v_add_u32_e32 v2, 0x80, v2
	v_xor_b32_e32 v3, s2, v2
	v_and_b32_e32 v3, s3, v3
	v_cmp_eq_u32_e64 s[0:1], 0, v3
	s_and_b64 exec, exec, s[0:1]
; %bb.19:
	v_lshrrev_b32_e32 v2, s12, v2
	v_lshlrev_b32_e32 v2, 2, v2
	v_mov_b32_e32 v3, 1
	ds_add_u32 v2, v3
.LBB133_20:
	s_or_b64 exec, exec, s[8:9]
.LBB133_21:
	s_waitcnt lgkmcnt(0)
	s_barrier
	s_and_saveexec_b64 s[0:1], vcc
	s_cbranch_execz .LBB133_23
; %bb.22:
	v_lshl_or_b32 v2, s18, 8, v0
	v_mov_b32_e32 v3, 0
	ds_read_b32 v5, v1
	v_lshlrev_b64 v[2:3], 1, v[2:3]
	v_mov_b32_e32 v4, s11
	v_add_co_u32_e32 v0, vcc, s10, v2
	v_addc_co_u32_e32 v1, vcc, v4, v3, vcc
	s_waitcnt lgkmcnt(0)
	global_store_short v[0:1], v5, off
.LBB133_23:
	s_endpgm
	.section	.rodata,"a",@progbits
	.p2align	6, 0x0
	.amdhsa_kernel _ZN2at6native6mbtopk23computeBlockDigitCountsIamjLi2EEEvNS_4cuda6detail10TensorInfoIKT_T0_EEjPjjS8_iijT1_PSB_Ps
		.amdhsa_group_segment_fixed_size 1024
		.amdhsa_private_segment_fixed_size 0
		.amdhsa_kernarg_size 736
		.amdhsa_user_sgpr_count 6
		.amdhsa_user_sgpr_private_segment_buffer 1
		.amdhsa_user_sgpr_dispatch_ptr 0
		.amdhsa_user_sgpr_queue_ptr 0
		.amdhsa_user_sgpr_kernarg_segment_ptr 1
		.amdhsa_user_sgpr_dispatch_id 0
		.amdhsa_user_sgpr_flat_scratch_init 0
		.amdhsa_user_sgpr_private_segment_size 0
		.amdhsa_uses_dynamic_stack 0
		.amdhsa_system_sgpr_private_segment_wavefront_offset 0
		.amdhsa_system_sgpr_workgroup_id_x 1
		.amdhsa_system_sgpr_workgroup_id_y 1
		.amdhsa_system_sgpr_workgroup_id_z 1
		.amdhsa_system_sgpr_workgroup_info 0
		.amdhsa_system_vgpr_workitem_id 0
		.amdhsa_next_free_vgpr 9
		.amdhsa_next_free_sgpr 26
		.amdhsa_reserve_vcc 1
		.amdhsa_reserve_flat_scratch 0
		.amdhsa_float_round_mode_32 0
		.amdhsa_float_round_mode_16_64 0
		.amdhsa_float_denorm_mode_32 3
		.amdhsa_float_denorm_mode_16_64 3
		.amdhsa_dx10_clamp 1
		.amdhsa_ieee_mode 1
		.amdhsa_fp16_overflow 0
		.amdhsa_exception_fp_ieee_invalid_op 0
		.amdhsa_exception_fp_denorm_src 0
		.amdhsa_exception_fp_ieee_div_zero 0
		.amdhsa_exception_fp_ieee_overflow 0
		.amdhsa_exception_fp_ieee_underflow 0
		.amdhsa_exception_fp_ieee_inexact 0
		.amdhsa_exception_int_div_zero 0
	.end_amdhsa_kernel
	.section	.text._ZN2at6native6mbtopk23computeBlockDigitCountsIamjLi2EEEvNS_4cuda6detail10TensorInfoIKT_T0_EEjPjjS8_iijT1_PSB_Ps,"axG",@progbits,_ZN2at6native6mbtopk23computeBlockDigitCountsIamjLi2EEEvNS_4cuda6detail10TensorInfoIKT_T0_EEjPjjS8_iijT1_PSB_Ps,comdat
.Lfunc_end133:
	.size	_ZN2at6native6mbtopk23computeBlockDigitCountsIamjLi2EEEvNS_4cuda6detail10TensorInfoIKT_T0_EEjPjjS8_iijT1_PSB_Ps, .Lfunc_end133-_ZN2at6native6mbtopk23computeBlockDigitCountsIamjLi2EEEvNS_4cuda6detail10TensorInfoIKT_T0_EEjPjjS8_iijT1_PSB_Ps
                                        ; -- End function
	.set _ZN2at6native6mbtopk23computeBlockDigitCountsIamjLi2EEEvNS_4cuda6detail10TensorInfoIKT_T0_EEjPjjS8_iijT1_PSB_Ps.num_vgpr, 9
	.set _ZN2at6native6mbtopk23computeBlockDigitCountsIamjLi2EEEvNS_4cuda6detail10TensorInfoIKT_T0_EEjPjjS8_iijT1_PSB_Ps.num_agpr, 0
	.set _ZN2at6native6mbtopk23computeBlockDigitCountsIamjLi2EEEvNS_4cuda6detail10TensorInfoIKT_T0_EEjPjjS8_iijT1_PSB_Ps.numbered_sgpr, 26
	.set _ZN2at6native6mbtopk23computeBlockDigitCountsIamjLi2EEEvNS_4cuda6detail10TensorInfoIKT_T0_EEjPjjS8_iijT1_PSB_Ps.num_named_barrier, 0
	.set _ZN2at6native6mbtopk23computeBlockDigitCountsIamjLi2EEEvNS_4cuda6detail10TensorInfoIKT_T0_EEjPjjS8_iijT1_PSB_Ps.private_seg_size, 0
	.set _ZN2at6native6mbtopk23computeBlockDigitCountsIamjLi2EEEvNS_4cuda6detail10TensorInfoIKT_T0_EEjPjjS8_iijT1_PSB_Ps.uses_vcc, 1
	.set _ZN2at6native6mbtopk23computeBlockDigitCountsIamjLi2EEEvNS_4cuda6detail10TensorInfoIKT_T0_EEjPjjS8_iijT1_PSB_Ps.uses_flat_scratch, 0
	.set _ZN2at6native6mbtopk23computeBlockDigitCountsIamjLi2EEEvNS_4cuda6detail10TensorInfoIKT_T0_EEjPjjS8_iijT1_PSB_Ps.has_dyn_sized_stack, 0
	.set _ZN2at6native6mbtopk23computeBlockDigitCountsIamjLi2EEEvNS_4cuda6detail10TensorInfoIKT_T0_EEjPjjS8_iijT1_PSB_Ps.has_recursion, 0
	.set _ZN2at6native6mbtopk23computeBlockDigitCountsIamjLi2EEEvNS_4cuda6detail10TensorInfoIKT_T0_EEjPjjS8_iijT1_PSB_Ps.has_indirect_call, 0
	.section	.AMDGPU.csdata,"",@progbits
; Kernel info:
; codeLenInByte = 984
; TotalNumSgprs: 30
; NumVgprs: 9
; ScratchSize: 0
; MemoryBound: 0
; FloatMode: 240
; IeeeMode: 1
; LDSByteSize: 1024 bytes/workgroup (compile time only)
; SGPRBlocks: 3
; VGPRBlocks: 2
; NumSGPRsForWavesPerEU: 30
; NumVGPRsForWavesPerEU: 9
; Occupancy: 10
; WaveLimiterHint : 1
; COMPUTE_PGM_RSRC2:SCRATCH_EN: 0
; COMPUTE_PGM_RSRC2:USER_SGPR: 6
; COMPUTE_PGM_RSRC2:TRAP_HANDLER: 0
; COMPUTE_PGM_RSRC2:TGID_X_EN: 1
; COMPUTE_PGM_RSRC2:TGID_Y_EN: 1
; COMPUTE_PGM_RSRC2:TGID_Z_EN: 1
; COMPUTE_PGM_RSRC2:TIDIG_COMP_CNT: 0
	.section	.text._ZN2at6native6mbtopk10gatherTopKIamLi2EEEvNS_4cuda6detail10TensorInfoIKT_T0_EES8_S8_bjS8_NS5_IS6_S8_EES8_NS5_IlS8_EES8_jjPS6_PjSD_j,"axG",@progbits,_ZN2at6native6mbtopk10gatherTopKIamLi2EEEvNS_4cuda6detail10TensorInfoIKT_T0_EES8_S8_bjS8_NS5_IS6_S8_EES8_NS5_IlS8_EES8_jjPS6_PjSD_j,comdat
	.protected	_ZN2at6native6mbtopk10gatherTopKIamLi2EEEvNS_4cuda6detail10TensorInfoIKT_T0_EES8_S8_bjS8_NS5_IS6_S8_EES8_NS5_IlS8_EES8_jjPS6_PjSD_j ; -- Begin function _ZN2at6native6mbtopk10gatherTopKIamLi2EEEvNS_4cuda6detail10TensorInfoIKT_T0_EES8_S8_bjS8_NS5_IS6_S8_EES8_NS5_IlS8_EES8_jjPS6_PjSD_j
	.globl	_ZN2at6native6mbtopk10gatherTopKIamLi2EEEvNS_4cuda6detail10TensorInfoIKT_T0_EES8_S8_bjS8_NS5_IS6_S8_EES8_NS5_IlS8_EES8_jjPS6_PjSD_j
	.p2align	8
	.type	_ZN2at6native6mbtopk10gatherTopKIamLi2EEEvNS_4cuda6detail10TensorInfoIKT_T0_EES8_S8_bjS8_NS5_IS6_S8_EES8_NS5_IlS8_EES8_jjPS6_PjSD_j,@function
_ZN2at6native6mbtopk10gatherTopKIamLi2EEEvNS_4cuda6detail10TensorInfoIKT_T0_EES8_S8_bjS8_NS5_IS6_S8_EES8_NS5_IlS8_EES8_jjPS6_PjSD_j: ; @_ZN2at6native6mbtopk10gatherTopKIamLi2EEEvNS_4cuda6detail10TensorInfoIKT_T0_EES8_S8_bjS8_NS5_IS6_S8_EES8_NS5_IlS8_EES8_jjPS6_PjSD_j
; %bb.0:
	s_load_dwordx2 s[0:1], s[4:5], 0x538
	s_load_dword s2, s[4:5], 0x530
	s_waitcnt lgkmcnt(0)
	s_mul_i32 s1, s1, s8
	s_add_i32 s1, s1, s7
	s_mul_i32 s0, s1, s0
	s_add_i32 s0, s0, s6
	s_cmp_ge_u32 s0, s2
	s_cbranch_scc1 .LBB134_48
; %bb.1:
	s_load_dwordx2 s[34:35], s[4:5], 0x510
	s_load_dwordx2 s[38:39], s[4:5], 0x1d0
	s_load_dwordx4 s[8:11], s[4:5], 0x1a0
	s_load_dwordx2 s[36:37], s[4:5], 0x10
	s_mov_b32 s7, 0
	s_waitcnt lgkmcnt(0)
	v_cvt_f32_u32_e32 v1, s35
	s_sub_i32 s2, 0, s35
	s_lshl_b32 s1, s34, 8
	v_rcp_iflag_f32_e32 v1, v1
	v_mul_f32_e32 v1, 0x4f7ffffe, v1
	v_cvt_u32_f32_e32 v1, v1
	v_readfirstlane_b32 s3, v1
	s_mul_i32 s2, s2, s3
	s_mul_hi_u32 s2, s3, s2
	s_add_i32 s3, s3, s2
	s_mul_hi_u32 s2, s0, s3
	s_mul_i32 s3, s2, s35
	s_sub_i32 s3, s0, s3
	s_add_i32 s6, s2, 1
	s_sub_i32 s12, s3, s35
	s_cmp_ge_u32 s3, s35
	s_cselect_b32 s2, s6, s2
	s_cselect_b32 s3, s12, s3
	s_add_i32 s6, s2, 1
	s_cmp_ge_u32 s3, s35
	s_cselect_b32 s6, s6, s2
	s_mul_i32 s20, s6, s35
	s_sub_i32 s28, s0, s20
	s_add_i32 s0, s28, 1
	s_cmp_lt_u32 s0, s35
	s_mul_i32 s33, s28, s1
	s_cbranch_scc1 .LBB134_3
; %bb.2:
	s_sub_u32 s0, s8, s33
	s_subb_u32 s1, s9, 0
	s_add_u32 s0, s0, 0xff
	s_addc_u32 s1, s1, 0
	s_ashr_i32 s2, s1, 31
	s_lshr_b32 s2, s2, 24
	s_add_u32 s0, s0, s2
	s_addc_u32 s1, s1, 0
	s_lshr_b64 s[0:1], s[0:1], 8
	s_mov_b32 s34, s0
.LBB134_3:
	s_load_dwordx2 s[40:41], s[4:5], 0x378
	v_mov_b32_e32 v1, s36
	v_mov_b32_e32 v2, s37
	v_cmp_lt_u64_e32 vcc, s[6:7], v[1:2]
	s_mov_b64 s[44:45], 0
	s_mov_b64 s[42:43], 0
	s_cbranch_vccnz .LBB134_5
; %bb.4:
	v_cvt_f32_u32_e32 v1, s36
	s_sub_i32 s0, 0, s36
	v_rcp_iflag_f32_e32 v1, v1
	v_mul_f32_e32 v1, 0x4f7ffffe, v1
	v_cvt_u32_f32_e32 v1, v1
	v_readfirstlane_b32 s1, v1
	s_mul_i32 s0, s0, s1
	s_mul_hi_u32 s0, s1, s0
	s_add_i32 s1, s1, s0
	s_mul_hi_u32 s0, s6, s1
	s_mul_i32 s2, s0, s36
	s_sub_i32 s2, s6, s2
	s_add_i32 s1, s0, 1
	s_sub_i32 s3, s2, s36
	s_cmp_ge_u32 s2, s36
	s_cselect_b32 s0, s1, s0
	s_cselect_b32 s2, s3, s2
	s_add_i32 s1, s0, 1
	s_cmp_ge_u32 s2, s36
	s_cselect_b32 s42, s1, s0
.LBB134_5:
	v_mov_b32_e32 v1, s38
	v_mov_b32_e32 v2, s39
	v_cmp_lt_u64_e32 vcc, s[6:7], v[1:2]
	s_cbranch_vccnz .LBB134_7
; %bb.6:
	v_cvt_f32_u32_e32 v1, s38
	s_sub_i32 s0, 0, s38
	v_rcp_iflag_f32_e32 v1, v1
	v_mul_f32_e32 v1, 0x4f7ffffe, v1
	v_cvt_u32_f32_e32 v1, v1
	v_readfirstlane_b32 s1, v1
	s_mul_i32 s0, s0, s1
	s_mul_hi_u32 s0, s1, s0
	s_add_i32 s1, s1, s0
	s_mul_hi_u32 s0, s6, s1
	s_mul_i32 s2, s0, s38
	s_sub_i32 s2, s6, s2
	s_add_i32 s1, s0, 1
	s_sub_i32 s3, s2, s38
	s_cmp_ge_u32 s2, s38
	s_cselect_b32 s0, s1, s0
	s_cselect_b32 s2, s3, s2
	s_add_i32 s1, s0, 1
	s_cmp_ge_u32 s2, s38
	s_cselect_b32 s44, s1, s0
.LBB134_7:
	s_waitcnt lgkmcnt(0)
	v_mov_b32_e32 v1, s40
	v_mov_b32_e32 v2, s41
	v_cmp_lt_u64_e32 vcc, s[6:7], v[1:2]
	s_mov_b64 s[46:47], 0
	s_cbranch_vccnz .LBB134_9
; %bb.8:
	v_cvt_f32_u32_e32 v1, s40
	s_sub_i32 s0, 0, s40
	v_rcp_iflag_f32_e32 v1, v1
	v_mul_f32_e32 v1, 0x4f7ffffe, v1
	v_cvt_u32_f32_e32 v1, v1
	v_readfirstlane_b32 s1, v1
	s_mul_i32 s0, s0, s1
	s_mul_hi_u32 s0, s1, s0
	s_add_i32 s1, s1, s0
	s_mul_hi_u32 s0, s6, s1
	s_mul_i32 s2, s0, s40
	s_sub_i32 s2, s6, s2
	s_add_i32 s1, s0, 1
	s_sub_i32 s3, s2, s40
	s_cmp_ge_u32 s2, s40
	s_cselect_b32 s0, s1, s0
	s_cselect_b32 s2, s3, s2
	s_add_i32 s1, s0, 1
	s_cmp_ge_u32 s2, s40
	s_cselect_b32 s46, s1, s0
.LBB134_9:
	s_load_dwordx4 s[12:15], s[4:5], 0x518
	s_load_dwordx2 s[48:49], s[4:5], 0x0
	v_mov_b32_e32 v1, 0
	s_mov_b32 s21, 0
	v_cmp_eq_u32_e64 s[2:3], 0, v0
	s_waitcnt lgkmcnt(0)
	s_add_u32 s0, s12, s6
	s_addc_u32 s1, s13, 0
	global_load_ubyte v8, v1, s[0:1]
	v_cmp_ne_u32_e64 s[0:1], 0, v0
	s_and_saveexec_b64 s[12:13], s[2:3]
	s_cbranch_execz .LBB134_25
; %bb.10:
	s_load_dwordx2 s[22:23], s[4:5], 0x528
	s_lshl_b64 s[24:25], s[20:21], 2
	s_add_u32 s16, s14, s24
	s_addc_u32 s17, s15, s25
	s_mov_b32 s20, 0
	s_waitcnt lgkmcnt(0)
	s_add_u32 s18, s22, s24
	s_addc_u32 s19, s23, s25
	s_cmp_lt_u32 s35, 4
	s_cbranch_scc1 .LBB134_22
; %bb.11:
	s_mov_b32 s29, 0
.LBB134_12:                             ; =>This Inner Loop Header: Depth=1
	s_add_u32 s26, s14, s24
	s_addc_u32 s27, s15, s25
	s_load_dwordx4 s[16:19], s[26:27], 0x0
	s_add_u32 s26, s22, s24
	s_addc_u32 s27, s23, s25
	s_cmp_ge_u32 s29, s28
	s_cbranch_scc0 .LBB134_19
; %bb.13:                               ;   in Loop: Header=BB134_12 Depth=1
	s_add_i32 s30, s29, 1
	s_cmp_ge_u32 s30, s28
	s_cbranch_scc0 .LBB134_20
.LBB134_14:                             ;   in Loop: Header=BB134_12 Depth=1
	s_add_i32 s30, s30, 1
	s_cmp_ge_u32 s30, s28
	s_cbranch_scc0 .LBB134_21
.LBB134_15:                             ;   in Loop: Header=BB134_12 Depth=1
	s_add_i32 s30, s30, 1
	s_cmp_ge_u32 s30, s28
	s_cbranch_scc1 .LBB134_17
.LBB134_16:                             ;   in Loop: Header=BB134_12 Depth=1
	s_load_dword s26, s[26:27], 0xc
	s_waitcnt lgkmcnt(0)
	s_add_i32 s21, s21, s19
	s_add_i32 s7, s26, s7
.LBB134_17:                             ;   in Loop: Header=BB134_12 Depth=1
	s_waitcnt lgkmcnt(0)
	s_add_i32 s16, s16, s20
	s_add_i32 s16, s16, s17
	;; [unrolled: 1-line block ×4, first 2 shown]
	s_add_u32 s14, s14, 16
	s_addc_u32 s15, s15, 0
	s_add_u32 s22, s22, 16
	s_addc_u32 s23, s23, 0
	s_add_i32 s27, s30, 4
	s_add_u32 s18, s22, s24
	s_addc_u32 s19, s23, s25
	s_add_u32 s16, s14, s24
	s_addc_u32 s17, s15, s25
	s_add_i32 s26, s30, 1
	s_cmp_ge_u32 s27, s35
	s_cbranch_scc1 .LBB134_23
; %bb.18:                               ;   in Loop: Header=BB134_12 Depth=1
	s_mov_b32 s29, s26
	s_branch .LBB134_12
.LBB134_19:                             ;   in Loop: Header=BB134_12 Depth=1
	s_load_dword s30, s[26:27], 0x0
	s_waitcnt lgkmcnt(0)
	s_add_i32 s21, s16, s21
	s_add_i32 s7, s30, s7
	;; [unrolled: 1-line block ×3, first 2 shown]
	s_cmp_ge_u32 s30, s28
	s_cbranch_scc1 .LBB134_14
.LBB134_20:                             ;   in Loop: Header=BB134_12 Depth=1
	s_load_dword s31, s[26:27], 0x4
	s_waitcnt lgkmcnt(0)
	s_add_i32 s21, s21, s17
	s_add_i32 s7, s31, s7
	;; [unrolled: 1-line block ×3, first 2 shown]
	s_cmp_ge_u32 s30, s28
	s_cbranch_scc1 .LBB134_15
.LBB134_21:                             ;   in Loop: Header=BB134_12 Depth=1
	s_load_dword s31, s[26:27], 0x8
	s_waitcnt lgkmcnt(0)
	s_add_i32 s21, s21, s18
	s_add_i32 s7, s31, s7
	;; [unrolled: 1-line block ×3, first 2 shown]
	s_cmp_ge_u32 s30, s28
	s_cbranch_scc0 .LBB134_16
	s_branch .LBB134_17
.LBB134_22:
	s_mov_b32 s14, 0
	s_cmp_ge_u32 s14, s35
	s_cbranch_scc0 .LBB134_46
	s_branch .LBB134_24
.LBB134_23:
	s_add_i32 s14, s29, 4
	s_cmp_ge_u32 s14, s35
	s_cbranch_scc0 .LBB134_46
.LBB134_24:
	v_mov_b32_e32 v1, s7
	v_mov_b32_e32 v2, s20
	;; [unrolled: 1-line block ×4, first 2 shown]
	ds_write_b96 v4, v[1:3] offset:1056
.LBB134_25:
	s_or_b64 exec, exec, s[12:13]
	s_load_dwordx4 s[12:15], s[4:5], 0x1b8
	s_load_dwordx4 s[24:27], s[4:5], 0xd0
	;; [unrolled: 1-line block ×5, first 2 shown]
	s_cmp_eq_u32 s34, 0
	s_waitcnt vmcnt(0) lgkmcnt(0)
	s_barrier
	s_cbranch_scc1 .LBB134_48
; %bb.26:
	s_mul_i32 s7, s44, s39
	s_mul_hi_u32 s35, s44, s38
	s_add_i32 s35, s35, s7
	s_mul_i32 s7, s44, s38
	s_sub_u32 s7, s6, s7
	s_subb_u32 s35, 0, s35
	s_mul_i32 s31, s7, s31
	s_mul_hi_u32 s38, s7, s30
	s_add_i32 s31, s38, s31
	s_mul_i32 s35, s35, s30
	s_mul_i32 s30, s7, s30
	;; [unrolled: 1-line block ×3, first 2 shown]
	s_mul_hi_u32 s29, s44, s28
	s_add_i32 s31, s31, s35
	s_add_i32 s29, s29, s7
	s_mul_i32 s7, s42, s37
	s_mul_hi_u32 s35, s42, s36
	s_add_i32 s35, s35, s7
	s_mul_i32 s7, s42, s36
	s_sub_u32 s7, s6, s7
	s_subb_u32 s35, 0, s35
	s_mul_i32 s27, s7, s27
	s_mul_hi_u32 s36, s7, s26
	s_add_i32 s27, s36, s27
	s_mul_i32 s35, s35, s26
	s_mul_i32 s26, s7, s26
	;; [unrolled: 1-line block ×3, first 2 shown]
	s_mul_hi_u32 s25, s42, s24
	s_add_i32 s27, s27, s35
	s_add_i32 s25, s25, s7
	s_mul_i32 s7, s46, s41
	s_mul_hi_u32 s35, s46, s40
	s_add_i32 s35, s35, s7
	s_mul_i32 s7, s46, s40
	s_sub_u32 s6, s6, s7
	s_subb_u32 s7, 0, s35
	s_mul_i32 s23, s6, s23
	s_mul_hi_u32 s35, s6, s22
	s_add_i32 s23, s35, s23
	s_mul_i32 s7, s7, s22
	s_mul_i32 s6, s6, s22
	;; [unrolled: 1-line block ×3, first 2 shown]
	s_mul_hi_u32 s22, s46, s20
	s_mul_i32 s24, s42, s24
	s_add_i32 s7, s23, s7
	s_add_i32 s23, s22, s21
	s_mul_i32 s22, s46, s20
	s_add_u32 s20, s48, s24
	s_addc_u32 s21, s49, s25
	s_add_u32 s20, s20, s26
	s_mul_i32 s28, s44, s28
	s_addc_u32 s21, s21, s27
	v_mov_b32_e32 v5, 0
	s_add_u32 s14, s14, s28
	ds_read_b96 v[1:3], v5 offset:1056
	s_addc_u32 s15, s15, s29
	s_add_u32 s14, s14, s30
	s_addc_u32 s15, s15, s31
	s_lshl_b64 s[22:23], s[22:23], 3
	s_add_u32 s18, s18, s22
	s_addc_u32 s19, s19, s23
	s_lshl_b64 s[6:7], s[6:7], 3
	s_waitcnt lgkmcnt(0)
	v_add_u32_e32 v1, v1, v2
	v_lshrrev_b32_e32 v2, 3, v0
	s_add_u32 s24, s18, s6
	s_load_dword s6, s[4:5], 0x1b0
	v_and_b32_e32 v2, 28, v2
	v_lshl_add_u32 v10, v0, 2, v2
	v_lshrrev_b32_e32 v2, 1, v0
	s_addc_u32 s25, s19, s7
	s_load_dwordx2 s[18:19], s[4:5], 0x508
	v_and_b32_e32 v11, 0x7c, v2
	v_add_u32_e32 v2, -1, v0
	v_lshrrev_b32_e32 v4, 3, v2
	v_and_b32_e32 v4, 0x1ffffffc, v4
	s_movk_i32 s26, 0x80
	s_waitcnt lgkmcnt(0)
	s_bitcmp1_b32 s6, 0
	v_cmp_gt_u32_e64 s[6:7], 64, v0
	v_lshlrev_b32_e32 v12, 4, v0
	v_lshl_add_u32 v13, v2, 2, v4
	v_add_u32_e32 v4, s33, v0
	v_mbcnt_lo_u32_b32 v0, -1, 0
	v_add_u32_sdwa v9, sext(v8), s26 dst_sel:DWORD dst_unused:UNUSED_PAD src0_sel:BYTE_0 src1_sel:DWORD
	s_cselect_b64 s[4:5], -1, 0
	v_mbcnt_hi_u32_b32 v0, -1, v0
                                        ; implicit-def: $vgpr14
	s_branch .LBB134_29
.LBB134_27:                             ;   in Loop: Header=BB134_29 Depth=1
	s_or_b64 exec, exec, s[22:23]
	v_add_u32_e32 v1, v2, v1
.LBB134_28:                             ;   in Loop: Header=BB134_29 Depth=1
	s_add_i32 s34, s34, -1
	v_add_u32_e32 v3, v15, v3
	s_cmp_lg_u32 s34, 0
	v_add_u32_e32 v4, 0x100, v4
	s_cbranch_scc0 .LBB134_48
.LBB134_29:                             ; =>This Inner Loop Header: Depth=1
	v_cmp_gt_u64_e32 vcc, s[8:9], v[4:5]
	v_mov_b32_e32 v2, v5
	v_mov_b32_e32 v6, v5
	s_and_saveexec_b64 s[22:23], vcc
	s_cbranch_execz .LBB134_31
; %bb.30:                               ;   in Loop: Header=BB134_29 Depth=1
	v_mov_b32_e32 v6, s20
	v_mov_b32_e32 v7, s21
	v_mad_u64_u32 v[6:7], s[28:29], s12, v4, v[6:7]
	v_mov_b32_e32 v2, v7
	v_mad_u64_u32 v[14:15], s[28:29], s13, v4, v[2:3]
	v_mov_b32_e32 v7, v14
	global_load_ubyte v14, v[6:7], off
	s_waitcnt vmcnt(0)
	v_add_u32_sdwa v2, sext(v14), s26 dst_sel:DWORD dst_unused:UNUSED_PAD src0_sel:BYTE_0 src1_sel:DWORD
	v_cmp_gt_u32_e32 vcc, v2, v9
	v_cndmask_b32_e64 v6, 0, 1, vcc
	v_cmp_lt_u32_e32 vcc, v2, v9
	v_cndmask_b32_e64 v2, 0, 1, vcc
	v_cndmask_b32_e64 v2, v2, v6, s[4:5]
	v_cmp_eq_u16_sdwa s[28:29], v14, v8 src0_sel:DWORD src1_sel:BYTE_0
	v_and_b32_e32 v2, 1, v2
	v_cndmask_b32_e64 v6, 0, 1, s[28:29]
.LBB134_31:                             ;   in Loop: Header=BB134_29 Depth=1
	s_or_b64 exec, exec, s[22:23]
	ds_write_b32 v10, v2
	s_waitcnt vmcnt(0) lgkmcnt(0)
	s_barrier
	s_and_saveexec_b64 s[22:23], s[6:7]
	s_cbranch_execz .LBB134_33
; %bb.32:                               ;   in Loop: Header=BB134_29 Depth=1
	v_add_u32_e32 v7, v11, v12
	ds_read2_b32 v[15:16], v7 offset1:1
	ds_read2_b32 v[17:18], v7 offset0:2 offset1:3
	v_and_b32_e32 v19, 15, v0
	v_cmp_ne_u32_e32 vcc, 0, v19
	s_waitcnt lgkmcnt(1)
	v_add_u32_e32 v16, v16, v15
	s_waitcnt lgkmcnt(0)
	v_add3_u32 v16, v16, v17, v18
	v_bfe_i32 v18, v0, 4, 1
	; wave barrier
	s_nop 0
	v_mov_b32_dpp v17, v16 row_shr:1 row_mask:0xf bank_mask:0xf
	v_cndmask_b32_e32 v17, 0, v17, vcc
	v_add_u32_e32 v16, v17, v16
	v_cmp_lt_u32_e32 vcc, 1, v19
	s_nop 0
	v_mov_b32_dpp v17, v16 row_shr:2 row_mask:0xf bank_mask:0xf
	v_cndmask_b32_e32 v17, 0, v17, vcc
	v_add_u32_e32 v16, v16, v17
	v_cmp_lt_u32_e32 vcc, 3, v19
	;; [unrolled: 5-line block ×4, first 2 shown]
	s_nop 0
	v_mov_b32_dpp v17, v16 row_bcast:15 row_mask:0xf bank_mask:0xf
	v_and_b32_e32 v17, v18, v17
	v_add_u32_e32 v16, v16, v17
	v_and_b32_e32 v18, 64, v0
	s_nop 0
	v_mov_b32_dpp v17, v16 row_bcast:31 row_mask:0xf bank_mask:0xf
	v_cndmask_b32_e32 v17, 0, v17, vcc
	v_add_u32_e32 v16, v16, v17
	v_add_u32_e32 v17, -1, v0
	v_cmp_lt_i32_e32 vcc, v17, v18
	v_cndmask_b32_e32 v17, v17, v0, vcc
	v_lshlrev_b32_e32 v17, 2, v17
	ds_bpermute_b32 v16, v17, v16
	s_waitcnt lgkmcnt(0)
	v_add_u32_e32 v15, v16, v15
	v_cndmask_b32_e64 v17, v15, v2, s[2:3]
	ds_write_b32 v7, v17
	; wave barrier
	ds_read2_b32 v[15:16], v7 offset0:1 offset1:2
	ds_read_b32 v18, v7 offset:12
	s_waitcnt lgkmcnt(1)
	v_add_u32_e32 v15, v15, v17
	v_add_u32_e32 v16, v16, v15
	ds_write2_b32 v7, v15, v16 offset0:1 offset1:2
	s_waitcnt lgkmcnt(1)
	v_add_u32_e32 v15, v18, v16
	ds_write_b32 v7, v15 offset:12
.LBB134_33:                             ;   in Loop: Header=BB134_29 Depth=1
	s_or_b64 exec, exec, s[22:23]
	v_mov_b32_e32 v7, 0
	s_waitcnt lgkmcnt(0)
	s_barrier
	s_and_saveexec_b64 s[22:23], s[0:1]
; %bb.34:                               ;   in Loop: Header=BB134_29 Depth=1
	ds_read_b32 v7, v13
; %bb.35:                               ;   in Loop: Header=BB134_29 Depth=1
	s_or_b64 exec, exec, s[22:23]
	ds_read_b32 v15, v5 offset:1048
	v_cmp_ne_u32_e32 vcc, 0, v2
	s_waitcnt lgkmcnt(0)
	s_barrier
	s_and_saveexec_b64 s[22:23], vcc
	s_cbranch_execz .LBB134_37
; %bb.36:                               ;   in Loop: Header=BB134_29 Depth=1
	v_mov_b32_e32 v17, s15
	v_add_u32_e32 v7, v7, v3
	v_mov_b32_e32 v16, s14
	v_mad_u64_u32 v[16:17], s[28:29], s16, v7, v[16:17]
	v_mad_u64_u32 v[18:19], s[28:29], s18, v7, 0
	v_mov_b32_e32 v2, v17
	v_mad_u64_u32 v[20:21], s[28:29], s17, v7, v[2:3]
	v_mov_b32_e32 v2, v19
	;; [unrolled: 2-line block ×3, first 2 shown]
	global_store_byte v[16:17], v14, off
	v_mov_b32_e32 v19, v21
	v_lshlrev_b64 v[16:17], 3, v[18:19]
	v_mov_b32_e32 v2, s25
	v_add_co_u32_e32 v16, vcc, s24, v16
	v_addc_co_u32_e32 v17, vcc, v2, v17, vcc
	global_store_dwordx2 v[16:17], v[4:5], off
.LBB134_37:                             ;   in Loop: Header=BB134_29 Depth=1
	s_or_b64 exec, exec, s[22:23]
	v_mov_b32_e32 v2, v5
	v_cmp_le_u64_e32 vcc, s[10:11], v[1:2]
	s_cbranch_vccnz .LBB134_28
; %bb.38:                               ;   in Loop: Header=BB134_29 Depth=1
	ds_write_b32 v10, v6
	s_waitcnt vmcnt(0) lgkmcnt(0)
	s_barrier
	s_and_saveexec_b64 s[22:23], s[6:7]
	s_cbranch_execz .LBB134_40
; %bb.39:                               ;   in Loop: Header=BB134_29 Depth=1
	v_add_u32_e32 v2, v11, v12
	ds_read2_b32 v[16:17], v2 offset1:1
	ds_read2_b32 v[18:19], v2 offset0:2 offset1:3
	v_and_b32_e32 v7, 15, v0
	v_cmp_ne_u32_e32 vcc, 0, v7
	s_waitcnt lgkmcnt(1)
	v_add_u32_e32 v17, v17, v16
	s_waitcnt lgkmcnt(0)
	v_add3_u32 v17, v17, v18, v19
	; wave barrier
	s_nop 1
	v_mov_b32_dpp v18, v17 row_shr:1 row_mask:0xf bank_mask:0xf
	v_cndmask_b32_e32 v18, 0, v18, vcc
	v_add_u32_e32 v17, v18, v17
	v_cmp_lt_u32_e32 vcc, 1, v7
	s_nop 0
	v_mov_b32_dpp v18, v17 row_shr:2 row_mask:0xf bank_mask:0xf
	v_cndmask_b32_e32 v18, 0, v18, vcc
	v_add_u32_e32 v17, v17, v18
	v_cmp_lt_u32_e32 vcc, 3, v7
	;; [unrolled: 5-line block ×3, first 2 shown]
	s_nop 0
	v_mov_b32_dpp v18, v17 row_shr:8 row_mask:0xf bank_mask:0xf
	v_cndmask_b32_e32 v7, 0, v18, vcc
	v_add_u32_e32 v7, v17, v7
	v_bfe_i32 v18, v0, 4, 1
	v_cmp_lt_u32_e32 vcc, 31, v0
	v_mov_b32_dpp v17, v7 row_bcast:15 row_mask:0xf bank_mask:0xf
	v_and_b32_e32 v17, v18, v17
	v_add_u32_e32 v7, v7, v17
	v_and_b32_e32 v18, 64, v0
	s_nop 0
	v_mov_b32_dpp v17, v7 row_bcast:31 row_mask:0xf bank_mask:0xf
	v_cndmask_b32_e32 v17, 0, v17, vcc
	v_add_u32_e32 v7, v7, v17
	v_add_u32_e32 v17, -1, v0
	v_cmp_lt_i32_e32 vcc, v17, v18
	v_cndmask_b32_e32 v17, v17, v0, vcc
	v_lshlrev_b32_e32 v17, 2, v17
	ds_bpermute_b32 v7, v17, v7
	s_waitcnt lgkmcnt(0)
	v_add_u32_e32 v7, v7, v16
	v_cndmask_b32_e64 v7, v7, v6, s[2:3]
	ds_write_b32 v2, v7
	; wave barrier
	ds_read2_b32 v[16:17], v2 offset0:1 offset1:2
	ds_read_b32 v18, v2 offset:12
	s_waitcnt lgkmcnt(1)
	v_add_u32_e32 v7, v16, v7
	v_add_u32_e32 v16, v17, v7
	ds_write2_b32 v2, v7, v16 offset0:1 offset1:2
	s_waitcnt lgkmcnt(1)
	v_add_u32_e32 v7, v18, v16
	ds_write_b32 v2, v7 offset:12
.LBB134_40:                             ;   in Loop: Header=BB134_29 Depth=1
	s_or_b64 exec, exec, s[22:23]
	v_mov_b32_e32 v7, 0
	s_waitcnt lgkmcnt(0)
	s_barrier
	s_and_saveexec_b64 s[22:23], s[0:1]
; %bb.41:                               ;   in Loop: Header=BB134_29 Depth=1
	ds_read_b32 v7, v13
; %bb.42:                               ;   in Loop: Header=BB134_29 Depth=1
	s_or_b64 exec, exec, s[22:23]
	ds_read_b32 v2, v5 offset:1048
	v_cmp_ne_u32_e32 vcc, 0, v6
	s_waitcnt lgkmcnt(0)
	s_barrier
	s_and_saveexec_b64 s[22:23], vcc
	s_cbranch_execz .LBB134_27
; %bb.43:                               ;   in Loop: Header=BB134_29 Depth=1
	v_add_u32_e32 v6, v7, v1
	v_mov_b32_e32 v7, v5
	v_cmp_gt_u64_e32 vcc, s[10:11], v[6:7]
	s_and_b64 exec, exec, vcc
	s_cbranch_execz .LBB134_27
; %bb.44:                               ;   in Loop: Header=BB134_29 Depth=1
	v_mov_b32_e32 v17, s15
	v_mov_b32_e32 v16, s14
	v_mad_u64_u32 v[16:17], s[28:29], s16, v6, v[16:17]
	v_mad_u64_u32 v[18:19], s[28:29], s18, v6, 0
	v_mov_b32_e32 v7, v17
	v_mad_u64_u32 v[20:21], s[28:29], s17, v6, v[7:8]
	v_mov_b32_e32 v7, v19
	v_mad_u64_u32 v[6:7], s[28:29], s19, v6, v[7:8]
	v_mov_b32_e32 v17, v20
	global_store_byte v[16:17], v14, off
	v_mov_b32_e32 v19, v6
	v_lshlrev_b64 v[6:7], 3, v[18:19]
	v_mov_b32_e32 v16, s25
	v_add_co_u32_e32 v6, vcc, s24, v6
	v_addc_co_u32_e32 v7, vcc, v16, v7, vcc
	global_store_dwordx2 v[6:7], v[4:5], off
	s_branch .LBB134_27
.LBB134_45:                             ;   in Loop: Header=BB134_46 Depth=1
	s_add_u32 s16, s16, 4
	s_addc_u32 s17, s17, 0
	s_waitcnt lgkmcnt(0)
	s_add_i32 s20, s15, s20
	s_add_u32 s18, s18, 4
	s_addc_u32 s19, s19, 0
	s_add_i32 s14, s14, 1
	s_cmp_lt_u32 s14, s35
	s_cbranch_scc0 .LBB134_24
.LBB134_46:                             ; =>This Inner Loop Header: Depth=1
	s_load_dword s15, s[16:17], 0x0
	s_cmp_ge_u32 s14, s28
	s_cbranch_scc1 .LBB134_45
; %bb.47:                               ;   in Loop: Header=BB134_46 Depth=1
	s_load_dword s22, s[18:19], 0x0
	s_waitcnt lgkmcnt(0)
	s_add_i32 s21, s15, s21
	s_add_i32 s7, s22, s7
	s_branch .LBB134_45
.LBB134_48:
	s_endpgm
	.section	.rodata,"a",@progbits
	.p2align	6, 0x0
	.amdhsa_kernel _ZN2at6native6mbtopk10gatherTopKIamLi2EEEvNS_4cuda6detail10TensorInfoIKT_T0_EES8_S8_bjS8_NS5_IS6_S8_EES8_NS5_IlS8_EES8_jjPS6_PjSD_j
		.amdhsa_group_segment_fixed_size 1068
		.amdhsa_private_segment_fixed_size 0
		.amdhsa_kernarg_size 1592
		.amdhsa_user_sgpr_count 6
		.amdhsa_user_sgpr_private_segment_buffer 1
		.amdhsa_user_sgpr_dispatch_ptr 0
		.amdhsa_user_sgpr_queue_ptr 0
		.amdhsa_user_sgpr_kernarg_segment_ptr 1
		.amdhsa_user_sgpr_dispatch_id 0
		.amdhsa_user_sgpr_flat_scratch_init 0
		.amdhsa_user_sgpr_private_segment_size 0
		.amdhsa_uses_dynamic_stack 0
		.amdhsa_system_sgpr_private_segment_wavefront_offset 0
		.amdhsa_system_sgpr_workgroup_id_x 1
		.amdhsa_system_sgpr_workgroup_id_y 1
		.amdhsa_system_sgpr_workgroup_id_z 1
		.amdhsa_system_sgpr_workgroup_info 0
		.amdhsa_system_vgpr_workitem_id 0
		.amdhsa_next_free_vgpr 23
		.amdhsa_next_free_sgpr 50
		.amdhsa_reserve_vcc 1
		.amdhsa_reserve_flat_scratch 0
		.amdhsa_float_round_mode_32 0
		.amdhsa_float_round_mode_16_64 0
		.amdhsa_float_denorm_mode_32 3
		.amdhsa_float_denorm_mode_16_64 3
		.amdhsa_dx10_clamp 1
		.amdhsa_ieee_mode 1
		.amdhsa_fp16_overflow 0
		.amdhsa_exception_fp_ieee_invalid_op 0
		.amdhsa_exception_fp_denorm_src 0
		.amdhsa_exception_fp_ieee_div_zero 0
		.amdhsa_exception_fp_ieee_overflow 0
		.amdhsa_exception_fp_ieee_underflow 0
		.amdhsa_exception_fp_ieee_inexact 0
		.amdhsa_exception_int_div_zero 0
	.end_amdhsa_kernel
	.section	.text._ZN2at6native6mbtopk10gatherTopKIamLi2EEEvNS_4cuda6detail10TensorInfoIKT_T0_EES8_S8_bjS8_NS5_IS6_S8_EES8_NS5_IlS8_EES8_jjPS6_PjSD_j,"axG",@progbits,_ZN2at6native6mbtopk10gatherTopKIamLi2EEEvNS_4cuda6detail10TensorInfoIKT_T0_EES8_S8_bjS8_NS5_IS6_S8_EES8_NS5_IlS8_EES8_jjPS6_PjSD_j,comdat
.Lfunc_end134:
	.size	_ZN2at6native6mbtopk10gatherTopKIamLi2EEEvNS_4cuda6detail10TensorInfoIKT_T0_EES8_S8_bjS8_NS5_IS6_S8_EES8_NS5_IlS8_EES8_jjPS6_PjSD_j, .Lfunc_end134-_ZN2at6native6mbtopk10gatherTopKIamLi2EEEvNS_4cuda6detail10TensorInfoIKT_T0_EES8_S8_bjS8_NS5_IS6_S8_EES8_NS5_IlS8_EES8_jjPS6_PjSD_j
                                        ; -- End function
	.set _ZN2at6native6mbtopk10gatherTopKIamLi2EEEvNS_4cuda6detail10TensorInfoIKT_T0_EES8_S8_bjS8_NS5_IS6_S8_EES8_NS5_IlS8_EES8_jjPS6_PjSD_j.num_vgpr, 23
	.set _ZN2at6native6mbtopk10gatherTopKIamLi2EEEvNS_4cuda6detail10TensorInfoIKT_T0_EES8_S8_bjS8_NS5_IS6_S8_EES8_NS5_IlS8_EES8_jjPS6_PjSD_j.num_agpr, 0
	.set _ZN2at6native6mbtopk10gatherTopKIamLi2EEEvNS_4cuda6detail10TensorInfoIKT_T0_EES8_S8_bjS8_NS5_IS6_S8_EES8_NS5_IlS8_EES8_jjPS6_PjSD_j.numbered_sgpr, 50
	.set _ZN2at6native6mbtopk10gatherTopKIamLi2EEEvNS_4cuda6detail10TensorInfoIKT_T0_EES8_S8_bjS8_NS5_IS6_S8_EES8_NS5_IlS8_EES8_jjPS6_PjSD_j.num_named_barrier, 0
	.set _ZN2at6native6mbtopk10gatherTopKIamLi2EEEvNS_4cuda6detail10TensorInfoIKT_T0_EES8_S8_bjS8_NS5_IS6_S8_EES8_NS5_IlS8_EES8_jjPS6_PjSD_j.private_seg_size, 0
	.set _ZN2at6native6mbtopk10gatherTopKIamLi2EEEvNS_4cuda6detail10TensorInfoIKT_T0_EES8_S8_bjS8_NS5_IS6_S8_EES8_NS5_IlS8_EES8_jjPS6_PjSD_j.uses_vcc, 1
	.set _ZN2at6native6mbtopk10gatherTopKIamLi2EEEvNS_4cuda6detail10TensorInfoIKT_T0_EES8_S8_bjS8_NS5_IS6_S8_EES8_NS5_IlS8_EES8_jjPS6_PjSD_j.uses_flat_scratch, 0
	.set _ZN2at6native6mbtopk10gatherTopKIamLi2EEEvNS_4cuda6detail10TensorInfoIKT_T0_EES8_S8_bjS8_NS5_IS6_S8_EES8_NS5_IlS8_EES8_jjPS6_PjSD_j.has_dyn_sized_stack, 0
	.set _ZN2at6native6mbtopk10gatherTopKIamLi2EEEvNS_4cuda6detail10TensorInfoIKT_T0_EES8_S8_bjS8_NS5_IS6_S8_EES8_NS5_IlS8_EES8_jjPS6_PjSD_j.has_recursion, 0
	.set _ZN2at6native6mbtopk10gatherTopKIamLi2EEEvNS_4cuda6detail10TensorInfoIKT_T0_EES8_S8_bjS8_NS5_IS6_S8_EES8_NS5_IlS8_EES8_jjPS6_PjSD_j.has_indirect_call, 0
	.section	.AMDGPU.csdata,"",@progbits
; Kernel info:
; codeLenInByte = 2676
; TotalNumSgprs: 54
; NumVgprs: 23
; ScratchSize: 0
; MemoryBound: 0
; FloatMode: 240
; IeeeMode: 1
; LDSByteSize: 1068 bytes/workgroup (compile time only)
; SGPRBlocks: 6
; VGPRBlocks: 5
; NumSGPRsForWavesPerEU: 54
; NumVGPRsForWavesPerEU: 23
; Occupancy: 10
; WaveLimiterHint : 1
; COMPUTE_PGM_RSRC2:SCRATCH_EN: 0
; COMPUTE_PGM_RSRC2:USER_SGPR: 6
; COMPUTE_PGM_RSRC2:TRAP_HANDLER: 0
; COMPUTE_PGM_RSRC2:TGID_X_EN: 1
; COMPUTE_PGM_RSRC2:TGID_Y_EN: 1
; COMPUTE_PGM_RSRC2:TGID_Z_EN: 1
; COMPUTE_PGM_RSRC2:TIDIG_COMP_CNT: 0
	.section	.text._ZN2at6native6sbtopk10gatherTopKIamLi2ELb0EEEvNS_4cuda6detail10TensorInfoIKT_T0_EES8_S8_bS8_S8_NS5_IS6_S8_EES8_NS5_IlS8_EES8_PS6_,"axG",@progbits,_ZN2at6native6sbtopk10gatherTopKIamLi2ELb0EEEvNS_4cuda6detail10TensorInfoIKT_T0_EES8_S8_bS8_S8_NS5_IS6_S8_EES8_NS5_IlS8_EES8_PS6_,comdat
	.protected	_ZN2at6native6sbtopk10gatherTopKIamLi2ELb0EEEvNS_4cuda6detail10TensorInfoIKT_T0_EES8_S8_bS8_S8_NS5_IS6_S8_EES8_NS5_IlS8_EES8_PS6_ ; -- Begin function _ZN2at6native6sbtopk10gatherTopKIamLi2ELb0EEEvNS_4cuda6detail10TensorInfoIKT_T0_EES8_S8_bS8_S8_NS5_IS6_S8_EES8_NS5_IlS8_EES8_PS6_
	.globl	_ZN2at6native6sbtopk10gatherTopKIamLi2ELb0EEEvNS_4cuda6detail10TensorInfoIKT_T0_EES8_S8_bS8_S8_NS5_IS6_S8_EES8_NS5_IlS8_EES8_PS6_
	.p2align	8
	.type	_ZN2at6native6sbtopk10gatherTopKIamLi2ELb0EEEvNS_4cuda6detail10TensorInfoIKT_T0_EES8_S8_bS8_S8_NS5_IS6_S8_EES8_NS5_IlS8_EES8_PS6_,@function
_ZN2at6native6sbtopk10gatherTopKIamLi2ELb0EEEvNS_4cuda6detail10TensorInfoIKT_T0_EES8_S8_bS8_S8_NS5_IS6_S8_EES8_NS5_IlS8_EES8_PS6_: ; @_ZN2at6native6sbtopk10gatherTopKIamLi2ELb0EEEvNS_4cuda6detail10TensorInfoIKT_T0_EES8_S8_bS8_S8_NS5_IS6_S8_EES8_NS5_IlS8_EES8_PS6_
; %bb.0:
	s_load_dwordx2 s[14:15], s[4:5], 0x520
	s_load_dwordx4 s[24:27], s[4:5], 0x1b8
	s_mov_b64 s[20:21], s[4:5]
	s_add_u32 s10, s20, 0x520
	s_addc_u32 s11, s21, 0
	s_waitcnt lgkmcnt(0)
	s_mul_i32 s0, s15, s8
	s_add_i32 s0, s0, s7
	s_mul_i32 s0, s0, s14
	s_add_i32 s22, s0, s6
	s_mov_b32 s23, 0
	v_mov_b32_e32 v1, s22
	v_mov_b32_e32 v2, s23
	v_cmp_le_u64_e32 vcc, s[24:25], v[1:2]
	s_cbranch_vccnz .LBB135_485
; %bb.1:
	s_load_dwordx2 s[8:9], s[20:21], 0x10
	s_load_dwordx2 s[4:5], s[20:21], 0x380
	;; [unrolled: 1-line block ×3, first 2 shown]
	s_mov_b64 s[0:1], 0
                                        ; implicit-def: $vgpr47 : SGPR spill to VGPR lane
	s_mov_b64 s[12:13], 0
	s_waitcnt lgkmcnt(0)
	v_mov_b32_e32 v1, s8
	v_mov_b32_e32 v2, s9
	v_cmp_lt_u64_e32 vcc, s[22:23], v[1:2]
	v_writelane_b32 v47, s0, 0
	v_writelane_b32 v47, s1, 1
	s_cbranch_vccnz .LBB135_3
; %bb.2:
	v_cvt_f32_u32_e32 v1, s8
	s_sub_i32 s0, 0, s8
	v_rcp_iflag_f32_e32 v1, v1
	v_mul_f32_e32 v1, 0x4f7ffffe, v1
	v_cvt_u32_f32_e32 v1, v1
	v_readfirstlane_b32 s1, v1
	s_mul_i32 s0, s0, s1
	s_mul_hi_u32 s0, s1, s0
	s_add_i32 s1, s1, s0
	s_mul_hi_u32 s0, s22, s1
	s_mul_i32 s2, s0, s8
	s_sub_i32 s2, s22, s2
	s_add_i32 s1, s0, 1
	s_sub_i32 s3, s2, s8
	s_cmp_ge_u32 s2, s8
	s_cselect_b32 s0, s1, s0
	s_cselect_b32 s2, s3, s2
	s_add_i32 s1, s0, 1
	s_cmp_ge_u32 s2, s8
	s_cselect_b32 s12, s1, s0
.LBB135_3:
	v_mov_b32_e32 v1, s16
	v_mov_b32_e32 v2, s17
	v_cmp_lt_u64_e32 vcc, s[22:23], v[1:2]
	s_cbranch_vccnz .LBB135_5
; %bb.4:
	v_cvt_f32_u32_e32 v1, s16
	s_sub_i32 s0, 0, s16
	v_rcp_iflag_f32_e32 v1, v1
	v_mul_f32_e32 v1, 0x4f7ffffe, v1
	v_cvt_u32_f32_e32 v1, v1
	v_readfirstlane_b32 s1, v1
	s_mul_i32 s0, s0, s1
	s_mul_hi_u32 s0, s1, s0
	s_add_i32 s1, s1, s0
	s_mul_hi_u32 s0, s22, s1
	s_mul_i32 s2, s0, s16
	s_sub_i32 s2, s22, s2
	s_add_i32 s1, s0, 1
	s_sub_i32 s3, s2, s16
	s_cmp_ge_u32 s2, s16
	s_cselect_b32 s0, s1, s0
	s_cselect_b32 s2, s3, s2
	s_add_i32 s1, s0, 1
	s_cmp_ge_u32 s2, s16
	s_cselect_b32 s0, s1, s0
	v_writelane_b32 v47, s0, 0
	v_writelane_b32 v47, s1, 1
.LBB135_5:
	v_writelane_b32 v47, s16, 2
	v_writelane_b32 v47, s17, 3
	s_load_dwordx2 s[16:17], s[20:21], 0x0
	v_mov_b32_e32 v1, s4
	v_mov_b32_e32 v2, s5
	v_cmp_lt_u64_e32 vcc, s[22:23], v[1:2]
	s_mov_b64 s[0:1], 0
	v_writelane_b32 v47, s0, 4
	v_writelane_b32 v47, s1, 5
	s_cbranch_vccnz .LBB135_7
; %bb.6:
	v_cvt_f32_u32_e32 v1, s4
	s_sub_i32 s0, 0, s4
	v_rcp_iflag_f32_e32 v1, v1
	v_mul_f32_e32 v1, 0x4f7ffffe, v1
	v_cvt_u32_f32_e32 v1, v1
	v_readfirstlane_b32 s1, v1
	s_mul_i32 s0, s0, s1
	s_mul_hi_u32 s0, s1, s0
	s_add_i32 s1, s1, s0
	s_mul_hi_u32 s0, s22, s1
	s_mul_i32 s2, s0, s4
	s_sub_i32 s2, s22, s2
	s_add_i32 s1, s0, 1
	s_sub_i32 s3, s2, s4
	s_cmp_ge_u32 s2, s4
	s_cselect_b32 s0, s1, s0
	s_cselect_b32 s2, s3, s2
	s_add_i32 s1, s0, 1
	s_cmp_ge_u32 s2, s4
	s_cselect_b32 s0, s1, s0
	v_writelane_b32 v47, s0, 4
	v_writelane_b32 v47, s1, 5
.LBB135_7:
	s_load_dwordx2 s[0:1], s[20:21], 0x370
	v_writelane_b32 v47, s4, 6
	v_writelane_b32 v47, s5, 7
	s_mov_b32 s59, 0
	v_cmp_eq_u32_e64 s[18:19], 0, v0
	s_waitcnt lgkmcnt(0)
	v_writelane_b32 v47, s0, 8
	v_writelane_b32 v47, s1, 9
	s_load_dwordx2 s[0:1], s[20:21], 0x1c8
	s_waitcnt lgkmcnt(0)
	v_writelane_b32 v47, s0, 10
	v_writelane_b32 v47, s1, 11
	s_load_dwordx4 s[0:3], s[20:21], 0xd0
	s_load_dwordx4 s[28:31], s[20:21], 0x1a0
	s_mov_b64 s[4:5], exec
	v_writelane_b32 v47, s18, 12
	v_writelane_b32 v47, s19, 13
	s_and_b64 s[18:19], s[4:5], s[18:19]
	s_mov_b64 exec, s[18:19]
	s_cbranch_execz .LBB135_9
; %bb.8:
	v_mov_b32_e32 v1, 0
	s_waitcnt lgkmcnt(0)
	v_mov_b32_e32 v3, s28
	v_mov_b32_e32 v4, s29
	;; [unrolled: 1-line block ×3, first 2 shown]
	ds_write_b32 v1, v1 offset:5144
	ds_write_b128 v1, v[1:4] offset:5120
.LBB135_9:
	s_or_b64 exec, exec, s[4:5]
	s_mul_i32 s4, s12, s9
	s_mul_hi_u32 s5, s12, s8
	s_add_i32 s5, s5, s4
	s_mul_i32 s4, s12, s8
	s_sub_u32 s4, s22, s4
	s_subb_u32 s5, 0, s5
	s_waitcnt lgkmcnt(0)
	s_mul_i32 s3, s4, s3
	s_mul_hi_u32 s7, s4, s2
	s_add_i32 s3, s7, s3
	s_mul_i32 s5, s5, s2
	s_mul_i32 s4, s4, s2
	;; [unrolled: 1-line block ×3, first 2 shown]
	s_mul_hi_u32 s2, s12, s0
	s_add_i32 s3, s3, s5
	s_add_i32 s2, s2, s1
	s_mul_i32 s0, s12, s0
	s_add_u32 s0, s16, s0
	s_load_dword s1, s[20:21], 0x1b0
	s_addc_u32 s2, s17, s2
	s_load_dwordx4 s[16:19], s[20:21], 0x298
	s_mov_b32 s8, s22
	v_writelane_b32 v47, s8, 14
	v_writelane_b32 v47, s9, 15
	s_add_u32 s34, s0, s4
	s_waitcnt lgkmcnt(0)
	v_writelane_b32 v47, s16, 16
	s_addc_u32 s35, s2, s3
	v_writelane_b32 v47, s17, 17
	v_mbcnt_lo_u32_b32 v1, -1, 0
	v_writelane_b32 v47, s18, 18
	s_bitcmp1_b32 s1, 0
	v_mbcnt_hi_u32_b32 v26, -1, v1
	v_mov_b32_e32 v1, s34
	v_writelane_b32 v47, s19, 19
	s_cselect_b64 s[0:1], -1, 0
	v_mov_b32_e32 v2, s35
	v_writelane_b32 v47, s0, 20
	v_mad_u64_u32 v[12:13], s[2:3], s26, v0, v[1:2]
	v_writelane_b32 v47, s1, 21
	s_xor_b64 s[0:1], s[0:1], -1
	v_writelane_b32 v47, s0, 22
	v_cmp_gt_u32_e32 vcc, 64, v0
	v_cmp_gt_i32_e64 s[2:3], 4, v26
	v_writelane_b32 v47, s1, 23
	s_and_b64 s[2:3], vcc, s[2:3]
	v_writelane_b32 v47, s2, 24
	v_mov_b32_e32 v1, 0xc00
	v_mov_b32_e32 v3, v13
	v_writelane_b32 v47, s3, 25
	v_mov_b32_e32 v2, 0
	v_mad_u64_u32 v[4:5], s[2:3], s27, v0, v[3:4]
	v_cmp_gt_u64_e64 s[2:3], s[28:29], v[1:2]
	v_mov_b32_e32 v3, 0
	v_writelane_b32 v47, s2, 26
	v_mov_b32_e32 v1, v3
	v_writelane_b32 v47, s3, 27
	v_cmp_gt_u64_e64 s[2:3], s[28:29], v[0:1]
	v_writelane_b32 v47, s2, 28
	v_writelane_b32 v47, s3, 29
	v_cmp_gt_u32_e64 s[2:3], 2, v0
	v_writelane_b32 v47, s2, 30
	s_barrier
	v_writelane_b32 v47, s3, 31
	s_load_dword s2, s[10:11], 0xc
	v_lshlrev_b32_e32 v2, 2, v26
	v_and_b32_e32 v23, 0x100, v2
	v_lshrrev_b32_e32 v2, 1, v0
	v_and_b32_e32 v2, 0x1e0, v2
	s_waitcnt lgkmcnt(0)
	s_and_b32 s33, s2, 0xffff
	s_bfe_u32 s2, s2, 0xa0006
	s_cmp_gt_u32 s33, 63
	s_cselect_b64 s[4:5], -1, 0
	v_writelane_b32 v47, s4, 32
	s_add_u32 s3, s33, -1
	v_writelane_b32 v47, s5, 33
	s_addc_u32 s4, 0, -1
	v_mov_b32_e32 v13, v4
	v_lshlrev_b64 v[4:5], v26, -1
	v_writelane_b32 v47, s3, 34
	s_add_u32 s3, s3, s28
	v_or_b32_e32 v27, 0xc00, v2
	v_add_u32_e32 v2, 2, v0
	s_addc_u32 s67, s4, s29
	v_cmp_gt_u64_e32 vcc, s[28:29], v[2:3]
	v_not_b32_e32 v25, v4
	s_cmp_lt_u32 s6, s14
	v_mov_b32_e32 v4, s29
	v_not_b32_e32 v24, v5
	v_writelane_b32 v47, s3, 35
	s_cselect_b32 s3, 12, 18
	v_cndmask_b32_e32 v5, 0, v4, vcc
	v_mov_b32_e32 v4, s28
	v_writelane_b32 v47, s4, 36
	s_add_u32 s4, s10, s3
	v_cndmask_b32_e32 v2, v2, v4, vcc
	v_not_b32_e32 v4, v0
	s_addc_u32 s5, s11, 0
	v_add_co_u32_e32 v4, vcc, v2, v4
	v_writelane_b32 v47, s4, 37
	v_addc_co_u32_e32 v5, vcc, -1, v5, vcc
	v_writelane_b32 v47, s5, 38
	v_cmp_lt_u64_e64 s[4:5], 3, v[4:5]
	s_add_i32 s3, s2, -1
	v_writelane_b32 v47, s4, 39
	v_writelane_b32 v47, s5, 40
	s_bfe_u32 s4, s33, 0x30006
	s_and_b32 s3, s3, 0xffff
	s_cmp_gt_u32 s3, 6
	s_cselect_b64 s[6:7], -1, 0
	v_writelane_b32 v47, s6, 41
	s_and_b32 s68, s2, 0x3f8
	v_writelane_b32 v47, s7, 42
	s_cmp_lg_u32 s4, 0
	v_writelane_b32 v47, s4, 43
	s_cselect_b64 s[2:3], -1, 0
	v_writelane_b32 v47, s2, 44
	v_writelane_b32 v47, s3, 45
	;; [unrolled: 1-line block ×3, first 2 shown]
	s_load_dwordx4 s[4:7], s[20:21], 0x440
	v_writelane_b32 v47, s21, 47
	v_and_b32_e32 v16, -4, v4
	v_mov_b32_e32 v17, v5
	v_cmp_ne_u64_e64 s[2:3], v[4:5], v[16:17]
	s_waitcnt lgkmcnt(0)
	v_writelane_b32 v47, s4, 48
	v_writelane_b32 v47, s5, 49
	;; [unrolled: 1-line block ×5, first 2 shown]
	s_mov_b32 s66, s26
	v_writelane_b32 v47, s3, 53
	s_mov_b32 s58, s27
	v_writelane_b32 v47, s66, 54
	s_mov_b32 s15, s27
	v_mov_b32_e32 v2, 0xc00
	v_mov_b32_e32 v19, s30
	v_writelane_b32 v47, s58, 55
	v_cmp_eq_u32_e64 s[0:1], 0, v26
	v_lshlrev_b32_e32 v14, 2, v0
	v_mov_b32_e32 v15, v3
	s_mov_b32 s62, s26
	s_mov_b32 s63, s26
	;; [unrolled: 1-line block ×4, first 2 shown]
	v_lshl_or_b32 v29, v26, 3, v2
	s_mov_b64 s[74:75], 0
	s_movk_i32 s70, 0x80
	s_mov_b32 s23, 0xc0c0004
	v_mov_b32_e32 v30, 0x4f800000
	v_mov_b32_e32 v31, 8
	;; [unrolled: 1-line block ×4, first 2 shown]
	v_add_co_u32_e32 v18, vcc, v16, v0
	v_mov_b32_e32 v20, s31
	v_mov_b32_e32 v32, 0
	s_mov_b32 s71, 0
	v_writelane_b32 v47, s15, 56
                                        ; implicit-def: $sgpr76_sgpr77
                                        ; implicit-def: $sgpr78_sgpr79
                                        ; implicit-def: $sgpr82_sgpr83
                                        ; implicit-def: $sgpr84_sgpr85
                                        ; implicit-def: $sgpr80_sgpr81
                                        ; implicit-def: $sgpr86_sgpr87
                                        ; implicit-def: $sgpr88_sgpr89
                                        ; implicit-def: $sgpr90_sgpr91
                                        ; implicit-def: $sgpr92_sgpr93
                                        ; implicit-def: $sgpr94_sgpr95
	v_writelane_b32 v47, s22, 57
	s_branch .LBB135_12
.LBB135_10:                             ;   in Loop: Header=BB135_12 Depth=1
	s_or_b64 exec, exec, s[4:5]
	s_andn2_b64 s[4:5], s[94:95], exec
	s_and_b64 s[8:9], s[8:9], exec
	v_mov_b32_e32 v20, v5
	s_or_b64 s[94:95], s[4:5], s[8:9]
	s_andn2_b64 s[92:93], s[92:93], exec
	s_andn2_b64 s[90:91], s[90:91], exec
	;; [unrolled: 1-line block ×4, first 2 shown]
	s_orn2_b64 s[6:7], s[6:7], exec
	v_mov_b32_e32 v19, v4
.LBB135_11:                             ;   in Loop: Header=BB135_12 Depth=1
	s_or_b64 exec, exec, s[2:3]
	s_and_b64 s[2:3], exec, s[6:7]
	s_or_b64 s[74:75], s[2:3], s[74:75]
	s_andn2_b64 s[2:3], s[80:81], exec
	s_and_b64 s[4:5], s[94:95], exec
	s_or_b64 s[80:81], s[2:3], s[4:5]
	s_andn2_b64 s[2:3], s[84:85], exec
	s_and_b64 s[4:5], s[92:93], exec
	;; [unrolled: 3-line block ×5, first 2 shown]
	s_or_b64 s[76:77], s[2:3], s[4:5]
	s_andn2_b64 exec, exec, s[74:75]
	s_cbranch_execz .LBB135_481
.LBB135_12:                             ; =>This Loop Header: Depth=1
                                        ;     Child Loop BB135_17 Depth 2
                                        ;     Child Loop BB135_31 Depth 2
	;; [unrolled: 1-line block ×25, first 2 shown]
	ds_read_b128 v[4:7], v3 offset:5120
	s_waitcnt lgkmcnt(0)
	v_readfirstlane_b32 s17, v5
	v_readfirstlane_b32 s16, v4
	s_cmp_lg_u64 s[16:17], 0
	s_cbranch_scc1 .LBB135_44
; %bb.13:                               ;   in Loop: Header=BB135_12 Depth=1
	v_readlane_b32 s2, v47, 26
	v_readlane_b32 s3, v47, 27
	s_and_b64 vcc, exec, s[2:3]
	s_cbranch_vccz .LBB135_25
; %bb.14:                               ;   in Loop: Header=BB135_12 Depth=1
	s_mov_b64 s[2:3], 0xc01
	v_cmp_gt_u64_e32 vcc, s[2:3], v[6:7]
	s_mov_b64 s[2:3], 0
	s_mov_b64 s[6:7], 0
	s_cbranch_vccz .LBB135_26
; %bb.15:                               ;   in Loop: Header=BB135_12 Depth=1
	v_readlane_b32 s4, v47, 37
	v_readlane_b32 s5, v47, 38
	global_load_ubyte v6, v[12:13], off
	v_mov_b32_e32 v5, v1
	s_mov_b64 s[8:9], 0
	v_mov_b32_e32 v4, v0
	s_nop 0
	global_load_ushort v2, v3, s[4:5]
	s_branch .LBB135_17
.LBB135_16:                             ;   in Loop: Header=BB135_17 Depth=2
	s_or_b64 exec, exec, s[4:5]
	s_waitcnt vmcnt(0)
	v_mov_b32_e32 v6, v7
	s_andn2_b64 exec, exec, s[8:9]
	s_cbranch_execz .LBB135_99
.LBB135_17:                             ;   Parent Loop BB135_12 Depth=1
                                        ; =>  This Inner Loop Header: Depth=2
	s_waitcnt vmcnt(0)
	v_add_co_u32_sdwa v4, vcc, v4, v2 dst_sel:DWORD dst_unused:UNUSED_PAD src0_sel:DWORD src1_sel:WORD_0
	v_addc_co_u32_e32 v5, vcc, 0, v5, vcc
	v_cmp_gt_u64_e64 s[6:7], s[28:29], v[4:5]
	v_cmp_le_u64_e32 vcc, s[28:29], v[4:5]
	s_waitcnt lgkmcnt(0)
	v_mov_b32_e32 v8, 0
	v_mov_b32_e32 v7, 0
	s_and_saveexec_b64 s[4:5], s[6:7]
	s_cbranch_execz .LBB135_19
; %bb.18:                               ;   in Loop: Header=BB135_17 Depth=2
	v_mov_b32_e32 v9, s34
	v_mov_b32_e32 v10, s35
	v_mad_u64_u32 v[9:10], s[6:7], v4, s26, v[9:10]
	v_mul_lo_u32 v7, v4, s27
	v_mul_lo_u32 v11, v5, s26
	v_add3_u32 v10, v11, v10, v7
	global_load_ubyte v7, v[9:10], off
.LBB135_19:                             ;   in Loop: Header=BB135_17 Depth=2
	s_or_b64 exec, exec, s[4:5]
	v_add_u32_sdwa v9, sext(v6), s70 dst_sel:DWORD dst_unused:UNUSED_PAD src0_sel:BYTE_0 src1_sel:DWORD
	v_and_b32_e32 v9, v9, v32
	v_cmp_eq_u32_e64 s[18:19], v9, v28
	s_cmp_lg_u64 s[18:19], 0
	s_cselect_b64 s[4:5], -1, 0
	s_and_b64 s[4:5], s[0:1], s[4:5]
	s_and_saveexec_b64 s[10:11], s[4:5]
	s_cbranch_execz .LBB135_23
; %bb.20:                               ;   in Loop: Header=BB135_17 Depth=2
	s_mov_b64 s[12:13], exec
	v_mbcnt_lo_u32_b32 v8, s12, 0
	v_mbcnt_hi_u32_b32 v8, s13, v8
	s_bcnt1_i32_b64 s14, s[18:19]
	v_cmp_eq_u32_e64 s[6:7], 0, v8
                                        ; implicit-def: $vgpr9
	s_and_saveexec_b64 s[4:5], s[6:7]
; %bb.21:                               ;   in Loop: Header=BB135_17 Depth=2
	s_bcnt1_i32_b64 s6, s[12:13]
	s_mul_i32 s6, s14, s6
	v_mov_b32_e32 v9, s6
	ds_add_rtn_u32 v9, v3, v9 offset:5144
; %bb.22:                               ;   in Loop: Header=BB135_17 Depth=2
	s_or_b64 exec, exec, s[4:5]
	s_waitcnt lgkmcnt(0)
	v_readfirstlane_b32 s4, v9
	v_mov_b32_e32 v9, s4
	v_mad_u32_u24 v8, s14, v8, v9
.LBB135_23:                             ;   in Loop: Header=BB135_17 Depth=2
	s_or_b64 exec, exec, s[10:11]
	ds_bpermute_b32 v8, v23, v8
	s_and_b64 s[4:5], exec, vcc
	s_or_b64 s[8:9], s[4:5], s[8:9]
	s_and_saveexec_b64 s[4:5], s[18:19]
	s_cbranch_execz .LBB135_16
; %bb.24:                               ;   in Loop: Header=BB135_17 Depth=2
	v_and_b32_e32 v10, s18, v25
	v_and_b32_e32 v9, s19, v24
	v_bcnt_u32_b32 v10, v10, 0
	v_bcnt_u32_b32 v9, v9, v10
	s_waitcnt lgkmcnt(0)
	v_add_u32_e32 v8, v8, v9
	ds_write_b8 v8, v6
	s_branch .LBB135_16
.LBB135_25:                             ;   in Loop: Header=BB135_12 Depth=1
	s_mov_b64 s[2:3], -1
	s_mov_b64 s[6:7], 0
.LBB135_26:                             ;   in Loop: Header=BB135_12 Depth=1
	s_and_b64 vcc, exec, s[2:3]
	s_cbranch_vccz .LBB135_42
.LBB135_27:                             ;   in Loop: Header=BB135_12 Depth=1
	s_mov_b64 s[2:3], exec
	v_readlane_b32 s4, v47, 28
	v_readlane_b32 s5, v47, 29
	s_and_b64 s[4:5], s[2:3], s[4:5]
	s_mov_b64 exec, s[4:5]
	s_cbranch_execz .LBB135_39
; %bb.28:                               ;   in Loop: Header=BB135_12 Depth=1
	v_readlane_b32 s4, v47, 37
	v_readlane_b32 s5, v47, 38
	s_nop 4
	global_load_ushort v2, v3, s[4:5]
	global_load_ubyte v34, v[12:13], off
	v_mov_b32_e32 v4, v0
	s_waitcnt vmcnt(1)
	v_readfirstlane_b32 s4, v2
	v_add_u32_sdwa v2, v2, v0 dst_sel:DWORD dst_unused:UNUSED_PAD src0_sel:WORD_0 src1_sel:DWORD
	v_cmp_gt_u64_e32 vcc, s[28:29], v[2:3]
	s_and_saveexec_b64 s[8:9], vcc
	s_cbranch_execz .LBB135_38
; %bb.29:                               ;   in Loop: Header=BB135_12 Depth=1
	s_and_b32 s4, s4, 0xffff
	s_cmp_eq_u32 s4, 1
	v_readlane_b32 s10, v47, 39
                                        ; implicit-def: $vgpr4_vgpr5
	s_cselect_b64 s[6:7], -1, 0
	v_readlane_b32 s11, v47, 40
	v_mov_b32_e32 v8, v1
	v_mov_b32_e32 v6, v3
	s_and_b64 s[10:11], s[10:11], s[6:7]
	s_mov_b64 s[12:13], -1
	v_mov_b32_e32 v7, v0
	v_mov_b32_e32 v5, v2
	s_and_saveexec_b64 s[6:7], s[10:11]
	s_cbranch_execz .LBB135_33
; %bb.30:                               ;   in Loop: Header=BB135_12 Depth=1
	v_add_co_u32_e32 v8, vcc, 3, v2
	v_addc_co_u32_e64 v9, s[10:11], 0, 0, vcc
	v_add_co_u32_e32 v6, vcc, 2, v2
	v_addc_co_u32_e64 v7, s[10:11], 0, 0, vcc
	;; [unrolled: 2-line block ×3, first 2 shown]
	v_mov_b32_e32 v22, v17
	v_mov_b32_e32 v11, v9
	s_waitcnt vmcnt(0)
	v_lshlrev_b32_e32 v36, 24, v34
	s_mov_b64 s[10:11], 0
	v_mov_b32_e32 v21, v16
	v_mov_b32_e32 v35, v0
	v_mov_b32_e32 v10, v8
	v_mov_b32_e32 v9, v7
	v_mov_b32_e32 v8, v6
	v_mov_b32_e32 v7, v5
	v_mov_b32_e32 v6, v4
	v_mov_b32_e32 v5, v3
	v_mov_b32_e32 v4, v2
.LBB135_31:                             ;   Parent Loop BB135_12 Depth=1
                                        ; =>  This Inner Loop Header: Depth=2
	v_mul_lo_u32 v34, v9, s62
	v_mul_lo_u32 v39, v8, s15
	v_mad_u64_u32 v[37:38], s[12:13], v8, s62, 0
	v_mul_lo_u32 v40, v7, s26
	v_mul_lo_u32 v41, v6, s27
	v_add3_u32 v34, v38, v39, v34
	v_mad_u64_u32 v[38:39], s[12:13], v6, s26, 0
	v_mul_lo_u32 v43, v4, s58
	v_mul_lo_u32 v45, v11, s63
	v_add3_u32 v42, v39, v41, v40
	v_mul_lo_u32 v41, v5, s66
	v_mad_u64_u32 v[39:40], s[12:13], v4, s66, 0
	s_mov_b32 s5, 0xc0c0007
	v_add3_u32 v40, v40, v43, v41
	v_add_co_u32_e32 v39, vcc, s34, v39
	v_mov_b32_e32 v41, s35
	v_addc_co_u32_e32 v40, vcc, v41, v40, vcc
	v_add_co_u32_e32 v41, vcc, s34, v38
	v_mov_b32_e32 v38, s35
	v_addc_co_u32_e32 v42, vcc, v38, v42, vcc
	v_mov_b32_e32 v44, s35
	v_add_co_u32_e32 v37, vcc, s34, v37
	v_mov_b32_e32 v43, s34
	v_addc_co_u32_e32 v38, vcc, v38, v34, vcc
	v_mad_u64_u32 v[43:44], s[12:13], v10, s63, v[43:44]
	v_mul_lo_u32 v34, v10, s22
	v_add_co_u32_e32 v10, vcc, 4, v10
	v_addc_co_u32_e32 v11, vcc, 0, v11, vcc
	v_add3_u32 v44, v45, v44, v34
	global_load_ubyte v34, v[43:44], off
	s_nop 0
	global_load_ubyte v41, v[41:42], off
	s_nop 0
	global_load_ubyte v39, v[39:40], off
	v_add_co_u32_e32 v8, vcc, 4, v8
	global_load_ubyte v37, v[37:38], off
	v_addc_co_u32_e32 v9, vcc, 0, v9, vcc
	v_add_co_u32_e32 v6, vcc, 4, v6
	v_addc_co_u32_e32 v7, vcc, 0, v7, vcc
	v_add_co_u32_e32 v4, vcc, 4, v4
	v_addc_co_u32_e32 v5, vcc, 0, v5, vcc
	v_add_co_u32_e32 v21, vcc, -4, v21
	v_addc_co_u32_e32 v22, vcc, -1, v22, vcc
	v_cmp_eq_u64_e32 vcc, 0, v[21:22]
	s_or_b64 s[10:11], vcc, s[10:11]
	s_waitcnt vmcnt(1)
	v_perm_b32 v40, v39, v41, s23
	v_perm_b32 v36, v36, v39, s5
	s_waitcnt vmcnt(0)
	v_perm_b32 v38, v37, v34, s23
	v_perm_b32 v37, v41, v37, s23
	v_lshl_or_b32 v38, v38, 16, v40
	v_lshl_or_b32 v36, v37, 16, v36
	ds_write_b32 v35, v36
	v_add_u32_e32 v35, 4, v35
	v_mov_b32_e32 v36, v38
	s_andn2_b64 exec, exec, s[10:11]
	s_cbranch_execnz .LBB135_31
; %bb.32:                               ;   in Loop: Header=BB135_12 Depth=1
	s_or_b64 exec, exec, s[10:11]
	v_readlane_b32 s10, v47, 52
	v_add_co_u32_e32 v5, vcc, v2, v16
	v_readlane_b32 s11, v47, 53
	v_addc_co_u32_e32 v6, vcc, 0, v17, vcc
	v_add_co_u32_e32 v4, vcc, -1, v5
	s_orn2_b64 s[12:13], s[10:11], exec
	v_mov_b32_e32 v7, v18
	v_mov_b32_e32 v8, v19
.LBB135_33:                             ;   in Loop: Header=BB135_12 Depth=1
	s_or_b64 exec, exec, s[6:7]
	s_and_saveexec_b64 s[10:11], s[12:13]
	s_cbranch_execz .LBB135_37
; %bb.34:                               ;   in Loop: Header=BB135_12 Depth=1
	s_mov_b64 s[12:13], 0
	s_sub_u32 s5, 0, s4
.LBB135_35:                             ;   Parent Loop BB135_12 Depth=1
                                        ; =>  This Inner Loop Header: Depth=2
	v_mov_b32_e32 v9, v6
	v_mov_b32_e32 v8, v5
	;; [unrolled: 1-line block ×4, first 2 shown]
	v_mad_u64_u32 v[4:5], s[6:7], v8, s26, v[4:5]
	v_mul_lo_u32 v2, v8, s27
	v_mul_lo_u32 v6, v9, s26
	s_waitcnt vmcnt(0)
	ds_write_b8 v7, v34
	v_add3_u32 v5, v6, v5, v2
	global_load_ubyte v2, v[4:5], off
	v_add_co_u32_e32 v5, vcc, s4, v8
	v_addc_co_u32_e32 v6, vcc, 0, v9, vcc
	v_cmp_le_u64_e32 vcc, s[28:29], v[5:6]
	v_mov_b32_e32 v7, v8
	v_add_co_u32_e64 v4, s[6:7], s5, v5
	s_or_b64 s[12:13], vcc, s[12:13]
	v_mov_b32_e32 v8, v9
	s_waitcnt vmcnt(0)
	v_mov_b32_e32 v34, v2
	s_andn2_b64 exec, exec, s[12:13]
	s_cbranch_execnz .LBB135_35
; %bb.36:                               ;   in Loop: Header=BB135_12 Depth=1
	s_or_b64 exec, exec, s[12:13]
	v_mov_b32_e32 v34, v2
.LBB135_37:                             ;   in Loop: Header=BB135_12 Depth=1
	s_or_b64 exec, exec, s[10:11]
.LBB135_38:                             ;   in Loop: Header=BB135_12 Depth=1
	s_or_b64 exec, exec, s[8:9]
	s_waitcnt vmcnt(0)
	ds_write_b8 v4, v34
.LBB135_39:                             ;   in Loop: Header=BB135_12 Depth=1
	s_or_b64 exec, exec, s[2:3]
	s_waitcnt lgkmcnt(0)
	s_barrier
	s_mov_b64 s[2:3], exec
	v_readlane_b32 s4, v47, 12
	v_readlane_b32 s5, v47, 13
	s_and_b64 s[4:5], s[2:3], s[4:5]
	s_mov_b64 exec, s[4:5]
; %bb.40:                               ;   in Loop: Header=BB135_12 Depth=1
	v_mov_b32_e32 v4, s28
	v_mov_b32_e32 v5, s29
	ds_write_b64 v3, v[4:5] offset:5120
; %bb.41:                               ;   in Loop: Header=BB135_12 Depth=1
	s_or_b64 exec, exec, s[2:3]
	s_mov_b64 s[6:7], -1
	s_waitcnt lgkmcnt(0)
	s_barrier
.LBB135_42:                             ;   in Loop: Header=BB135_12 Depth=1
	s_mov_b64 s[16:17], 0
	s_and_b64 vcc, exec, s[6:7]
	s_cbranch_vccz .LBB135_44
; %bb.43:                               ;   in Loop: Header=BB135_12 Depth=1
	ds_read_b64 v[4:5], v3 offset:5120
	s_waitcnt lgkmcnt(0)
	v_readfirstlane_b32 s16, v4
.LBB135_44:                             ;   in Loop: Header=BB135_12 Depth=1
	s_cmp_lt_i32 s16, 1
	s_mov_b64 s[2:3], -1
                                        ; implicit-def: $vgpr10_vgpr11
                                        ; implicit-def: $vgpr6_vgpr7
	s_cbranch_scc1 .LBB135_54
; %bb.45:                               ;   in Loop: Header=BB135_12 Depth=1
	s_and_b64 vcc, exec, s[2:3]
	s_cbranch_vccnz .LBB135_68
.LBB135_46:                             ;   in Loop: Header=BB135_12 Depth=1
	s_lshl_b32 s4, s71, 6
	s_and_saveexec_b64 s[2:3], s[0:1]
	s_cbranch_execz .LBB135_48
.LBB135_47:                             ;   in Loop: Header=BB135_12 Depth=1
	v_lshl_add_u32 v2, s4, 3, v27
	ds_write_b128 v2, v[4:7]
	ds_write_b128 v2, v[8:11] offset:16
.LBB135_48:                             ;   in Loop: Header=BB135_12 Depth=1
	s_or_b64 exec, exec, s[2:3]
	s_waitcnt lgkmcnt(0)
	s_barrier
	s_mov_b64 s[2:3], exec
	v_readlane_b32 s6, v47, 24
	v_readlane_b32 s7, v47, 25
	s_and_b64 s[6:7], s[2:3], s[6:7]
	s_mov_b64 exec, s[6:7]
	s_cbranch_execz .LBB135_83
; %bb.49:                               ;   in Loop: Header=BB135_12 Depth=1
	v_readlane_b32 s6, v47, 32
	v_mov_b32_e32 v4, 0
	v_readlane_b32 s7, v47, 33
	v_mov_b32_e32 v5, 0
	s_andn2_b64 vcc, exec, s[6:7]
	s_cbranch_vccnz .LBB135_82
; %bb.50:                               ;   in Loop: Header=BB135_12 Depth=1
	v_readlane_b32 s6, v47, 41
	v_readlane_b32 s7, v47, 42
	s_andn2_b64 vcc, exec, s[6:7]
	s_cbranch_vccnz .LBB135_78
; %bb.51:                               ;   in Loop: Header=BB135_12 Depth=1
	v_mov_b32_e32 v4, 0
	v_lshl_add_u32 v2, s71, 9, v29
	v_mov_b32_e32 v5, 0
	s_mov_b32 s5, 0
.LBB135_52:                             ;   Parent Loop BB135_12 Depth=1
                                        ; =>  This Inner Loop Header: Depth=2
	ds_read2_b64 v[6:9], v2 offset1:4
	s_add_i32 s5, s5, 8
	s_cmp_eq_u32 s68, s5
	s_waitcnt lgkmcnt(0)
	v_add_co_u32_e32 v4, vcc, v6, v4
	v_addc_co_u32_e32 v5, vcc, v7, v5, vcc
	v_add_co_u32_e32 v8, vcc, v8, v4
	v_addc_co_u32_e32 v9, vcc, v9, v5, vcc
	ds_read2_b64 v[4:7], v2 offset0:8 offset1:12
	s_waitcnt lgkmcnt(0)
	v_add_co_u32_e32 v4, vcc, v4, v8
	v_addc_co_u32_e32 v5, vcc, v5, v9, vcc
	v_add_co_u32_e32 v8, vcc, v6, v4
	v_addc_co_u32_e32 v9, vcc, v7, v5, vcc
	ds_read2_b64 v[4:7], v2 offset0:16 offset1:20
	;; [unrolled: 6-line block ×3, first 2 shown]
	v_add_u32_e32 v2, 0x100, v2
	s_waitcnt lgkmcnt(0)
	v_add_co_u32_e32 v4, vcc, v4, v8
	v_addc_co_u32_e32 v5, vcc, v5, v9, vcc
	v_add_co_u32_e32 v4, vcc, v6, v4
	v_addc_co_u32_e32 v5, vcc, v7, v5, vcc
	s_cbranch_scc0 .LBB135_52
; %bb.53:                               ;   in Loop: Header=BB135_12 Depth=1
	s_mov_b32 s5, s68
	s_branch .LBB135_79
.LBB135_54:                             ;   in Loop: Header=BB135_12 Depth=1
	v_readlane_b32 s2, v47, 37
	v_readlane_b32 s3, v47, 38
	s_nop 4
	global_load_ushort v2, v3, s[2:3]
	s_mov_b32 s2, s59
	s_waitcnt vmcnt(0)
	v_readfirstlane_b32 s3, v2
	s_and_b32 s3, 0xffff, s3
	s_lshl_b32 s8, s3, 2
	s_mov_b32 s3, s29
	s_cmp_lg_u64 s[2:3], 0
	s_cbranch_scc0 .LBB135_77
; %bb.55:                               ;   in Loop: Header=BB135_12 Depth=1
	v_cvt_f32_u32_e32 v4, s8
	s_sub_u32 s4, 0, s8
	s_subb_u32 s5, 0, 0
	v_mac_f32_e32 v4, 0, v30
	v_rcp_f32_e32 v4, v4
	v_mul_f32_e32 v4, 0x5f7ffffc, v4
	v_mul_f32_e32 v5, 0x2f800000, v4
	v_trunc_f32_e32 v5, v5
	v_mac_f32_e32 v4, 0xcf800000, v5
	v_cvt_u32_f32_e32 v5, v5
	v_cvt_u32_f32_e32 v4, v4
	v_readfirstlane_b32 s6, v5
	v_readfirstlane_b32 s2, v4
	s_mul_i32 s3, s4, s6
	s_mul_hi_u32 s9, s4, s2
	s_mul_i32 s7, s5, s2
	s_add_i32 s3, s9, s3
	s_mul_i32 s10, s4, s2
	s_add_i32 s3, s3, s7
	s_mul_hi_u32 s9, s2, s10
	s_mul_i32 s11, s2, s3
	s_mul_hi_u32 s7, s2, s3
	s_add_u32 s9, s9, s11
	s_addc_u32 s7, 0, s7
	s_mul_hi_u32 s12, s6, s10
	s_mul_i32 s10, s6, s10
	s_add_u32 s9, s9, s10
	s_mul_hi_u32 s11, s6, s3
	s_addc_u32 s7, s7, s12
	s_addc_u32 s9, s11, 0
	s_mul_i32 s3, s6, s3
	s_add_u32 s3, s7, s3
	s_addc_u32 s7, 0, s9
	s_add_u32 s9, s2, s3
	s_cselect_b64 s[2:3], -1, 0
	s_cmp_lg_u64 s[2:3], 0
	s_addc_u32 s6, s6, s7
	s_mul_i32 s2, s4, s6
	s_mul_hi_u32 s3, s4, s9
	s_add_i32 s2, s3, s2
	s_mul_i32 s5, s5, s9
	s_add_i32 s2, s2, s5
	s_mul_i32 s4, s4, s9
	s_mul_hi_u32 s5, s6, s4
	s_mul_i32 s7, s6, s4
	s_mul_i32 s11, s9, s2
	s_mul_hi_u32 s4, s9, s4
	s_mul_hi_u32 s10, s9, s2
	s_add_u32 s4, s4, s11
	s_addc_u32 s10, 0, s10
	s_add_u32 s4, s4, s7
	s_mul_hi_u32 s3, s6, s2
	s_addc_u32 s4, s10, s5
	s_addc_u32 s3, s3, 0
	s_mul_i32 s2, s6, s2
	s_add_u32 s2, s4, s2
	s_addc_u32 s4, 0, s3
	s_add_u32 s5, s9, s2
	s_cselect_b64 s[2:3], -1, 0
	s_cmp_lg_u64 s[2:3], 0
	s_addc_u32 s2, s6, s4
	s_mul_i32 s4, s28, s2
	s_mul_hi_u32 s6, s28, s5
	s_mul_hi_u32 s3, s28, s2
	s_add_u32 s4, s6, s4
	s_addc_u32 s3, 0, s3
	s_mul_hi_u32 s7, s29, s5
	s_mul_i32 s5, s29, s5
	s_add_u32 s4, s4, s5
	s_mul_hi_u32 s6, s29, s2
	s_addc_u32 s3, s3, s7
	s_addc_u32 s4, s6, 0
	s_mul_i32 s2, s29, s2
	s_add_u32 s2, s3, s2
	s_addc_u32 s3, 0, s4
	s_mul_i32 s3, s8, s3
	s_mul_hi_u32 s4, s8, s2
	s_add_i32 s4, s4, s3
	s_mul_i32 s2, s8, s2
	s_sub_u32 s5, s28, s2
	s_cselect_b64 s[2:3], -1, 0
	s_cmp_lg_u64 s[2:3], 0
	s_subb_u32 s4, s29, s4
	s_sub_u32 s6, s5, s8
	s_cselect_b64 s[2:3], -1, 0
	s_cmp_lg_u64 s[2:3], 0
	s_subb_u32 s7, s4, 0
	;; [unrolled: 4-line block ×3, first 2 shown]
	s_cmp_ge_u32 s6, s8
	s_cselect_b32 s3, -1, 0
	s_cmp_eq_u32 s7, 0
	s_cselect_b32 s3, s3, -1
	s_cmp_lg_u32 s3, 0
	s_cselect_b32 s2, s2, s7
	s_cselect_b32 s6, s9, s6
	s_cmp_ge_u32 s5, s8
	s_cselect_b32 s3, -1, 0
	s_cmp_eq_u32 s4, 0
	s_cselect_b32 s3, s3, -1
	s_cmp_lg_u32 s3, 0
	s_cselect_b32 s3, s2, s4
	s_cselect_b32 s2, s6, s5
	s_cbranch_execnz .LBB135_57
.LBB135_56:                             ;   in Loop: Header=BB135_12 Depth=1
	v_cvt_f32_u32_e32 v4, s8
	s_sub_i32 s2, 0, s8
	v_rcp_iflag_f32_e32 v4, v4
	v_mul_f32_e32 v4, 0x4f7ffffe, v4
	v_cvt_u32_f32_e32 v4, v4
	v_readfirstlane_b32 s3, v4
	s_mul_i32 s2, s2, s3
	s_mul_hi_u32 s2, s3, s2
	s_add_i32 s3, s3, s2
	s_mul_hi_u32 s2, s28, s3
	s_mul_i32 s2, s2, s8
	s_sub_i32 s2, s28, s2
	s_sub_i32 s3, s2, s8
	s_cmp_ge_u32 s2, s8
	s_cselect_b32 s2, s3, s2
	s_sub_i32 s3, s2, s8
	s_cmp_ge_u32 s2, s8
	s_cselect_b32 s58, s3, s2
	s_mov_b64 s[2:3], s[58:59]
	v_readlane_b32 s58, v47, 55
.LBB135_57:                             ;   in Loop: Header=BB135_12 Depth=1
	s_sub_u32 s14, s28, s2
	s_subb_u32 s15, s29, s3
	v_cmp_gt_u64_e32 vcc, s[14:15], v[14:15]
	v_mov_b32_e32 v4, 0
	v_mov_b32_e32 v6, 0
	;; [unrolled: 1-line block ×8, first 2 shown]
	s_and_saveexec_b64 s[20:21], vcc
	s_cbranch_execz .LBB135_61
; %bb.58:                               ;   in Loop: Header=BB135_12 Depth=1
	v_mov_b32_e32 v22, v15
	s_mov_b64 s[36:37], 0
	s_mov_b64 s[38:39], 0
	;; [unrolled: 1-line block ×5, first 2 shown]
	v_mov_b32_e32 v21, v14
.LBB135_59:                             ;   Parent Loop BB135_12 Depth=1
                                        ; =>  This Inner Loop Header: Depth=2
	v_mov_b32_e32 v4, s34
	v_mov_b32_e32 v5, s35
	v_mad_u64_u32 v[4:5], s[2:3], v21, s26, v[4:5]
	v_mul_lo_u32 v6, v21, s27
	v_mul_lo_u32 v7, v22, s26
	v_mov_b32_e32 v8, s27
	v_mov_b32_e32 v9, s27
	v_add3_u32 v5, v7, v5, v6
	global_load_sbyte v6, v[4:5], off
	v_add_co_u32_e32 v4, vcc, s26, v4
	v_mov_b32_e32 v7, s27
	v_addc_co_u32_e32 v5, vcc, v5, v7, vcc
	global_load_sbyte v7, v[4:5], off
	v_add_co_u32_e32 v4, vcc, s26, v4
	v_addc_co_u32_e32 v5, vcc, v5, v8, vcc
	global_load_sbyte v8, v[4:5], off
	v_add_co_u32_e32 v4, vcc, s26, v4
	v_addc_co_u32_e32 v5, vcc, v5, v9, vcc
	global_load_sbyte v4, v[4:5], off
	s_waitcnt vmcnt(3)
	v_add_u32_e32 v5, 0x80, v6
	s_waitcnt vmcnt(2)
	v_add_u32_e32 v6, 0x80, v7
	s_waitcnt vmcnt(1)
	v_add_u32_e32 v7, 0x80, v8
	v_and_b32_e32 v8, v5, v32
	v_bfe_u32 v5, v5, s69, 2
	v_cmp_eq_u32_e32 vcc, v8, v28
	v_and_b32_e32 v8, v6, v32
	v_bfe_u32 v6, v6, s69, 2
	v_cmp_eq_u32_e64 s[24:25], 0, v5
	s_waitcnt vmcnt(0)
	v_add_u32_e32 v4, 0x80, v4
	v_cmp_eq_u32_e64 s[6:7], v8, v28
	v_and_b32_e32 v8, v7, v32
	v_bfe_u32 v7, v7, s69, 2
	s_and_b64 s[2:3], vcc, s[24:25]
	v_cmp_eq_u32_e64 s[24:25], 0, v6
	v_cmp_eq_u32_e64 s[18:19], v8, v28
	v_and_b32_e32 v8, v4, v32
	v_bfe_u32 v4, v4, s69, 2
	s_and_b64 s[4:5], s[6:7], s[24:25]
	v_cmp_eq_u32_e64 s[24:25], 0, v7
	v_cmp_eq_u32_e64 s[22:23], v8, v28
	s_and_b64 s[10:11], s[18:19], s[24:25]
	v_cmp_eq_u32_e64 s[24:25], 0, v4
	v_cndmask_b32_e64 v8, 0, 1, s[2:3]
	s_and_b64 s[12:13], s[22:23], s[24:25]
	v_cmp_ne_u32_e64 s[24:25], 0, v8
	v_cndmask_b32_e64 v8, 0, 1, s[4:5]
	s_bcnt1_i32_b64 s2, s[24:25]
	v_cmp_ne_u32_e64 s[24:25], 0, v8
	v_cndmask_b32_e64 v8, 0, 1, s[10:11]
	s_bcnt1_i32_b64 s3, s[24:25]
	;; [unrolled: 3-line block ×3, first 2 shown]
	v_cmp_ne_u32_e64 s[24:25], 0, v8
	s_bcnt1_i32_b64 s5, s[24:25]
	s_add_u32 s2, s2, s46
	s_addc_u32 s9, 0, s47
	s_add_u32 s2, s2, s3
	s_addc_u32 s3, s9, 0
	;; [unrolled: 2-line block ×3, first 2 shown]
	s_add_u32 s46, s2, s5
	v_cmp_eq_u32_e64 s[24:25], 1, v5
	s_addc_u32 s47, s3, 0
	s_and_b64 s[2:3], vcc, s[24:25]
	v_cmp_eq_u32_e64 s[24:25], 1, v6
	s_and_b64 s[4:5], s[6:7], s[24:25]
	v_cmp_eq_u32_e64 s[24:25], 1, v7
	s_and_b64 s[10:11], s[18:19], s[24:25]
	v_cmp_eq_u32_e64 s[24:25], 1, v4
	v_cndmask_b32_e64 v8, 0, 1, s[2:3]
	s_and_b64 s[12:13], s[22:23], s[24:25]
	v_cmp_ne_u32_e64 s[24:25], 0, v8
	v_cndmask_b32_e64 v8, 0, 1, s[4:5]
	s_bcnt1_i32_b64 s2, s[24:25]
	v_cmp_ne_u32_e64 s[24:25], 0, v8
	v_cndmask_b32_e64 v8, 0, 1, s[10:11]
	s_bcnt1_i32_b64 s3, s[24:25]
	;; [unrolled: 3-line block ×3, first 2 shown]
	v_cmp_ne_u32_e64 s[24:25], 0, v8
	s_bcnt1_i32_b64 s5, s[24:25]
	s_add_u32 s2, s2, s42
	s_addc_u32 s9, 0, s43
	s_add_u32 s2, s2, s3
	s_addc_u32 s3, s9, 0
	;; [unrolled: 2-line block ×3, first 2 shown]
	s_add_u32 s42, s2, s5
	v_cmp_eq_u32_e64 s[24:25], 2, v5
	s_addc_u32 s43, s3, 0
	s_and_b64 s[2:3], vcc, s[24:25]
	v_cmp_eq_u32_e64 s[24:25], 2, v6
	s_and_b64 s[4:5], s[6:7], s[24:25]
	v_cmp_eq_u32_e64 s[24:25], 2, v7
	s_and_b64 s[10:11], s[18:19], s[24:25]
	v_cmp_eq_u32_e64 s[24:25], 2, v4
	v_cndmask_b32_e64 v8, 0, 1, s[2:3]
	s_and_b64 s[12:13], s[22:23], s[24:25]
	v_cmp_ne_u32_e64 s[24:25], 0, v8
	v_cndmask_b32_e64 v8, 0, 1, s[4:5]
	s_bcnt1_i32_b64 s2, s[24:25]
	v_cmp_ne_u32_e64 s[24:25], 0, v8
	v_cndmask_b32_e64 v8, 0, 1, s[10:11]
	s_bcnt1_i32_b64 s3, s[24:25]
	;; [unrolled: 3-line block ×3, first 2 shown]
	v_cmp_ne_u32_e64 s[24:25], 0, v8
	s_bcnt1_i32_b64 s5, s[24:25]
	s_add_u32 s2, s2, s40
	s_addc_u32 s9, 0, s41
	s_add_u32 s2, s2, s3
	s_addc_u32 s3, s9, 0
	;; [unrolled: 2-line block ×3, first 2 shown]
	s_add_u32 s40, s2, s5
	v_cmp_eq_u32_e64 s[24:25], 3, v5
	s_addc_u32 s41, s3, 0
	s_and_b64 s[2:3], vcc, s[24:25]
	v_cmp_eq_u32_e32 vcc, 3, v6
	s_and_b64 s[4:5], s[6:7], vcc
	v_cmp_eq_u32_e32 vcc, 3, v7
	s_and_b64 s[6:7], s[18:19], vcc
	v_cmp_eq_u32_e32 vcc, 3, v4
	v_cndmask_b32_e64 v4, 0, 1, s[2:3]
	s_and_b64 s[10:11], s[22:23], vcc
	v_cmp_ne_u32_e32 vcc, 0, v4
	v_cndmask_b32_e64 v4, 0, 1, s[4:5]
	s_bcnt1_i32_b64 s2, vcc
	v_cmp_ne_u32_e32 vcc, 0, v4
	v_cndmask_b32_e64 v4, 0, 1, s[6:7]
	s_bcnt1_i32_b64 s3, vcc
	;; [unrolled: 3-line block ×3, first 2 shown]
	v_cmp_ne_u32_e32 vcc, 0, v4
	s_bcnt1_i32_b64 s5, vcc
	s_add_u32 s2, s2, s38
	s_addc_u32 s6, 0, s39
	s_add_u32 s2, s2, s3
	s_addc_u32 s3, s6, 0
	s_add_u32 s2, s2, s4
	v_add_co_u32_e32 v21, vcc, s8, v21
	s_addc_u32 s3, s3, 0
	v_addc_co_u32_e32 v22, vcc, 0, v22, vcc
	s_add_u32 s38, s2, s5
	v_cmp_le_u64_e32 vcc, s[14:15], v[21:22]
	s_addc_u32 s39, s3, 0
	v_mov_b32_e32 v4, s46
	v_mov_b32_e32 v6, s42
	;; [unrolled: 1-line block ×4, first 2 shown]
	s_or_b64 s[36:37], vcc, s[36:37]
	v_mov_b32_e32 v5, s47
	v_mov_b32_e32 v7, s43
	;; [unrolled: 1-line block ×4, first 2 shown]
	s_andn2_b64 exec, exec, s[36:37]
	s_cbranch_execnz .LBB135_59
; %bb.60:                               ;   in Loop: Header=BB135_12 Depth=1
	s_or_b64 exec, exec, s[36:37]
.LBB135_61:                             ;   in Loop: Header=BB135_12 Depth=1
	s_or_b64 exec, exec, s[20:21]
	v_mov_b32_e32 v22, s15
	v_add_co_u32_e32 v21, vcc, s14, v0
	v_addc_co_u32_e32 v22, vcc, 0, v22, vcc
	v_cmp_gt_u64_e32 vcc, s[28:29], v[21:22]
	s_and_saveexec_b64 s[2:3], vcc
	s_cbranch_execz .LBB135_67
; %bb.62:                               ;   in Loop: Header=BB135_12 Depth=1
	v_mov_b32_e32 v34, s34
	v_mov_b32_e32 v35, s35
	v_mad_u64_u32 v[34:35], s[4:5], v21, s26, v[34:35]
	v_mul_lo_u32 v36, v21, s27
	v_mul_lo_u32 v37, v22, s26
	s_mov_b64 s[8:9], 0
	v_add3_u32 v35, v37, v35, v36
	global_load_ubyte v35, v[34:35], off
	s_branch .LBB135_64
.LBB135_63:                             ;   in Loop: Header=BB135_64 Depth=2
	s_or_b64 exec, exec, s[4:5]
	s_waitcnt vmcnt(0)
	v_add_u32_sdwa v35, sext(v35), s70 dst_sel:DWORD dst_unused:UNUSED_PAD src0_sel:BYTE_0 src1_sel:DWORD
	s_and_b64 s[4:5], exec, vcc
	v_and_b32_e32 v36, v35, v32
	v_bfe_u32 v35, v35, s69, 2
	s_or_b64 s[8:9], s[4:5], s[8:9]
	v_cmp_eq_u32_e32 vcc, v36, v28
	v_cmp_eq_u32_e64 s[6:7], 0, v35
	s_and_b64 s[4:5], vcc, s[6:7]
	v_cndmask_b32_e64 v36, 0, 1, s[4:5]
	v_cmp_ne_u32_e64 s[6:7], 0, v36
	s_bcnt1_i32_b64 s4, s[6:7]
	v_add_co_u32_e64 v4, s[6:7], s4, v4
	v_addc_co_u32_e64 v5, s[6:7], 0, v5, s[6:7]
	v_cmp_eq_u32_e64 s[6:7], 1, v35
	s_and_b64 s[4:5], vcc, s[6:7]
	v_cndmask_b32_e64 v36, 0, 1, s[4:5]
	v_cmp_ne_u32_e64 s[6:7], 0, v36
	s_bcnt1_i32_b64 s4, s[6:7]
	v_add_co_u32_e64 v6, s[6:7], s4, v6
	v_addc_co_u32_e64 v7, s[6:7], 0, v7, s[6:7]
	;; [unrolled: 7-line block ×3, first 2 shown]
	v_cmp_eq_u32_e64 s[6:7], 3, v35
	s_and_b64 s[4:5], vcc, s[6:7]
	v_cndmask_b32_e64 v35, 0, 1, s[4:5]
	v_cmp_ne_u32_e32 vcc, 0, v35
	s_bcnt1_i32_b64 s4, vcc
	v_add_co_u32_e32 v10, vcc, s4, v10
	v_addc_co_u32_e32 v11, vcc, 0, v11, vcc
	v_mov_b32_e32 v35, v34
	s_andn2_b64 exec, exec, s[8:9]
	s_cbranch_execz .LBB135_66
.LBB135_64:                             ;   Parent Loop BB135_12 Depth=1
                                        ; =>  This Inner Loop Header: Depth=2
	v_add_co_u32_sdwa v21, vcc, v21, v2 dst_sel:DWORD dst_unused:UNUSED_PAD src0_sel:DWORD src1_sel:WORD_0
	v_addc_co_u32_e32 v22, vcc, 0, v22, vcc
	v_cmp_gt_u64_e64 s[6:7], s[28:29], v[21:22]
	v_cmp_le_u64_e32 vcc, s[28:29], v[21:22]
	v_mov_b32_e32 v34, 0
	s_and_saveexec_b64 s[4:5], s[6:7]
	s_cbranch_execz .LBB135_63
; %bb.65:                               ;   in Loop: Header=BB135_64 Depth=2
	v_mov_b32_e32 v37, s35
	v_mov_b32_e32 v36, s34
	v_mad_u64_u32 v[36:37], s[6:7], v21, s26, v[36:37]
	v_mul_lo_u32 v34, v21, s27
	v_mul_lo_u32 v38, v22, s26
	v_add3_u32 v37, v38, v37, v34
	global_load_ubyte v34, v[36:37], off
	s_branch .LBB135_63
.LBB135_66:                             ;   in Loop: Header=BB135_12 Depth=1
	s_or_b64 exec, exec, s[8:9]
.LBB135_67:                             ;   in Loop: Header=BB135_12 Depth=1
	s_or_b64 exec, exec, s[2:3]
	s_branch .LBB135_46
.LBB135_68:                             ;   in Loop: Header=BB135_12 Depth=1
	v_readlane_b32 s2, v47, 37
	v_readlane_b32 s3, v47, 38
	v_mov_b32_e32 v8, 0
	v_mov_b32_e32 v9, 0
	s_nop 2
	global_load_ushort v2, v3, s[2:3]
	s_waitcnt vmcnt(0)
	v_readfirstlane_b32 s2, v2
	s_and_b32 s4, 0xffff, s2
	s_lshl_b32 s2, s4, 2
	v_cvt_f32_u32_e32 v4, s2
	s_sub_i32 s3, 0, s2
	v_rcp_iflag_f32_e32 v6, v4
	v_mov_b32_e32 v4, 0
	v_mov_b32_e32 v5, 0
	v_mul_f32_e32 v6, 0x4f7ffffe, v6
	v_cvt_u32_f32_e32 v10, v6
	v_mov_b32_e32 v6, 0
	v_mov_b32_e32 v7, 0
	v_readfirstlane_b32 s5, v10
	s_mul_i32 s3, s3, s5
	s_mul_hi_u32 s3, s5, s3
	s_add_i32 s5, s5, s3
	s_mul_hi_u32 s3, s16, s5
	s_mul_i32 s5, s3, s2
	s_sub_i32 s5, s16, s5
	s_add_i32 s6, s3, 1
	s_sub_i32 s7, s5, s2
	s_cmp_ge_u32 s5, s2
	s_cselect_b32 s3, s6, s3
	s_cselect_b32 s5, s7, s5
	s_add_i32 s6, s3, 1
	s_cmp_ge_u32 s5, s2
	s_cselect_b32 s3, s6, s3
	s_mul_hi_u32 s15, s4, s3
	s_mul_i32 s14, s4, s3
	s_lshl_b64 s[20:21], s[14:15], 2
	v_cmp_gt_u64_e32 vcc, s[20:21], v[14:15]
	v_mov_b32_e32 v10, 0
	v_mov_b32_e32 v11, 0
	s_and_saveexec_b64 s[36:37], vcc
	s_cbranch_execz .LBB135_72
; %bb.69:                               ;   in Loop: Header=BB135_12 Depth=1
	v_mov_b32_e32 v22, v15
	s_mov_b64 s[38:39], 0
	v_mov_b32_e32 v34, v14
	s_mov_b64 s[40:41], 0
	s_mov_b64 s[42:43], 0
	;; [unrolled: 1-line block ×4, first 2 shown]
	v_mov_b32_e32 v21, v14
.LBB135_70:                             ;   Parent Loop BB135_12 Depth=1
                                        ; =>  This Inner Loop Header: Depth=2
	ds_read_b32 v4, v34
	v_add_u32_e32 v34, s2, v34
	s_waitcnt lgkmcnt(0)
	v_add_u32_sdwa v5, sext(v4), s70 dst_sel:DWORD dst_unused:UNUSED_PAD src0_sel:BYTE_0 src1_sel:DWORD
	v_add_u32_sdwa v6, sext(v4), s70 dst_sel:DWORD dst_unused:UNUSED_PAD src0_sel:BYTE_1 src1_sel:DWORD
	v_and_b32_e32 v8, v5, v32
	v_bfe_u32 v5, v5, s69, 2
	v_add_u32_sdwa v7, sext(v4), s70 dst_sel:DWORD dst_unused:UNUSED_PAD src0_sel:BYTE_2 src1_sel:DWORD
	v_cmp_eq_u32_e32 vcc, v8, v28
	v_and_b32_e32 v8, v6, v32
	v_bfe_u32 v6, v6, s69, 2
	v_cmp_eq_u32_e64 s[24:25], 0, v5
	v_add_u32_sdwa v4, sext(v4), s70 dst_sel:DWORD dst_unused:UNUSED_PAD src0_sel:BYTE_3 src1_sel:DWORD
	v_cmp_eq_u32_e64 s[6:7], v8, v28
	v_and_b32_e32 v8, v7, v32
	v_bfe_u32 v7, v7, s69, 2
	s_and_b64 s[8:9], vcc, s[24:25]
	v_cmp_eq_u32_e64 s[24:25], 0, v6
	v_cmp_eq_u32_e64 s[18:19], v8, v28
	v_and_b32_e32 v8, v4, v32
	v_bfe_u32 v4, v4, s69, 2
	s_and_b64 s[10:11], s[6:7], s[24:25]
	v_cmp_eq_u32_e64 s[24:25], 0, v7
	v_cmp_eq_u32_e64 s[22:23], v8, v28
	s_and_b64 s[12:13], s[18:19], s[24:25]
	v_cmp_eq_u32_e64 s[24:25], 0, v4
	v_cndmask_b32_e64 v8, 0, 1, s[8:9]
	s_and_b64 s[44:45], s[22:23], s[24:25]
	v_cmp_ne_u32_e64 s[24:25], 0, v8
	v_cndmask_b32_e64 v8, 0, 1, s[10:11]
	s_bcnt1_i32_b64 s3, s[24:25]
	v_cmp_ne_u32_e64 s[24:25], 0, v8
	v_cndmask_b32_e64 v8, 0, 1, s[12:13]
	s_bcnt1_i32_b64 s5, s[24:25]
	;; [unrolled: 3-line block ×3, first 2 shown]
	v_cmp_ne_u32_e64 s[24:25], 0, v8
	s_bcnt1_i32_b64 s9, s[24:25]
	s_add_u32 s3, s3, s48
	s_addc_u32 s10, 0, s49
	s_add_u32 s3, s3, s5
	s_addc_u32 s5, s10, 0
	;; [unrolled: 2-line block ×3, first 2 shown]
	s_add_u32 s48, s3, s9
	v_cmp_eq_u32_e64 s[24:25], 1, v5
	s_addc_u32 s49, s5, 0
	s_and_b64 s[8:9], vcc, s[24:25]
	v_cmp_eq_u32_e64 s[24:25], 1, v6
	s_and_b64 s[10:11], s[6:7], s[24:25]
	v_cmp_eq_u32_e64 s[24:25], 1, v7
	s_and_b64 s[12:13], s[18:19], s[24:25]
	v_cmp_eq_u32_e64 s[24:25], 1, v4
	v_cndmask_b32_e64 v8, 0, 1, s[8:9]
	s_and_b64 s[44:45], s[22:23], s[24:25]
	v_cmp_ne_u32_e64 s[24:25], 0, v8
	v_cndmask_b32_e64 v8, 0, 1, s[10:11]
	s_bcnt1_i32_b64 s3, s[24:25]
	v_cmp_ne_u32_e64 s[24:25], 0, v8
	v_cndmask_b32_e64 v8, 0, 1, s[12:13]
	s_bcnt1_i32_b64 s5, s[24:25]
	;; [unrolled: 3-line block ×3, first 2 shown]
	v_cmp_ne_u32_e64 s[24:25], 0, v8
	s_bcnt1_i32_b64 s9, s[24:25]
	s_add_u32 s3, s3, s46
	s_addc_u32 s10, 0, s47
	s_add_u32 s3, s3, s5
	s_addc_u32 s5, s10, 0
	;; [unrolled: 2-line block ×3, first 2 shown]
	s_add_u32 s46, s3, s9
	v_cmp_eq_u32_e64 s[24:25], 2, v5
	s_addc_u32 s47, s5, 0
	s_and_b64 s[8:9], vcc, s[24:25]
	v_cmp_eq_u32_e64 s[24:25], 2, v6
	s_and_b64 s[10:11], s[6:7], s[24:25]
	v_cmp_eq_u32_e64 s[24:25], 2, v7
	s_and_b64 s[12:13], s[18:19], s[24:25]
	v_cmp_eq_u32_e64 s[24:25], 2, v4
	v_cndmask_b32_e64 v8, 0, 1, s[8:9]
	s_and_b64 s[44:45], s[22:23], s[24:25]
	v_cmp_ne_u32_e64 s[24:25], 0, v8
	v_cndmask_b32_e64 v8, 0, 1, s[10:11]
	s_bcnt1_i32_b64 s3, s[24:25]
	v_cmp_ne_u32_e64 s[24:25], 0, v8
	v_cndmask_b32_e64 v8, 0, 1, s[12:13]
	s_bcnt1_i32_b64 s5, s[24:25]
	;; [unrolled: 3-line block ×3, first 2 shown]
	v_cmp_ne_u32_e64 s[24:25], 0, v8
	s_bcnt1_i32_b64 s9, s[24:25]
	s_add_u32 s3, s3, s42
	s_addc_u32 s10, 0, s43
	s_add_u32 s3, s3, s5
	s_addc_u32 s5, s10, 0
	;; [unrolled: 2-line block ×3, first 2 shown]
	s_add_u32 s42, s3, s9
	v_cmp_eq_u32_e64 s[24:25], 3, v5
	s_addc_u32 s43, s5, 0
	s_and_b64 s[8:9], vcc, s[24:25]
	v_cmp_eq_u32_e32 vcc, 3, v6
	s_and_b64 s[6:7], s[6:7], vcc
	v_cmp_eq_u32_e32 vcc, 3, v7
	s_and_b64 s[10:11], s[18:19], vcc
	v_cmp_eq_u32_e32 vcc, 3, v4
	v_cndmask_b32_e64 v4, 0, 1, s[8:9]
	s_and_b64 s[12:13], s[22:23], vcc
	v_cmp_ne_u32_e32 vcc, 0, v4
	v_cndmask_b32_e64 v4, 0, 1, s[6:7]
	s_bcnt1_i32_b64 s3, vcc
	v_cmp_ne_u32_e32 vcc, 0, v4
	v_cndmask_b32_e64 v4, 0, 1, s[10:11]
	s_bcnt1_i32_b64 s5, vcc
	;; [unrolled: 3-line block ×3, first 2 shown]
	v_cmp_ne_u32_e32 vcc, 0, v4
	s_bcnt1_i32_b64 s7, vcc
	s_add_u32 s3, s3, s40
	s_addc_u32 s8, 0, s41
	s_add_u32 s3, s3, s5
	s_addc_u32 s5, s8, 0
	s_add_u32 s3, s3, s6
	v_add_co_u32_e32 v21, vcc, s2, v21
	s_addc_u32 s5, s5, 0
	v_addc_co_u32_e32 v22, vcc, 0, v22, vcc
	s_add_u32 s40, s3, s7
	v_cmp_le_u64_e32 vcc, s[20:21], v[21:22]
	s_addc_u32 s41, s5, 0
	v_mov_b32_e32 v4, s48
	v_mov_b32_e32 v6, s46
	;; [unrolled: 1-line block ×4, first 2 shown]
	s_or_b64 s[38:39], vcc, s[38:39]
	v_mov_b32_e32 v5, s49
	v_mov_b32_e32 v7, s47
	;; [unrolled: 1-line block ×4, first 2 shown]
	s_andn2_b64 exec, exec, s[38:39]
	s_cbranch_execnz .LBB135_70
; %bb.71:                               ;   in Loop: Header=BB135_12 Depth=1
	s_or_b64 exec, exec, s[38:39]
.LBB135_72:                             ;   in Loop: Header=BB135_12 Depth=1
	s_or_b64 exec, exec, s[36:37]
	v_mov_b32_e32 v22, s21
	v_add_co_u32_e32 v21, vcc, s20, v0
	s_and_b32 s58, s16, 0x7fffffff
	v_addc_co_u32_e32 v22, vcc, 0, v22, vcc
	v_cmp_gt_u64_e32 vcc, s[58:59], v[21:22]
	s_and_saveexec_b64 s[2:3], vcc
	s_cbranch_execz .LBB135_76
; %bb.73:                               ;   in Loop: Header=BB135_12 Depth=1
	v_lshl_add_u32 v34, s14, 2, v0
	s_mov_b64 s[8:9], 0
.LBB135_74:                             ;   Parent Loop BB135_12 Depth=1
                                        ; =>  This Inner Loop Header: Depth=2
	ds_read_i8 v35, v34
	v_add_u32_e32 v34, s4, v34
	s_waitcnt lgkmcnt(0)
	v_add_u32_e32 v35, 0x80, v35
	v_and_b32_e32 v36, v35, v32
	v_bfe_u32 v35, v35, s69, 2
	v_cmp_eq_u32_e32 vcc, v36, v28
	v_cmp_eq_u32_e64 s[6:7], 0, v35
	s_and_b64 s[6:7], vcc, s[6:7]
	v_cndmask_b32_e64 v36, 0, 1, s[6:7]
	v_cmp_ne_u32_e64 s[6:7], 0, v36
	s_bcnt1_i32_b64 s5, s[6:7]
	v_add_co_u32_e64 v4, s[6:7], s5, v4
	v_addc_co_u32_e64 v5, s[6:7], 0, v5, s[6:7]
	v_cmp_eq_u32_e64 s[6:7], 1, v35
	s_and_b64 s[6:7], vcc, s[6:7]
	v_cndmask_b32_e64 v36, 0, 1, s[6:7]
	v_cmp_ne_u32_e64 s[6:7], 0, v36
	s_bcnt1_i32_b64 s5, s[6:7]
	v_add_co_u32_e64 v6, s[6:7], s5, v6
	v_addc_co_u32_e64 v7, s[6:7], 0, v7, s[6:7]
	;; [unrolled: 7-line block ×3, first 2 shown]
	v_cmp_eq_u32_e64 s[6:7], 3, v35
	s_and_b64 s[6:7], vcc, s[6:7]
	v_cndmask_b32_e64 v35, 0, 1, s[6:7]
	v_cmp_ne_u32_e32 vcc, 0, v35
	s_bcnt1_i32_b64 s5, vcc
	v_add_co_u32_e32 v10, vcc, s5, v10
	v_addc_co_u32_e32 v11, vcc, 0, v11, vcc
	v_add_co_u32_sdwa v21, vcc, v21, v2 dst_sel:DWORD dst_unused:UNUSED_PAD src0_sel:DWORD src1_sel:WORD_0
	v_addc_co_u32_e32 v22, vcc, 0, v22, vcc
	v_cmp_le_u64_e32 vcc, s[58:59], v[21:22]
	s_or_b64 s[8:9], vcc, s[8:9]
	s_andn2_b64 exec, exec, s[8:9]
	s_cbranch_execnz .LBB135_74
; %bb.75:                               ;   in Loop: Header=BB135_12 Depth=1
	s_or_b64 exec, exec, s[8:9]
.LBB135_76:                             ;   in Loop: Header=BB135_12 Depth=1
	s_or_b64 exec, exec, s[2:3]
	v_readlane_b32 s58, v47, 55
	s_lshl_b32 s4, s71, 6
	s_and_saveexec_b64 s[2:3], s[0:1]
	s_cbranch_execnz .LBB135_47
	s_branch .LBB135_48
.LBB135_77:                             ;   in Loop: Header=BB135_12 Depth=1
                                        ; implicit-def: $sgpr2_sgpr3
	s_branch .LBB135_56
.LBB135_78:                             ;   in Loop: Header=BB135_12 Depth=1
	v_mov_b32_e32 v4, 0
	v_mov_b32_e32 v5, 0
	s_mov_b32 s5, 0
.LBB135_79:                             ;   in Loop: Header=BB135_12 Depth=1
	v_readlane_b32 s6, v47, 44
	v_readlane_b32 s7, v47, 45
	s_andn2_b64 vcc, exec, s[6:7]
	s_cbranch_vccnz .LBB135_82
; %bb.80:                               ;   in Loop: Header=BB135_12 Depth=1
	s_lshl_b32 s6, s71, 9
	s_lshl_b32 s5, s5, 5
	s_add_i32 s6, s6, s5
	v_add_u32_e32 v2, s6, v29
	v_readlane_b32 s5, v47, 43
.LBB135_81:                             ;   Parent Loop BB135_12 Depth=1
                                        ; =>  This Inner Loop Header: Depth=2
	ds_read_b64 v[6:7], v2
	s_add_i32 s5, s5, -1
	v_add_u32_e32 v2, 32, v2
	s_cmp_lg_u32 s5, 0
	s_waitcnt lgkmcnt(0)
	v_add_co_u32_e32 v4, vcc, v6, v4
	v_addc_co_u32_e32 v5, vcc, v7, v5, vcc
	s_cbranch_scc1 .LBB135_81
.LBB135_82:                             ;   in Loop: Header=BB135_12 Depth=1
	v_add_lshl_u32 v2, s4, v26, 3
	ds_write_b64 v2, v[4:5] offset:3072
.LBB135_83:                             ;   in Loop: Header=BB135_12 Depth=1
	s_or_b64 exec, exec, s[2:3]
	s_lshl_b32 s2, s4, 3
	v_mov_b32_e32 v2, s2
	s_waitcnt lgkmcnt(0)
	s_barrier
	ds_read_b128 v[4:7], v2 offset:3072
	ds_read_b128 v[8:11], v2 offset:3088
	v_readlane_b32 s2, v47, 22
	s_lshl_b32 s60, 3, s69
	v_cmp_eq_u64_e64 s[18:19], 1, v[19:20]
	v_readlane_b32 s3, v47, 23
	s_waitcnt lgkmcnt(1)
	v_readfirstlane_b32 s23, v5
	v_readfirstlane_b32 s22, v4
	;; [unrolled: 1-line block ×4, first 2 shown]
	s_waitcnt lgkmcnt(0)
	v_readfirstlane_b32 s57, v9
	v_readfirstlane_b32 s56, v8
	;; [unrolled: 1-line block ×4, first 2 shown]
	s_not_b32 s61, s60
	s_mov_b64 s[50:51], -1
	s_mov_b64 s[24:25], 0
	s_andn2_b64 vcc, exec, s[2:3]
	s_mov_b64 s[40:41], 0
	s_mov_b64 s[38:39], 0
                                        ; implicit-def: $sgpr42_sgpr43
                                        ; implicit-def: $sgpr16_sgpr17
                                        ; implicit-def: $vgpr4_vgpr5
                                        ; implicit-def: $vgpr2
                                        ; implicit-def: $vgpr9
                                        ; implicit-def: $vgpr8
                                        ; implicit-def: $vgpr10
	s_cbranch_vccnz .LBB135_281
; %bb.84:                               ;   in Loop: Header=BB135_12 Depth=1
	s_cmp_eq_u64 s[22:23], 1
	s_cselect_b64 s[2:3], -1, 0
	s_and_b64 s[2:3], s[2:3], s[18:19]
	s_mov_b64 s[8:9], -1
	v_mov_b32_e32 v9, v28
	v_mov_b32_e32 v8, v32
	;; [unrolled: 1-line block ×3, first 2 shown]
                                        ; implicit-def: $sgpr16_sgpr17
                                        ; implicit-def: $sgpr42_sgpr43
	s_and_saveexec_b64 s[6:7], s[2:3]
	s_cbranch_execz .LBB135_122
; %bb.85:                               ;   in Loop: Header=BB135_12 Depth=1
	ds_read_b64 v[4:5], v3 offset:5120
	s_waitcnt lgkmcnt(0)
	s_barrier
	v_readfirstlane_b32 s10, v4
	v_readfirstlane_b32 s11, v5
	s_mov_b64 s[4:5], exec
	v_readlane_b32 s8, v47, 30
	v_readlane_b32 s9, v47, 31
	s_and_b64 s[8:9], s[4:5], s[8:9]
	s_mov_b64 exec, s[8:9]
; %bb.86:                               ;   in Loop: Header=BB135_12 Depth=1
	ds_write_b8 v0, v3 offset:3072
; %bb.87:                               ;   in Loop: Header=BB135_12 Depth=1
	s_or_b64 exec, exec, s[4:5]
	v_and_b32_e32 v9, s61, v28
	v_or_b32_e32 v8, s60, v32
	s_mov_b64 s[42:43], -1
	s_mov_b64 s[16:17], 0
	s_cmp_eq_u64 s[10:11], 0
	s_mov_b64 s[8:9], 0
	s_mov_b64 s[14:15], -1
	s_waitcnt lgkmcnt(0)
	s_barrier
                                        ; implicit-def: $vgpr10
	s_cbranch_scc1 .LBB135_104
; %bb.88:                               ;   in Loop: Header=BB135_12 Depth=1
	v_readlane_b32 s4, v47, 34
	s_add_u32 s14, s10, s4
	v_readlane_b32 s4, v47, 36
	s_addc_u32 s9, s11, s4
	s_mov_b32 s8, s59
	s_cmp_lg_u64 s[8:9], 0
	s_cbranch_scc0 .LBB135_107
; %bb.89:                               ;   in Loop: Header=BB135_12 Depth=1
	v_cvt_f32_u32_e32 v2, s33
	s_sub_u32 s8, 0, s33
	s_subb_u32 s12, 0, 0
	v_mac_f32_e32 v2, 0, v30
	v_rcp_f32_e32 v2, v2
	v_mul_f32_e32 v2, 0x5f7ffffc, v2
	v_mul_f32_e32 v4, 0x2f800000, v2
	v_trunc_f32_e32 v4, v4
	v_mac_f32_e32 v2, 0xcf800000, v4
	v_cvt_u32_f32_e32 v4, v4
	v_cvt_u32_f32_e32 v2, v2
	v_readfirstlane_b32 s13, v4
	v_readfirstlane_b32 s4, v2
	s_mul_i32 s5, s8, s13
	s_mul_hi_u32 s20, s8, s4
	s_mul_i32 s15, s12, s4
	s_add_i32 s5, s20, s5
	s_mul_i32 s21, s8, s4
	s_add_i32 s5, s5, s15
	s_mul_hi_u32 s20, s4, s21
	s_mul_i32 s38, s4, s5
	s_mul_hi_u32 s15, s4, s5
	s_add_u32 s20, s20, s38
	s_addc_u32 s15, 0, s15
	s_mul_hi_u32 s39, s13, s21
	s_mul_i32 s21, s13, s21
	s_add_u32 s20, s20, s21
	s_mul_hi_u32 s38, s13, s5
	s_addc_u32 s15, s15, s39
	s_addc_u32 s20, s38, 0
	s_mul_i32 s5, s13, s5
	s_add_u32 s5, s15, s5
	s_addc_u32 s15, 0, s20
	s_add_u32 s20, s4, s5
	s_cselect_b64 s[4:5], -1, 0
	s_cmp_lg_u64 s[4:5], 0
	s_addc_u32 s13, s13, s15
	s_mul_i32 s4, s8, s13
	s_mul_hi_u32 s5, s8, s20
	s_add_i32 s4, s5, s4
	s_mul_i32 s12, s12, s20
	s_add_i32 s4, s4, s12
	s_mul_i32 s8, s8, s20
	s_mul_hi_u32 s12, s13, s8
	s_mul_i32 s15, s13, s8
	s_mul_i32 s38, s20, s4
	s_mul_hi_u32 s8, s20, s8
	s_mul_hi_u32 s21, s20, s4
	s_add_u32 s8, s8, s38
	s_addc_u32 s21, 0, s21
	s_add_u32 s8, s8, s15
	s_mul_hi_u32 s5, s13, s4
	s_addc_u32 s8, s21, s12
	s_addc_u32 s5, s5, 0
	s_mul_i32 s4, s13, s4
	s_add_u32 s4, s8, s4
	s_addc_u32 s8, 0, s5
	s_add_u32 s12, s20, s4
	s_cselect_b64 s[4:5], -1, 0
	s_cmp_lg_u64 s[4:5], 0
	s_addc_u32 s4, s13, s8
	s_mul_i32 s8, s14, s4
	s_mul_hi_u32 s13, s14, s12
	s_mul_hi_u32 s5, s14, s4
	s_add_u32 s8, s13, s8
	s_addc_u32 s5, 0, s5
	s_mul_hi_u32 s15, s9, s12
	s_mul_i32 s12, s9, s12
	s_add_u32 s8, s8, s12
	s_mul_hi_u32 s13, s9, s4
	s_addc_u32 s5, s5, s15
	s_addc_u32 s8, s13, 0
	s_mul_i32 s4, s9, s4
	s_add_u32 s4, s5, s4
	s_addc_u32 s5, 0, s8
	s_mul_i32 s5, s33, s5
	s_mul_hi_u32 s8, s33, s4
	s_add_i32 s8, s8, s5
	s_mul_i32 s4, s33, s4
	s_sub_u32 s12, s14, s4
	s_cselect_b64 s[4:5], -1, 0
	s_cmp_lg_u64 s[4:5], 0
	s_subb_u32 s8, s9, s8
	s_sub_u32 s13, s12, s33
	s_cselect_b64 s[4:5], -1, 0
	s_cmp_lg_u64 s[4:5], 0
	s_subb_u32 s15, s8, 0
	;; [unrolled: 4-line block ×3, first 2 shown]
	s_cmp_ge_u32 s13, s33
	s_cselect_b32 s5, -1, 0
	s_cmp_eq_u32 s15, 0
	s_cselect_b32 s5, s5, -1
	s_cmp_lg_u32 s5, 0
	s_cselect_b32 s4, s4, s15
	s_cselect_b32 s5, s20, s13
	s_cmp_ge_u32 s12, s33
	s_cselect_b32 s13, -1, 0
	s_cmp_eq_u32 s8, 0
	s_cselect_b32 s13, s13, -1
	s_cmp_lg_u32 s13, 0
	s_cselect_b32 s13, s4, s8
	s_cselect_b32 s12, s5, s12
	s_cbranch_execnz .LBB135_91
.LBB135_90:                             ;   in Loop: Header=BB135_12 Depth=1
	v_cvt_f32_u32_e32 v2, s33
	s_sub_i32 s4, 0, s33
	v_rcp_iflag_f32_e32 v2, v2
	v_mul_f32_e32 v2, 0x4f7ffffe, v2
	v_cvt_u32_f32_e32 v2, v2
	v_readfirstlane_b32 s5, v2
	s_mul_i32 s4, s4, s5
	s_mul_hi_u32 s4, s5, s4
	s_add_i32 s5, s5, s4
	s_mul_hi_u32 s4, s14, s5
	s_mul_i32 s4, s4, s33
	s_sub_i32 s4, s14, s4
	s_sub_i32 s5, s4, s33
	s_cmp_ge_u32 s4, s33
	s_cselect_b32 s4, s5, s4
	s_sub_i32 s5, s4, s33
	s_cmp_ge_u32 s4, s33
	s_cselect_b32 s58, s5, s4
	s_mov_b64 s[12:13], s[58:59]
	v_readlane_b32 s58, v47, 55
.LBB135_91:                             ;   in Loop: Header=BB135_12 Depth=1
	s_sub_u32 s38, s14, s12
	s_subb_u32 s39, s9, s13
	v_cmp_gt_u64_e32 vcc, s[38:39], v[0:1]
	s_mov_b64 s[14:15], 0
	s_mov_b64 s[8:9], 0
                                        ; implicit-def: $vgpr10
	s_and_saveexec_b64 s[20:21], vcc
	s_cbranch_execz .LBB135_103
; %bb.92:                               ;   in Loop: Header=BB135_12 Depth=1
	v_mov_b32_e32 v5, v1
	v_mov_b32_e32 v2, v0
	;; [unrolled: 1-line block ×3, first 2 shown]
                                        ; implicit-def: $sgpr12_sgpr13
	s_branch .LBB135_95
.LBB135_93:                             ;   in Loop: Header=BB135_95 Depth=2
	s_or_b64 exec, exec, s[4:5]
	s_waitcnt lgkmcnt(0)
	s_barrier
	ds_read_u16 v6, v3 offset:3072
	s_mov_b64 s[4:5], -1
	s_waitcnt lgkmcnt(0)
	s_barrier
	v_cmp_ne_u32_sdwa s[40:41], v6, v3 src0_sel:BYTE_0 src1_sel:DWORD
	s_and_b64 vcc, exec, s[40:41]
	s_mov_b64 s[40:41], -1
	s_cbranch_vccz .LBB135_98
.LBB135_94:                             ;   in Loop: Header=BB135_95 Depth=2
	s_and_b64 s[4:5], exec, s[4:5]
	s_or_b64 s[8:9], s[4:5], s[8:9]
	s_andn2_b64 s[4:5], s[12:13], exec
	s_and_b64 s[12:13], s[40:41], exec
	s_or_b64 s[12:13], s[4:5], s[12:13]
	s_andn2_b64 exec, exec, s[8:9]
	s_cbranch_execz .LBB135_102
.LBB135_95:                             ;   Parent Loop BB135_12 Depth=1
                                        ; =>  This Inner Loop Header: Depth=2
	v_cmp_gt_u64_e32 vcc, s[10:11], v[4:5]
	s_and_saveexec_b64 s[4:5], vcc
	s_cbranch_execz .LBB135_93
; %bb.96:                               ;   in Loop: Header=BB135_95 Depth=2
	ds_read_u8 v6, v2
	s_waitcnt lgkmcnt(0)
	v_add_u32_sdwa v7, sext(v6), s70 dst_sel:DWORD dst_unused:UNUSED_PAD src0_sel:BYTE_0 src1_sel:DWORD
	v_and_b32_e32 v7, v7, v8
	v_cmp_eq_u32_e32 vcc, v7, v9
	s_and_b64 exec, exec, vcc
	s_cbranch_execz .LBB135_93
; %bb.97:                               ;   in Loop: Header=BB135_95 Depth=2
	v_lshlrev_b16_e32 v6, 8, v6
	v_or_b32_e32 v6, 1, v6
	ds_write_b16 v3, v6 offset:3072
	s_branch .LBB135_93
.LBB135_98:                             ;   in Loop: Header=BB135_95 Depth=2
	v_add_co_u32_e32 v4, vcc, s33, v4
	v_addc_co_u32_e32 v5, vcc, 0, v5, vcc
	v_cmp_le_u64_e32 vcc, s[38:39], v[4:5]
	v_add_u32_e32 v2, s33, v2
	s_mov_b64 s[40:41], 0
	s_orn2_b64 s[4:5], vcc, exec
	s_branch .LBB135_94
.LBB135_99:                             ;   in Loop: Header=BB135_12 Depth=1
	s_or_b64 exec, exec, s[8:9]
	s_waitcnt lgkmcnt(0)
	s_barrier
	s_mov_b64 s[4:5], exec
	v_readlane_b32 s6, v47, 12
	v_readlane_b32 s7, v47, 13
	s_and_b64 s[6:7], s[4:5], s[6:7]
	s_mov_b64 exec, s[6:7]
	s_cbranch_execz .LBB135_101
; %bb.100:                              ;   in Loop: Header=BB135_12 Depth=1
	ds_read_b32 v4, v3 offset:5144
	s_waitcnt lgkmcnt(0)
	v_ashrrev_i32_e32 v5, 31, v4
	ds_write_b64 v3, v[4:5] offset:5120
.LBB135_101:                            ;   in Loop: Header=BB135_12 Depth=1
	s_or_b64 exec, exec, s[4:5]
	s_waitcnt lgkmcnt(0)
	s_barrier
	s_mov_b64 s[6:7], -1
	s_and_b64 vcc, exec, s[2:3]
	s_cbranch_vccnz .LBB135_27
	s_branch .LBB135_42
.LBB135_102:                            ;   in Loop: Header=BB135_12 Depth=1
	s_or_b64 exec, exec, s[8:9]
	v_lshrrev_b32_sdwa v10, v31, v6 dst_sel:DWORD dst_unused:UNUSED_PAD src0_sel:DWORD src1_sel:WORD_0
	s_and_b64 s[8:9], s[12:13], exec
.LBB135_103:                            ;   in Loop: Header=BB135_12 Depth=1
	s_or_b64 exec, exec, s[20:21]
.LBB135_104:                            ;   in Loop: Header=BB135_12 Depth=1
	s_and_b64 vcc, exec, s[14:15]
	s_cbranch_vccz .LBB135_121
; %bb.105:                              ;   in Loop: Header=BB135_12 Depth=1
	s_mov_b32 s66, s59
	s_cmp_lg_u64 s[66:67], 0
	s_cbranch_scc0 .LBB135_108
; %bb.106:                              ;   in Loop: Header=BB135_12 Depth=1
	v_cvt_f32_u32_e32 v2, s33
	s_sub_u32 s10, 0, s33
	s_subb_u32 s11, 0, 0
	v_mac_f32_e32 v2, 0, v30
	v_rcp_f32_e32 v2, v2
	v_mul_f32_e32 v2, 0x5f7ffffc, v2
	v_mul_f32_e32 v4, 0x2f800000, v2
	v_trunc_f32_e32 v4, v4
	v_mac_f32_e32 v2, 0xcf800000, v4
	v_cvt_u32_f32_e32 v4, v4
	v_cvt_u32_f32_e32 v2, v2
	v_readfirstlane_b32 s12, v4
	v_readfirstlane_b32 s4, v2
	s_mul_i32 s5, s10, s12
	s_mul_hi_u32 s14, s10, s4
	s_mul_i32 s13, s11, s4
	s_add_i32 s5, s14, s5
	s_mul_i32 s15, s10, s4
	s_add_i32 s5, s5, s13
	s_mul_hi_u32 s14, s4, s15
	s_mul_i32 s16, s4, s5
	s_mul_hi_u32 s13, s4, s5
	s_add_u32 s14, s14, s16
	s_addc_u32 s13, 0, s13
	s_mul_hi_u32 s17, s12, s15
	s_mul_i32 s15, s12, s15
	s_add_u32 s14, s14, s15
	s_mul_hi_u32 s16, s12, s5
	s_addc_u32 s13, s13, s17
	s_addc_u32 s14, s16, 0
	s_mul_i32 s5, s12, s5
	s_add_u32 s5, s13, s5
	s_addc_u32 s13, 0, s14
	s_add_u32 s14, s4, s5
	s_cselect_b64 s[4:5], -1, 0
	s_cmp_lg_u64 s[4:5], 0
	s_addc_u32 s12, s12, s13
	s_mul_i32 s4, s10, s12
	s_mul_hi_u32 s5, s10, s14
	s_add_i32 s4, s5, s4
	s_mul_i32 s11, s11, s14
	s_add_i32 s4, s4, s11
	s_mul_i32 s10, s10, s14
	s_mul_hi_u32 s11, s12, s10
	s_mul_i32 s13, s12, s10
	s_mul_i32 s16, s14, s4
	s_mul_hi_u32 s10, s14, s10
	s_mul_hi_u32 s15, s14, s4
	s_add_u32 s10, s10, s16
	s_addc_u32 s15, 0, s15
	s_add_u32 s10, s10, s13
	s_mul_hi_u32 s5, s12, s4
	s_addc_u32 s10, s15, s11
	s_addc_u32 s5, s5, 0
	s_mul_i32 s4, s12, s4
	s_add_u32 s4, s10, s4
	s_addc_u32 s10, 0, s5
	s_add_u32 s11, s14, s4
	s_cselect_b64 s[4:5], -1, 0
	s_cmp_lg_u64 s[4:5], 0
	s_addc_u32 s4, s12, s10
	v_readlane_b32 s15, v47, 35
	s_mul_i32 s10, s15, s4
	s_mul_hi_u32 s12, s15, s11
	s_mul_hi_u32 s5, s15, s4
	s_add_u32 s10, s12, s10
	s_addc_u32 s5, 0, s5
	s_mul_hi_u32 s13, s67, s11
	s_mul_i32 s11, s67, s11
	s_add_u32 s10, s10, s11
	s_mul_hi_u32 s12, s67, s4
	s_addc_u32 s5, s5, s13
	s_addc_u32 s10, s12, 0
	s_mul_i32 s4, s67, s4
	s_add_u32 s4, s5, s4
	s_addc_u32 s5, 0, s10
	s_mul_i32 s5, s33, s5
	s_mul_hi_u32 s10, s33, s4
	s_add_i32 s10, s10, s5
	s_mul_i32 s4, s33, s4
	s_sub_u32 s12, s15, s4
	s_cselect_b64 s[4:5], -1, 0
	s_cmp_lg_u64 s[4:5], 0
	s_subb_u32 s10, s67, s10
	s_sub_u32 s11, s12, s33
	s_cselect_b64 s[4:5], -1, 0
	s_cmp_lg_u64 s[4:5], 0
	s_subb_u32 s13, s10, 0
	;; [unrolled: 4-line block ×3, first 2 shown]
	s_cmp_ge_u32 s11, s33
	s_cselect_b32 s5, -1, 0
	s_cmp_eq_u32 s13, 0
	s_cselect_b32 s5, s5, -1
	s_cmp_lg_u32 s5, 0
	s_cselect_b32 s4, s4, s13
	s_cselect_b32 s5, s14, s11
	s_cmp_ge_u32 s12, s33
	s_cselect_b32 s11, -1, 0
	s_cmp_eq_u32 s10, 0
	s_cselect_b32 s11, s11, -1
	s_cmp_lg_u32 s11, 0
	s_cselect_b32 s11, s4, s10
	s_cselect_b32 s10, s5, s12
	s_mov_b64 s[4:5], 0
	s_branch .LBB135_109
.LBB135_107:                            ;   in Loop: Header=BB135_12 Depth=1
                                        ; implicit-def: $sgpr12_sgpr13
	s_branch .LBB135_90
.LBB135_108:                            ;   in Loop: Header=BB135_12 Depth=1
	s_mov_b64 s[4:5], -1
	v_readlane_b32 s15, v47, 35
                                        ; implicit-def: $sgpr10_sgpr11
.LBB135_109:                            ;   in Loop: Header=BB135_12 Depth=1
	s_andn2_b64 vcc, exec, s[4:5]
	v_readlane_b32 s66, v47, 54
	s_cbranch_vccnz .LBB135_111
; %bb.110:                              ;   in Loop: Header=BB135_12 Depth=1
	v_cvt_f32_u32_e32 v2, s33
	s_sub_i32 s4, 0, s33
	v_rcp_iflag_f32_e32 v2, v2
	v_mul_f32_e32 v2, 0x4f7ffffe, v2
	v_cvt_u32_f32_e32 v2, v2
	v_readfirstlane_b32 s5, v2
	s_mul_i32 s4, s4, s5
	s_mul_hi_u32 s4, s5, s4
	s_add_i32 s5, s5, s4
	s_mul_hi_u32 s4, s15, s5
	s_mul_i32 s4, s4, s33
	s_sub_i32 s4, s15, s4
	s_sub_i32 s5, s4, s33
	s_cmp_ge_u32 s4, s33
	s_cselect_b32 s4, s5, s4
	s_sub_i32 s5, s4, s33
	s_cmp_ge_u32 s4, s33
	s_cselect_b32 s58, s5, s4
	s_mov_b64 s[10:11], s[58:59]
	v_readlane_b32 s58, v47, 55
.LBB135_111:                            ;   in Loop: Header=BB135_12 Depth=1
	s_sub_u32 s14, s15, s10
	s_subb_u32 s15, s67, s11
	v_cmp_gt_u64_e32 vcc, s[14:15], v[0:1]
                                        ; implicit-def: $vgpr10
	s_and_saveexec_b64 s[10:11], vcc
	s_cbranch_execz .LBB135_120
; %bb.112:                              ;   in Loop: Header=BB135_12 Depth=1
	v_mov_b32_e32 v5, v1
	s_mov_b64 s[16:17], 0
	v_mov_b32_e32 v4, v0
                                        ; implicit-def: $sgpr20_sgpr21
	s_branch .LBB135_115
.LBB135_113:                            ;   in Loop: Header=BB135_115 Depth=2
	s_or_b64 exec, exec, s[12:13]
	s_waitcnt lgkmcnt(0)
	s_barrier
	ds_read_u16 v2, v3 offset:3072
	s_mov_b64 s[4:5], -1
	s_waitcnt lgkmcnt(0)
	s_barrier
	v_cmp_ne_u32_sdwa s[12:13], v2, v3 src0_sel:BYTE_0 src1_sel:DWORD
	s_and_b64 vcc, exec, s[12:13]
	s_mov_b64 s[12:13], -1
	s_cbranch_vccz .LBB135_118
.LBB135_114:                            ;   in Loop: Header=BB135_115 Depth=2
	s_and_b64 s[4:5], exec, s[4:5]
	s_or_b64 s[16:17], s[4:5], s[16:17]
	s_andn2_b64 s[4:5], s[20:21], exec
	s_and_b64 s[12:13], s[12:13], exec
	s_or_b64 s[20:21], s[4:5], s[12:13]
	s_andn2_b64 exec, exec, s[16:17]
	s_cbranch_execz .LBB135_119
.LBB135_115:                            ;   Parent Loop BB135_12 Depth=1
                                        ; =>  This Inner Loop Header: Depth=2
	v_cmp_gt_u64_e32 vcc, s[28:29], v[4:5]
	s_and_saveexec_b64 s[12:13], vcc
	s_cbranch_execz .LBB135_113
; %bb.116:                              ;   in Loop: Header=BB135_115 Depth=2
	v_mov_b32_e32 v6, s34
	v_mov_b32_e32 v7, s35
	v_mad_u64_u32 v[6:7], s[4:5], v4, s26, v[6:7]
	v_mul_lo_u32 v2, v4, s27
	v_mul_lo_u32 v10, v5, s26
	v_add3_u32 v7, v10, v7, v2
	global_load_ubyte v2, v[6:7], off
	s_waitcnt vmcnt(0)
	v_add_u32_sdwa v6, sext(v2), s70 dst_sel:DWORD dst_unused:UNUSED_PAD src0_sel:BYTE_0 src1_sel:DWORD
	v_and_b32_e32 v6, v6, v8
	v_cmp_eq_u32_e32 vcc, v6, v9
	s_and_b64 exec, exec, vcc
	s_cbranch_execz .LBB135_113
; %bb.117:                              ;   in Loop: Header=BB135_115 Depth=2
	v_lshlrev_b16_e32 v2, 8, v2
	v_or_b32_e32 v2, 1, v2
	ds_write_b16 v3, v2 offset:3072
	s_branch .LBB135_113
.LBB135_118:                            ;   in Loop: Header=BB135_115 Depth=2
	v_add_co_u32_e32 v4, vcc, s33, v4
	v_addc_co_u32_e32 v5, vcc, 0, v5, vcc
	v_cmp_le_u64_e32 vcc, s[14:15], v[4:5]
	s_mov_b64 s[12:13], 0
	s_orn2_b64 s[4:5], vcc, exec
	s_branch .LBB135_114
.LBB135_119:                            ;   in Loop: Header=BB135_12 Depth=1
	s_or_b64 exec, exec, s[16:17]
	s_andn2_b64 s[4:5], s[8:9], exec
	s_and_b64 s[8:9], s[20:21], exec
	v_lshrrev_b32_sdwa v10, v31, v2 dst_sel:DWORD dst_unused:UNUSED_PAD src0_sel:DWORD src1_sel:WORD_0
	s_or_b64 s[8:9], s[4:5], s[8:9]
.LBB135_120:                            ;   in Loop: Header=BB135_12 Depth=1
	s_or_b64 exec, exec, s[10:11]
	s_mov_b64 s[42:43], 0
	s_mov_b64 s[16:17], -1
.LBB135_121:                            ;   in Loop: Header=BB135_12 Depth=1
	s_orn2_b64 s[8:9], s[8:9], exec
.LBB135_122:                            ;   in Loop: Header=BB135_12 Depth=1
	s_or_b64 exec, exec, s[6:7]
	s_mov_b64 s[50:51], 0
	s_mov_b64 s[40:41], 0
	;; [unrolled: 1-line block ×3, first 2 shown]
                                        ; implicit-def: $vgpr4_vgpr5
                                        ; implicit-def: $vgpr2
	s_and_saveexec_b64 s[52:53], s[8:9]
	s_cbranch_execz .LBB135_280
; %bb.123:                              ;   in Loop: Header=BB135_12 Depth=1
	v_mov_b32_e32 v4, 1
	s_xor_b64 s[4:5], s[2:3], -1
	v_mov_b32_e32 v2, 1
	v_mov_b32_e32 v5, 0
	s_mov_b64 s[6:7], 0
	s_and_saveexec_b64 s[2:3], s[4:5]
	s_cbranch_execz .LBB135_132
; %bb.124:                              ;   in Loop: Header=BB135_12 Depth=1
	v_cmp_ge_u64_e32 vcc, s[22:23], v[19:20]
	s_and_saveexec_b64 s[4:5], vcc
	s_xor_b64 s[6:7], exec, s[4:5]
	s_cbranch_execz .LBB135_129
; %bb.125:                              ;   in Loop: Header=BB135_12 Depth=1
	ds_read_b64 v[4:5], v3 offset:5120
	v_and_b32_e32 v9, s61, v9
	v_or_b32_e32 v8, s60, v8
	s_waitcnt lgkmcnt(0)
	v_cmp_ne_u64_e32 vcc, 0, v[4:5]
	s_cbranch_vccnz .LBB135_129
; %bb.126:                              ;   in Loop: Header=BB135_12 Depth=1
	s_mov_b64 s[4:5], exec
	v_readlane_b32 s8, v47, 12
	v_readlane_b32 s9, v47, 13
	s_and_b64 s[8:9], s[4:5], s[8:9]
	s_mov_b64 exec, s[8:9]
; %bb.127:                              ;   in Loop: Header=BB135_12 Depth=1
	v_mov_b32_e32 v4, s22
	v_mov_b32_e32 v5, s23
	ds_write_b64 v3, v[4:5] offset:5128
; %bb.128:                              ;   in Loop: Header=BB135_12 Depth=1
	s_or_b64 exec, exec, s[4:5]
	s_waitcnt lgkmcnt(0)
	s_barrier
.LBB135_129:                            ;   in Loop: Header=BB135_12 Depth=1
	s_or_saveexec_b64 s[6:7], s[6:7]
	v_mov_b32_e32 v4, v19
	s_mov_b64 s[8:9], 0
	v_mov_b32_e32 v2, 8
	v_mov_b32_e32 v5, v20
	s_xor_b64 exec, exec, s[6:7]
; %bb.130:                              ;   in Loop: Header=BB135_12 Depth=1
	v_subrev_co_u32_e32 v4, vcc, s22, v19
	v_mov_b32_e32 v2, s23
	v_subb_co_u32_e32 v5, vcc, v20, v2, vcc
	v_mov_b32_e32 v2, 0
	s_mov_b64 s[8:9], exec
; %bb.131:                              ;   in Loop: Header=BB135_12 Depth=1
	s_or_b64 exec, exec, s[6:7]
	s_and_b64 s[6:7], s[8:9], exec
.LBB135_132:                            ;   in Loop: Header=BB135_12 Depth=1
	s_or_b64 exec, exec, s[2:3]
	s_mov_b64 s[2:3], -1
                                        ; implicit-def: $sgpr38_sgpr39
                                        ; implicit-def: $sgpr40_sgpr41
	s_and_saveexec_b64 s[4:5], s[6:7]
	s_xor_b64 s[6:7], exec, s[4:5]
	s_cbranch_execz .LBB135_277
; %bb.133:                              ;   in Loop: Header=BB135_12 Depth=1
	s_cmp_eq_u64 s[54:55], 1
	v_cmp_eq_u64_e32 vcc, 1, v[4:5]
	s_cselect_b64 s[2:3], -1, 0
	s_and_b64 s[2:3], s[2:3], vcc
	s_mov_b64 s[8:9], -1
                                        ; implicit-def: $sgpr40_sgpr41
                                        ; implicit-def: $sgpr38_sgpr39
	s_and_saveexec_b64 s[14:15], s[2:3]
	s_cbranch_execz .LBB135_168
; %bb.134:                              ;   in Loop: Header=BB135_12 Depth=1
	ds_read_b64 v[6:7], v3 offset:5120
	s_waitcnt lgkmcnt(0)
	s_barrier
	v_readfirstlane_b32 s10, v6
	v_readfirstlane_b32 s11, v7
	s_mov_b64 s[4:5], exec
	v_readlane_b32 s8, v47, 30
	v_readlane_b32 s9, v47, 31
	s_and_b64 s[8:9], s[4:5], s[8:9]
	s_mov_b64 exec, s[8:9]
; %bb.135:                              ;   in Loop: Header=BB135_12 Depth=1
	ds_write_b8 v0, v3 offset:3072
; %bb.136:                              ;   in Loop: Header=BB135_12 Depth=1
	s_or_b64 exec, exec, s[4:5]
	v_and_b32_e32 v6, s61, v9
	v_lshl_or_b32 v9, 1, s69, v6
	v_or_b32_e32 v8, s60, v8
	s_mov_b64 s[38:39], -1
	s_mov_b64 s[40:41], 0
	s_cmp_eq_u64 s[10:11], 0
	s_mov_b64 s[8:9], 0
	s_mov_b64 s[20:21], -1
	s_waitcnt lgkmcnt(0)
	s_barrier
                                        ; implicit-def: $vgpr10
	s_cbranch_scc1 .LBB135_150
; %bb.137:                              ;   in Loop: Header=BB135_12 Depth=1
	v_readlane_b32 s4, v47, 34
	s_add_u32 s20, s10, s4
	v_readlane_b32 s4, v47, 36
	s_addc_u32 s9, s11, s4
	s_mov_b32 s8, s59
	s_cmp_lg_u64 s[8:9], 0
	s_cbranch_scc0 .LBB135_153
; %bb.138:                              ;   in Loop: Header=BB135_12 Depth=1
	v_cvt_f32_u32_e32 v6, s33
	s_sub_u32 s8, 0, s33
	s_subb_u32 s12, 0, 0
	v_mac_f32_e32 v6, 0, v30
	v_rcp_f32_e32 v6, v6
	v_mul_f32_e32 v6, 0x5f7ffffc, v6
	v_mul_f32_e32 v7, 0x2f800000, v6
	v_trunc_f32_e32 v7, v7
	v_mac_f32_e32 v6, 0xcf800000, v7
	v_cvt_u32_f32_e32 v7, v7
	v_cvt_u32_f32_e32 v6, v6
	v_readfirstlane_b32 s13, v7
	v_readfirstlane_b32 s4, v6
	s_mul_i32 s5, s8, s13
	s_mul_hi_u32 s44, s8, s4
	s_mul_i32 s21, s12, s4
	s_add_i32 s5, s44, s5
	s_mul_i32 s45, s8, s4
	s_add_i32 s5, s5, s21
	s_mul_hi_u32 s44, s4, s45
	s_mul_i32 s46, s4, s5
	s_mul_hi_u32 s21, s4, s5
	s_add_u32 s44, s44, s46
	s_addc_u32 s21, 0, s21
	s_mul_hi_u32 s47, s13, s45
	s_mul_i32 s45, s13, s45
	s_add_u32 s44, s44, s45
	s_mul_hi_u32 s46, s13, s5
	s_addc_u32 s21, s21, s47
	s_addc_u32 s44, s46, 0
	s_mul_i32 s5, s13, s5
	s_add_u32 s5, s21, s5
	s_addc_u32 s21, 0, s44
	s_add_u32 s44, s4, s5
	s_cselect_b64 s[4:5], -1, 0
	s_cmp_lg_u64 s[4:5], 0
	s_addc_u32 s13, s13, s21
	s_mul_i32 s4, s8, s13
	s_mul_hi_u32 s5, s8, s44
	s_add_i32 s4, s5, s4
	s_mul_i32 s12, s12, s44
	s_add_i32 s4, s4, s12
	s_mul_i32 s8, s8, s44
	s_mul_hi_u32 s12, s13, s8
	s_mul_i32 s21, s13, s8
	s_mul_i32 s46, s44, s4
	s_mul_hi_u32 s8, s44, s8
	s_mul_hi_u32 s45, s44, s4
	s_add_u32 s8, s8, s46
	s_addc_u32 s45, 0, s45
	s_add_u32 s8, s8, s21
	s_mul_hi_u32 s5, s13, s4
	s_addc_u32 s8, s45, s12
	s_addc_u32 s5, s5, 0
	s_mul_i32 s4, s13, s4
	s_add_u32 s4, s8, s4
	s_addc_u32 s8, 0, s5
	s_add_u32 s12, s44, s4
	s_cselect_b64 s[4:5], -1, 0
	s_cmp_lg_u64 s[4:5], 0
	s_addc_u32 s4, s13, s8
	s_mul_i32 s8, s20, s4
	s_mul_hi_u32 s13, s20, s12
	s_mul_hi_u32 s5, s20, s4
	s_add_u32 s8, s13, s8
	s_addc_u32 s5, 0, s5
	s_mul_hi_u32 s21, s9, s12
	s_mul_i32 s12, s9, s12
	s_add_u32 s8, s8, s12
	s_mul_hi_u32 s13, s9, s4
	s_addc_u32 s5, s5, s21
	s_addc_u32 s8, s13, 0
	s_mul_i32 s4, s9, s4
	s_add_u32 s4, s5, s4
	s_addc_u32 s5, 0, s8
	s_mul_i32 s5, s33, s5
	s_mul_hi_u32 s8, s33, s4
	s_add_i32 s8, s8, s5
	s_mul_i32 s4, s33, s4
	s_sub_u32 s12, s20, s4
	s_cselect_b64 s[4:5], -1, 0
	s_cmp_lg_u64 s[4:5], 0
	s_subb_u32 s8, s9, s8
	s_sub_u32 s13, s12, s33
	s_cselect_b64 s[4:5], -1, 0
	s_cmp_lg_u64 s[4:5], 0
	s_subb_u32 s21, s8, 0
	;; [unrolled: 4-line block ×3, first 2 shown]
	s_cmp_ge_u32 s13, s33
	s_cselect_b32 s5, -1, 0
	s_cmp_eq_u32 s21, 0
	s_cselect_b32 s5, s5, -1
	s_cmp_lg_u32 s5, 0
	s_cselect_b32 s4, s4, s21
	s_cselect_b32 s5, s44, s13
	s_cmp_ge_u32 s12, s33
	s_cselect_b32 s13, -1, 0
	s_cmp_eq_u32 s8, 0
	s_cselect_b32 s13, s13, -1
	s_cmp_lg_u32 s13, 0
	s_cselect_b32 s13, s4, s8
	s_cselect_b32 s12, s5, s12
	s_cbranch_execnz .LBB135_140
.LBB135_139:                            ;   in Loop: Header=BB135_12 Depth=1
	v_cvt_f32_u32_e32 v6, s33
	s_sub_i32 s4, 0, s33
	v_rcp_iflag_f32_e32 v6, v6
	v_mul_f32_e32 v6, 0x4f7ffffe, v6
	v_cvt_u32_f32_e32 v6, v6
	v_readfirstlane_b32 s5, v6
	s_mul_i32 s4, s4, s5
	s_mul_hi_u32 s4, s5, s4
	s_add_i32 s5, s5, s4
	s_mul_hi_u32 s4, s20, s5
	s_mul_i32 s4, s4, s33
	s_sub_i32 s4, s20, s4
	s_sub_i32 s5, s4, s33
	s_cmp_ge_u32 s4, s33
	s_cselect_b32 s4, s5, s4
	s_sub_i32 s5, s4, s33
	s_cmp_ge_u32 s4, s33
	s_cselect_b32 s58, s5, s4
	s_mov_b64 s[12:13], s[58:59]
	v_readlane_b32 s58, v47, 55
.LBB135_140:                            ;   in Loop: Header=BB135_12 Depth=1
	s_sub_u32 s46, s20, s12
	s_subb_u32 s47, s9, s13
	v_cmp_gt_u64_e32 vcc, s[46:47], v[0:1]
	s_mov_b64 s[20:21], 0
	s_mov_b64 s[8:9], 0
                                        ; implicit-def: $vgpr10
	s_and_saveexec_b64 s[44:45], vcc
	s_cbranch_execz .LBB135_149
; %bb.141:                              ;   in Loop: Header=BB135_12 Depth=1
	v_mov_b32_e32 v7, v1
	v_mov_b32_e32 v10, v0
	;; [unrolled: 1-line block ×3, first 2 shown]
                                        ; implicit-def: $sgpr48_sgpr49
	s_branch .LBB135_144
.LBB135_142:                            ;   in Loop: Header=BB135_144 Depth=2
	s_or_b64 exec, exec, s[12:13]
	s_waitcnt lgkmcnt(0)
	s_barrier
	ds_read_u16 v11, v3 offset:3072
	s_mov_b64 s[4:5], -1
	s_waitcnt lgkmcnt(0)
	s_barrier
	v_cmp_ne_u32_sdwa s[12:13], v11, v3 src0_sel:BYTE_0 src1_sel:DWORD
	s_and_b64 vcc, exec, s[12:13]
	s_mov_b64 s[12:13], -1
	s_cbranch_vccz .LBB135_147
.LBB135_143:                            ;   in Loop: Header=BB135_144 Depth=2
	s_and_b64 s[4:5], exec, s[4:5]
	s_or_b64 s[8:9], s[4:5], s[8:9]
	s_andn2_b64 s[4:5], s[48:49], exec
	s_and_b64 s[12:13], s[12:13], exec
	s_or_b64 s[48:49], s[4:5], s[12:13]
	s_andn2_b64 exec, exec, s[8:9]
	s_cbranch_execz .LBB135_148
.LBB135_144:                            ;   Parent Loop BB135_12 Depth=1
                                        ; =>  This Inner Loop Header: Depth=2
	v_cmp_gt_u64_e32 vcc, s[10:11], v[6:7]
	s_and_saveexec_b64 s[12:13], vcc
	s_cbranch_execz .LBB135_142
; %bb.145:                              ;   in Loop: Header=BB135_144 Depth=2
	ds_read_u8 v11, v10
	s_waitcnt lgkmcnt(0)
	v_add_u32_sdwa v21, sext(v11), s70 dst_sel:DWORD dst_unused:UNUSED_PAD src0_sel:BYTE_0 src1_sel:DWORD
	v_and_b32_e32 v21, v21, v8
	v_cmp_eq_u32_e32 vcc, v21, v9
	s_and_b64 exec, exec, vcc
	s_cbranch_execz .LBB135_142
; %bb.146:                              ;   in Loop: Header=BB135_144 Depth=2
	v_lshlrev_b16_e32 v11, 8, v11
	v_or_b32_e32 v11, 1, v11
	ds_write_b16 v3, v11 offset:3072
	s_branch .LBB135_142
.LBB135_147:                            ;   in Loop: Header=BB135_144 Depth=2
	v_add_co_u32_e32 v6, vcc, s33, v6
	v_addc_co_u32_e32 v7, vcc, 0, v7, vcc
	v_cmp_le_u64_e32 vcc, s[46:47], v[6:7]
	v_add_u32_e32 v10, s33, v10
	s_mov_b64 s[12:13], 0
	s_orn2_b64 s[4:5], vcc, exec
	s_branch .LBB135_143
.LBB135_148:                            ;   in Loop: Header=BB135_12 Depth=1
	s_or_b64 exec, exec, s[8:9]
	v_lshrrev_b32_sdwa v10, v31, v11 dst_sel:DWORD dst_unused:UNUSED_PAD src0_sel:DWORD src1_sel:WORD_0
	s_and_b64 s[8:9], s[48:49], exec
.LBB135_149:                            ;   in Loop: Header=BB135_12 Depth=1
	s_or_b64 exec, exec, s[44:45]
.LBB135_150:                            ;   in Loop: Header=BB135_12 Depth=1
	s_and_b64 vcc, exec, s[20:21]
	s_cbranch_vccz .LBB135_167
; %bb.151:                              ;   in Loop: Header=BB135_12 Depth=1
	s_mov_b32 s66, s59
	s_cmp_lg_u64 s[66:67], 0
	s_cbranch_scc0 .LBB135_154
; %bb.152:                              ;   in Loop: Header=BB135_12 Depth=1
	v_cvt_f32_u32_e32 v6, s33
	s_sub_u32 s10, 0, s33
	s_subb_u32 s11, 0, 0
	v_mac_f32_e32 v6, 0, v30
	v_rcp_f32_e32 v6, v6
	v_mul_f32_e32 v6, 0x5f7ffffc, v6
	v_mul_f32_e32 v7, 0x2f800000, v6
	v_trunc_f32_e32 v7, v7
	v_mac_f32_e32 v6, 0xcf800000, v7
	v_cvt_u32_f32_e32 v7, v7
	v_cvt_u32_f32_e32 v6, v6
	v_readfirstlane_b32 s12, v7
	v_readfirstlane_b32 s4, v6
	s_mul_i32 s5, s10, s12
	s_mul_hi_u32 s20, s10, s4
	s_mul_i32 s13, s11, s4
	s_add_i32 s5, s20, s5
	s_mul_i32 s21, s10, s4
	s_add_i32 s5, s5, s13
	s_mul_hi_u32 s20, s4, s21
	s_mul_i32 s38, s4, s5
	s_mul_hi_u32 s13, s4, s5
	s_add_u32 s20, s20, s38
	s_addc_u32 s13, 0, s13
	s_mul_hi_u32 s39, s12, s21
	s_mul_i32 s21, s12, s21
	s_add_u32 s20, s20, s21
	s_mul_hi_u32 s38, s12, s5
	s_addc_u32 s13, s13, s39
	s_addc_u32 s20, s38, 0
	s_mul_i32 s5, s12, s5
	s_add_u32 s5, s13, s5
	s_addc_u32 s13, 0, s20
	s_add_u32 s20, s4, s5
	s_cselect_b64 s[4:5], -1, 0
	s_cmp_lg_u64 s[4:5], 0
	s_addc_u32 s12, s12, s13
	s_mul_i32 s4, s10, s12
	s_mul_hi_u32 s5, s10, s20
	s_add_i32 s4, s5, s4
	s_mul_i32 s11, s11, s20
	s_add_i32 s4, s4, s11
	s_mul_i32 s10, s10, s20
	s_mul_hi_u32 s11, s12, s10
	s_mul_i32 s13, s12, s10
	s_mul_i32 s38, s20, s4
	s_mul_hi_u32 s10, s20, s10
	s_mul_hi_u32 s21, s20, s4
	s_add_u32 s10, s10, s38
	s_addc_u32 s21, 0, s21
	s_add_u32 s10, s10, s13
	s_mul_hi_u32 s5, s12, s4
	s_addc_u32 s10, s21, s11
	s_addc_u32 s5, s5, 0
	s_mul_i32 s4, s12, s4
	s_add_u32 s4, s10, s4
	s_addc_u32 s10, 0, s5
	s_add_u32 s11, s20, s4
	s_cselect_b64 s[4:5], -1, 0
	s_cmp_lg_u64 s[4:5], 0
	s_addc_u32 s4, s12, s10
	v_readlane_b32 s21, v47, 35
	s_mul_i32 s10, s21, s4
	s_mul_hi_u32 s12, s21, s11
	s_mul_hi_u32 s5, s21, s4
	s_add_u32 s10, s12, s10
	s_addc_u32 s5, 0, s5
	s_mul_hi_u32 s13, s67, s11
	s_mul_i32 s11, s67, s11
	s_add_u32 s10, s10, s11
	s_mul_hi_u32 s12, s67, s4
	s_addc_u32 s5, s5, s13
	s_addc_u32 s10, s12, 0
	s_mul_i32 s4, s67, s4
	s_add_u32 s4, s5, s4
	s_addc_u32 s5, 0, s10
	s_mul_i32 s5, s33, s5
	s_mul_hi_u32 s10, s33, s4
	s_add_i32 s10, s10, s5
	s_mul_i32 s4, s33, s4
	s_sub_u32 s12, s21, s4
	s_cselect_b64 s[4:5], -1, 0
	s_cmp_lg_u64 s[4:5], 0
	s_subb_u32 s10, s67, s10
	s_sub_u32 s11, s12, s33
	s_cselect_b64 s[4:5], -1, 0
	s_cmp_lg_u64 s[4:5], 0
	s_subb_u32 s13, s10, 0
	;; [unrolled: 4-line block ×3, first 2 shown]
	s_cmp_ge_u32 s11, s33
	s_cselect_b32 s5, -1, 0
	s_cmp_eq_u32 s13, 0
	s_cselect_b32 s5, s5, -1
	s_cmp_lg_u32 s5, 0
	s_cselect_b32 s4, s4, s13
	s_cselect_b32 s5, s20, s11
	s_cmp_ge_u32 s12, s33
	s_cselect_b32 s11, -1, 0
	s_cmp_eq_u32 s10, 0
	s_cselect_b32 s11, s11, -1
	s_cmp_lg_u32 s11, 0
	s_cselect_b32 s11, s4, s10
	s_cselect_b32 s10, s5, s12
	s_mov_b64 s[4:5], 0
	s_branch .LBB135_155
.LBB135_153:                            ;   in Loop: Header=BB135_12 Depth=1
                                        ; implicit-def: $sgpr12_sgpr13
	s_branch .LBB135_139
.LBB135_154:                            ;   in Loop: Header=BB135_12 Depth=1
	s_mov_b64 s[4:5], -1
	v_readlane_b32 s21, v47, 35
                                        ; implicit-def: $sgpr10_sgpr11
.LBB135_155:                            ;   in Loop: Header=BB135_12 Depth=1
	s_andn2_b64 vcc, exec, s[4:5]
	v_readlane_b32 s66, v47, 54
	s_cbranch_vccnz .LBB135_157
; %bb.156:                              ;   in Loop: Header=BB135_12 Depth=1
	v_cvt_f32_u32_e32 v6, s33
	s_sub_i32 s4, 0, s33
	v_rcp_iflag_f32_e32 v6, v6
	v_mul_f32_e32 v6, 0x4f7ffffe, v6
	v_cvt_u32_f32_e32 v6, v6
	v_readfirstlane_b32 s5, v6
	s_mul_i32 s4, s4, s5
	s_mul_hi_u32 s4, s5, s4
	s_add_i32 s5, s5, s4
	s_mul_hi_u32 s4, s21, s5
	s_mul_i32 s4, s4, s33
	s_sub_i32 s4, s21, s4
	s_sub_i32 s5, s4, s33
	s_cmp_ge_u32 s4, s33
	s_cselect_b32 s4, s5, s4
	s_sub_i32 s5, s4, s33
	s_cmp_ge_u32 s4, s33
	s_cselect_b32 s58, s5, s4
	s_mov_b64 s[10:11], s[58:59]
	v_readlane_b32 s58, v47, 55
.LBB135_157:                            ;   in Loop: Header=BB135_12 Depth=1
	s_sub_u32 s20, s21, s10
	s_subb_u32 s21, s67, s11
	v_cmp_gt_u64_e32 vcc, s[20:21], v[0:1]
                                        ; implicit-def: $vgpr10
	s_and_saveexec_b64 s[10:11], vcc
	s_cbranch_execz .LBB135_166
; %bb.158:                              ;   in Loop: Header=BB135_12 Depth=1
	v_mov_b32_e32 v7, v1
	s_mov_b64 s[38:39], 0
	v_mov_b32_e32 v6, v0
                                        ; implicit-def: $sgpr40_sgpr41
	s_branch .LBB135_161
.LBB135_159:                            ;   in Loop: Header=BB135_161 Depth=2
	s_or_b64 exec, exec, s[12:13]
	s_waitcnt lgkmcnt(0)
	s_barrier
	ds_read_u16 v10, v3 offset:3072
	s_mov_b64 s[4:5], -1
	s_waitcnt lgkmcnt(0)
	s_barrier
	v_cmp_eq_u32_sdwa s[12:13], v10, v3 src0_sel:BYTE_0 src1_sel:DWORD
	s_and_b64 vcc, exec, s[12:13]
	s_mov_b64 s[12:13], -1
	s_cbranch_vccnz .LBB135_164
.LBB135_160:                            ;   in Loop: Header=BB135_161 Depth=2
	s_and_b64 s[4:5], exec, s[4:5]
	s_or_b64 s[38:39], s[4:5], s[38:39]
	s_andn2_b64 s[4:5], s[40:41], exec
	s_and_b64 s[12:13], s[12:13], exec
	s_or_b64 s[40:41], s[4:5], s[12:13]
	s_andn2_b64 exec, exec, s[38:39]
	s_cbranch_execz .LBB135_165
.LBB135_161:                            ;   Parent Loop BB135_12 Depth=1
                                        ; =>  This Inner Loop Header: Depth=2
	v_cmp_gt_u64_e32 vcc, s[28:29], v[6:7]
	s_and_saveexec_b64 s[12:13], vcc
	s_cbranch_execz .LBB135_159
; %bb.162:                              ;   in Loop: Header=BB135_161 Depth=2
	v_mov_b32_e32 v10, s34
	v_mov_b32_e32 v11, s35
	v_mad_u64_u32 v[10:11], s[4:5], v6, s26, v[10:11]
	v_mul_lo_u32 v21, v6, s27
	v_mul_lo_u32 v22, v7, s26
	v_add3_u32 v11, v22, v11, v21
	global_load_ubyte v10, v[10:11], off
	s_waitcnt vmcnt(0)
	v_add_u32_sdwa v11, sext(v10), s70 dst_sel:DWORD dst_unused:UNUSED_PAD src0_sel:BYTE_0 src1_sel:DWORD
	v_and_b32_e32 v11, v11, v8
	v_cmp_eq_u32_e32 vcc, v11, v9
	s_and_b64 exec, exec, vcc
	s_cbranch_execz .LBB135_159
; %bb.163:                              ;   in Loop: Header=BB135_161 Depth=2
	v_lshlrev_b16_e32 v10, 8, v10
	v_or_b32_e32 v10, 1, v10
	ds_write_b16 v3, v10 offset:3072
	s_branch .LBB135_159
.LBB135_164:                            ;   in Loop: Header=BB135_161 Depth=2
	v_add_co_u32_e32 v6, vcc, s33, v6
	v_addc_co_u32_e32 v7, vcc, 0, v7, vcc
	v_cmp_le_u64_e32 vcc, s[20:21], v[6:7]
	s_mov_b64 s[12:13], 0
	s_orn2_b64 s[4:5], vcc, exec
	s_branch .LBB135_160
.LBB135_165:                            ;   in Loop: Header=BB135_12 Depth=1
	s_or_b64 exec, exec, s[38:39]
	s_andn2_b64 s[4:5], s[8:9], exec
	s_and_b64 s[8:9], s[40:41], exec
	v_lshrrev_b32_sdwa v10, v31, v10 dst_sel:DWORD dst_unused:UNUSED_PAD src0_sel:DWORD src1_sel:WORD_0
	s_or_b64 s[8:9], s[4:5], s[8:9]
.LBB135_166:                            ;   in Loop: Header=BB135_12 Depth=1
	s_or_b64 exec, exec, s[10:11]
	s_mov_b64 s[38:39], 0
	s_mov_b64 s[40:41], -1
.LBB135_167:                            ;   in Loop: Header=BB135_12 Depth=1
	s_orn2_b64 s[8:9], s[8:9], exec
.LBB135_168:                            ;   in Loop: Header=BB135_12 Depth=1
	s_or_b64 exec, exec, s[14:15]
	s_mov_b64 s[10:11], 0
	s_and_saveexec_b64 s[14:15], s[8:9]
	s_cbranch_execz .LBB135_276
; %bb.169:                              ;   in Loop: Header=BB135_12 Depth=1
	v_mov_b32_e32 v6, 1
	s_xor_b64 s[4:5], s[2:3], -1
	v_mov_b32_e32 v2, 1
	v_mov_b32_e32 v7, 0
	s_mov_b64 s[8:9], 0
	s_and_saveexec_b64 s[2:3], s[4:5]
	s_cbranch_execz .LBB135_178
; %bb.170:                              ;   in Loop: Header=BB135_12 Depth=1
	v_cmp_ge_u64_e32 vcc, s[54:55], v[4:5]
	s_and_saveexec_b64 s[4:5], vcc
	s_xor_b64 s[8:9], exec, s[4:5]
	s_cbranch_execz .LBB135_175
; %bb.171:                              ;   in Loop: Header=BB135_12 Depth=1
	ds_read_b64 v[6:7], v3 offset:5120
	v_and_b32_e32 v2, s61, v9
	v_lshl_or_b32 v9, 1, s69, v2
	v_or_b32_e32 v8, s60, v8
	s_waitcnt lgkmcnt(0)
	v_cmp_ne_u64_e32 vcc, 0, v[6:7]
	s_cbranch_vccnz .LBB135_175
; %bb.172:                              ;   in Loop: Header=BB135_12 Depth=1
	s_mov_b64 s[4:5], exec
	v_readlane_b32 s10, v47, 12
	v_readlane_b32 s11, v47, 13
	s_and_b64 s[10:11], s[4:5], s[10:11]
	s_mov_b64 exec, s[10:11]
; %bb.173:                              ;   in Loop: Header=BB135_12 Depth=1
	v_mov_b32_e32 v6, s54
	v_mov_b32_e32 v7, s55
	ds_write_b64 v3, v[6:7] offset:5128
; %bb.174:                              ;   in Loop: Header=BB135_12 Depth=1
	s_or_b64 exec, exec, s[4:5]
	s_waitcnt lgkmcnt(0)
	s_barrier
.LBB135_175:                            ;   in Loop: Header=BB135_12 Depth=1
	s_or_saveexec_b64 s[8:9], s[8:9]
	s_mov_b64 s[10:11], 0
	v_mov_b32_e32 v2, 8
	s_xor_b64 exec, exec, s[8:9]
; %bb.176:                              ;   in Loop: Header=BB135_12 Depth=1
	v_subrev_co_u32_e32 v4, vcc, s54, v4
	v_mov_b32_e32 v2, s55
	v_subb_co_u32_e32 v5, vcc, v5, v2, vcc
	v_mov_b32_e32 v2, 0
	s_mov_b64 s[10:11], exec
; %bb.177:                              ;   in Loop: Header=BB135_12 Depth=1
	s_or_b64 exec, exec, s[8:9]
	v_mov_b32_e32 v7, v5
	s_and_b64 s[8:9], s[10:11], exec
	v_mov_b32_e32 v6, v4
.LBB135_178:                            ;   in Loop: Header=BB135_12 Depth=1
	s_or_b64 exec, exec, s[2:3]
	s_mov_b64 s[2:3], -1
                                        ; implicit-def: $sgpr4_sgpr5
                                        ; kill: killed $sgpr4_sgpr5
                                        ; implicit-def: $sgpr20_sgpr21
	s_and_saveexec_b64 s[12:13], s[8:9]
	s_cbranch_execz .LBB135_275
; %bb.179:                              ;   in Loop: Header=BB135_12 Depth=1
	s_cmp_eq_u64 s[56:57], 1
	v_cmp_eq_u64_e32 vcc, 1, v[6:7]
	s_cselect_b64 s[2:3], -1, 0
	v_writelane_b32 v47, s12, 60
	s_and_b64 s[46:47], s[2:3], vcc
	s_mov_b64 s[8:9], -1
	v_writelane_b32 v47, s13, 61
                                        ; implicit-def: $sgpr20_sgpr21
                                        ; implicit-def: $sgpr2_sgpr3
                                        ; kill: killed $sgpr2_sgpr3
	s_and_saveexec_b64 s[2:3], s[46:47]
	s_cbranch_execz .LBB135_214
; %bb.180:                              ;   in Loop: Header=BB135_12 Depth=1
	ds_read_b64 v[4:5], v3 offset:5120
	s_waitcnt lgkmcnt(0)
	s_barrier
	v_readfirstlane_b32 s10, v4
	v_readfirstlane_b32 s11, v5
	s_mov_b64 s[4:5], exec
	v_readlane_b32 s8, v47, 30
	v_readlane_b32 s9, v47, 31
	s_and_b64 s[8:9], s[4:5], s[8:9]
	s_mov_b64 exec, s[8:9]
; %bb.181:                              ;   in Loop: Header=BB135_12 Depth=1
	ds_write_b8 v0, v3 offset:3072
; %bb.182:                              ;   in Loop: Header=BB135_12 Depth=1
	s_or_b64 exec, exec, s[4:5]
	v_and_b32_e32 v4, s61, v9
	s_mov_b64 s[4:5], -1
	v_lshl_or_b32 v9, 2, s69, v4
	v_or_b32_e32 v8, s60, v8
	v_writelane_b32 v47, s4, 58
	s_mov_b64 s[20:21], 0
	s_cmp_eq_u64 s[10:11], 0
	s_mov_b64 s[8:9], 0
	s_mov_b64 s[44:45], -1
	s_waitcnt lgkmcnt(0)
	s_barrier
	v_writelane_b32 v47, s5, 59
                                        ; implicit-def: $vgpr10
	s_cbranch_scc1 .LBB135_196
; %bb.183:                              ;   in Loop: Header=BB135_12 Depth=1
	v_readlane_b32 s4, v47, 34
	s_add_u32 s44, s10, s4
	v_readlane_b32 s4, v47, 36
	s_addc_u32 s9, s11, s4
	s_mov_b32 s8, s59
	s_cmp_lg_u64 s[8:9], 0
	s_cbranch_scc0 .LBB135_199
; %bb.184:                              ;   in Loop: Header=BB135_12 Depth=1
	v_cvt_f32_u32_e32 v4, s33
	s_sub_u32 s8, 0, s33
	s_subb_u32 s12, 0, 0
	v_mac_f32_e32 v4, 0, v30
	v_rcp_f32_e32 v4, v4
	v_mul_f32_e32 v4, 0x5f7ffffc, v4
	v_mul_f32_e32 v5, 0x2f800000, v4
	v_trunc_f32_e32 v5, v5
	v_mac_f32_e32 v4, 0xcf800000, v5
	v_cvt_u32_f32_e32 v5, v5
	v_cvt_u32_f32_e32 v4, v4
	v_readfirstlane_b32 s13, v5
	v_readfirstlane_b32 s4, v4
	s_mul_i32 s5, s8, s13
	s_mul_hi_u32 s48, s8, s4
	s_mul_i32 s45, s12, s4
	s_add_i32 s5, s48, s5
	s_mul_i32 s49, s8, s4
	s_add_i32 s5, s5, s45
	s_mul_hi_u32 s48, s4, s49
	s_mul_i32 s58, s4, s5
	s_mul_hi_u32 s45, s4, s5
	s_add_u32 s48, s48, s58
	s_addc_u32 s45, 0, s45
	s_mul_hi_u32 s64, s13, s49
	s_mul_i32 s49, s13, s49
	s_add_u32 s48, s48, s49
	s_mul_hi_u32 s58, s13, s5
	s_addc_u32 s45, s45, s64
	s_addc_u32 s48, s58, 0
	s_mul_i32 s5, s13, s5
	s_add_u32 s5, s45, s5
	s_addc_u32 s45, 0, s48
	s_add_u32 s48, s4, s5
	s_cselect_b64 s[4:5], -1, 0
	s_cmp_lg_u64 s[4:5], 0
	s_addc_u32 s13, s13, s45
	s_mul_i32 s4, s8, s13
	s_mul_hi_u32 s5, s8, s48
	s_add_i32 s4, s5, s4
	s_mul_i32 s12, s12, s48
	s_add_i32 s4, s4, s12
	s_mul_i32 s8, s8, s48
	s_mul_hi_u32 s12, s13, s8
	s_mul_i32 s45, s13, s8
	s_mul_i32 s58, s48, s4
	s_mul_hi_u32 s8, s48, s8
	s_mul_hi_u32 s49, s48, s4
	s_add_u32 s8, s8, s58
	s_addc_u32 s49, 0, s49
	s_add_u32 s8, s8, s45
	s_mul_hi_u32 s5, s13, s4
	s_addc_u32 s8, s49, s12
	s_addc_u32 s5, s5, 0
	s_mul_i32 s4, s13, s4
	s_add_u32 s4, s8, s4
	s_addc_u32 s8, 0, s5
	s_add_u32 s12, s48, s4
	s_cselect_b64 s[4:5], -1, 0
	s_cmp_lg_u64 s[4:5], 0
	s_addc_u32 s4, s13, s8
	s_mul_i32 s8, s44, s4
	s_mul_hi_u32 s13, s44, s12
	s_mul_hi_u32 s5, s44, s4
	s_add_u32 s8, s13, s8
	s_addc_u32 s5, 0, s5
	s_mul_hi_u32 s45, s9, s12
	s_mul_i32 s12, s9, s12
	s_add_u32 s8, s8, s12
	s_mul_hi_u32 s13, s9, s4
	s_addc_u32 s5, s5, s45
	s_addc_u32 s8, s13, 0
	s_mul_i32 s4, s9, s4
	s_add_u32 s4, s5, s4
	s_addc_u32 s5, 0, s8
	s_mul_i32 s5, s33, s5
	s_mul_hi_u32 s8, s33, s4
	s_add_i32 s8, s8, s5
	s_mul_i32 s4, s33, s4
	s_sub_u32 s12, s44, s4
	s_cselect_b64 s[4:5], -1, 0
	s_cmp_lg_u64 s[4:5], 0
	s_subb_u32 s8, s9, s8
	s_sub_u32 s13, s12, s33
	s_cselect_b64 s[4:5], -1, 0
	s_cmp_lg_u64 s[4:5], 0
	s_subb_u32 s45, s8, 0
	;; [unrolled: 4-line block ×3, first 2 shown]
	s_cmp_ge_u32 s13, s33
	s_cselect_b32 s5, -1, 0
	s_cmp_eq_u32 s45, 0
	s_cselect_b32 s5, s5, -1
	s_cmp_lg_u32 s5, 0
	s_cselect_b32 s4, s4, s45
	s_cselect_b32 s5, s48, s13
	s_cmp_ge_u32 s12, s33
	s_cselect_b32 s13, -1, 0
	s_cmp_eq_u32 s8, 0
	s_cselect_b32 s13, s13, -1
	s_cmp_lg_u32 s13, 0
	s_cselect_b32 s13, s4, s8
	s_cselect_b32 s12, s5, s12
	s_cbranch_execnz .LBB135_186
.LBB135_185:                            ;   in Loop: Header=BB135_12 Depth=1
	v_cvt_f32_u32_e32 v4, s33
	s_sub_i32 s4, 0, s33
	v_rcp_iflag_f32_e32 v4, v4
	v_mul_f32_e32 v4, 0x4f7ffffe, v4
	v_cvt_u32_f32_e32 v4, v4
	v_readfirstlane_b32 s5, v4
	s_mul_i32 s4, s4, s5
	s_mul_hi_u32 s4, s5, s4
	s_add_i32 s5, s5, s4
	s_mul_hi_u32 s4, s44, s5
	s_mul_i32 s4, s4, s33
	s_sub_i32 s4, s44, s4
	s_sub_i32 s5, s4, s33
	s_cmp_ge_u32 s4, s33
	s_cselect_b32 s4, s5, s4
	s_sub_i32 s5, s4, s33
	s_cmp_ge_u32 s4, s33
	s_cselect_b32 s58, s5, s4
	s_mov_b64 s[12:13], s[58:59]
.LBB135_186:                            ;   in Loop: Header=BB135_12 Depth=1
	s_sub_u32 s64, s44, s12
	s_subb_u32 s65, s9, s13
	v_cmp_gt_u64_e32 vcc, s[64:65], v[0:1]
	s_mov_b64 s[44:45], 0
	s_mov_b64 s[8:9], 0
                                        ; implicit-def: $vgpr10
	s_and_saveexec_b64 s[72:73], vcc
	v_readlane_b32 s58, v47, 55
	s_cbranch_execz .LBB135_195
; %bb.187:                              ;   in Loop: Header=BB135_12 Depth=1
	v_mov_b32_e32 v5, v1
	v_mov_b32_e32 v10, v0
	;; [unrolled: 1-line block ×3, first 2 shown]
                                        ; implicit-def: $sgpr12_sgpr13
	s_branch .LBB135_190
.LBB135_188:                            ;   in Loop: Header=BB135_190 Depth=2
	s_or_b64 exec, exec, s[4:5]
	s_waitcnt lgkmcnt(0)
	s_barrier
	ds_read_u16 v11, v3 offset:3072
	s_mov_b64 s[4:5], -1
	s_waitcnt lgkmcnt(0)
	s_barrier
	v_cmp_ne_u32_sdwa s[48:49], v11, v3 src0_sel:BYTE_0 src1_sel:DWORD
	s_and_b64 vcc, exec, s[48:49]
	s_mov_b64 s[48:49], -1
	s_cbranch_vccz .LBB135_193
.LBB135_189:                            ;   in Loop: Header=BB135_190 Depth=2
	s_and_b64 s[4:5], exec, s[4:5]
	s_or_b64 s[8:9], s[4:5], s[8:9]
	s_andn2_b64 s[4:5], s[12:13], exec
	s_and_b64 s[12:13], s[48:49], exec
	s_or_b64 s[12:13], s[4:5], s[12:13]
	s_andn2_b64 exec, exec, s[8:9]
	s_cbranch_execz .LBB135_194
.LBB135_190:                            ;   Parent Loop BB135_12 Depth=1
                                        ; =>  This Inner Loop Header: Depth=2
	v_cmp_gt_u64_e32 vcc, s[10:11], v[4:5]
	s_and_saveexec_b64 s[4:5], vcc
	s_cbranch_execz .LBB135_188
; %bb.191:                              ;   in Loop: Header=BB135_190 Depth=2
	ds_read_u8 v11, v10
	s_waitcnt lgkmcnt(0)
	v_add_u32_sdwa v21, sext(v11), s70 dst_sel:DWORD dst_unused:UNUSED_PAD src0_sel:BYTE_0 src1_sel:DWORD
	v_and_b32_e32 v21, v21, v8
	v_cmp_eq_u32_e32 vcc, v21, v9
	s_and_b64 exec, exec, vcc
	s_cbranch_execz .LBB135_188
; %bb.192:                              ;   in Loop: Header=BB135_190 Depth=2
	v_lshlrev_b16_e32 v11, 8, v11
	v_or_b32_e32 v11, 1, v11
	ds_write_b16 v3, v11 offset:3072
	s_branch .LBB135_188
.LBB135_193:                            ;   in Loop: Header=BB135_190 Depth=2
	v_add_co_u32_e32 v4, vcc, s33, v4
	v_addc_co_u32_e32 v5, vcc, 0, v5, vcc
	v_cmp_le_u64_e32 vcc, s[64:65], v[4:5]
	v_add_u32_e32 v10, s33, v10
	s_mov_b64 s[48:49], 0
	s_orn2_b64 s[4:5], vcc, exec
	s_branch .LBB135_189
.LBB135_194:                            ;   in Loop: Header=BB135_12 Depth=1
	s_or_b64 exec, exec, s[8:9]
	v_lshrrev_b32_sdwa v10, v31, v11 dst_sel:DWORD dst_unused:UNUSED_PAD src0_sel:DWORD src1_sel:WORD_0
	s_and_b64 s[8:9], s[12:13], exec
.LBB135_195:                            ;   in Loop: Header=BB135_12 Depth=1
	s_or_b64 exec, exec, s[72:73]
.LBB135_196:                            ;   in Loop: Header=BB135_12 Depth=1
	s_and_b64 vcc, exec, s[44:45]
	s_cbranch_vccz .LBB135_213
; %bb.197:                              ;   in Loop: Header=BB135_12 Depth=1
	s_mov_b32 s66, s59
	s_cmp_lg_u64 s[66:67], 0
	s_cbranch_scc0 .LBB135_200
; %bb.198:                              ;   in Loop: Header=BB135_12 Depth=1
	v_cvt_f32_u32_e32 v4, s33
	s_sub_u32 s10, 0, s33
	s_subb_u32 s11, 0, 0
	v_mac_f32_e32 v4, 0, v30
	v_rcp_f32_e32 v4, v4
	v_mul_f32_e32 v4, 0x5f7ffffc, v4
	v_mul_f32_e32 v5, 0x2f800000, v4
	v_trunc_f32_e32 v5, v5
	v_mac_f32_e32 v4, 0xcf800000, v5
	v_cvt_u32_f32_e32 v5, v5
	v_cvt_u32_f32_e32 v4, v4
	v_readfirstlane_b32 s12, v5
	v_readfirstlane_b32 s4, v4
	s_mul_i32 s5, s10, s12
	s_mul_hi_u32 s20, s10, s4
	s_mul_i32 s13, s11, s4
	s_add_i32 s5, s20, s5
	s_mul_i32 s21, s10, s4
	s_add_i32 s5, s5, s13
	s_mul_hi_u32 s20, s4, s21
	s_mul_i32 s44, s4, s5
	s_mul_hi_u32 s13, s4, s5
	s_add_u32 s20, s20, s44
	s_addc_u32 s13, 0, s13
	s_mul_hi_u32 s45, s12, s21
	s_mul_i32 s21, s12, s21
	s_add_u32 s20, s20, s21
	s_mul_hi_u32 s44, s12, s5
	s_addc_u32 s13, s13, s45
	s_addc_u32 s20, s44, 0
	s_mul_i32 s5, s12, s5
	s_add_u32 s5, s13, s5
	s_addc_u32 s13, 0, s20
	s_add_u32 s20, s4, s5
	s_cselect_b64 s[4:5], -1, 0
	s_cmp_lg_u64 s[4:5], 0
	s_addc_u32 s12, s12, s13
	s_mul_i32 s4, s10, s12
	s_mul_hi_u32 s5, s10, s20
	s_add_i32 s4, s5, s4
	s_mul_i32 s11, s11, s20
	s_add_i32 s4, s4, s11
	s_mul_i32 s10, s10, s20
	s_mul_hi_u32 s11, s12, s10
	s_mul_i32 s13, s12, s10
	s_mul_i32 s44, s20, s4
	s_mul_hi_u32 s10, s20, s10
	s_mul_hi_u32 s21, s20, s4
	s_add_u32 s10, s10, s44
	s_addc_u32 s21, 0, s21
	s_add_u32 s10, s10, s13
	s_mul_hi_u32 s5, s12, s4
	s_addc_u32 s10, s21, s11
	s_addc_u32 s5, s5, 0
	s_mul_i32 s4, s12, s4
	s_add_u32 s4, s10, s4
	s_addc_u32 s10, 0, s5
	s_add_u32 s11, s20, s4
	s_cselect_b64 s[4:5], -1, 0
	s_cmp_lg_u64 s[4:5], 0
	s_addc_u32 s4, s12, s10
	v_readlane_b32 s21, v47, 35
	s_mul_i32 s10, s21, s4
	s_mul_hi_u32 s12, s21, s11
	s_mul_hi_u32 s5, s21, s4
	s_add_u32 s10, s12, s10
	s_addc_u32 s5, 0, s5
	s_mul_hi_u32 s13, s67, s11
	s_mul_i32 s11, s67, s11
	s_add_u32 s10, s10, s11
	s_mul_hi_u32 s12, s67, s4
	s_addc_u32 s5, s5, s13
	s_addc_u32 s10, s12, 0
	s_mul_i32 s4, s67, s4
	s_add_u32 s4, s5, s4
	s_addc_u32 s5, 0, s10
	s_mul_i32 s5, s33, s5
	s_mul_hi_u32 s10, s33, s4
	s_add_i32 s10, s10, s5
	s_mul_i32 s4, s33, s4
	s_sub_u32 s12, s21, s4
	s_cselect_b64 s[4:5], -1, 0
	s_cmp_lg_u64 s[4:5], 0
	s_subb_u32 s10, s67, s10
	s_sub_u32 s11, s12, s33
	s_cselect_b64 s[4:5], -1, 0
	s_cmp_lg_u64 s[4:5], 0
	s_subb_u32 s13, s10, 0
	;; [unrolled: 4-line block ×3, first 2 shown]
	s_cmp_ge_u32 s11, s33
	s_cselect_b32 s5, -1, 0
	s_cmp_eq_u32 s13, 0
	s_cselect_b32 s5, s5, -1
	s_cmp_lg_u32 s5, 0
	s_cselect_b32 s4, s4, s13
	s_cselect_b32 s5, s20, s11
	s_cmp_ge_u32 s12, s33
	s_cselect_b32 s11, -1, 0
	s_cmp_eq_u32 s10, 0
	s_cselect_b32 s11, s11, -1
	s_cmp_lg_u32 s11, 0
	s_cselect_b32 s11, s4, s10
	s_cselect_b32 s10, s5, s12
	s_mov_b64 s[4:5], 0
	s_branch .LBB135_201
.LBB135_199:                            ;   in Loop: Header=BB135_12 Depth=1
                                        ; implicit-def: $sgpr12_sgpr13
	s_branch .LBB135_185
.LBB135_200:                            ;   in Loop: Header=BB135_12 Depth=1
	s_mov_b64 s[4:5], -1
	v_readlane_b32 s21, v47, 35
                                        ; implicit-def: $sgpr10_sgpr11
.LBB135_201:                            ;   in Loop: Header=BB135_12 Depth=1
	s_andn2_b64 vcc, exec, s[4:5]
	v_readlane_b32 s66, v47, 54
	s_cbranch_vccnz .LBB135_203
; %bb.202:                              ;   in Loop: Header=BB135_12 Depth=1
	v_cvt_f32_u32_e32 v4, s33
	s_sub_i32 s4, 0, s33
	v_rcp_iflag_f32_e32 v4, v4
	v_mul_f32_e32 v4, 0x4f7ffffe, v4
	v_cvt_u32_f32_e32 v4, v4
	v_readfirstlane_b32 s5, v4
	s_mul_i32 s4, s4, s5
	s_mul_hi_u32 s4, s5, s4
	s_add_i32 s5, s5, s4
	s_mul_hi_u32 s4, s21, s5
	s_mul_i32 s4, s4, s33
	s_sub_i32 s4, s21, s4
	s_sub_i32 s5, s4, s33
	s_cmp_ge_u32 s4, s33
	s_cselect_b32 s4, s5, s4
	s_sub_i32 s5, s4, s33
	s_cmp_ge_u32 s4, s33
	s_cselect_b32 s58, s5, s4
	s_mov_b64 s[10:11], s[58:59]
	v_readlane_b32 s58, v47, 55
.LBB135_203:                            ;   in Loop: Header=BB135_12 Depth=1
	s_sub_u32 s20, s21, s10
	s_subb_u32 s21, s67, s11
	v_cmp_gt_u64_e32 vcc, s[20:21], v[0:1]
                                        ; implicit-def: $vgpr10
	s_and_saveexec_b64 s[10:11], vcc
	s_cbranch_execz .LBB135_212
; %bb.204:                              ;   in Loop: Header=BB135_12 Depth=1
	v_mov_b32_e32 v5, v1
	s_mov_b64 s[44:45], 0
	v_mov_b32_e32 v4, v0
                                        ; implicit-def: $sgpr48_sgpr49
	s_branch .LBB135_207
.LBB135_205:                            ;   in Loop: Header=BB135_207 Depth=2
	s_or_b64 exec, exec, s[12:13]
	s_waitcnt lgkmcnt(0)
	s_barrier
	ds_read_u16 v10, v3 offset:3072
	s_mov_b64 s[4:5], -1
	s_waitcnt lgkmcnt(0)
	s_barrier
	v_cmp_eq_u32_sdwa s[12:13], v10, v3 src0_sel:BYTE_0 src1_sel:DWORD
	s_and_b64 vcc, exec, s[12:13]
	s_mov_b64 s[12:13], -1
	s_cbranch_vccnz .LBB135_210
.LBB135_206:                            ;   in Loop: Header=BB135_207 Depth=2
	s_and_b64 s[4:5], exec, s[4:5]
	s_or_b64 s[44:45], s[4:5], s[44:45]
	s_andn2_b64 s[4:5], s[48:49], exec
	s_and_b64 s[12:13], s[12:13], exec
	s_or_b64 s[48:49], s[4:5], s[12:13]
	s_andn2_b64 exec, exec, s[44:45]
	s_cbranch_execz .LBB135_211
.LBB135_207:                            ;   Parent Loop BB135_12 Depth=1
                                        ; =>  This Inner Loop Header: Depth=2
	v_cmp_gt_u64_e32 vcc, s[28:29], v[4:5]
	s_and_saveexec_b64 s[12:13], vcc
	s_cbranch_execz .LBB135_205
; %bb.208:                              ;   in Loop: Header=BB135_207 Depth=2
	v_mov_b32_e32 v10, s34
	v_mov_b32_e32 v11, s35
	v_mad_u64_u32 v[10:11], s[4:5], v4, s26, v[10:11]
	v_mul_lo_u32 v21, v4, s27
	v_mul_lo_u32 v22, v5, s26
	v_add3_u32 v11, v22, v11, v21
	global_load_ubyte v10, v[10:11], off
	s_waitcnt vmcnt(0)
	v_add_u32_sdwa v11, sext(v10), s70 dst_sel:DWORD dst_unused:UNUSED_PAD src0_sel:BYTE_0 src1_sel:DWORD
	v_and_b32_e32 v11, v11, v8
	v_cmp_eq_u32_e32 vcc, v11, v9
	s_and_b64 exec, exec, vcc
	s_cbranch_execz .LBB135_205
; %bb.209:                              ;   in Loop: Header=BB135_207 Depth=2
	v_lshlrev_b16_e32 v10, 8, v10
	v_or_b32_e32 v10, 1, v10
	ds_write_b16 v3, v10 offset:3072
	s_branch .LBB135_205
.LBB135_210:                            ;   in Loop: Header=BB135_207 Depth=2
	v_add_co_u32_e32 v4, vcc, s33, v4
	v_addc_co_u32_e32 v5, vcc, 0, v5, vcc
	v_cmp_le_u64_e32 vcc, s[20:21], v[4:5]
	s_mov_b64 s[12:13], 0
	s_orn2_b64 s[4:5], vcc, exec
	s_branch .LBB135_206
.LBB135_211:                            ;   in Loop: Header=BB135_12 Depth=1
	s_or_b64 exec, exec, s[44:45]
	s_andn2_b64 s[4:5], s[8:9], exec
	s_and_b64 s[8:9], s[48:49], exec
	v_lshrrev_b32_sdwa v10, v31, v10 dst_sel:DWORD dst_unused:UNUSED_PAD src0_sel:DWORD src1_sel:WORD_0
	s_or_b64 s[8:9], s[4:5], s[8:9]
.LBB135_212:                            ;   in Loop: Header=BB135_12 Depth=1
	s_or_b64 exec, exec, s[10:11]
	s_mov_b64 s[4:5], 0
	v_writelane_b32 v47, s4, 58
	s_mov_b64 s[20:21], -1
	v_writelane_b32 v47, s5, 59
.LBB135_213:                            ;   in Loop: Header=BB135_12 Depth=1
	s_orn2_b64 s[8:9], s[8:9], exec
.LBB135_214:                            ;   in Loop: Header=BB135_12 Depth=1
	s_or_b64 exec, exec, s[2:3]
	s_mov_b64 s[10:11], 0
	s_and_saveexec_b64 s[2:3], s[8:9]
	v_readlane_b32 s12, v47, 60
	v_readlane_b32 s13, v47, 61
	s_cbranch_execz .LBB135_274
; %bb.215:                              ;   in Loop: Header=BB135_12 Depth=1
	v_mov_b32_e32 v4, 1
	s_xor_b64 s[4:5], s[46:47], -1
	v_mov_b32_e32 v2, 1
	v_mov_b32_e32 v5, 0
	s_and_saveexec_b64 s[8:9], s[4:5]
	s_cbranch_execz .LBB135_224
; %bb.216:                              ;   in Loop: Header=BB135_12 Depth=1
	v_cmp_ge_u64_e32 vcc, s[56:57], v[6:7]
	s_and_saveexec_b64 s[4:5], vcc
	s_xor_b64 s[10:11], exec, s[4:5]
	s_cbranch_execz .LBB135_221
; %bb.217:                              ;   in Loop: Header=BB135_12 Depth=1
	ds_read_b64 v[4:5], v3 offset:5120
	v_and_b32_e32 v2, s61, v9
	v_lshl_or_b32 v9, 2, s69, v2
	v_or_b32_e32 v8, s60, v8
	s_waitcnt lgkmcnt(0)
	v_cmp_ne_u64_e32 vcc, 0, v[4:5]
	s_cbranch_vccnz .LBB135_221
; %bb.218:                              ;   in Loop: Header=BB135_12 Depth=1
	s_mov_b64 s[4:5], exec
	v_readlane_b32 s12, v47, 12
	v_readlane_b32 s13, v47, 13
	s_and_b64 s[12:13], s[4:5], s[12:13]
	s_mov_b64 exec, s[12:13]
; %bb.219:                              ;   in Loop: Header=BB135_12 Depth=1
	v_mov_b32_e32 v4, s56
	v_mov_b32_e32 v5, s57
	ds_write_b64 v3, v[4:5] offset:5128
; %bb.220:                              ;   in Loop: Header=BB135_12 Depth=1
	s_or_b64 exec, exec, s[4:5]
	s_waitcnt lgkmcnt(0)
	s_barrier
.LBB135_221:                            ;   in Loop: Header=BB135_12 Depth=1
	s_or_saveexec_b64 s[10:11], s[10:11]
	s_mov_b64 s[12:13], 0
	v_mov_b32_e32 v2, 8
	s_xor_b64 exec, exec, s[10:11]
; %bb.222:                              ;   in Loop: Header=BB135_12 Depth=1
	v_subrev_co_u32_e32 v6, vcc, s56, v6
	v_mov_b32_e32 v2, s57
	v_subb_co_u32_e32 v7, vcc, v7, v2, vcc
	v_mov_b32_e32 v2, 0
	s_mov_b64 s[12:13], exec
; %bb.223:                              ;   in Loop: Header=BB135_12 Depth=1
	s_or_b64 exec, exec, s[10:11]
	s_and_b64 s[10:11], s[12:13], exec
	v_mov_b32_e32 v4, v6
	v_readlane_b32 s12, v47, 60
	v_mov_b32_e32 v5, v7
	v_readlane_b32 s13, v47, 61
.LBB135_224:                            ;   in Loop: Header=BB135_12 Depth=1
	s_or_b64 exec, exec, s[8:9]
	s_mov_b64 s[8:9], -1
                                        ; implicit-def: $sgpr64_sgpr65
                                        ; implicit-def: $sgpr48_sgpr49
	s_and_saveexec_b64 s[46:47], s[10:11]
	s_cbranch_execz .LBB135_273
; %bb.225:                              ;   in Loop: Header=BB135_12 Depth=1
	s_cmp_eq_u64 s[36:37], 1
	v_cmp_eq_u64_e32 vcc, 1, v[4:5]
	v_writelane_b32 v47, s46, 62
	s_cselect_b64 s[4:5], -1, 0
	v_writelane_b32 v47, s47, 63
	s_and_b64 s[4:5], s[4:5], vcc
                                        ; implicit-def: $sgpr64_sgpr65
                                        ; implicit-def: $sgpr48_sgpr49
	s_mov_b64 s[10:11], exec
                                        ; implicit-def: $vgpr46 : SGPR spill to VGPR lane
	v_writelane_b32 v46, s4, 0
	v_writelane_b32 v46, s5, 1
	v_writelane_b32 v46, s10, 2
	s_and_b64 s[4:5], s[10:11], s[4:5]
	v_writelane_b32 v46, s11, 3
	s_mov_b64 exec, s[4:5]
	s_cbranch_execz .LBB135_261
; %bb.226:                              ;   in Loop: Header=BB135_12 Depth=1
	ds_read_b64 v[6:7], v3 offset:5120
	s_waitcnt lgkmcnt(0)
	s_barrier
	v_readfirstlane_b32 s72, v6
	v_readfirstlane_b32 s73, v7
	s_mov_b64 s[4:5], exec
	v_readlane_b32 s8, v47, 30
	v_readlane_b32 s9, v47, 31
	s_and_b64 s[8:9], s[4:5], s[8:9]
	s_mov_b64 exec, s[8:9]
; %bb.227:                              ;   in Loop: Header=BB135_12 Depth=1
	ds_write_b8 v0, v3 offset:3072
; %bb.228:                              ;   in Loop: Header=BB135_12 Depth=1
	s_or_b64 exec, exec, s[4:5]
	v_or_b32_e32 v9, s60, v9
	v_or_b32_e32 v8, s60, v8
	s_mov_b64 s[48:49], -1
	s_mov_b64 s[64:65], 0
	s_cmp_eq_u64 s[72:73], 0
	s_mov_b64 s[46:47], 0
	s_mov_b64 s[44:45], -1
	s_waitcnt lgkmcnt(0)
	s_barrier
                                        ; implicit-def: $vgpr10
	s_cbranch_scc1 .LBB135_244
; %bb.229:                              ;   in Loop: Header=BB135_12 Depth=1
	v_readlane_b32 s4, v47, 34
	s_add_u32 s10, s72, s4
	v_readlane_b32 s4, v47, 36
	s_addc_u32 s45, s73, s4
	s_mov_b32 s44, s59
	s_cmp_lg_u64 s[44:45], 0
	s_cbranch_scc0 .LBB135_231
; %bb.230:                              ;   in Loop: Header=BB135_12 Depth=1
	v_cvt_f32_u32_e32 v6, s33
	s_sub_u32 s8, 0, s33
	s_subb_u32 s9, 0, 0
	v_mac_f32_e32 v6, 0, v30
	v_rcp_f32_e32 v6, v6
	v_mul_f32_e32 v6, 0x5f7ffffc, v6
	v_mul_f32_e32 v7, 0x2f800000, v6
	v_trunc_f32_e32 v7, v7
	v_mac_f32_e32 v6, 0xcf800000, v7
	v_cvt_u32_f32_e32 v7, v7
	v_cvt_u32_f32_e32 v6, v6
	v_readfirstlane_b32 s11, v7
	v_readfirstlane_b32 s4, v6
	s_mul_i32 s5, s8, s11
	s_mul_hi_u32 s13, s8, s4
	s_mul_i32 s12, s9, s4
	s_add_i32 s5, s13, s5
	s_mul_i32 s44, s8, s4
	s_add_i32 s5, s5, s12
	s_mul_hi_u32 s13, s4, s44
	s_mul_i32 s46, s4, s5
	s_mul_hi_u32 s12, s4, s5
	s_add_u32 s13, s13, s46
	s_addc_u32 s12, 0, s12
	s_mul_hi_u32 s47, s11, s44
	s_mul_i32 s44, s11, s44
	s_add_u32 s13, s13, s44
	s_mul_hi_u32 s46, s11, s5
	s_addc_u32 s12, s12, s47
	s_addc_u32 s13, s46, 0
	s_mul_i32 s5, s11, s5
	s_add_u32 s5, s12, s5
	s_addc_u32 s12, 0, s13
	s_add_u32 s13, s4, s5
	s_cselect_b64 s[4:5], -1, 0
	s_cmp_lg_u64 s[4:5], 0
	s_addc_u32 s11, s11, s12
	s_mul_i32 s4, s8, s11
	s_mul_hi_u32 s5, s8, s13
	s_add_i32 s4, s5, s4
	s_mul_i32 s9, s9, s13
	s_add_i32 s4, s4, s9
	s_mul_i32 s8, s8, s13
	s_mul_hi_u32 s9, s11, s8
	s_mul_i32 s12, s11, s8
	s_mul_i32 s46, s13, s4
	s_mul_hi_u32 s8, s13, s8
	s_mul_hi_u32 s44, s13, s4
	s_add_u32 s8, s8, s46
	s_addc_u32 s44, 0, s44
	s_add_u32 s8, s8, s12
	s_mul_hi_u32 s5, s11, s4
	s_addc_u32 s8, s44, s9
	s_addc_u32 s5, s5, 0
	s_mul_i32 s4, s11, s4
	s_add_u32 s4, s8, s4
	s_addc_u32 s8, 0, s5
	s_add_u32 s9, s13, s4
	s_cselect_b64 s[4:5], -1, 0
	s_cmp_lg_u64 s[4:5], 0
	s_addc_u32 s4, s11, s8
	s_mul_i32 s8, s10, s4
	s_mul_hi_u32 s11, s10, s9
	s_mul_hi_u32 s5, s10, s4
	s_add_u32 s8, s11, s8
	s_addc_u32 s5, 0, s5
	s_mul_hi_u32 s12, s45, s9
	s_mul_i32 s9, s45, s9
	s_add_u32 s8, s8, s9
	s_mul_hi_u32 s11, s45, s4
	s_addc_u32 s5, s5, s12
	s_addc_u32 s8, s11, 0
	s_mul_i32 s4, s45, s4
	s_add_u32 s4, s5, s4
	s_addc_u32 s5, 0, s8
	s_mul_i32 s5, s33, s5
	s_mul_hi_u32 s8, s33, s4
	s_add_i32 s8, s8, s5
	s_mul_i32 s4, s33, s4
	s_sub_u32 s11, s10, s4
	s_cselect_b64 s[4:5], -1, 0
	s_cmp_lg_u64 s[4:5], 0
	s_subb_u32 s8, s45, s8
	s_sub_u32 s9, s11, s33
	s_cselect_b64 s[4:5], -1, 0
	s_cmp_lg_u64 s[4:5], 0
	s_subb_u32 s12, s8, 0
	;; [unrolled: 4-line block ×3, first 2 shown]
	s_cmp_ge_u32 s9, s33
	s_cselect_b32 s5, -1, 0
	s_cmp_eq_u32 s12, 0
	s_cselect_b32 s5, s5, -1
	s_cmp_lg_u32 s5, 0
	s_cselect_b32 s4, s4, s12
	s_cselect_b32 s5, s13, s9
	s_cmp_ge_u32 s11, s33
	s_cselect_b32 s9, -1, 0
	s_cmp_eq_u32 s8, 0
	s_cselect_b32 s9, s9, -1
	s_cmp_lg_u32 s9, 0
	s_cselect_b32 s9, s4, s8
	s_cselect_b32 s8, s5, s11
	s_mov_b64 s[4:5], 0
	s_branch .LBB135_232
.LBB135_231:                            ;   in Loop: Header=BB135_12 Depth=1
	s_mov_b64 s[4:5], -1
                                        ; implicit-def: $sgpr8_sgpr9
.LBB135_232:                            ;   in Loop: Header=BB135_12 Depth=1
	s_andn2_b64 vcc, exec, s[4:5]
	s_cbranch_vccnz .LBB135_234
; %bb.233:                              ;   in Loop: Header=BB135_12 Depth=1
	v_cvt_f32_u32_e32 v6, s33
	s_sub_i32 s4, 0, s33
	v_rcp_iflag_f32_e32 v6, v6
	v_mul_f32_e32 v6, 0x4f7ffffe, v6
	v_cvt_u32_f32_e32 v6, v6
	v_readfirstlane_b32 s5, v6
	s_mul_i32 s4, s4, s5
	s_mul_hi_u32 s4, s5, s4
	s_add_i32 s5, s5, s4
	s_mul_hi_u32 s4, s10, s5
	s_mul_i32 s4, s4, s33
	s_sub_i32 s4, s10, s4
	s_sub_i32 s5, s4, s33
	s_cmp_ge_u32 s4, s33
	s_cselect_b32 s4, s5, s4
	s_sub_i32 s5, s4, s33
	s_cmp_ge_u32 s4, s33
	s_cselect_b32 s58, s5, s4
	s_mov_b64 s[8:9], s[58:59]
	v_readlane_b32 s58, v47, 55
.LBB135_234:                            ;   in Loop: Header=BB135_12 Depth=1
	s_sub_u32 s64, s10, s8
	s_subb_u32 s65, s45, s9
	v_cmp_gt_u64_e32 vcc, s[64:65], v[0:1]
	s_mov_b64 s[44:45], 0
	s_mov_b64 s[46:47], 0
                                        ; implicit-def: $vgpr10
	s_and_saveexec_b64 s[8:9], vcc
	s_cbranch_execz .LBB135_243
; %bb.235:                              ;   in Loop: Header=BB135_12 Depth=1
	v_mov_b32_e32 v7, v1
	s_mov_b64 s[10:11], 0
	v_mov_b32_e32 v10, v0
	v_mov_b32_e32 v6, v0
                                        ; implicit-def: $sgpr12_sgpr13
	s_branch .LBB135_238
.LBB135_236:                            ;   in Loop: Header=BB135_238 Depth=2
	s_or_b64 exec, exec, s[4:5]
	s_waitcnt lgkmcnt(0)
	s_barrier
	ds_read_u16 v11, v3 offset:3072
	s_mov_b64 s[4:5], -1
	s_mov_b64 s[48:49], -1
	s_waitcnt lgkmcnt(0)
	s_barrier
	v_cmp_ne_u32_sdwa s[46:47], v11, v3 src0_sel:BYTE_0 src1_sel:DWORD
	s_and_b64 vcc, exec, s[46:47]
	s_cbranch_vccz .LBB135_241
.LBB135_237:                            ;   in Loop: Header=BB135_238 Depth=2
	s_and_b64 s[4:5], exec, s[4:5]
	s_or_b64 s[10:11], s[4:5], s[10:11]
	s_andn2_b64 s[4:5], s[12:13], exec
	s_and_b64 s[12:13], s[48:49], exec
	s_or_b64 s[12:13], s[4:5], s[12:13]
	s_andn2_b64 exec, exec, s[10:11]
	s_cbranch_execz .LBB135_242
.LBB135_238:                            ;   Parent Loop BB135_12 Depth=1
                                        ; =>  This Inner Loop Header: Depth=2
	v_cmp_gt_u64_e32 vcc, s[72:73], v[6:7]
	s_and_saveexec_b64 s[4:5], vcc
	s_cbranch_execz .LBB135_236
; %bb.239:                              ;   in Loop: Header=BB135_238 Depth=2
	ds_read_u8 v11, v10
	s_waitcnt lgkmcnt(0)
	v_add_u32_sdwa v21, sext(v11), s70 dst_sel:DWORD dst_unused:UNUSED_PAD src0_sel:BYTE_0 src1_sel:DWORD
	v_and_b32_e32 v21, v21, v8
	v_cmp_eq_u32_e32 vcc, v21, v9
	s_and_b64 exec, exec, vcc
	s_cbranch_execz .LBB135_236
; %bb.240:                              ;   in Loop: Header=BB135_238 Depth=2
	v_lshlrev_b16_e32 v11, 8, v11
	v_or_b32_e32 v11, 1, v11
	ds_write_b16 v3, v11 offset:3072
	s_branch .LBB135_236
.LBB135_241:                            ;   in Loop: Header=BB135_238 Depth=2
	v_add_co_u32_e32 v6, vcc, s33, v6
	v_addc_co_u32_e32 v7, vcc, 0, v7, vcc
	v_cmp_le_u64_e32 vcc, s[64:65], v[6:7]
	v_add_u32_e32 v10, s33, v10
	s_mov_b64 s[48:49], 0
	s_orn2_b64 s[4:5], vcc, exec
	s_branch .LBB135_237
.LBB135_242:                            ;   in Loop: Header=BB135_12 Depth=1
	s_or_b64 exec, exec, s[10:11]
	v_lshrrev_b32_sdwa v10, v31, v11 dst_sel:DWORD dst_unused:UNUSED_PAD src0_sel:DWORD src1_sel:WORD_0
	s_and_b64 s[46:47], s[12:13], exec
.LBB135_243:                            ;   in Loop: Header=BB135_12 Depth=1
	s_or_b64 exec, exec, s[8:9]
	s_mov_b64 s[48:49], -1
	s_mov_b64 s[64:65], 0
.LBB135_244:                            ;   in Loop: Header=BB135_12 Depth=1
	s_and_b64 vcc, exec, s[44:45]
	s_cbranch_vccz .LBB135_260
; %bb.245:                              ;   in Loop: Header=BB135_12 Depth=1
	s_mov_b32 s66, s59
	s_cmp_lg_u64 s[66:67], 0
	s_cbranch_scc0 .LBB135_247
; %bb.246:                              ;   in Loop: Header=BB135_12 Depth=1
	v_cvt_f32_u32_e32 v6, s33
	s_sub_u32 s8, 0, s33
	s_subb_u32 s9, 0, 0
	v_mac_f32_e32 v6, 0, v30
	v_rcp_f32_e32 v6, v6
	v_mul_f32_e32 v6, 0x5f7ffffc, v6
	v_mul_f32_e32 v7, 0x2f800000, v6
	v_trunc_f32_e32 v7, v7
	v_mac_f32_e32 v6, 0xcf800000, v7
	v_cvt_u32_f32_e32 v7, v7
	v_cvt_u32_f32_e32 v6, v6
	v_readfirstlane_b32 s10, v7
	v_readfirstlane_b32 s4, v6
	s_mul_i32 s5, s8, s10
	s_mul_hi_u32 s12, s8, s4
	s_mul_i32 s11, s9, s4
	s_add_i32 s5, s12, s5
	s_mul_i32 s13, s8, s4
	s_add_i32 s5, s5, s11
	s_mul_hi_u32 s12, s4, s13
	s_mul_i32 s44, s4, s5
	s_mul_hi_u32 s11, s4, s5
	s_add_u32 s12, s12, s44
	s_addc_u32 s11, 0, s11
	s_mul_hi_u32 s45, s10, s13
	s_mul_i32 s13, s10, s13
	s_add_u32 s12, s12, s13
	s_mul_hi_u32 s44, s10, s5
	s_addc_u32 s11, s11, s45
	s_addc_u32 s12, s44, 0
	s_mul_i32 s5, s10, s5
	s_add_u32 s5, s11, s5
	s_addc_u32 s11, 0, s12
	s_add_u32 s12, s4, s5
	s_cselect_b64 s[4:5], -1, 0
	s_cmp_lg_u64 s[4:5], 0
	s_addc_u32 s10, s10, s11
	s_mul_i32 s4, s8, s10
	s_mul_hi_u32 s5, s8, s12
	s_add_i32 s4, s5, s4
	s_mul_i32 s9, s9, s12
	s_add_i32 s4, s4, s9
	s_mul_i32 s8, s8, s12
	s_mul_hi_u32 s9, s10, s8
	s_mul_i32 s11, s10, s8
	s_mul_i32 s44, s12, s4
	s_mul_hi_u32 s8, s12, s8
	s_mul_hi_u32 s13, s12, s4
	s_add_u32 s8, s8, s44
	s_addc_u32 s13, 0, s13
	s_add_u32 s8, s8, s11
	s_mul_hi_u32 s5, s10, s4
	s_addc_u32 s8, s13, s9
	s_addc_u32 s5, s5, 0
	s_mul_i32 s4, s10, s4
	s_add_u32 s4, s8, s4
	s_addc_u32 s8, 0, s5
	s_add_u32 s9, s12, s4
	s_cselect_b64 s[4:5], -1, 0
	s_cmp_lg_u64 s[4:5], 0
	s_addc_u32 s4, s10, s8
	v_readlane_b32 s13, v47, 35
	s_mul_i32 s8, s13, s4
	s_mul_hi_u32 s10, s13, s9
	s_mul_hi_u32 s5, s13, s4
	s_add_u32 s8, s10, s8
	s_addc_u32 s5, 0, s5
	s_mul_hi_u32 s11, s67, s9
	s_mul_i32 s9, s67, s9
	s_add_u32 s8, s8, s9
	s_mul_hi_u32 s10, s67, s4
	s_addc_u32 s5, s5, s11
	s_addc_u32 s8, s10, 0
	s_mul_i32 s4, s67, s4
	s_add_u32 s4, s5, s4
	s_addc_u32 s5, 0, s8
	s_mul_i32 s5, s33, s5
	s_mul_hi_u32 s8, s33, s4
	s_add_i32 s8, s8, s5
	s_mul_i32 s4, s33, s4
	s_sub_u32 s10, s13, s4
	s_cselect_b64 s[4:5], -1, 0
	s_cmp_lg_u64 s[4:5], 0
	s_subb_u32 s8, s67, s8
	s_sub_u32 s9, s10, s33
	s_cselect_b64 s[4:5], -1, 0
	s_cmp_lg_u64 s[4:5], 0
	s_subb_u32 s11, s8, 0
	;; [unrolled: 4-line block ×3, first 2 shown]
	s_cmp_ge_u32 s9, s33
	s_cselect_b32 s5, -1, 0
	s_cmp_eq_u32 s11, 0
	s_cselect_b32 s5, s5, -1
	s_cmp_lg_u32 s5, 0
	s_cselect_b32 s4, s4, s11
	s_cselect_b32 s5, s12, s9
	s_cmp_ge_u32 s10, s33
	s_cselect_b32 s9, -1, 0
	s_cmp_eq_u32 s8, 0
	s_cselect_b32 s9, s9, -1
	s_cmp_lg_u32 s9, 0
	s_cselect_b32 s9, s4, s8
	s_cselect_b32 s8, s5, s10
	s_mov_b64 s[4:5], 0
	s_branch .LBB135_248
.LBB135_247:                            ;   in Loop: Header=BB135_12 Depth=1
	s_mov_b64 s[4:5], -1
	v_readlane_b32 s13, v47, 35
                                        ; implicit-def: $sgpr8_sgpr9
.LBB135_248:                            ;   in Loop: Header=BB135_12 Depth=1
	s_andn2_b64 vcc, exec, s[4:5]
	v_readlane_b32 s66, v47, 54
	s_cbranch_vccnz .LBB135_250
; %bb.249:                              ;   in Loop: Header=BB135_12 Depth=1
	v_cvt_f32_u32_e32 v6, s33
	s_sub_i32 s4, 0, s33
	v_rcp_iflag_f32_e32 v6, v6
	v_mul_f32_e32 v6, 0x4f7ffffe, v6
	v_cvt_u32_f32_e32 v6, v6
	v_readfirstlane_b32 s5, v6
	s_mul_i32 s4, s4, s5
	s_mul_hi_u32 s4, s5, s4
	s_add_i32 s5, s5, s4
	s_mul_hi_u32 s4, s13, s5
	s_mul_i32 s4, s4, s33
	s_sub_i32 s4, s13, s4
	s_sub_i32 s5, s4, s33
	s_cmp_ge_u32 s4, s33
	s_cselect_b32 s4, s5, s4
	s_sub_i32 s5, s4, s33
	s_cmp_ge_u32 s4, s33
	s_cselect_b32 s58, s5, s4
	s_mov_b64 s[8:9], s[58:59]
	v_readlane_b32 s58, v47, 55
.LBB135_250:                            ;   in Loop: Header=BB135_12 Depth=1
	s_sub_u32 s10, s13, s8
	s_subb_u32 s11, s67, s9
	v_cmp_gt_u64_e32 vcc, s[10:11], v[0:1]
                                        ; implicit-def: $vgpr10
	s_and_saveexec_b64 s[8:9], vcc
	s_cbranch_execz .LBB135_259
; %bb.251:                              ;   in Loop: Header=BB135_12 Depth=1
	v_mov_b32_e32 v7, v1
	s_mov_b64 s[44:45], 0
	v_mov_b32_e32 v6, v0
                                        ; implicit-def: $sgpr64_sgpr65
	s_branch .LBB135_254
.LBB135_252:                            ;   in Loop: Header=BB135_254 Depth=2
	s_or_b64 exec, exec, s[12:13]
	s_waitcnt lgkmcnt(0)
	s_barrier
	ds_read_u16 v10, v3 offset:3072
	s_mov_b64 s[4:5], -1
	s_waitcnt lgkmcnt(0)
	s_barrier
	v_cmp_eq_u32_sdwa s[12:13], v10, v3 src0_sel:BYTE_0 src1_sel:DWORD
	s_and_b64 vcc, exec, s[12:13]
	s_mov_b64 s[12:13], -1
	s_cbranch_vccnz .LBB135_257
.LBB135_253:                            ;   in Loop: Header=BB135_254 Depth=2
	s_and_b64 s[4:5], exec, s[4:5]
	s_or_b64 s[44:45], s[4:5], s[44:45]
	s_andn2_b64 s[4:5], s[64:65], exec
	s_and_b64 s[12:13], s[12:13], exec
	s_or_b64 s[64:65], s[4:5], s[12:13]
	s_andn2_b64 exec, exec, s[44:45]
	s_cbranch_execz .LBB135_258
.LBB135_254:                            ;   Parent Loop BB135_12 Depth=1
                                        ; =>  This Inner Loop Header: Depth=2
	v_cmp_gt_u64_e32 vcc, s[28:29], v[6:7]
	s_and_saveexec_b64 s[12:13], vcc
	s_cbranch_execz .LBB135_252
; %bb.255:                              ;   in Loop: Header=BB135_254 Depth=2
	v_mov_b32_e32 v10, s34
	v_mov_b32_e32 v11, s35
	v_mad_u64_u32 v[10:11], s[4:5], v6, s26, v[10:11]
	v_mul_lo_u32 v21, v6, s27
	v_mul_lo_u32 v22, v7, s26
	v_add3_u32 v11, v22, v11, v21
	global_load_ubyte v10, v[10:11], off
	s_waitcnt vmcnt(0)
	v_add_u32_sdwa v11, sext(v10), s70 dst_sel:DWORD dst_unused:UNUSED_PAD src0_sel:BYTE_0 src1_sel:DWORD
	v_and_b32_e32 v11, v11, v8
	v_cmp_eq_u32_e32 vcc, v11, v9
	s_and_b64 exec, exec, vcc
	s_cbranch_execz .LBB135_252
; %bb.256:                              ;   in Loop: Header=BB135_254 Depth=2
	v_lshlrev_b16_e32 v10, 8, v10
	v_or_b32_e32 v10, 1, v10
	ds_write_b16 v3, v10 offset:3072
	s_branch .LBB135_252
.LBB135_257:                            ;   in Loop: Header=BB135_254 Depth=2
	v_add_co_u32_e32 v6, vcc, s33, v6
	v_addc_co_u32_e32 v7, vcc, 0, v7, vcc
	v_cmp_le_u64_e32 vcc, s[10:11], v[6:7]
	s_mov_b64 s[12:13], 0
	s_orn2_b64 s[4:5], vcc, exec
	s_branch .LBB135_253
.LBB135_258:                            ;   in Loop: Header=BB135_12 Depth=1
	s_or_b64 exec, exec, s[44:45]
	s_andn2_b64 s[4:5], s[46:47], exec
	s_and_b64 s[10:11], s[64:65], exec
	v_lshrrev_b32_sdwa v10, v31, v10 dst_sel:DWORD dst_unused:UNUSED_PAD src0_sel:DWORD src1_sel:WORD_0
	s_or_b64 s[46:47], s[4:5], s[10:11]
.LBB135_259:                            ;   in Loop: Header=BB135_12 Depth=1
	s_or_b64 exec, exec, s[8:9]
	s_mov_b64 s[48:49], 0
	s_mov_b64 s[64:65], -1
.LBB135_260:                            ;   in Loop: Header=BB135_12 Depth=1
	s_orn2_b64 s[8:9], s[46:47], exec
.LBB135_261:                            ;   in Loop: Header=BB135_12 Depth=1
	v_readlane_b32 s4, v46, 2
	v_readlane_b32 s5, v46, 3
	s_or_b64 exec, exec, s[4:5]
	s_mov_b64 s[10:11], 0
	s_and_saveexec_b64 s[44:45], s[8:9]
	v_readlane_b32 s12, v47, 60
	v_readlane_b32 s46, v47, 62
	;; [unrolled: 1-line block ×4, first 2 shown]
	s_cbranch_execz .LBB135_272
; %bb.262:                              ;   in Loop: Header=BB135_12 Depth=1
	v_readlane_b32 s4, v46, 0
	v_readlane_b32 s5, v46, 1
	v_mov_b32_e32 v6, 1
	s_xor_b64 s[4:5], s[4:5], -1
	v_mov_b32_e32 v7, 0
	v_mov_b32_e32 v2, 1
	s_and_saveexec_b64 s[8:9], s[4:5]
	s_cbranch_execz .LBB135_271
; %bb.263:                              ;   in Loop: Header=BB135_12 Depth=1
	v_cmp_ge_u64_e32 vcc, s[36:37], v[4:5]
	s_and_saveexec_b64 s[4:5], vcc
	s_xor_b64 s[10:11], exec, s[4:5]
	s_cbranch_execz .LBB135_268
; %bb.264:                              ;   in Loop: Header=BB135_12 Depth=1
	ds_read_b64 v[6:7], v3 offset:5120
	v_or_b32_e32 v9, s60, v9
	v_or_b32_e32 v8, s60, v8
	s_waitcnt lgkmcnt(0)
	v_cmp_ne_u64_e32 vcc, 0, v[6:7]
	s_cbranch_vccnz .LBB135_268
; %bb.265:                              ;   in Loop: Header=BB135_12 Depth=1
	s_mov_b64 s[4:5], exec
	v_readlane_b32 s12, v47, 12
	v_readlane_b32 s13, v47, 13
	s_and_b64 s[12:13], s[4:5], s[12:13]
	s_mov_b64 exec, s[12:13]
; %bb.266:                              ;   in Loop: Header=BB135_12 Depth=1
	v_mov_b32_e32 v6, s36
	v_mov_b32_e32 v7, s37
	ds_write_b64 v3, v[6:7] offset:5128
; %bb.267:                              ;   in Loop: Header=BB135_12 Depth=1
	s_or_b64 exec, exec, s[4:5]
	s_waitcnt lgkmcnt(0)
	s_barrier
.LBB135_268:                            ;   in Loop: Header=BB135_12 Depth=1
	s_andn2_saveexec_b64 s[10:11], s[10:11]
; %bb.269:                              ;   in Loop: Header=BB135_12 Depth=1
	v_mov_b32_e32 v2, s37
	v_subrev_co_u32_e32 v4, vcc, s36, v4
	v_subb_co_u32_e32 v5, vcc, v5, v2, vcc
; %bb.270:                              ;   in Loop: Header=BB135_12 Depth=1
	s_or_b64 exec, exec, s[10:11]
	v_mov_b32_e32 v7, v5
	v_readlane_b32 s12, v47, 60
	v_readlane_b32 s46, v47, 62
	v_mov_b32_e32 v2, 8
	v_mov_b32_e32 v6, v4
	v_readlane_b32 s13, v47, 61
	v_readlane_b32 s47, v47, 63
.LBB135_271:                            ;   in Loop: Header=BB135_12 Depth=1
	s_or_b64 exec, exec, s[8:9]
	v_mov_b32_e32 v4, v6
	s_mov_b64 s[10:11], exec
	v_mov_b32_e32 v5, v7
.LBB135_272:                            ;   in Loop: Header=BB135_12 Depth=1
	s_or_b64 exec, exec, s[44:45]
	s_orn2_b64 s[8:9], s[10:11], exec
.LBB135_273:                            ;   in Loop: Header=BB135_12 Depth=1
	s_or_b64 exec, exec, s[46:47]
	s_andn2_b64 s[4:5], s[20:21], exec
	s_and_b64 s[10:11], s[64:65], exec
	s_or_b64 s[20:21], s[4:5], s[10:11]
	v_readlane_b32 s4, v47, 58
	v_readlane_b32 s5, v47, 59
	s_andn2_b64 s[4:5], s[4:5], exec
	s_and_b64 s[10:11], s[48:49], exec
	s_or_b64 s[4:5], s[4:5], s[10:11]
	v_mov_b32_e32 v7, v5
	v_writelane_b32 v47, s4, 58
	s_and_b64 s[10:11], s[8:9], exec
	v_mov_b32_e32 v6, v4
	v_writelane_b32 v47, s5, 59
.LBB135_274:                            ;   in Loop: Header=BB135_12 Depth=1
	s_or_b64 exec, exec, s[2:3]
	s_orn2_b64 s[2:3], s[10:11], exec
.LBB135_275:                            ;   in Loop: Header=BB135_12 Depth=1
	s_or_b64 exec, exec, s[12:13]
	s_andn2_b64 s[4:5], s[40:41], exec
	s_and_b64 s[8:9], s[20:21], exec
	s_or_b64 s[40:41], s[4:5], s[8:9]
	v_readlane_b32 s8, v47, 58
	v_readlane_b32 s9, v47, 59
	s_andn2_b64 s[4:5], s[38:39], exec
	s_and_b64 s[8:9], s[8:9], exec
	v_mov_b32_e32 v4, v6
	s_or_b64 s[38:39], s[4:5], s[8:9]
	s_and_b64 s[10:11], s[2:3], exec
	v_mov_b32_e32 v5, v7
.LBB135_276:                            ;   in Loop: Header=BB135_12 Depth=1
	s_or_b64 exec, exec, s[14:15]
	s_orn2_b64 s[2:3], s[10:11], exec
.LBB135_277:                            ;   in Loop: Header=BB135_12 Depth=1
	s_or_b64 exec, exec, s[6:7]
	s_mov_b64 s[6:7], 0
	s_mov_b64 s[8:9], 0
	s_and_saveexec_b64 s[4:5], s[2:3]
	s_xor_b64 s[2:3], exec, s[4:5]
; %bb.278:                              ;   in Loop: Header=BB135_12 Depth=1
	v_cmp_eq_u32_e32 vcc, 8, v2
	v_cmp_ne_u32_e64 s[6:7], 8, v2
	s_and_b64 s[8:9], s[6:7], exec
	s_and_b64 s[6:7], vcc, exec
; %bb.279:                              ;   in Loop: Header=BB135_12 Depth=1
	s_or_b64 exec, exec, s[2:3]
	s_andn2_b64 s[2:3], s[16:17], exec
	s_and_b64 s[4:5], s[40:41], exec
	s_or_b64 s[16:17], s[2:3], s[4:5]
	s_andn2_b64 s[2:3], s[42:43], exec
	s_and_b64 s[4:5], s[38:39], exec
	s_or_b64 s[42:43], s[2:3], s[4:5]
	s_and_b64 s[38:39], s[8:9], exec
	s_and_b64 s[40:41], s[6:7], exec
.LBB135_280:                            ;   in Loop: Header=BB135_12 Depth=1
	s_or_b64 exec, exec, s[52:53]
.LBB135_281:                            ;   in Loop: Header=BB135_12 Depth=1
	s_and_b64 vcc, exec, s[50:51]
	s_cbranch_vccz .LBB135_297
; %bb.282:                              ;   in Loop: Header=BB135_12 Depth=1
	s_cmp_eq_u64 s[36:37], 1
	s_cselect_b64 s[2:3], -1, 0
	s_and_b64 s[2:3], s[2:3], s[18:19]
	s_mov_b64 s[8:9], -1
                                        ; implicit-def: $sgpr18_sgpr19
                                        ; implicit-def: $sgpr24_sgpr25
	s_and_saveexec_b64 s[6:7], s[2:3]
	s_cbranch_execz .LBB135_318
; %bb.283:                              ;   in Loop: Header=BB135_12 Depth=1
	ds_read_b64 v[4:5], v3 offset:5120
	s_waitcnt lgkmcnt(0)
	s_barrier
	v_readfirstlane_b32 s10, v4
	v_readfirstlane_b32 s11, v5
	s_mov_b64 s[4:5], exec
	v_readlane_b32 s8, v47, 30
	v_readlane_b32 s9, v47, 31
	s_and_b64 s[8:9], s[4:5], s[8:9]
	s_mov_b64 exec, s[8:9]
; %bb.284:                              ;   in Loop: Header=BB135_12 Depth=1
	ds_write_b8 v0, v3 offset:3072
; %bb.285:                              ;   in Loop: Header=BB135_12 Depth=1
	s_or_b64 exec, exec, s[4:5]
	v_or_b32_e32 v28, s60, v28
	v_or_b32_e32 v32, s60, v32
	s_mov_b64 s[24:25], -1
	s_mov_b64 s[18:19], 0
	s_cmp_eq_u64 s[10:11], 0
	s_mov_b64 s[8:9], 0
	s_mov_b64 s[14:15], -1
	s_waitcnt lgkmcnt(0)
	s_barrier
                                        ; implicit-def: $vgpr33
	s_cbranch_scc1 .LBB135_300
; %bb.286:                              ;   in Loop: Header=BB135_12 Depth=1
	v_readlane_b32 s4, v47, 34
	s_add_u32 s14, s10, s4
	v_readlane_b32 s4, v47, 36
	s_addc_u32 s9, s11, s4
	s_mov_b32 s8, s59
	s_cmp_lg_u64 s[8:9], 0
	s_cbranch_scc0 .LBB135_303
; %bb.287:                              ;   in Loop: Header=BB135_12 Depth=1
	v_cvt_f32_u32_e32 v2, s33
	s_sub_u32 s8, 0, s33
	s_subb_u32 s12, 0, 0
	v_mac_f32_e32 v2, 0, v30
	v_rcp_f32_e32 v2, v2
	v_mul_f32_e32 v2, 0x5f7ffffc, v2
	v_mul_f32_e32 v4, 0x2f800000, v2
	v_trunc_f32_e32 v4, v4
	v_mac_f32_e32 v2, 0xcf800000, v4
	v_cvt_u32_f32_e32 v4, v4
	v_cvt_u32_f32_e32 v2, v2
	v_readfirstlane_b32 s13, v4
	v_readfirstlane_b32 s4, v2
	s_mul_i32 s5, s8, s13
	s_mul_hi_u32 s16, s8, s4
	s_mul_i32 s15, s12, s4
	s_add_i32 s5, s16, s5
	s_mul_i32 s17, s8, s4
	s_add_i32 s5, s5, s15
	s_mul_hi_u32 s16, s4, s17
	s_mul_i32 s20, s4, s5
	s_mul_hi_u32 s15, s4, s5
	s_add_u32 s16, s16, s20
	s_addc_u32 s15, 0, s15
	s_mul_hi_u32 s21, s13, s17
	s_mul_i32 s17, s13, s17
	s_add_u32 s16, s16, s17
	s_mul_hi_u32 s20, s13, s5
	s_addc_u32 s15, s15, s21
	s_addc_u32 s16, s20, 0
	s_mul_i32 s5, s13, s5
	s_add_u32 s5, s15, s5
	s_addc_u32 s15, 0, s16
	s_add_u32 s16, s4, s5
	s_cselect_b64 s[4:5], -1, 0
	s_cmp_lg_u64 s[4:5], 0
	s_addc_u32 s13, s13, s15
	s_mul_i32 s4, s8, s13
	s_mul_hi_u32 s5, s8, s16
	s_add_i32 s4, s5, s4
	s_mul_i32 s12, s12, s16
	s_add_i32 s4, s4, s12
	s_mul_i32 s8, s8, s16
	s_mul_hi_u32 s12, s13, s8
	s_mul_i32 s15, s13, s8
	s_mul_i32 s20, s16, s4
	s_mul_hi_u32 s8, s16, s8
	s_mul_hi_u32 s17, s16, s4
	s_add_u32 s8, s8, s20
	s_addc_u32 s17, 0, s17
	s_add_u32 s8, s8, s15
	s_mul_hi_u32 s5, s13, s4
	s_addc_u32 s8, s17, s12
	s_addc_u32 s5, s5, 0
	s_mul_i32 s4, s13, s4
	s_add_u32 s4, s8, s4
	s_addc_u32 s8, 0, s5
	s_add_u32 s12, s16, s4
	s_cselect_b64 s[4:5], -1, 0
	s_cmp_lg_u64 s[4:5], 0
	s_addc_u32 s4, s13, s8
	s_mul_i32 s8, s14, s4
	s_mul_hi_u32 s13, s14, s12
	s_mul_hi_u32 s5, s14, s4
	s_add_u32 s8, s13, s8
	s_addc_u32 s5, 0, s5
	s_mul_hi_u32 s15, s9, s12
	s_mul_i32 s12, s9, s12
	s_add_u32 s8, s8, s12
	s_mul_hi_u32 s13, s9, s4
	s_addc_u32 s5, s5, s15
	s_addc_u32 s8, s13, 0
	s_mul_i32 s4, s9, s4
	s_add_u32 s4, s5, s4
	s_addc_u32 s5, 0, s8
	s_mul_i32 s5, s33, s5
	s_mul_hi_u32 s8, s33, s4
	s_add_i32 s8, s8, s5
	s_mul_i32 s4, s33, s4
	s_sub_u32 s12, s14, s4
	s_cselect_b64 s[4:5], -1, 0
	s_cmp_lg_u64 s[4:5], 0
	s_subb_u32 s8, s9, s8
	s_sub_u32 s13, s12, s33
	s_cselect_b64 s[4:5], -1, 0
	s_cmp_lg_u64 s[4:5], 0
	s_subb_u32 s15, s8, 0
	;; [unrolled: 4-line block ×3, first 2 shown]
	s_cmp_ge_u32 s13, s33
	s_cselect_b32 s5, -1, 0
	s_cmp_eq_u32 s15, 0
	s_cselect_b32 s5, s5, -1
	s_cmp_lg_u32 s5, 0
	s_cselect_b32 s4, s4, s15
	s_cselect_b32 s5, s16, s13
	s_cmp_ge_u32 s12, s33
	s_cselect_b32 s13, -1, 0
	s_cmp_eq_u32 s8, 0
	s_cselect_b32 s13, s13, -1
	s_cmp_lg_u32 s13, 0
	s_cselect_b32 s13, s4, s8
	s_cselect_b32 s12, s5, s12
	s_cbranch_execnz .LBB135_289
.LBB135_288:                            ;   in Loop: Header=BB135_12 Depth=1
	v_cvt_f32_u32_e32 v2, s33
	s_sub_i32 s4, 0, s33
	v_rcp_iflag_f32_e32 v2, v2
	v_mul_f32_e32 v2, 0x4f7ffffe, v2
	v_cvt_u32_f32_e32 v2, v2
	v_readfirstlane_b32 s5, v2
	s_mul_i32 s4, s4, s5
	s_mul_hi_u32 s4, s5, s4
	s_add_i32 s5, s5, s4
	s_mul_hi_u32 s4, s14, s5
	s_mul_i32 s4, s4, s33
	s_sub_i32 s4, s14, s4
	s_sub_i32 s5, s4, s33
	s_cmp_ge_u32 s4, s33
	s_cselect_b32 s4, s5, s4
	s_sub_i32 s5, s4, s33
	s_cmp_ge_u32 s4, s33
	s_cselect_b32 s58, s5, s4
	s_mov_b64 s[12:13], s[58:59]
	v_readlane_b32 s58, v47, 55
.LBB135_289:                            ;   in Loop: Header=BB135_12 Depth=1
	s_sub_u32 s20, s14, s12
	s_subb_u32 s21, s9, s13
	v_cmp_gt_u64_e32 vcc, s[20:21], v[0:1]
	s_mov_b64 s[14:15], 0
	s_mov_b64 s[8:9], 0
                                        ; implicit-def: $vgpr33
	s_and_saveexec_b64 s[16:17], vcc
	s_cbranch_execz .LBB135_299
; %bb.290:                              ;   in Loop: Header=BB135_12 Depth=1
	v_mov_b32_e32 v5, v1
	v_mov_b32_e32 v2, v0
	;; [unrolled: 1-line block ×3, first 2 shown]
                                        ; implicit-def: $sgpr42_sgpr43
	s_branch .LBB135_293
.LBB135_291:                            ;   in Loop: Header=BB135_293 Depth=2
	s_or_b64 exec, exec, s[12:13]
	s_waitcnt lgkmcnt(0)
	s_barrier
	ds_read_u16 v6, v3 offset:3072
	s_mov_b64 s[4:5], -1
	s_waitcnt lgkmcnt(0)
	s_barrier
	v_cmp_ne_u32_sdwa s[12:13], v6, v3 src0_sel:BYTE_0 src1_sel:DWORD
	s_and_b64 vcc, exec, s[12:13]
	s_mov_b64 s[12:13], -1
	s_cbranch_vccz .LBB135_296
.LBB135_292:                            ;   in Loop: Header=BB135_293 Depth=2
	s_and_b64 s[4:5], exec, s[4:5]
	s_or_b64 s[8:9], s[4:5], s[8:9]
	s_andn2_b64 s[4:5], s[42:43], exec
	s_and_b64 s[12:13], s[12:13], exec
	s_or_b64 s[42:43], s[4:5], s[12:13]
	s_andn2_b64 exec, exec, s[8:9]
	s_cbranch_execz .LBB135_298
.LBB135_293:                            ;   Parent Loop BB135_12 Depth=1
                                        ; =>  This Inner Loop Header: Depth=2
	v_cmp_gt_u64_e32 vcc, s[10:11], v[4:5]
	s_and_saveexec_b64 s[12:13], vcc
	s_cbranch_execz .LBB135_291
; %bb.294:                              ;   in Loop: Header=BB135_293 Depth=2
	ds_read_u8 v6, v2
	s_waitcnt lgkmcnt(0)
	v_add_u32_sdwa v7, sext(v6), s70 dst_sel:DWORD dst_unused:UNUSED_PAD src0_sel:BYTE_0 src1_sel:DWORD
	v_and_b32_e32 v7, v7, v32
	v_cmp_eq_u32_e32 vcc, v7, v28
	s_and_b64 exec, exec, vcc
	s_cbranch_execz .LBB135_291
; %bb.295:                              ;   in Loop: Header=BB135_293 Depth=2
	v_lshlrev_b16_e32 v6, 8, v6
	v_or_b32_e32 v6, 1, v6
	ds_write_b16 v3, v6 offset:3072
	s_branch .LBB135_291
.LBB135_296:                            ;   in Loop: Header=BB135_293 Depth=2
	v_add_co_u32_e32 v4, vcc, s33, v4
	v_addc_co_u32_e32 v5, vcc, 0, v5, vcc
	v_cmp_le_u64_e32 vcc, s[20:21], v[4:5]
	v_add_u32_e32 v2, s33, v2
	s_mov_b64 s[12:13], 0
	s_orn2_b64 s[4:5], vcc, exec
	s_branch .LBB135_292
.LBB135_297:                            ;   in Loop: Header=BB135_12 Depth=1
	s_mov_b64 s[18:19], 0
	v_mov_b32_e32 v28, v9
	v_mov_b32_e32 v32, v8
	;; [unrolled: 1-line block ×3, first 2 shown]
	s_and_saveexec_b64 s[2:3], s[40:41]
	s_cbranch_execnz .LBB135_477
	s_branch .LBB135_478
.LBB135_298:                            ;   in Loop: Header=BB135_12 Depth=1
	s_or_b64 exec, exec, s[8:9]
	v_lshrrev_b32_sdwa v33, v31, v6 dst_sel:DWORD dst_unused:UNUSED_PAD src0_sel:DWORD src1_sel:WORD_0
	s_and_b64 s[8:9], s[42:43], exec
.LBB135_299:                            ;   in Loop: Header=BB135_12 Depth=1
	s_or_b64 exec, exec, s[16:17]
.LBB135_300:                            ;   in Loop: Header=BB135_12 Depth=1
	s_and_b64 vcc, exec, s[14:15]
	s_cbranch_vccz .LBB135_317
; %bb.301:                              ;   in Loop: Header=BB135_12 Depth=1
	s_mov_b32 s66, s59
	s_cmp_lg_u64 s[66:67], 0
	s_cbranch_scc0 .LBB135_304
; %bb.302:                              ;   in Loop: Header=BB135_12 Depth=1
	v_cvt_f32_u32_e32 v2, s33
	s_sub_u32 s10, 0, s33
	s_subb_u32 s11, 0, 0
	v_mac_f32_e32 v2, 0, v30
	v_rcp_f32_e32 v2, v2
	v_mul_f32_e32 v2, 0x5f7ffffc, v2
	v_mul_f32_e32 v4, 0x2f800000, v2
	v_trunc_f32_e32 v4, v4
	v_mac_f32_e32 v2, 0xcf800000, v4
	v_cvt_u32_f32_e32 v4, v4
	v_cvt_u32_f32_e32 v2, v2
	v_readfirstlane_b32 s12, v4
	v_readfirstlane_b32 s4, v2
	s_mul_i32 s5, s10, s12
	s_mul_hi_u32 s14, s10, s4
	s_mul_i32 s13, s11, s4
	s_add_i32 s5, s14, s5
	s_mul_i32 s15, s10, s4
	s_add_i32 s5, s5, s13
	s_mul_hi_u32 s14, s4, s15
	s_mul_i32 s16, s4, s5
	s_mul_hi_u32 s13, s4, s5
	s_add_u32 s14, s14, s16
	s_addc_u32 s13, 0, s13
	s_mul_hi_u32 s17, s12, s15
	s_mul_i32 s15, s12, s15
	s_add_u32 s14, s14, s15
	s_mul_hi_u32 s16, s12, s5
	s_addc_u32 s13, s13, s17
	s_addc_u32 s14, s16, 0
	s_mul_i32 s5, s12, s5
	s_add_u32 s5, s13, s5
	s_addc_u32 s13, 0, s14
	s_add_u32 s14, s4, s5
	s_cselect_b64 s[4:5], -1, 0
	s_cmp_lg_u64 s[4:5], 0
	s_addc_u32 s12, s12, s13
	s_mul_i32 s4, s10, s12
	s_mul_hi_u32 s5, s10, s14
	s_add_i32 s4, s5, s4
	s_mul_i32 s11, s11, s14
	s_add_i32 s4, s4, s11
	s_mul_i32 s10, s10, s14
	s_mul_hi_u32 s11, s12, s10
	s_mul_i32 s13, s12, s10
	s_mul_i32 s16, s14, s4
	s_mul_hi_u32 s10, s14, s10
	s_mul_hi_u32 s15, s14, s4
	s_add_u32 s10, s10, s16
	s_addc_u32 s15, 0, s15
	s_add_u32 s10, s10, s13
	s_mul_hi_u32 s5, s12, s4
	s_addc_u32 s10, s15, s11
	s_addc_u32 s5, s5, 0
	s_mul_i32 s4, s12, s4
	s_add_u32 s4, s10, s4
	s_addc_u32 s10, 0, s5
	s_add_u32 s11, s14, s4
	s_cselect_b64 s[4:5], -1, 0
	s_cmp_lg_u64 s[4:5], 0
	s_addc_u32 s4, s12, s10
	v_readlane_b32 s15, v47, 35
	s_mul_i32 s10, s15, s4
	s_mul_hi_u32 s12, s15, s11
	s_mul_hi_u32 s5, s15, s4
	s_add_u32 s10, s12, s10
	s_addc_u32 s5, 0, s5
	s_mul_hi_u32 s13, s67, s11
	s_mul_i32 s11, s67, s11
	s_add_u32 s10, s10, s11
	s_mul_hi_u32 s12, s67, s4
	s_addc_u32 s5, s5, s13
	s_addc_u32 s10, s12, 0
	s_mul_i32 s4, s67, s4
	s_add_u32 s4, s5, s4
	s_addc_u32 s5, 0, s10
	s_mul_i32 s5, s33, s5
	s_mul_hi_u32 s10, s33, s4
	s_add_i32 s10, s10, s5
	s_mul_i32 s4, s33, s4
	s_sub_u32 s12, s15, s4
	s_cselect_b64 s[4:5], -1, 0
	s_cmp_lg_u64 s[4:5], 0
	s_subb_u32 s10, s67, s10
	s_sub_u32 s11, s12, s33
	s_cselect_b64 s[4:5], -1, 0
	s_cmp_lg_u64 s[4:5], 0
	s_subb_u32 s13, s10, 0
	;; [unrolled: 4-line block ×3, first 2 shown]
	s_cmp_ge_u32 s11, s33
	s_cselect_b32 s5, -1, 0
	s_cmp_eq_u32 s13, 0
	s_cselect_b32 s5, s5, -1
	s_cmp_lg_u32 s5, 0
	s_cselect_b32 s4, s4, s13
	s_cselect_b32 s5, s14, s11
	s_cmp_ge_u32 s12, s33
	s_cselect_b32 s11, -1, 0
	s_cmp_eq_u32 s10, 0
	s_cselect_b32 s11, s11, -1
	s_cmp_lg_u32 s11, 0
	s_cselect_b32 s11, s4, s10
	s_cselect_b32 s10, s5, s12
	s_mov_b64 s[4:5], 0
	s_branch .LBB135_305
.LBB135_303:                            ;   in Loop: Header=BB135_12 Depth=1
                                        ; implicit-def: $sgpr12_sgpr13
	s_branch .LBB135_288
.LBB135_304:                            ;   in Loop: Header=BB135_12 Depth=1
	s_mov_b64 s[4:5], -1
	v_readlane_b32 s15, v47, 35
                                        ; implicit-def: $sgpr10_sgpr11
.LBB135_305:                            ;   in Loop: Header=BB135_12 Depth=1
	s_andn2_b64 vcc, exec, s[4:5]
	v_readlane_b32 s66, v47, 54
	s_cbranch_vccnz .LBB135_307
; %bb.306:                              ;   in Loop: Header=BB135_12 Depth=1
	v_cvt_f32_u32_e32 v2, s33
	s_sub_i32 s4, 0, s33
	v_rcp_iflag_f32_e32 v2, v2
	v_mul_f32_e32 v2, 0x4f7ffffe, v2
	v_cvt_u32_f32_e32 v2, v2
	v_readfirstlane_b32 s5, v2
	s_mul_i32 s4, s4, s5
	s_mul_hi_u32 s4, s5, s4
	s_add_i32 s5, s5, s4
	s_mul_hi_u32 s4, s15, s5
	s_mul_i32 s4, s4, s33
	s_sub_i32 s4, s15, s4
	s_sub_i32 s5, s4, s33
	s_cmp_ge_u32 s4, s33
	s_cselect_b32 s4, s5, s4
	s_sub_i32 s5, s4, s33
	s_cmp_ge_u32 s4, s33
	s_cselect_b32 s58, s5, s4
	s_mov_b64 s[10:11], s[58:59]
	v_readlane_b32 s58, v47, 55
.LBB135_307:                            ;   in Loop: Header=BB135_12 Depth=1
	s_sub_u32 s14, s15, s10
	s_subb_u32 s15, s67, s11
	v_cmp_gt_u64_e32 vcc, s[14:15], v[0:1]
                                        ; implicit-def: $vgpr33
	s_and_saveexec_b64 s[10:11], vcc
	s_cbranch_execz .LBB135_316
; %bb.308:                              ;   in Loop: Header=BB135_12 Depth=1
	v_mov_b32_e32 v5, v1
	s_mov_b64 s[16:17], 0
	v_mov_b32_e32 v4, v0
                                        ; implicit-def: $sgpr18_sgpr19
	s_branch .LBB135_311
.LBB135_309:                            ;   in Loop: Header=BB135_311 Depth=2
	s_or_b64 exec, exec, s[12:13]
	s_waitcnt lgkmcnt(0)
	s_barrier
	ds_read_u16 v2, v3 offset:3072
	s_mov_b64 s[4:5], -1
	s_waitcnt lgkmcnt(0)
	s_barrier
	v_cmp_ne_u32_sdwa s[12:13], v2, v3 src0_sel:BYTE_0 src1_sel:DWORD
	s_and_b64 vcc, exec, s[12:13]
	s_mov_b64 s[12:13], -1
	s_cbranch_vccz .LBB135_314
.LBB135_310:                            ;   in Loop: Header=BB135_311 Depth=2
	s_and_b64 s[4:5], exec, s[4:5]
	s_or_b64 s[16:17], s[4:5], s[16:17]
	s_andn2_b64 s[4:5], s[18:19], exec
	s_and_b64 s[12:13], s[12:13], exec
	s_or_b64 s[18:19], s[4:5], s[12:13]
	s_andn2_b64 exec, exec, s[16:17]
	s_cbranch_execz .LBB135_315
.LBB135_311:                            ;   Parent Loop BB135_12 Depth=1
                                        ; =>  This Inner Loop Header: Depth=2
	v_cmp_gt_u64_e32 vcc, s[28:29], v[4:5]
	s_and_saveexec_b64 s[12:13], vcc
	s_cbranch_execz .LBB135_309
; %bb.312:                              ;   in Loop: Header=BB135_311 Depth=2
	v_mov_b32_e32 v6, s34
	v_mov_b32_e32 v7, s35
	v_mad_u64_u32 v[6:7], s[4:5], v4, s26, v[6:7]
	v_mul_lo_u32 v2, v4, s27
	v_mul_lo_u32 v8, v5, s26
	v_add3_u32 v7, v8, v7, v2
	global_load_ubyte v2, v[6:7], off
	s_waitcnt vmcnt(0)
	v_add_u32_sdwa v6, sext(v2), s70 dst_sel:DWORD dst_unused:UNUSED_PAD src0_sel:BYTE_0 src1_sel:DWORD
	v_and_b32_e32 v6, v6, v32
	v_cmp_eq_u32_e32 vcc, v6, v28
	s_and_b64 exec, exec, vcc
	s_cbranch_execz .LBB135_309
; %bb.313:                              ;   in Loop: Header=BB135_311 Depth=2
	v_lshlrev_b16_e32 v2, 8, v2
	v_or_b32_e32 v2, 1, v2
	ds_write_b16 v3, v2 offset:3072
	s_branch .LBB135_309
.LBB135_314:                            ;   in Loop: Header=BB135_311 Depth=2
	v_add_co_u32_e32 v4, vcc, s33, v4
	v_addc_co_u32_e32 v5, vcc, 0, v5, vcc
	v_cmp_le_u64_e32 vcc, s[14:15], v[4:5]
	s_mov_b64 s[12:13], 0
	s_orn2_b64 s[4:5], vcc, exec
	s_branch .LBB135_310
.LBB135_315:                            ;   in Loop: Header=BB135_12 Depth=1
	s_or_b64 exec, exec, s[16:17]
	s_andn2_b64 s[4:5], s[8:9], exec
	s_and_b64 s[8:9], s[18:19], exec
	v_lshrrev_b32_sdwa v33, v31, v2 dst_sel:DWORD dst_unused:UNUSED_PAD src0_sel:DWORD src1_sel:WORD_0
	s_or_b64 s[8:9], s[4:5], s[8:9]
.LBB135_316:                            ;   in Loop: Header=BB135_12 Depth=1
	s_or_b64 exec, exec, s[10:11]
	s_mov_b64 s[24:25], 0
	s_mov_b64 s[18:19], -1
.LBB135_317:                            ;   in Loop: Header=BB135_12 Depth=1
	s_orn2_b64 s[8:9], s[8:9], exec
.LBB135_318:                            ;   in Loop: Header=BB135_12 Depth=1
	s_or_b64 exec, exec, s[6:7]
                                        ; implicit-def: $vgpr4_vgpr5
                                        ; implicit-def: $vgpr2
	s_and_saveexec_b64 s[16:17], s[8:9]
	s_cbranch_execz .LBB135_476
; %bb.319:                              ;   in Loop: Header=BB135_12 Depth=1
	v_mov_b32_e32 v4, 1
	s_xor_b64 s[4:5], s[2:3], -1
	v_mov_b32_e32 v2, 1
	v_mov_b32_e32 v5, 0
	s_mov_b64 s[6:7], 0
	s_and_saveexec_b64 s[2:3], s[4:5]
	s_cbranch_execz .LBB135_328
; %bb.320:                              ;   in Loop: Header=BB135_12 Depth=1
	v_cmp_ge_u64_e32 vcc, s[36:37], v[19:20]
	s_and_saveexec_b64 s[4:5], vcc
	s_xor_b64 s[6:7], exec, s[4:5]
	s_cbranch_execz .LBB135_325
; %bb.321:                              ;   in Loop: Header=BB135_12 Depth=1
	ds_read_b64 v[4:5], v3 offset:5120
	v_or_b32_e32 v28, s60, v28
	v_or_b32_e32 v32, s60, v32
	s_waitcnt lgkmcnt(0)
	v_cmp_ne_u64_e32 vcc, 0, v[4:5]
	s_cbranch_vccnz .LBB135_325
; %bb.322:                              ;   in Loop: Header=BB135_12 Depth=1
	s_mov_b64 s[4:5], exec
	v_readlane_b32 s8, v47, 12
	v_readlane_b32 s9, v47, 13
	s_and_b64 s[8:9], s[4:5], s[8:9]
	s_mov_b64 exec, s[8:9]
; %bb.323:                              ;   in Loop: Header=BB135_12 Depth=1
	v_mov_b32_e32 v4, s36
	v_mov_b32_e32 v5, s37
	ds_write_b64 v3, v[4:5] offset:5128
; %bb.324:                              ;   in Loop: Header=BB135_12 Depth=1
	s_or_b64 exec, exec, s[4:5]
	s_waitcnt lgkmcnt(0)
	s_barrier
.LBB135_325:                            ;   in Loop: Header=BB135_12 Depth=1
	s_or_saveexec_b64 s[6:7], s[6:7]
	s_mov_b64 s[8:9], 0
	v_mov_b32_e32 v2, 5
	s_xor_b64 exec, exec, s[6:7]
; %bb.326:                              ;   in Loop: Header=BB135_12 Depth=1
	v_subrev_co_u32_e32 v19, vcc, s36, v19
	v_mov_b32_e32 v2, s37
	v_subb_co_u32_e32 v20, vcc, v20, v2, vcc
	v_mov_b32_e32 v2, 0
	s_mov_b64 s[8:9], exec
; %bb.327:                              ;   in Loop: Header=BB135_12 Depth=1
	s_or_b64 exec, exec, s[6:7]
	v_mov_b32_e32 v4, v19
	s_and_b64 s[6:7], s[8:9], exec
	v_mov_b32_e32 v5, v20
.LBB135_328:                            ;   in Loop: Header=BB135_12 Depth=1
	s_or_b64 exec, exec, s[2:3]
	s_mov_b64 s[2:3], -1
                                        ; implicit-def: $sgpr36_sgpr37
                                        ; implicit-def: $sgpr42_sgpr43
	s_and_saveexec_b64 s[4:5], s[6:7]
	s_xor_b64 s[6:7], exec, s[4:5]
	s_cbranch_execz .LBB135_473
; %bb.329:                              ;   in Loop: Header=BB135_12 Depth=1
	s_cmp_eq_u64 s[56:57], 1
	v_cmp_eq_u64_e32 vcc, 1, v[4:5]
	s_cselect_b64 s[2:3], -1, 0
	s_and_b64 s[2:3], s[2:3], vcc
	s_mov_b64 s[8:9], -1
                                        ; implicit-def: $sgpr42_sgpr43
                                        ; implicit-def: $sgpr36_sgpr37
	s_and_saveexec_b64 s[14:15], s[2:3]
	s_cbranch_execz .LBB135_364
; %bb.330:                              ;   in Loop: Header=BB135_12 Depth=1
	ds_read_b64 v[6:7], v3 offset:5120
	s_waitcnt lgkmcnt(0)
	s_barrier
	v_readfirstlane_b32 s10, v6
	v_readfirstlane_b32 s11, v7
	s_mov_b64 s[4:5], exec
	v_readlane_b32 s8, v47, 30
	v_readlane_b32 s9, v47, 31
	s_and_b64 s[8:9], s[4:5], s[8:9]
	s_mov_b64 exec, s[8:9]
; %bb.331:                              ;   in Loop: Header=BB135_12 Depth=1
	ds_write_b8 v0, v3 offset:3072
; %bb.332:                              ;   in Loop: Header=BB135_12 Depth=1
	s_or_b64 exec, exec, s[4:5]
	v_and_b32_e32 v6, s61, v28
	v_lshl_or_b32 v28, 2, s69, v6
	v_or_b32_e32 v32, s60, v32
	s_mov_b64 s[36:37], -1
	s_mov_b64 s[42:43], 0
	s_cmp_eq_u64 s[10:11], 0
	s_mov_b64 s[8:9], 0
	s_mov_b64 s[20:21], -1
	s_waitcnt lgkmcnt(0)
	s_barrier
                                        ; implicit-def: $vgpr33
	s_cbranch_scc1 .LBB135_346
; %bb.333:                              ;   in Loop: Header=BB135_12 Depth=1
	v_readlane_b32 s4, v47, 34
	s_add_u32 s20, s10, s4
	v_readlane_b32 s4, v47, 36
	s_addc_u32 s9, s11, s4
	s_mov_b32 s8, s59
	s_cmp_lg_u64 s[8:9], 0
	s_cbranch_scc0 .LBB135_349
; %bb.334:                              ;   in Loop: Header=BB135_12 Depth=1
	v_cvt_f32_u32_e32 v6, s33
	s_sub_u32 s8, 0, s33
	s_subb_u32 s12, 0, 0
	v_mac_f32_e32 v6, 0, v30
	v_rcp_f32_e32 v6, v6
	v_mul_f32_e32 v6, 0x5f7ffffc, v6
	v_mul_f32_e32 v7, 0x2f800000, v6
	v_trunc_f32_e32 v7, v7
	v_mac_f32_e32 v6, 0xcf800000, v7
	v_cvt_u32_f32_e32 v7, v7
	v_cvt_u32_f32_e32 v6, v6
	v_readfirstlane_b32 s13, v7
	v_readfirstlane_b32 s4, v6
	s_mul_i32 s5, s8, s13
	s_mul_hi_u32 s44, s8, s4
	s_mul_i32 s21, s12, s4
	s_add_i32 s5, s44, s5
	s_mul_i32 s45, s8, s4
	s_add_i32 s5, s5, s21
	s_mul_hi_u32 s44, s4, s45
	s_mul_i32 s46, s4, s5
	s_mul_hi_u32 s21, s4, s5
	s_add_u32 s44, s44, s46
	s_addc_u32 s21, 0, s21
	s_mul_hi_u32 s47, s13, s45
	s_mul_i32 s45, s13, s45
	s_add_u32 s44, s44, s45
	s_mul_hi_u32 s46, s13, s5
	s_addc_u32 s21, s21, s47
	s_addc_u32 s44, s46, 0
	s_mul_i32 s5, s13, s5
	s_add_u32 s5, s21, s5
	s_addc_u32 s21, 0, s44
	s_add_u32 s44, s4, s5
	s_cselect_b64 s[4:5], -1, 0
	s_cmp_lg_u64 s[4:5], 0
	s_addc_u32 s13, s13, s21
	s_mul_i32 s4, s8, s13
	s_mul_hi_u32 s5, s8, s44
	s_add_i32 s4, s5, s4
	s_mul_i32 s12, s12, s44
	s_add_i32 s4, s4, s12
	s_mul_i32 s8, s8, s44
	s_mul_hi_u32 s12, s13, s8
	s_mul_i32 s21, s13, s8
	s_mul_i32 s46, s44, s4
	s_mul_hi_u32 s8, s44, s8
	s_mul_hi_u32 s45, s44, s4
	s_add_u32 s8, s8, s46
	s_addc_u32 s45, 0, s45
	s_add_u32 s8, s8, s21
	s_mul_hi_u32 s5, s13, s4
	s_addc_u32 s8, s45, s12
	s_addc_u32 s5, s5, 0
	s_mul_i32 s4, s13, s4
	s_add_u32 s4, s8, s4
	s_addc_u32 s8, 0, s5
	s_add_u32 s12, s44, s4
	s_cselect_b64 s[4:5], -1, 0
	s_cmp_lg_u64 s[4:5], 0
	s_addc_u32 s4, s13, s8
	s_mul_i32 s8, s20, s4
	s_mul_hi_u32 s13, s20, s12
	s_mul_hi_u32 s5, s20, s4
	s_add_u32 s8, s13, s8
	s_addc_u32 s5, 0, s5
	s_mul_hi_u32 s21, s9, s12
	s_mul_i32 s12, s9, s12
	s_add_u32 s8, s8, s12
	s_mul_hi_u32 s13, s9, s4
	s_addc_u32 s5, s5, s21
	s_addc_u32 s8, s13, 0
	s_mul_i32 s4, s9, s4
	s_add_u32 s4, s5, s4
	s_addc_u32 s5, 0, s8
	s_mul_i32 s5, s33, s5
	s_mul_hi_u32 s8, s33, s4
	s_add_i32 s8, s8, s5
	s_mul_i32 s4, s33, s4
	s_sub_u32 s12, s20, s4
	s_cselect_b64 s[4:5], -1, 0
	s_cmp_lg_u64 s[4:5], 0
	s_subb_u32 s8, s9, s8
	s_sub_u32 s13, s12, s33
	s_cselect_b64 s[4:5], -1, 0
	s_cmp_lg_u64 s[4:5], 0
	s_subb_u32 s21, s8, 0
	;; [unrolled: 4-line block ×3, first 2 shown]
	s_cmp_ge_u32 s13, s33
	s_cselect_b32 s5, -1, 0
	s_cmp_eq_u32 s21, 0
	s_cselect_b32 s5, s5, -1
	s_cmp_lg_u32 s5, 0
	s_cselect_b32 s4, s4, s21
	s_cselect_b32 s5, s44, s13
	s_cmp_ge_u32 s12, s33
	s_cselect_b32 s13, -1, 0
	s_cmp_eq_u32 s8, 0
	s_cselect_b32 s13, s13, -1
	s_cmp_lg_u32 s13, 0
	s_cselect_b32 s13, s4, s8
	s_cselect_b32 s12, s5, s12
	s_cbranch_execnz .LBB135_336
.LBB135_335:                            ;   in Loop: Header=BB135_12 Depth=1
	v_cvt_f32_u32_e32 v6, s33
	s_sub_i32 s4, 0, s33
	v_rcp_iflag_f32_e32 v6, v6
	v_mul_f32_e32 v6, 0x4f7ffffe, v6
	v_cvt_u32_f32_e32 v6, v6
	v_readfirstlane_b32 s5, v6
	s_mul_i32 s4, s4, s5
	s_mul_hi_u32 s4, s5, s4
	s_add_i32 s5, s5, s4
	s_mul_hi_u32 s4, s20, s5
	s_mul_i32 s4, s4, s33
	s_sub_i32 s4, s20, s4
	s_sub_i32 s5, s4, s33
	s_cmp_ge_u32 s4, s33
	s_cselect_b32 s4, s5, s4
	s_sub_i32 s5, s4, s33
	s_cmp_ge_u32 s4, s33
	s_cselect_b32 s58, s5, s4
	s_mov_b64 s[12:13], s[58:59]
	v_readlane_b32 s58, v47, 55
.LBB135_336:                            ;   in Loop: Header=BB135_12 Depth=1
	s_sub_u32 s46, s20, s12
	s_subb_u32 s47, s9, s13
	v_cmp_gt_u64_e32 vcc, s[46:47], v[0:1]
	s_mov_b64 s[20:21], 0
	s_mov_b64 s[8:9], 0
                                        ; implicit-def: $vgpr33
	s_and_saveexec_b64 s[44:45], vcc
	s_cbranch_execz .LBB135_345
; %bb.337:                              ;   in Loop: Header=BB135_12 Depth=1
	v_mov_b32_e32 v7, v1
	v_mov_b32_e32 v8, v0
	;; [unrolled: 1-line block ×3, first 2 shown]
                                        ; implicit-def: $sgpr48_sgpr49
	s_branch .LBB135_340
.LBB135_338:                            ;   in Loop: Header=BB135_340 Depth=2
	s_or_b64 exec, exec, s[12:13]
	s_waitcnt lgkmcnt(0)
	s_barrier
	ds_read_u16 v9, v3 offset:3072
	s_mov_b64 s[4:5], -1
	s_waitcnt lgkmcnt(0)
	s_barrier
	v_cmp_ne_u32_sdwa s[12:13], v9, v3 src0_sel:BYTE_0 src1_sel:DWORD
	s_and_b64 vcc, exec, s[12:13]
	s_mov_b64 s[12:13], -1
	s_cbranch_vccz .LBB135_343
.LBB135_339:                            ;   in Loop: Header=BB135_340 Depth=2
	s_and_b64 s[4:5], exec, s[4:5]
	s_or_b64 s[8:9], s[4:5], s[8:9]
	s_andn2_b64 s[4:5], s[48:49], exec
	s_and_b64 s[12:13], s[12:13], exec
	s_or_b64 s[48:49], s[4:5], s[12:13]
	s_andn2_b64 exec, exec, s[8:9]
	s_cbranch_execz .LBB135_344
.LBB135_340:                            ;   Parent Loop BB135_12 Depth=1
                                        ; =>  This Inner Loop Header: Depth=2
	v_cmp_gt_u64_e32 vcc, s[10:11], v[6:7]
	s_and_saveexec_b64 s[12:13], vcc
	s_cbranch_execz .LBB135_338
; %bb.341:                              ;   in Loop: Header=BB135_340 Depth=2
	ds_read_u8 v9, v8
	s_waitcnt lgkmcnt(0)
	v_add_u32_sdwa v10, sext(v9), s70 dst_sel:DWORD dst_unused:UNUSED_PAD src0_sel:BYTE_0 src1_sel:DWORD
	v_and_b32_e32 v10, v10, v32
	v_cmp_eq_u32_e32 vcc, v10, v28
	s_and_b64 exec, exec, vcc
	s_cbranch_execz .LBB135_338
; %bb.342:                              ;   in Loop: Header=BB135_340 Depth=2
	v_lshlrev_b16_e32 v9, 8, v9
	v_or_b32_e32 v9, 1, v9
	ds_write_b16 v3, v9 offset:3072
	s_branch .LBB135_338
.LBB135_343:                            ;   in Loop: Header=BB135_340 Depth=2
	v_add_co_u32_e32 v6, vcc, s33, v6
	v_addc_co_u32_e32 v7, vcc, 0, v7, vcc
	v_cmp_le_u64_e32 vcc, s[46:47], v[6:7]
	v_add_u32_e32 v8, s33, v8
	s_mov_b64 s[12:13], 0
	s_orn2_b64 s[4:5], vcc, exec
	s_branch .LBB135_339
.LBB135_344:                            ;   in Loop: Header=BB135_12 Depth=1
	s_or_b64 exec, exec, s[8:9]
	v_lshrrev_b32_sdwa v33, v31, v9 dst_sel:DWORD dst_unused:UNUSED_PAD src0_sel:DWORD src1_sel:WORD_0
	s_and_b64 s[8:9], s[48:49], exec
.LBB135_345:                            ;   in Loop: Header=BB135_12 Depth=1
	s_or_b64 exec, exec, s[44:45]
.LBB135_346:                            ;   in Loop: Header=BB135_12 Depth=1
	s_and_b64 vcc, exec, s[20:21]
	s_cbranch_vccz .LBB135_363
; %bb.347:                              ;   in Loop: Header=BB135_12 Depth=1
	s_mov_b32 s66, s59
	s_cmp_lg_u64 s[66:67], 0
	s_cbranch_scc0 .LBB135_350
; %bb.348:                              ;   in Loop: Header=BB135_12 Depth=1
	v_cvt_f32_u32_e32 v6, s33
	s_sub_u32 s10, 0, s33
	s_subb_u32 s11, 0, 0
	v_mac_f32_e32 v6, 0, v30
	v_rcp_f32_e32 v6, v6
	v_mul_f32_e32 v6, 0x5f7ffffc, v6
	v_mul_f32_e32 v7, 0x2f800000, v6
	v_trunc_f32_e32 v7, v7
	v_mac_f32_e32 v6, 0xcf800000, v7
	v_cvt_u32_f32_e32 v7, v7
	v_cvt_u32_f32_e32 v6, v6
	v_readfirstlane_b32 s12, v7
	v_readfirstlane_b32 s4, v6
	s_mul_i32 s5, s10, s12
	s_mul_hi_u32 s20, s10, s4
	s_mul_i32 s13, s11, s4
	s_add_i32 s5, s20, s5
	s_mul_i32 s21, s10, s4
	s_add_i32 s5, s5, s13
	s_mul_hi_u32 s20, s4, s21
	s_mul_i32 s36, s4, s5
	s_mul_hi_u32 s13, s4, s5
	s_add_u32 s20, s20, s36
	s_addc_u32 s13, 0, s13
	s_mul_hi_u32 s37, s12, s21
	s_mul_i32 s21, s12, s21
	s_add_u32 s20, s20, s21
	s_mul_hi_u32 s36, s12, s5
	s_addc_u32 s13, s13, s37
	s_addc_u32 s20, s36, 0
	s_mul_i32 s5, s12, s5
	s_add_u32 s5, s13, s5
	s_addc_u32 s13, 0, s20
	s_add_u32 s20, s4, s5
	s_cselect_b64 s[4:5], -1, 0
	s_cmp_lg_u64 s[4:5], 0
	s_addc_u32 s12, s12, s13
	s_mul_i32 s4, s10, s12
	s_mul_hi_u32 s5, s10, s20
	s_add_i32 s4, s5, s4
	s_mul_i32 s11, s11, s20
	s_add_i32 s4, s4, s11
	s_mul_i32 s10, s10, s20
	s_mul_hi_u32 s11, s12, s10
	s_mul_i32 s13, s12, s10
	s_mul_i32 s36, s20, s4
	s_mul_hi_u32 s10, s20, s10
	s_mul_hi_u32 s21, s20, s4
	s_add_u32 s10, s10, s36
	s_addc_u32 s21, 0, s21
	s_add_u32 s10, s10, s13
	s_mul_hi_u32 s5, s12, s4
	s_addc_u32 s10, s21, s11
	s_addc_u32 s5, s5, 0
	s_mul_i32 s4, s12, s4
	s_add_u32 s4, s10, s4
	s_addc_u32 s10, 0, s5
	s_add_u32 s11, s20, s4
	s_cselect_b64 s[4:5], -1, 0
	s_cmp_lg_u64 s[4:5], 0
	s_addc_u32 s4, s12, s10
	v_readlane_b32 s21, v47, 35
	s_mul_i32 s10, s21, s4
	s_mul_hi_u32 s12, s21, s11
	s_mul_hi_u32 s5, s21, s4
	s_add_u32 s10, s12, s10
	s_addc_u32 s5, 0, s5
	s_mul_hi_u32 s13, s67, s11
	s_mul_i32 s11, s67, s11
	s_add_u32 s10, s10, s11
	s_mul_hi_u32 s12, s67, s4
	s_addc_u32 s5, s5, s13
	s_addc_u32 s10, s12, 0
	s_mul_i32 s4, s67, s4
	s_add_u32 s4, s5, s4
	s_addc_u32 s5, 0, s10
	s_mul_i32 s5, s33, s5
	s_mul_hi_u32 s10, s33, s4
	s_add_i32 s10, s10, s5
	s_mul_i32 s4, s33, s4
	s_sub_u32 s12, s21, s4
	s_cselect_b64 s[4:5], -1, 0
	s_cmp_lg_u64 s[4:5], 0
	s_subb_u32 s10, s67, s10
	s_sub_u32 s11, s12, s33
	s_cselect_b64 s[4:5], -1, 0
	s_cmp_lg_u64 s[4:5], 0
	s_subb_u32 s13, s10, 0
	s_sub_u32 s20, s11, s33
	s_cselect_b64 s[4:5], -1, 0
	s_cmp_lg_u64 s[4:5], 0
	s_subb_u32 s4, s13, 0
	s_cmp_ge_u32 s11, s33
	s_cselect_b32 s5, -1, 0
	s_cmp_eq_u32 s13, 0
	s_cselect_b32 s5, s5, -1
	s_cmp_lg_u32 s5, 0
	s_cselect_b32 s4, s4, s13
	s_cselect_b32 s5, s20, s11
	s_cmp_ge_u32 s12, s33
	s_cselect_b32 s11, -1, 0
	s_cmp_eq_u32 s10, 0
	s_cselect_b32 s11, s11, -1
	s_cmp_lg_u32 s11, 0
	s_cselect_b32 s11, s4, s10
	s_cselect_b32 s10, s5, s12
	s_mov_b64 s[4:5], 0
	s_branch .LBB135_351
.LBB135_349:                            ;   in Loop: Header=BB135_12 Depth=1
                                        ; implicit-def: $sgpr12_sgpr13
	s_branch .LBB135_335
.LBB135_350:                            ;   in Loop: Header=BB135_12 Depth=1
	s_mov_b64 s[4:5], -1
	v_readlane_b32 s21, v47, 35
                                        ; implicit-def: $sgpr10_sgpr11
.LBB135_351:                            ;   in Loop: Header=BB135_12 Depth=1
	s_andn2_b64 vcc, exec, s[4:5]
	v_readlane_b32 s66, v47, 54
	s_cbranch_vccnz .LBB135_353
; %bb.352:                              ;   in Loop: Header=BB135_12 Depth=1
	v_cvt_f32_u32_e32 v6, s33
	s_sub_i32 s4, 0, s33
	v_rcp_iflag_f32_e32 v6, v6
	v_mul_f32_e32 v6, 0x4f7ffffe, v6
	v_cvt_u32_f32_e32 v6, v6
	v_readfirstlane_b32 s5, v6
	s_mul_i32 s4, s4, s5
	s_mul_hi_u32 s4, s5, s4
	s_add_i32 s5, s5, s4
	s_mul_hi_u32 s4, s21, s5
	s_mul_i32 s4, s4, s33
	s_sub_i32 s4, s21, s4
	s_sub_i32 s5, s4, s33
	s_cmp_ge_u32 s4, s33
	s_cselect_b32 s4, s5, s4
	s_sub_i32 s5, s4, s33
	s_cmp_ge_u32 s4, s33
	s_cselect_b32 s58, s5, s4
	s_mov_b64 s[10:11], s[58:59]
	v_readlane_b32 s58, v47, 55
.LBB135_353:                            ;   in Loop: Header=BB135_12 Depth=1
	s_sub_u32 s20, s21, s10
	s_subb_u32 s21, s67, s11
	v_cmp_gt_u64_e32 vcc, s[20:21], v[0:1]
                                        ; implicit-def: $vgpr33
	s_and_saveexec_b64 s[10:11], vcc
	s_cbranch_execz .LBB135_362
; %bb.354:                              ;   in Loop: Header=BB135_12 Depth=1
	v_mov_b32_e32 v7, v1
	s_mov_b64 s[36:37], 0
	v_mov_b32_e32 v6, v0
                                        ; implicit-def: $sgpr42_sgpr43
	s_branch .LBB135_357
.LBB135_355:                            ;   in Loop: Header=BB135_357 Depth=2
	s_or_b64 exec, exec, s[12:13]
	s_waitcnt lgkmcnt(0)
	s_barrier
	ds_read_u16 v8, v3 offset:3072
	s_mov_b64 s[4:5], -1
	s_waitcnt lgkmcnt(0)
	s_barrier
	v_cmp_eq_u32_sdwa s[12:13], v8, v3 src0_sel:BYTE_0 src1_sel:DWORD
	s_and_b64 vcc, exec, s[12:13]
	s_mov_b64 s[12:13], -1
	s_cbranch_vccnz .LBB135_360
.LBB135_356:                            ;   in Loop: Header=BB135_357 Depth=2
	s_and_b64 s[4:5], exec, s[4:5]
	s_or_b64 s[36:37], s[4:5], s[36:37]
	s_andn2_b64 s[4:5], s[42:43], exec
	s_and_b64 s[12:13], s[12:13], exec
	s_or_b64 s[42:43], s[4:5], s[12:13]
	s_andn2_b64 exec, exec, s[36:37]
	s_cbranch_execz .LBB135_361
.LBB135_357:                            ;   Parent Loop BB135_12 Depth=1
                                        ; =>  This Inner Loop Header: Depth=2
	v_cmp_gt_u64_e32 vcc, s[28:29], v[6:7]
	s_and_saveexec_b64 s[12:13], vcc
	s_cbranch_execz .LBB135_355
; %bb.358:                              ;   in Loop: Header=BB135_357 Depth=2
	v_mov_b32_e32 v8, s34
	v_mov_b32_e32 v9, s35
	v_mad_u64_u32 v[8:9], s[4:5], v6, s26, v[8:9]
	v_mul_lo_u32 v10, v6, s27
	v_mul_lo_u32 v11, v7, s26
	v_add3_u32 v9, v11, v9, v10
	global_load_ubyte v8, v[8:9], off
	s_waitcnt vmcnt(0)
	v_add_u32_sdwa v9, sext(v8), s70 dst_sel:DWORD dst_unused:UNUSED_PAD src0_sel:BYTE_0 src1_sel:DWORD
	v_and_b32_e32 v9, v9, v32
	v_cmp_eq_u32_e32 vcc, v9, v28
	s_and_b64 exec, exec, vcc
	s_cbranch_execz .LBB135_355
; %bb.359:                              ;   in Loop: Header=BB135_357 Depth=2
	v_lshlrev_b16_e32 v8, 8, v8
	v_or_b32_e32 v8, 1, v8
	ds_write_b16 v3, v8 offset:3072
	s_branch .LBB135_355
.LBB135_360:                            ;   in Loop: Header=BB135_357 Depth=2
	v_add_co_u32_e32 v6, vcc, s33, v6
	v_addc_co_u32_e32 v7, vcc, 0, v7, vcc
	v_cmp_le_u64_e32 vcc, s[20:21], v[6:7]
	s_mov_b64 s[12:13], 0
	s_orn2_b64 s[4:5], vcc, exec
	s_branch .LBB135_356
.LBB135_361:                            ;   in Loop: Header=BB135_12 Depth=1
	s_or_b64 exec, exec, s[36:37]
	s_andn2_b64 s[4:5], s[8:9], exec
	s_and_b64 s[8:9], s[42:43], exec
	v_lshrrev_b32_sdwa v33, v31, v8 dst_sel:DWORD dst_unused:UNUSED_PAD src0_sel:DWORD src1_sel:WORD_0
	s_or_b64 s[8:9], s[4:5], s[8:9]
.LBB135_362:                            ;   in Loop: Header=BB135_12 Depth=1
	s_or_b64 exec, exec, s[10:11]
	s_mov_b64 s[36:37], 0
	s_mov_b64 s[42:43], -1
.LBB135_363:                            ;   in Loop: Header=BB135_12 Depth=1
	s_orn2_b64 s[8:9], s[8:9], exec
.LBB135_364:                            ;   in Loop: Header=BB135_12 Depth=1
	s_or_b64 exec, exec, s[14:15]
	s_mov_b64 s[10:11], 0
	s_and_saveexec_b64 s[50:51], s[8:9]
	s_cbranch_execz .LBB135_472
; %bb.365:                              ;   in Loop: Header=BB135_12 Depth=1
	v_mov_b32_e32 v6, 1
	s_xor_b64 s[4:5], s[2:3], -1
	v_mov_b32_e32 v2, 1
	v_mov_b32_e32 v7, 0
	s_mov_b64 s[8:9], 0
	s_and_saveexec_b64 s[2:3], s[4:5]
	s_cbranch_execz .LBB135_374
; %bb.366:                              ;   in Loop: Header=BB135_12 Depth=1
	v_cmp_ge_u64_e32 vcc, s[56:57], v[4:5]
	s_and_saveexec_b64 s[4:5], vcc
	s_xor_b64 s[8:9], exec, s[4:5]
	s_cbranch_execz .LBB135_371
; %bb.367:                              ;   in Loop: Header=BB135_12 Depth=1
	ds_read_b64 v[6:7], v3 offset:5120
	v_and_b32_e32 v2, s61, v28
	v_lshl_or_b32 v28, 2, s69, v2
	v_or_b32_e32 v32, s60, v32
	s_waitcnt lgkmcnt(0)
	v_cmp_ne_u64_e32 vcc, 0, v[6:7]
	s_cbranch_vccnz .LBB135_371
; %bb.368:                              ;   in Loop: Header=BB135_12 Depth=1
	s_mov_b64 s[4:5], exec
	v_readlane_b32 s10, v47, 12
	v_readlane_b32 s11, v47, 13
	s_and_b64 s[10:11], s[4:5], s[10:11]
	s_mov_b64 exec, s[10:11]
; %bb.369:                              ;   in Loop: Header=BB135_12 Depth=1
	v_mov_b32_e32 v6, s56
	v_mov_b32_e32 v7, s57
	ds_write_b64 v3, v[6:7] offset:5128
; %bb.370:                              ;   in Loop: Header=BB135_12 Depth=1
	s_or_b64 exec, exec, s[4:5]
	s_waitcnt lgkmcnt(0)
	s_barrier
.LBB135_371:                            ;   in Loop: Header=BB135_12 Depth=1
	s_or_saveexec_b64 s[8:9], s[8:9]
	s_mov_b64 s[10:11], 0
	v_mov_b32_e32 v2, 5
	s_xor_b64 exec, exec, s[8:9]
; %bb.372:                              ;   in Loop: Header=BB135_12 Depth=1
	v_subrev_co_u32_e32 v4, vcc, s56, v4
	v_mov_b32_e32 v2, s57
	v_subb_co_u32_e32 v5, vcc, v5, v2, vcc
	v_mov_b32_e32 v2, 0
	s_mov_b64 s[10:11], exec
; %bb.373:                              ;   in Loop: Header=BB135_12 Depth=1
	s_or_b64 exec, exec, s[8:9]
	v_mov_b32_e32 v7, v5
	s_and_b64 s[8:9], s[10:11], exec
	v_mov_b32_e32 v6, v4
.LBB135_374:                            ;   in Loop: Header=BB135_12 Depth=1
	s_or_b64 exec, exec, s[2:3]
	s_mov_b64 s[2:3], -1
                                        ; implicit-def: $sgpr46_sgpr47
                                        ; implicit-def: $sgpr52_sgpr53
	s_and_saveexec_b64 s[14:15], s[8:9]
	s_cbranch_execz .LBB135_471
; %bb.375:                              ;   in Loop: Header=BB135_12 Depth=1
	s_cmp_eq_u64 s[54:55], 1
	v_cmp_eq_u64_e32 vcc, 1, v[6:7]
	s_cselect_b64 s[2:3], -1, 0
	s_and_b64 s[2:3], s[2:3], vcc
	s_mov_b64 s[8:9], -1
                                        ; implicit-def: $sgpr52_sgpr53
                                        ; implicit-def: $sgpr46_sgpr47
	s_and_saveexec_b64 s[20:21], s[2:3]
	s_cbranch_execz .LBB135_410
; %bb.376:                              ;   in Loop: Header=BB135_12 Depth=1
	ds_read_b64 v[4:5], v3 offset:5120
	s_waitcnt lgkmcnt(0)
	s_barrier
	v_readfirstlane_b32 s10, v4
	v_readfirstlane_b32 s11, v5
	s_mov_b64 s[4:5], exec
	v_readlane_b32 s8, v47, 30
	v_readlane_b32 s9, v47, 31
	s_and_b64 s[8:9], s[4:5], s[8:9]
	s_mov_b64 exec, s[8:9]
; %bb.377:                              ;   in Loop: Header=BB135_12 Depth=1
	ds_write_b8 v0, v3 offset:3072
; %bb.378:                              ;   in Loop: Header=BB135_12 Depth=1
	s_or_b64 exec, exec, s[4:5]
	v_and_b32_e32 v4, s61, v28
	v_lshl_or_b32 v28, 1, s69, v4
	v_or_b32_e32 v32, s60, v32
	s_mov_b64 s[46:47], -1
	s_mov_b64 s[52:53], 0
	s_cmp_eq_u64 s[10:11], 0
	s_mov_b64 s[8:9], 0
	s_mov_b64 s[44:45], -1
	s_waitcnt lgkmcnt(0)
	s_barrier
                                        ; implicit-def: $vgpr33
	s_cbranch_scc1 .LBB135_392
; %bb.379:                              ;   in Loop: Header=BB135_12 Depth=1
	v_readlane_b32 s4, v47, 34
	s_add_u32 s44, s10, s4
	v_readlane_b32 s4, v47, 36
	s_addc_u32 s9, s11, s4
	s_mov_b32 s8, s59
	s_cmp_lg_u64 s[8:9], 0
	s_cbranch_scc0 .LBB135_395
; %bb.380:                              ;   in Loop: Header=BB135_12 Depth=1
	v_cvt_f32_u32_e32 v4, s33
	s_sub_u32 s8, 0, s33
	s_subb_u32 s12, 0, 0
	v_mac_f32_e32 v4, 0, v30
	v_rcp_f32_e32 v4, v4
	v_mul_f32_e32 v4, 0x5f7ffffc, v4
	v_mul_f32_e32 v5, 0x2f800000, v4
	v_trunc_f32_e32 v5, v5
	v_mac_f32_e32 v4, 0xcf800000, v5
	v_cvt_u32_f32_e32 v5, v5
	v_cvt_u32_f32_e32 v4, v4
	v_readfirstlane_b32 s13, v5
	v_readfirstlane_b32 s4, v4
	s_mul_i32 s5, s8, s13
	s_mul_hi_u32 s48, s8, s4
	s_mul_i32 s45, s12, s4
	s_add_i32 s5, s48, s5
	s_mul_i32 s49, s8, s4
	s_add_i32 s5, s5, s45
	s_mul_hi_u32 s48, s4, s49
	s_mul_i32 s56, s4, s5
	s_mul_hi_u32 s45, s4, s5
	s_add_u32 s48, s48, s56
	s_addc_u32 s45, 0, s45
	s_mul_hi_u32 s57, s13, s49
	s_mul_i32 s49, s13, s49
	s_add_u32 s48, s48, s49
	s_mul_hi_u32 s56, s13, s5
	s_addc_u32 s45, s45, s57
	s_addc_u32 s48, s56, 0
	s_mul_i32 s5, s13, s5
	s_add_u32 s5, s45, s5
	s_addc_u32 s45, 0, s48
	s_add_u32 s48, s4, s5
	s_cselect_b64 s[4:5], -1, 0
	s_cmp_lg_u64 s[4:5], 0
	s_addc_u32 s13, s13, s45
	s_mul_i32 s4, s8, s13
	s_mul_hi_u32 s5, s8, s48
	s_add_i32 s4, s5, s4
	s_mul_i32 s12, s12, s48
	s_add_i32 s4, s4, s12
	s_mul_i32 s8, s8, s48
	s_mul_hi_u32 s12, s13, s8
	s_mul_i32 s45, s13, s8
	s_mul_i32 s56, s48, s4
	s_mul_hi_u32 s8, s48, s8
	s_mul_hi_u32 s49, s48, s4
	s_add_u32 s8, s8, s56
	s_addc_u32 s49, 0, s49
	s_add_u32 s8, s8, s45
	s_mul_hi_u32 s5, s13, s4
	s_addc_u32 s8, s49, s12
	s_addc_u32 s5, s5, 0
	s_mul_i32 s4, s13, s4
	s_add_u32 s4, s8, s4
	s_addc_u32 s8, 0, s5
	s_add_u32 s12, s48, s4
	s_cselect_b64 s[4:5], -1, 0
	s_cmp_lg_u64 s[4:5], 0
	s_addc_u32 s4, s13, s8
	s_mul_i32 s8, s44, s4
	s_mul_hi_u32 s13, s44, s12
	s_mul_hi_u32 s5, s44, s4
	s_add_u32 s8, s13, s8
	s_addc_u32 s5, 0, s5
	s_mul_hi_u32 s45, s9, s12
	s_mul_i32 s12, s9, s12
	s_add_u32 s8, s8, s12
	s_mul_hi_u32 s13, s9, s4
	s_addc_u32 s5, s5, s45
	s_addc_u32 s8, s13, 0
	s_mul_i32 s4, s9, s4
	s_add_u32 s4, s5, s4
	s_addc_u32 s5, 0, s8
	s_mul_i32 s5, s33, s5
	s_mul_hi_u32 s8, s33, s4
	s_add_i32 s8, s8, s5
	s_mul_i32 s4, s33, s4
	s_sub_u32 s12, s44, s4
	s_cselect_b64 s[4:5], -1, 0
	s_cmp_lg_u64 s[4:5], 0
	s_subb_u32 s8, s9, s8
	s_sub_u32 s13, s12, s33
	s_cselect_b64 s[4:5], -1, 0
	s_cmp_lg_u64 s[4:5], 0
	s_subb_u32 s45, s8, 0
	;; [unrolled: 4-line block ×3, first 2 shown]
	s_cmp_ge_u32 s13, s33
	s_cselect_b32 s5, -1, 0
	s_cmp_eq_u32 s45, 0
	s_cselect_b32 s5, s5, -1
	s_cmp_lg_u32 s5, 0
	s_cselect_b32 s4, s4, s45
	s_cselect_b32 s5, s48, s13
	s_cmp_ge_u32 s12, s33
	s_cselect_b32 s13, -1, 0
	s_cmp_eq_u32 s8, 0
	s_cselect_b32 s13, s13, -1
	s_cmp_lg_u32 s13, 0
	s_cselect_b32 s13, s4, s8
	s_cselect_b32 s12, s5, s12
	s_cbranch_execnz .LBB135_382
.LBB135_381:                            ;   in Loop: Header=BB135_12 Depth=1
	v_cvt_f32_u32_e32 v4, s33
	s_sub_i32 s4, 0, s33
	v_rcp_iflag_f32_e32 v4, v4
	v_mul_f32_e32 v4, 0x4f7ffffe, v4
	v_cvt_u32_f32_e32 v4, v4
	v_readfirstlane_b32 s5, v4
	s_mul_i32 s4, s4, s5
	s_mul_hi_u32 s4, s5, s4
	s_add_i32 s5, s5, s4
	s_mul_hi_u32 s4, s44, s5
	s_mul_i32 s4, s4, s33
	s_sub_i32 s4, s44, s4
	s_sub_i32 s5, s4, s33
	s_cmp_ge_u32 s4, s33
	s_cselect_b32 s4, s5, s4
	s_sub_i32 s5, s4, s33
	s_cmp_ge_u32 s4, s33
	s_cselect_b32 s58, s5, s4
	s_mov_b64 s[12:13], s[58:59]
	v_readlane_b32 s58, v47, 55
.LBB135_382:                            ;   in Loop: Header=BB135_12 Depth=1
	s_sub_u32 s56, s44, s12
	s_subb_u32 s57, s9, s13
	v_cmp_gt_u64_e32 vcc, s[56:57], v[0:1]
	s_mov_b64 s[44:45], 0
	s_mov_b64 s[8:9], 0
                                        ; implicit-def: $vgpr33
	s_and_saveexec_b64 s[48:49], vcc
	s_cbranch_execz .LBB135_391
; %bb.383:                              ;   in Loop: Header=BB135_12 Depth=1
	v_mov_b32_e32 v5, v1
	v_mov_b32_e32 v8, v0
	;; [unrolled: 1-line block ×3, first 2 shown]
                                        ; implicit-def: $sgpr64_sgpr65
	s_branch .LBB135_386
.LBB135_384:                            ;   in Loop: Header=BB135_386 Depth=2
	s_or_b64 exec, exec, s[12:13]
	s_waitcnt lgkmcnt(0)
	s_barrier
	ds_read_u16 v9, v3 offset:3072
	s_mov_b64 s[4:5], -1
	s_waitcnt lgkmcnt(0)
	s_barrier
	v_cmp_ne_u32_sdwa s[12:13], v9, v3 src0_sel:BYTE_0 src1_sel:DWORD
	s_and_b64 vcc, exec, s[12:13]
	s_mov_b64 s[12:13], -1
	s_cbranch_vccz .LBB135_389
.LBB135_385:                            ;   in Loop: Header=BB135_386 Depth=2
	s_and_b64 s[4:5], exec, s[4:5]
	s_or_b64 s[8:9], s[4:5], s[8:9]
	s_andn2_b64 s[4:5], s[64:65], exec
	s_and_b64 s[12:13], s[12:13], exec
	s_or_b64 s[64:65], s[4:5], s[12:13]
	s_andn2_b64 exec, exec, s[8:9]
	s_cbranch_execz .LBB135_390
.LBB135_386:                            ;   Parent Loop BB135_12 Depth=1
                                        ; =>  This Inner Loop Header: Depth=2
	v_cmp_gt_u64_e32 vcc, s[10:11], v[4:5]
	s_and_saveexec_b64 s[12:13], vcc
	s_cbranch_execz .LBB135_384
; %bb.387:                              ;   in Loop: Header=BB135_386 Depth=2
	ds_read_u8 v9, v8
	s_waitcnt lgkmcnt(0)
	v_add_u32_sdwa v10, sext(v9), s70 dst_sel:DWORD dst_unused:UNUSED_PAD src0_sel:BYTE_0 src1_sel:DWORD
	v_and_b32_e32 v10, v10, v32
	v_cmp_eq_u32_e32 vcc, v10, v28
	s_and_b64 exec, exec, vcc
	s_cbranch_execz .LBB135_384
; %bb.388:                              ;   in Loop: Header=BB135_386 Depth=2
	v_lshlrev_b16_e32 v9, 8, v9
	v_or_b32_e32 v9, 1, v9
	ds_write_b16 v3, v9 offset:3072
	s_branch .LBB135_384
.LBB135_389:                            ;   in Loop: Header=BB135_386 Depth=2
	v_add_co_u32_e32 v4, vcc, s33, v4
	v_addc_co_u32_e32 v5, vcc, 0, v5, vcc
	v_cmp_le_u64_e32 vcc, s[56:57], v[4:5]
	v_add_u32_e32 v8, s33, v8
	s_mov_b64 s[12:13], 0
	s_orn2_b64 s[4:5], vcc, exec
	s_branch .LBB135_385
.LBB135_390:                            ;   in Loop: Header=BB135_12 Depth=1
	s_or_b64 exec, exec, s[8:9]
	v_lshrrev_b32_sdwa v33, v31, v9 dst_sel:DWORD dst_unused:UNUSED_PAD src0_sel:DWORD src1_sel:WORD_0
	s_and_b64 s[8:9], s[64:65], exec
.LBB135_391:                            ;   in Loop: Header=BB135_12 Depth=1
	s_or_b64 exec, exec, s[48:49]
.LBB135_392:                            ;   in Loop: Header=BB135_12 Depth=1
	s_and_b64 vcc, exec, s[44:45]
	s_cbranch_vccz .LBB135_409
; %bb.393:                              ;   in Loop: Header=BB135_12 Depth=1
	s_mov_b32 s66, s59
	s_cmp_lg_u64 s[66:67], 0
	s_cbranch_scc0 .LBB135_396
; %bb.394:                              ;   in Loop: Header=BB135_12 Depth=1
	v_cvt_f32_u32_e32 v4, s33
	s_sub_u32 s10, 0, s33
	s_subb_u32 s11, 0, 0
	v_mac_f32_e32 v4, 0, v30
	v_rcp_f32_e32 v4, v4
	v_mul_f32_e32 v4, 0x5f7ffffc, v4
	v_mul_f32_e32 v5, 0x2f800000, v4
	v_trunc_f32_e32 v5, v5
	v_mac_f32_e32 v4, 0xcf800000, v5
	v_cvt_u32_f32_e32 v5, v5
	v_cvt_u32_f32_e32 v4, v4
	v_readfirstlane_b32 s12, v5
	v_readfirstlane_b32 s4, v4
	s_mul_i32 s5, s10, s12
	s_mul_hi_u32 s44, s10, s4
	s_mul_i32 s13, s11, s4
	s_add_i32 s5, s44, s5
	s_mul_i32 s45, s10, s4
	s_add_i32 s5, s5, s13
	s_mul_hi_u32 s44, s4, s45
	s_mul_i32 s46, s4, s5
	s_mul_hi_u32 s13, s4, s5
	s_add_u32 s44, s44, s46
	s_addc_u32 s13, 0, s13
	s_mul_hi_u32 s47, s12, s45
	s_mul_i32 s45, s12, s45
	s_add_u32 s44, s44, s45
	s_mul_hi_u32 s46, s12, s5
	s_addc_u32 s13, s13, s47
	s_addc_u32 s44, s46, 0
	s_mul_i32 s5, s12, s5
	s_add_u32 s5, s13, s5
	s_addc_u32 s13, 0, s44
	s_add_u32 s44, s4, s5
	s_cselect_b64 s[4:5], -1, 0
	s_cmp_lg_u64 s[4:5], 0
	s_addc_u32 s12, s12, s13
	s_mul_i32 s4, s10, s12
	s_mul_hi_u32 s5, s10, s44
	s_add_i32 s4, s5, s4
	s_mul_i32 s11, s11, s44
	s_add_i32 s4, s4, s11
	s_mul_i32 s10, s10, s44
	s_mul_hi_u32 s11, s12, s10
	s_mul_i32 s13, s12, s10
	s_mul_i32 s46, s44, s4
	s_mul_hi_u32 s10, s44, s10
	s_mul_hi_u32 s45, s44, s4
	s_add_u32 s10, s10, s46
	s_addc_u32 s45, 0, s45
	s_add_u32 s10, s10, s13
	s_mul_hi_u32 s5, s12, s4
	s_addc_u32 s10, s45, s11
	s_addc_u32 s5, s5, 0
	s_mul_i32 s4, s12, s4
	s_add_u32 s4, s10, s4
	s_addc_u32 s10, 0, s5
	s_add_u32 s11, s44, s4
	s_cselect_b64 s[4:5], -1, 0
	s_cmp_lg_u64 s[4:5], 0
	s_addc_u32 s4, s12, s10
	v_readlane_b32 s45, v47, 35
	s_mul_i32 s10, s45, s4
	s_mul_hi_u32 s12, s45, s11
	s_mul_hi_u32 s5, s45, s4
	s_add_u32 s10, s12, s10
	s_addc_u32 s5, 0, s5
	s_mul_hi_u32 s13, s67, s11
	s_mul_i32 s11, s67, s11
	s_add_u32 s10, s10, s11
	s_mul_hi_u32 s12, s67, s4
	s_addc_u32 s5, s5, s13
	s_addc_u32 s10, s12, 0
	s_mul_i32 s4, s67, s4
	s_add_u32 s4, s5, s4
	s_addc_u32 s5, 0, s10
	s_mul_i32 s5, s33, s5
	s_mul_hi_u32 s10, s33, s4
	s_add_i32 s10, s10, s5
	s_mul_i32 s4, s33, s4
	s_sub_u32 s12, s45, s4
	s_cselect_b64 s[4:5], -1, 0
	s_cmp_lg_u64 s[4:5], 0
	s_subb_u32 s10, s67, s10
	s_sub_u32 s11, s12, s33
	s_cselect_b64 s[4:5], -1, 0
	s_cmp_lg_u64 s[4:5], 0
	s_subb_u32 s13, s10, 0
	;; [unrolled: 4-line block ×3, first 2 shown]
	s_cmp_ge_u32 s11, s33
	s_cselect_b32 s5, -1, 0
	s_cmp_eq_u32 s13, 0
	s_cselect_b32 s5, s5, -1
	s_cmp_lg_u32 s5, 0
	s_cselect_b32 s4, s4, s13
	s_cselect_b32 s5, s44, s11
	s_cmp_ge_u32 s12, s33
	s_cselect_b32 s11, -1, 0
	s_cmp_eq_u32 s10, 0
	s_cselect_b32 s11, s11, -1
	s_cmp_lg_u32 s11, 0
	s_cselect_b32 s11, s4, s10
	s_cselect_b32 s10, s5, s12
	s_mov_b64 s[4:5], 0
	s_branch .LBB135_397
.LBB135_395:                            ;   in Loop: Header=BB135_12 Depth=1
                                        ; implicit-def: $sgpr12_sgpr13
	s_branch .LBB135_381
.LBB135_396:                            ;   in Loop: Header=BB135_12 Depth=1
	s_mov_b64 s[4:5], -1
	v_readlane_b32 s45, v47, 35
                                        ; implicit-def: $sgpr10_sgpr11
.LBB135_397:                            ;   in Loop: Header=BB135_12 Depth=1
	s_andn2_b64 vcc, exec, s[4:5]
	v_readlane_b32 s66, v47, 54
	s_cbranch_vccnz .LBB135_399
; %bb.398:                              ;   in Loop: Header=BB135_12 Depth=1
	v_cvt_f32_u32_e32 v4, s33
	s_sub_i32 s4, 0, s33
	v_rcp_iflag_f32_e32 v4, v4
	v_mul_f32_e32 v4, 0x4f7ffffe, v4
	v_cvt_u32_f32_e32 v4, v4
	v_readfirstlane_b32 s5, v4
	s_mul_i32 s4, s4, s5
	s_mul_hi_u32 s4, s5, s4
	s_add_i32 s5, s5, s4
	s_mul_hi_u32 s4, s45, s5
	s_mul_i32 s4, s4, s33
	s_sub_i32 s4, s45, s4
	s_sub_i32 s5, s4, s33
	s_cmp_ge_u32 s4, s33
	s_cselect_b32 s4, s5, s4
	s_sub_i32 s5, s4, s33
	s_cmp_ge_u32 s4, s33
	s_cselect_b32 s58, s5, s4
	s_mov_b64 s[10:11], s[58:59]
	v_readlane_b32 s58, v47, 55
.LBB135_399:                            ;   in Loop: Header=BB135_12 Depth=1
	s_sub_u32 s44, s45, s10
	s_subb_u32 s45, s67, s11
	v_cmp_gt_u64_e32 vcc, s[44:45], v[0:1]
                                        ; implicit-def: $vgpr33
	s_and_saveexec_b64 s[10:11], vcc
	s_cbranch_execz .LBB135_408
; %bb.400:                              ;   in Loop: Header=BB135_12 Depth=1
	v_mov_b32_e32 v5, v1
	s_mov_b64 s[46:47], 0
	v_mov_b32_e32 v4, v0
                                        ; implicit-def: $sgpr48_sgpr49
	s_branch .LBB135_403
.LBB135_401:                            ;   in Loop: Header=BB135_403 Depth=2
	s_or_b64 exec, exec, s[12:13]
	s_waitcnt lgkmcnt(0)
	s_barrier
	ds_read_u16 v8, v3 offset:3072
	s_mov_b64 s[4:5], -1
	s_waitcnt lgkmcnt(0)
	s_barrier
	v_cmp_eq_u32_sdwa s[12:13], v8, v3 src0_sel:BYTE_0 src1_sel:DWORD
	s_and_b64 vcc, exec, s[12:13]
	s_mov_b64 s[12:13], -1
	s_cbranch_vccnz .LBB135_406
.LBB135_402:                            ;   in Loop: Header=BB135_403 Depth=2
	s_and_b64 s[4:5], exec, s[4:5]
	s_or_b64 s[46:47], s[4:5], s[46:47]
	s_andn2_b64 s[4:5], s[48:49], exec
	s_and_b64 s[12:13], s[12:13], exec
	s_or_b64 s[48:49], s[4:5], s[12:13]
	s_andn2_b64 exec, exec, s[46:47]
	s_cbranch_execz .LBB135_407
.LBB135_403:                            ;   Parent Loop BB135_12 Depth=1
                                        ; =>  This Inner Loop Header: Depth=2
	v_cmp_gt_u64_e32 vcc, s[28:29], v[4:5]
	s_and_saveexec_b64 s[12:13], vcc
	s_cbranch_execz .LBB135_401
; %bb.404:                              ;   in Loop: Header=BB135_403 Depth=2
	v_mov_b32_e32 v8, s34
	v_mov_b32_e32 v9, s35
	v_mad_u64_u32 v[8:9], s[4:5], v4, s26, v[8:9]
	v_mul_lo_u32 v10, v4, s27
	v_mul_lo_u32 v11, v5, s26
	v_add3_u32 v9, v11, v9, v10
	global_load_ubyte v8, v[8:9], off
	s_waitcnt vmcnt(0)
	v_add_u32_sdwa v9, sext(v8), s70 dst_sel:DWORD dst_unused:UNUSED_PAD src0_sel:BYTE_0 src1_sel:DWORD
	v_and_b32_e32 v9, v9, v32
	v_cmp_eq_u32_e32 vcc, v9, v28
	s_and_b64 exec, exec, vcc
	s_cbranch_execz .LBB135_401
; %bb.405:                              ;   in Loop: Header=BB135_403 Depth=2
	v_lshlrev_b16_e32 v8, 8, v8
	v_or_b32_e32 v8, 1, v8
	ds_write_b16 v3, v8 offset:3072
	s_branch .LBB135_401
.LBB135_406:                            ;   in Loop: Header=BB135_403 Depth=2
	v_add_co_u32_e32 v4, vcc, s33, v4
	v_addc_co_u32_e32 v5, vcc, 0, v5, vcc
	v_cmp_le_u64_e32 vcc, s[44:45], v[4:5]
	s_mov_b64 s[12:13], 0
	s_orn2_b64 s[4:5], vcc, exec
	s_branch .LBB135_402
.LBB135_407:                            ;   in Loop: Header=BB135_12 Depth=1
	s_or_b64 exec, exec, s[46:47]
	s_andn2_b64 s[4:5], s[8:9], exec
	s_and_b64 s[8:9], s[48:49], exec
	v_lshrrev_b32_sdwa v33, v31, v8 dst_sel:DWORD dst_unused:UNUSED_PAD src0_sel:DWORD src1_sel:WORD_0
	s_or_b64 s[8:9], s[4:5], s[8:9]
.LBB135_408:                            ;   in Loop: Header=BB135_12 Depth=1
	s_or_b64 exec, exec, s[10:11]
	s_mov_b64 s[46:47], 0
	s_mov_b64 s[52:53], -1
.LBB135_409:                            ;   in Loop: Header=BB135_12 Depth=1
	s_orn2_b64 s[8:9], s[8:9], exec
.LBB135_410:                            ;   in Loop: Header=BB135_12 Depth=1
	s_or_b64 exec, exec, s[20:21]
	s_mov_b64 s[10:11], 0
	s_and_saveexec_b64 s[20:21], s[8:9]
	s_cbranch_execz .LBB135_470
; %bb.411:                              ;   in Loop: Header=BB135_12 Depth=1
	v_mov_b32_e32 v4, 1
	s_xor_b64 s[4:5], s[2:3], -1
	v_mov_b32_e32 v2, 1
	v_mov_b32_e32 v5, 0
	s_and_saveexec_b64 s[2:3], s[4:5]
	s_cbranch_execz .LBB135_420
; %bb.412:                              ;   in Loop: Header=BB135_12 Depth=1
	v_cmp_ge_u64_e32 vcc, s[54:55], v[6:7]
	s_and_saveexec_b64 s[4:5], vcc
	s_xor_b64 s[8:9], exec, s[4:5]
	s_cbranch_execz .LBB135_417
; %bb.413:                              ;   in Loop: Header=BB135_12 Depth=1
	ds_read_b64 v[4:5], v3 offset:5120
	v_and_b32_e32 v2, s61, v28
	v_lshl_or_b32 v28, 1, s69, v2
	v_or_b32_e32 v32, s60, v32
	s_waitcnt lgkmcnt(0)
	v_cmp_ne_u64_e32 vcc, 0, v[4:5]
	s_cbranch_vccnz .LBB135_417
; %bb.414:                              ;   in Loop: Header=BB135_12 Depth=1
	s_mov_b64 s[4:5], exec
	v_readlane_b32 s10, v47, 12
	v_readlane_b32 s11, v47, 13
	s_and_b64 s[10:11], s[4:5], s[10:11]
	s_mov_b64 exec, s[10:11]
; %bb.415:                              ;   in Loop: Header=BB135_12 Depth=1
	v_mov_b32_e32 v4, s54
	v_mov_b32_e32 v5, s55
	ds_write_b64 v3, v[4:5] offset:5128
; %bb.416:                              ;   in Loop: Header=BB135_12 Depth=1
	s_or_b64 exec, exec, s[4:5]
	s_waitcnt lgkmcnt(0)
	s_barrier
.LBB135_417:                            ;   in Loop: Header=BB135_12 Depth=1
	s_or_saveexec_b64 s[8:9], s[8:9]
	s_mov_b64 s[10:11], 0
	v_mov_b32_e32 v2, 5
	s_xor_b64 exec, exec, s[8:9]
; %bb.418:                              ;   in Loop: Header=BB135_12 Depth=1
	v_subrev_co_u32_e32 v6, vcc, s54, v6
	v_mov_b32_e32 v2, s55
	v_subb_co_u32_e32 v7, vcc, v7, v2, vcc
	v_mov_b32_e32 v2, 0
	s_mov_b64 s[10:11], exec
; %bb.419:                              ;   in Loop: Header=BB135_12 Depth=1
	s_or_b64 exec, exec, s[8:9]
	v_mov_b32_e32 v4, v6
	s_and_b64 s[10:11], s[10:11], exec
	v_mov_b32_e32 v5, v7
.LBB135_420:                            ;   in Loop: Header=BB135_12 Depth=1
	s_or_b64 exec, exec, s[2:3]
	s_mov_b64 s[8:9], -1
                                        ; implicit-def: $sgpr54_sgpr55
                                        ; implicit-def: $sgpr56_sgpr57
	s_and_saveexec_b64 s[2:3], s[10:11]
	s_cbranch_execz .LBB135_469
; %bb.421:                              ;   in Loop: Header=BB135_12 Depth=1
	s_cmp_eq_u64 s[22:23], 1
	v_cmp_eq_u64_e32 vcc, 1, v[4:5]
	s_cselect_b64 s[4:5], -1, 0
	s_mov_b64 s[10:11], -1
	s_and_b64 s[4:5], s[4:5], vcc
                                        ; implicit-def: $sgpr54_sgpr55
                                        ; implicit-def: $sgpr56_sgpr57
	s_mov_b64 s[8:9], exec
	v_writelane_b32 v47, s4, 58
	v_writelane_b32 v47, s5, 59
	s_and_b64 s[4:5], s[8:9], s[4:5]
	s_mov_b64 exec, s[4:5]
	s_cbranch_execz .LBB135_457
; %bb.422:                              ;   in Loop: Header=BB135_12 Depth=1
	ds_read_b64 v[6:7], v3 offset:5120
	v_writelane_b32 v47, s8, 60
	v_writelane_b32 v47, s9, 61
	s_waitcnt lgkmcnt(0)
	s_barrier
	v_readfirstlane_b32 s10, v6
	v_readfirstlane_b32 s11, v7
	s_mov_b64 s[4:5], exec
	v_readlane_b32 s8, v47, 30
	v_readlane_b32 s9, v47, 31
	s_and_b64 s[8:9], s[4:5], s[8:9]
	s_mov_b64 exec, s[8:9]
; %bb.423:                              ;   in Loop: Header=BB135_12 Depth=1
	ds_write_b8 v0, v3 offset:3072
; %bb.424:                              ;   in Loop: Header=BB135_12 Depth=1
	s_or_b64 exec, exec, s[4:5]
	v_and_b32_e32 v28, s61, v28
	v_or_b32_e32 v32, s60, v32
	s_mov_b64 s[56:57], -1
	s_mov_b64 s[54:55], 0
	s_cmp_eq_u64 s[10:11], 0
	s_mov_b64 s[8:9], 0
	s_mov_b64 s[44:45], -1
	s_waitcnt lgkmcnt(0)
	s_barrier
                                        ; implicit-def: $vgpr33
	s_cbranch_scc1 .LBB135_440
; %bb.425:                              ;   in Loop: Header=BB135_12 Depth=1
	v_readlane_b32 s4, v47, 34
	s_add_u32 s44, s10, s4
	v_readlane_b32 s4, v47, 36
	s_addc_u32 s9, s11, s4
	s_mov_b32 s8, s59
	s_cmp_lg_u64 s[8:9], 0
	s_cbranch_scc0 .LBB135_427
; %bb.426:                              ;   in Loop: Header=BB135_12 Depth=1
	v_cvt_f32_u32_e32 v6, s33
	s_sub_u32 s8, 0, s33
	s_subb_u32 s12, 0, 0
	v_mac_f32_e32 v6, 0, v30
	v_rcp_f32_e32 v6, v6
	v_mul_f32_e32 v6, 0x5f7ffffc, v6
	v_mul_f32_e32 v7, 0x2f800000, v6
	v_trunc_f32_e32 v7, v7
	v_mac_f32_e32 v6, 0xcf800000, v7
	v_cvt_u32_f32_e32 v7, v7
	v_cvt_u32_f32_e32 v6, v6
	v_readfirstlane_b32 s13, v7
	v_readfirstlane_b32 s4, v6
	s_mul_i32 s5, s8, s13
	s_mul_hi_u32 s48, s8, s4
	s_mul_i32 s45, s12, s4
	s_add_i32 s5, s48, s5
	s_mul_i32 s49, s8, s4
	s_add_i32 s5, s5, s45
	s_mul_hi_u32 s48, s4, s49
	s_mul_i32 s58, s4, s5
	s_mul_hi_u32 s45, s4, s5
	s_add_u32 s48, s48, s58
	s_addc_u32 s45, 0, s45
	s_mul_hi_u32 s64, s13, s49
	s_mul_i32 s49, s13, s49
	s_add_u32 s48, s48, s49
	s_mul_hi_u32 s58, s13, s5
	s_addc_u32 s45, s45, s64
	s_addc_u32 s48, s58, 0
	s_mul_i32 s5, s13, s5
	s_add_u32 s5, s45, s5
	s_addc_u32 s45, 0, s48
	s_add_u32 s48, s4, s5
	s_cselect_b64 s[4:5], -1, 0
	s_cmp_lg_u64 s[4:5], 0
	s_addc_u32 s13, s13, s45
	s_mul_i32 s4, s8, s13
	s_mul_hi_u32 s5, s8, s48
	s_add_i32 s4, s5, s4
	s_mul_i32 s12, s12, s48
	s_add_i32 s4, s4, s12
	s_mul_i32 s8, s8, s48
	s_mul_hi_u32 s12, s13, s8
	s_mul_i32 s45, s13, s8
	s_mul_i32 s58, s48, s4
	s_mul_hi_u32 s8, s48, s8
	s_mul_hi_u32 s49, s48, s4
	s_add_u32 s8, s8, s58
	s_addc_u32 s49, 0, s49
	s_add_u32 s8, s8, s45
	s_mul_hi_u32 s5, s13, s4
	s_addc_u32 s8, s49, s12
	s_addc_u32 s5, s5, 0
	s_mul_i32 s4, s13, s4
	s_add_u32 s4, s8, s4
	s_addc_u32 s8, 0, s5
	s_add_u32 s12, s48, s4
	s_cselect_b64 s[4:5], -1, 0
	s_cmp_lg_u64 s[4:5], 0
	s_addc_u32 s4, s13, s8
	s_mul_i32 s8, s44, s4
	s_mul_hi_u32 s13, s44, s12
	s_mul_hi_u32 s5, s44, s4
	s_add_u32 s8, s13, s8
	s_addc_u32 s5, 0, s5
	s_mul_hi_u32 s45, s9, s12
	s_mul_i32 s12, s9, s12
	s_add_u32 s8, s8, s12
	s_mul_hi_u32 s13, s9, s4
	s_addc_u32 s5, s5, s45
	s_addc_u32 s8, s13, 0
	s_mul_i32 s4, s9, s4
	s_add_u32 s4, s5, s4
	s_addc_u32 s5, 0, s8
	s_mul_i32 s5, s33, s5
	s_mul_hi_u32 s8, s33, s4
	s_add_i32 s8, s8, s5
	s_mul_i32 s4, s33, s4
	s_sub_u32 s12, s44, s4
	s_cselect_b64 s[4:5], -1, 0
	s_cmp_lg_u64 s[4:5], 0
	s_subb_u32 s8, s9, s8
	s_sub_u32 s13, s12, s33
	s_cselect_b64 s[4:5], -1, 0
	s_cmp_lg_u64 s[4:5], 0
	s_subb_u32 s45, s8, 0
	;; [unrolled: 4-line block ×3, first 2 shown]
	s_cmp_ge_u32 s13, s33
	s_cselect_b32 s5, -1, 0
	s_cmp_eq_u32 s45, 0
	s_cselect_b32 s5, s5, -1
	s_cmp_lg_u32 s5, 0
	s_cselect_b32 s4, s4, s45
	s_cselect_b32 s5, s48, s13
	s_cmp_ge_u32 s12, s33
	s_cselect_b32 s13, -1, 0
	s_cmp_eq_u32 s8, 0
	s_cselect_b32 s13, s13, -1
	s_cmp_lg_u32 s13, 0
	s_cselect_b32 s13, s4, s8
	s_cselect_b32 s12, s5, s12
	s_mov_b64 s[4:5], 0
	s_branch .LBB135_428
.LBB135_427:                            ;   in Loop: Header=BB135_12 Depth=1
	s_mov_b64 s[4:5], -1
                                        ; implicit-def: $sgpr12_sgpr13
.LBB135_428:                            ;   in Loop: Header=BB135_12 Depth=1
	s_andn2_b64 vcc, exec, s[4:5]
	s_cbranch_vccnz .LBB135_430
; %bb.429:                              ;   in Loop: Header=BB135_12 Depth=1
	v_cvt_f32_u32_e32 v6, s33
	s_sub_i32 s4, 0, s33
	v_rcp_iflag_f32_e32 v6, v6
	v_mul_f32_e32 v6, 0x4f7ffffe, v6
	v_cvt_u32_f32_e32 v6, v6
	v_readfirstlane_b32 s5, v6
	s_mul_i32 s4, s4, s5
	s_mul_hi_u32 s4, s5, s4
	s_add_i32 s5, s5, s4
	s_mul_hi_u32 s4, s44, s5
	s_mul_i32 s4, s4, s33
	s_sub_i32 s4, s44, s4
	s_sub_i32 s5, s4, s33
	s_cmp_ge_u32 s4, s33
	s_cselect_b32 s4, s5, s4
	s_sub_i32 s5, s4, s33
	s_cmp_ge_u32 s4, s33
	s_cselect_b32 s58, s5, s4
	s_mov_b64 s[12:13], s[58:59]
.LBB135_430:                            ;   in Loop: Header=BB135_12 Depth=1
	s_sub_u32 s48, s44, s12
	s_subb_u32 s49, s9, s13
	v_cmp_gt_u64_e32 vcc, s[48:49], v[0:1]
	s_mov_b64 s[44:45], 0
	s_mov_b64 s[8:9], 0
                                        ; implicit-def: $vgpr33
	s_and_saveexec_b64 s[72:73], vcc
	v_readlane_b32 s58, v47, 55
	s_cbranch_execz .LBB135_439
; %bb.431:                              ;   in Loop: Header=BB135_12 Depth=1
	v_mov_b32_e32 v7, v1
	v_mov_b32_e32 v8, v0
	v_mov_b32_e32 v6, v0
                                        ; implicit-def: $sgpr64_sgpr65
	s_branch .LBB135_434
.LBB135_432:                            ;   in Loop: Header=BB135_434 Depth=2
	s_or_b64 exec, exec, s[12:13]
	s_waitcnt lgkmcnt(0)
	s_barrier
	ds_read_u16 v9, v3 offset:3072
	s_mov_b64 s[4:5], -1
	s_waitcnt lgkmcnt(0)
	s_barrier
	v_cmp_ne_u32_sdwa s[12:13], v9, v3 src0_sel:BYTE_0 src1_sel:DWORD
	s_and_b64 vcc, exec, s[12:13]
	s_mov_b64 s[12:13], -1
	s_cbranch_vccz .LBB135_437
.LBB135_433:                            ;   in Loop: Header=BB135_434 Depth=2
	s_and_b64 s[4:5], exec, s[4:5]
	s_or_b64 s[8:9], s[4:5], s[8:9]
	s_andn2_b64 s[4:5], s[64:65], exec
	s_and_b64 s[12:13], s[12:13], exec
	s_or_b64 s[64:65], s[4:5], s[12:13]
	s_andn2_b64 exec, exec, s[8:9]
	s_cbranch_execz .LBB135_438
.LBB135_434:                            ;   Parent Loop BB135_12 Depth=1
                                        ; =>  This Inner Loop Header: Depth=2
	v_cmp_gt_u64_e32 vcc, s[10:11], v[6:7]
	s_and_saveexec_b64 s[12:13], vcc
	s_cbranch_execz .LBB135_432
; %bb.435:                              ;   in Loop: Header=BB135_434 Depth=2
	ds_read_u8 v9, v8
	s_waitcnt lgkmcnt(0)
	v_add_u32_sdwa v10, sext(v9), s70 dst_sel:DWORD dst_unused:UNUSED_PAD src0_sel:BYTE_0 src1_sel:DWORD
	v_and_b32_e32 v10, v10, v32
	v_cmp_eq_u32_e32 vcc, v10, v28
	s_and_b64 exec, exec, vcc
	s_cbranch_execz .LBB135_432
; %bb.436:                              ;   in Loop: Header=BB135_434 Depth=2
	v_lshlrev_b16_e32 v9, 8, v9
	v_or_b32_e32 v9, 1, v9
	ds_write_b16 v3, v9 offset:3072
	s_branch .LBB135_432
.LBB135_437:                            ;   in Loop: Header=BB135_434 Depth=2
	v_add_co_u32_e32 v6, vcc, s33, v6
	v_addc_co_u32_e32 v7, vcc, 0, v7, vcc
	v_cmp_le_u64_e32 vcc, s[48:49], v[6:7]
	v_add_u32_e32 v8, s33, v8
	s_mov_b64 s[12:13], 0
	s_orn2_b64 s[4:5], vcc, exec
	s_branch .LBB135_433
.LBB135_438:                            ;   in Loop: Header=BB135_12 Depth=1
	s_or_b64 exec, exec, s[8:9]
	v_lshrrev_b32_sdwa v33, v31, v9 dst_sel:DWORD dst_unused:UNUSED_PAD src0_sel:DWORD src1_sel:WORD_0
	s_and_b64 s[8:9], s[64:65], exec
.LBB135_439:                            ;   in Loop: Header=BB135_12 Depth=1
	s_or_b64 exec, exec, s[72:73]
.LBB135_440:                            ;   in Loop: Header=BB135_12 Depth=1
	s_and_b64 vcc, exec, s[44:45]
	s_cbranch_vccz .LBB135_456
; %bb.441:                              ;   in Loop: Header=BB135_12 Depth=1
	s_mov_b32 s66, s59
	s_cmp_lg_u64 s[66:67], 0
	s_cbranch_scc0 .LBB135_443
; %bb.442:                              ;   in Loop: Header=BB135_12 Depth=1
	v_cvt_f32_u32_e32 v6, s33
	s_sub_u32 s10, 0, s33
	s_subb_u32 s11, 0, 0
	v_mac_f32_e32 v6, 0, v30
	v_rcp_f32_e32 v6, v6
	v_mul_f32_e32 v6, 0x5f7ffffc, v6
	v_mul_f32_e32 v7, 0x2f800000, v6
	v_trunc_f32_e32 v7, v7
	v_mac_f32_e32 v6, 0xcf800000, v7
	v_cvt_u32_f32_e32 v7, v7
	v_cvt_u32_f32_e32 v6, v6
	v_readfirstlane_b32 s12, v7
	v_readfirstlane_b32 s4, v6
	s_mul_i32 s5, s10, s12
	s_mul_hi_u32 s44, s10, s4
	s_mul_i32 s13, s11, s4
	s_add_i32 s5, s44, s5
	s_mul_i32 s45, s10, s4
	s_add_i32 s5, s5, s13
	s_mul_hi_u32 s44, s4, s45
	s_mul_i32 s48, s4, s5
	s_mul_hi_u32 s13, s4, s5
	s_add_u32 s44, s44, s48
	s_addc_u32 s13, 0, s13
	s_mul_hi_u32 s49, s12, s45
	s_mul_i32 s45, s12, s45
	s_add_u32 s44, s44, s45
	s_mul_hi_u32 s48, s12, s5
	s_addc_u32 s13, s13, s49
	s_addc_u32 s44, s48, 0
	s_mul_i32 s5, s12, s5
	s_add_u32 s5, s13, s5
	s_addc_u32 s13, 0, s44
	s_add_u32 s44, s4, s5
	s_cselect_b64 s[4:5], -1, 0
	s_cmp_lg_u64 s[4:5], 0
	s_addc_u32 s12, s12, s13
	s_mul_i32 s4, s10, s12
	s_mul_hi_u32 s5, s10, s44
	s_add_i32 s4, s5, s4
	s_mul_i32 s11, s11, s44
	s_add_i32 s4, s4, s11
	s_mul_i32 s10, s10, s44
	s_mul_hi_u32 s11, s12, s10
	s_mul_i32 s13, s12, s10
	s_mul_i32 s48, s44, s4
	s_mul_hi_u32 s10, s44, s10
	s_mul_hi_u32 s45, s44, s4
	s_add_u32 s10, s10, s48
	s_addc_u32 s45, 0, s45
	s_add_u32 s10, s10, s13
	s_mul_hi_u32 s5, s12, s4
	s_addc_u32 s10, s45, s11
	s_addc_u32 s5, s5, 0
	s_mul_i32 s4, s12, s4
	s_add_u32 s4, s10, s4
	s_addc_u32 s10, 0, s5
	s_add_u32 s11, s44, s4
	s_cselect_b64 s[4:5], -1, 0
	s_cmp_lg_u64 s[4:5], 0
	s_addc_u32 s4, s12, s10
	v_readlane_b32 s45, v47, 35
	s_mul_i32 s10, s45, s4
	s_mul_hi_u32 s12, s45, s11
	s_mul_hi_u32 s5, s45, s4
	s_add_u32 s10, s12, s10
	s_addc_u32 s5, 0, s5
	s_mul_hi_u32 s13, s67, s11
	s_mul_i32 s11, s67, s11
	s_add_u32 s10, s10, s11
	s_mul_hi_u32 s12, s67, s4
	s_addc_u32 s5, s5, s13
	s_addc_u32 s10, s12, 0
	s_mul_i32 s4, s67, s4
	s_add_u32 s4, s5, s4
	s_addc_u32 s5, 0, s10
	s_mul_i32 s5, s33, s5
	s_mul_hi_u32 s10, s33, s4
	s_add_i32 s10, s10, s5
	s_mul_i32 s4, s33, s4
	s_sub_u32 s12, s45, s4
	s_cselect_b64 s[4:5], -1, 0
	s_cmp_lg_u64 s[4:5], 0
	s_subb_u32 s10, s67, s10
	s_sub_u32 s11, s12, s33
	s_cselect_b64 s[4:5], -1, 0
	s_cmp_lg_u64 s[4:5], 0
	s_subb_u32 s13, s10, 0
	;; [unrolled: 4-line block ×3, first 2 shown]
	s_cmp_ge_u32 s11, s33
	s_cselect_b32 s5, -1, 0
	s_cmp_eq_u32 s13, 0
	s_cselect_b32 s5, s5, -1
	s_cmp_lg_u32 s5, 0
	s_cselect_b32 s4, s4, s13
	s_cselect_b32 s5, s44, s11
	s_cmp_ge_u32 s12, s33
	s_cselect_b32 s11, -1, 0
	s_cmp_eq_u32 s10, 0
	s_cselect_b32 s11, s11, -1
	s_cmp_lg_u32 s11, 0
	s_cselect_b32 s11, s4, s10
	s_cselect_b32 s10, s5, s12
	s_mov_b64 s[4:5], 0
	s_branch .LBB135_444
.LBB135_443:                            ;   in Loop: Header=BB135_12 Depth=1
	s_mov_b64 s[4:5], -1
	v_readlane_b32 s45, v47, 35
                                        ; implicit-def: $sgpr10_sgpr11
.LBB135_444:                            ;   in Loop: Header=BB135_12 Depth=1
	s_andn2_b64 vcc, exec, s[4:5]
	v_readlane_b32 s66, v47, 54
	s_cbranch_vccnz .LBB135_446
; %bb.445:                              ;   in Loop: Header=BB135_12 Depth=1
	v_cvt_f32_u32_e32 v6, s33
	s_sub_i32 s4, 0, s33
	v_rcp_iflag_f32_e32 v6, v6
	v_mul_f32_e32 v6, 0x4f7ffffe, v6
	v_cvt_u32_f32_e32 v6, v6
	v_readfirstlane_b32 s5, v6
	s_mul_i32 s4, s4, s5
	s_mul_hi_u32 s4, s5, s4
	s_add_i32 s5, s5, s4
	s_mul_hi_u32 s4, s45, s5
	s_mul_i32 s4, s4, s33
	s_sub_i32 s4, s45, s4
	s_sub_i32 s5, s4, s33
	s_cmp_ge_u32 s4, s33
	s_cselect_b32 s4, s5, s4
	s_sub_i32 s5, s4, s33
	s_cmp_ge_u32 s4, s33
	s_cselect_b32 s58, s5, s4
	s_mov_b64 s[10:11], s[58:59]
	v_readlane_b32 s58, v47, 55
.LBB135_446:                            ;   in Loop: Header=BB135_12 Depth=1
	s_sub_u32 s44, s45, s10
	s_subb_u32 s45, s67, s11
	v_cmp_gt_u64_e32 vcc, s[44:45], v[0:1]
                                        ; implicit-def: $vgpr33
	s_and_saveexec_b64 s[10:11], vcc
	s_cbranch_execz .LBB135_455
; %bb.447:                              ;   in Loop: Header=BB135_12 Depth=1
	v_mov_b32_e32 v7, v1
	s_mov_b64 s[48:49], 0
	v_mov_b32_e32 v6, v0
                                        ; implicit-def: $sgpr56_sgpr57
	s_branch .LBB135_450
.LBB135_448:                            ;   in Loop: Header=BB135_450 Depth=2
	s_or_b64 exec, exec, s[12:13]
	s_waitcnt lgkmcnt(0)
	s_barrier
	ds_read_u16 v8, v3 offset:3072
	s_mov_b64 s[4:5], -1
	s_waitcnt lgkmcnt(0)
	s_barrier
	v_cmp_eq_u32_sdwa s[12:13], v8, v3 src0_sel:BYTE_0 src1_sel:DWORD
	s_and_b64 vcc, exec, s[12:13]
	s_mov_b64 s[12:13], -1
	s_cbranch_vccnz .LBB135_453
.LBB135_449:                            ;   in Loop: Header=BB135_450 Depth=2
	s_and_b64 s[4:5], exec, s[4:5]
	s_or_b64 s[48:49], s[4:5], s[48:49]
	s_andn2_b64 s[4:5], s[56:57], exec
	s_and_b64 s[12:13], s[12:13], exec
	s_or_b64 s[56:57], s[4:5], s[12:13]
	s_andn2_b64 exec, exec, s[48:49]
	s_cbranch_execz .LBB135_454
.LBB135_450:                            ;   Parent Loop BB135_12 Depth=1
                                        ; =>  This Inner Loop Header: Depth=2
	v_cmp_gt_u64_e32 vcc, s[28:29], v[6:7]
	s_and_saveexec_b64 s[12:13], vcc
	s_cbranch_execz .LBB135_448
; %bb.451:                              ;   in Loop: Header=BB135_450 Depth=2
	v_mov_b32_e32 v8, s34
	v_mov_b32_e32 v9, s35
	v_mad_u64_u32 v[8:9], s[4:5], v6, s26, v[8:9]
	v_mul_lo_u32 v10, v6, s27
	v_mul_lo_u32 v11, v7, s26
	v_add3_u32 v9, v11, v9, v10
	global_load_ubyte v8, v[8:9], off
	s_waitcnt vmcnt(0)
	v_add_u32_sdwa v9, sext(v8), s70 dst_sel:DWORD dst_unused:UNUSED_PAD src0_sel:BYTE_0 src1_sel:DWORD
	v_and_b32_e32 v9, v9, v32
	v_cmp_eq_u32_e32 vcc, v9, v28
	s_and_b64 exec, exec, vcc
	s_cbranch_execz .LBB135_448
; %bb.452:                              ;   in Loop: Header=BB135_450 Depth=2
	v_lshlrev_b16_e32 v8, 8, v8
	v_or_b32_e32 v8, 1, v8
	ds_write_b16 v3, v8 offset:3072
	s_branch .LBB135_448
.LBB135_453:                            ;   in Loop: Header=BB135_450 Depth=2
	v_add_co_u32_e32 v6, vcc, s33, v6
	v_addc_co_u32_e32 v7, vcc, 0, v7, vcc
	v_cmp_le_u64_e32 vcc, s[44:45], v[6:7]
	s_mov_b64 s[12:13], 0
	s_orn2_b64 s[4:5], vcc, exec
	s_branch .LBB135_449
.LBB135_454:                            ;   in Loop: Header=BB135_12 Depth=1
	s_or_b64 exec, exec, s[48:49]
	s_andn2_b64 s[4:5], s[8:9], exec
	s_and_b64 s[8:9], s[56:57], exec
	v_lshrrev_b32_sdwa v33, v31, v8 dst_sel:DWORD dst_unused:UNUSED_PAD src0_sel:DWORD src1_sel:WORD_0
	s_or_b64 s[8:9], s[4:5], s[8:9]
.LBB135_455:                            ;   in Loop: Header=BB135_12 Depth=1
	s_or_b64 exec, exec, s[10:11]
	s_mov_b64 s[56:57], 0
	s_mov_b64 s[54:55], -1
.LBB135_456:                            ;   in Loop: Header=BB135_12 Depth=1
	s_orn2_b64 s[10:11], s[8:9], exec
	v_readlane_b32 s8, v47, 60
	v_readlane_b32 s9, v47, 61
.LBB135_457:                            ;   in Loop: Header=BB135_12 Depth=1
	s_or_b64 exec, exec, s[8:9]
	s_mov_b64 s[12:13], 0
	s_and_saveexec_b64 s[8:9], s[10:11]
	s_cbranch_execz .LBB135_468
; %bb.458:                              ;   in Loop: Header=BB135_12 Depth=1
	v_readlane_b32 s4, v47, 58
	v_readlane_b32 s5, v47, 59
	v_mov_b32_e32 v6, 1
	s_xor_b64 s[4:5], s[4:5], -1
	v_mov_b32_e32 v7, 0
	v_mov_b32_e32 v2, 1
	s_and_saveexec_b64 s[10:11], s[4:5]
	s_cbranch_execz .LBB135_467
; %bb.459:                              ;   in Loop: Header=BB135_12 Depth=1
	v_cmp_ge_u64_e32 vcc, s[22:23], v[4:5]
	s_and_saveexec_b64 s[4:5], vcc
	s_xor_b64 s[12:13], exec, s[4:5]
	s_cbranch_execz .LBB135_464
; %bb.460:                              ;   in Loop: Header=BB135_12 Depth=1
	ds_read_b64 v[6:7], v3 offset:5120
	v_and_b32_e32 v28, s61, v28
	v_or_b32_e32 v32, s60, v32
	s_waitcnt lgkmcnt(0)
	v_cmp_ne_u64_e32 vcc, 0, v[6:7]
	s_cbranch_vccnz .LBB135_464
; %bb.461:                              ;   in Loop: Header=BB135_12 Depth=1
	s_mov_b64 s[4:5], exec
	v_readlane_b32 s44, v47, 12
	v_readlane_b32 s45, v47, 13
	s_and_b64 s[44:45], s[4:5], s[44:45]
	s_mov_b64 exec, s[44:45]
; %bb.462:                              ;   in Loop: Header=BB135_12 Depth=1
	v_mov_b32_e32 v6, s22
	v_mov_b32_e32 v7, s23
	ds_write_b64 v3, v[6:7] offset:5128
; %bb.463:                              ;   in Loop: Header=BB135_12 Depth=1
	s_or_b64 exec, exec, s[4:5]
	s_waitcnt lgkmcnt(0)
	s_barrier
.LBB135_464:                            ;   in Loop: Header=BB135_12 Depth=1
	s_andn2_saveexec_b64 s[12:13], s[12:13]
; %bb.465:                              ;   in Loop: Header=BB135_12 Depth=1
	v_mov_b32_e32 v2, s23
	v_subrev_co_u32_e32 v4, vcc, s22, v4
	v_subb_co_u32_e32 v5, vcc, v5, v2, vcc
; %bb.466:                              ;   in Loop: Header=BB135_12 Depth=1
	s_or_b64 exec, exec, s[12:13]
	v_mov_b32_e32 v7, v5
	v_mov_b32_e32 v2, 5
	;; [unrolled: 1-line block ×3, first 2 shown]
.LBB135_467:                            ;   in Loop: Header=BB135_12 Depth=1
	s_or_b64 exec, exec, s[10:11]
	v_mov_b32_e32 v4, v6
	s_mov_b64 s[12:13], exec
	v_mov_b32_e32 v5, v7
.LBB135_468:                            ;   in Loop: Header=BB135_12 Depth=1
	s_or_b64 exec, exec, s[8:9]
	s_orn2_b64 s[8:9], s[12:13], exec
.LBB135_469:                            ;   in Loop: Header=BB135_12 Depth=1
	s_or_b64 exec, exec, s[2:3]
	s_andn2_b64 s[2:3], s[52:53], exec
	s_and_b64 s[4:5], s[54:55], exec
	s_or_b64 s[52:53], s[2:3], s[4:5]
	s_andn2_b64 s[2:3], s[46:47], exec
	s_and_b64 s[4:5], s[56:57], exec
	v_mov_b32_e32 v7, v5
	s_or_b64 s[46:47], s[2:3], s[4:5]
	s_and_b64 s[10:11], s[8:9], exec
	v_mov_b32_e32 v6, v4
.LBB135_470:                            ;   in Loop: Header=BB135_12 Depth=1
	s_or_b64 exec, exec, s[20:21]
	s_orn2_b64 s[2:3], s[10:11], exec
.LBB135_471:                            ;   in Loop: Header=BB135_12 Depth=1
	s_or_b64 exec, exec, s[14:15]
	s_andn2_b64 s[4:5], s[42:43], exec
	s_and_b64 s[8:9], s[52:53], exec
	s_or_b64 s[42:43], s[4:5], s[8:9]
	s_andn2_b64 s[4:5], s[36:37], exec
	s_and_b64 s[8:9], s[46:47], exec
	v_mov_b32_e32 v4, v6
	s_or_b64 s[36:37], s[4:5], s[8:9]
	s_and_b64 s[10:11], s[2:3], exec
	v_mov_b32_e32 v5, v7
.LBB135_472:                            ;   in Loop: Header=BB135_12 Depth=1
	s_or_b64 exec, exec, s[50:51]
	s_orn2_b64 s[2:3], s[10:11], exec
.LBB135_473:                            ;   in Loop: Header=BB135_12 Depth=1
	s_or_b64 exec, exec, s[6:7]
	s_mov_b64 s[6:7], s[40:41]
	s_mov_b64 s[8:9], s[38:39]
	s_and_saveexec_b64 s[4:5], s[2:3]
; %bb.474:                              ;   in Loop: Header=BB135_12 Depth=1
	v_cmp_ne_u32_e64 s[6:7], 5, v2
	v_cmp_eq_u32_e32 vcc, 5, v2
	s_andn2_b64 s[2:3], s[38:39], exec
	s_and_b64 s[6:7], s[6:7], exec
	s_or_b64 s[8:9], s[2:3], s[6:7]
	s_andn2_b64 s[2:3], s[40:41], exec
	s_and_b64 s[6:7], vcc, exec
	s_or_b64 s[6:7], s[2:3], s[6:7]
; %bb.475:                              ;   in Loop: Header=BB135_12 Depth=1
	s_or_b64 exec, exec, s[4:5]
	s_andn2_b64 s[2:3], s[18:19], exec
	s_and_b64 s[4:5], s[42:43], exec
	s_or_b64 s[18:19], s[2:3], s[4:5]
	s_andn2_b64 s[2:3], s[24:25], exec
	s_and_b64 s[4:5], s[36:37], exec
	s_or_b64 s[24:25], s[2:3], s[4:5]
	;; [unrolled: 3-line block ×4, first 2 shown]
.LBB135_476:                            ;   in Loop: Header=BB135_12 Depth=1
	s_or_b64 exec, exec, s[16:17]
	s_mov_b64 s[42:43], 0
	s_mov_b64 s[16:17], 0
	s_and_saveexec_b64 s[2:3], s[40:41]
.LBB135_477:                            ;   in Loop: Header=BB135_12 Depth=1
	v_mov_b32_e32 v2, 0
	s_or_b64 s[38:39], s[38:39], exec
.LBB135_478:                            ;   in Loop: Header=BB135_12 Depth=1
	s_or_b64 exec, exec, s[2:3]
	s_andn2_b64 s[2:3], s[92:93], exec
	s_and_b64 s[4:5], s[18:19], exec
	s_or_b64 s[92:93], s[2:3], s[4:5]
	s_andn2_b64 s[2:3], s[90:91], exec
	s_and_b64 s[4:5], s[24:25], exec
	s_or_b64 s[90:91], s[2:3], s[4:5]
	;; [unrolled: 3-line block ×3, first 2 shown]
	s_andn2_b64 s[2:3], s[86:87], exec
	s_and_b64 s[4:5], s[42:43], exec
	v_mov_b32_e32 v20, v5
	s_mov_b64 s[6:7], -1
	s_andn2_b64 s[94:95], s[94:95], exec
	s_or_b64 s[86:87], s[2:3], s[4:5]
	v_mov_b32_e32 v19, v4
	s_and_saveexec_b64 s[2:3], s[38:39]
	s_xor_b64 s[2:3], exec, s[2:3]
	v_readlane_b32 s15, v47, 56
	v_readlane_b32 s22, v47, 57
	s_mov_b32 s23, 0xc0c0004
	s_cbranch_execz .LBB135_11
; %bb.479:                              ;   in Loop: Header=BB135_12 Depth=1
	v_cmp_eq_u32_e32 vcc, 0, v2
	s_mov_b64 s[8:9], -1
	s_and_saveexec_b64 s[4:5], vcc
	s_cbranch_execz .LBB135_10
; %bb.480:                              ;   in Loop: Header=BB135_12 Depth=1
	s_xor_b32 s71, s71, 1
	s_add_i32 s10, s69, -2
	s_cmp_eq_u32 s69, 0
	s_cselect_b64 s[6:7], -1, 0
	s_xor_b64 s[8:9], exec, -1
	s_orn2_b64 s[6:7], s[6:7], exec
	s_mov_b32 s69, s10
	s_branch .LBB135_10
.LBB135_481:
	s_or_b64 exec, exec, s[74:75]
	s_xor_b64 s[4:5], s[84:85], -1
	s_xor_b64 s[8:9], s[82:83], -1
	;; [unrolled: 1-line block ×5, first 2 shown]
	s_mov_b64 s[6:7], 0
	s_and_saveexec_b64 s[14:15], s[10:11]
	s_xor_b64 s[10:11], exec, s[14:15]
	s_cbranch_execnz .LBB135_486
; %bb.482:
	s_andn2_saveexec_b64 s[0:1], s[10:11]
	s_cbranch_execnz .LBB135_505
.LBB135_483:
	s_or_b64 exec, exec, s[0:1]
	s_and_saveexec_b64 s[0:1], s[6:7]
.LBB135_484:
	; divergent unreachable
.LBB135_485:
	s_endpgm
.LBB135_486:
	s_and_saveexec_b64 s[14:15], s[12:13]
	s_xor_b64 s[12:13], exec, s[14:15]
	s_cbranch_execz .LBB135_503
; %bb.487:
	s_and_saveexec_b64 s[14:15], s[8:9]
	s_xor_b64 s[14:15], exec, s[14:15]
	s_cbranch_execz .LBB135_501
; %bb.488:
	s_and_saveexec_b64 s[8:9], s[4:5]
	s_xor_b64 s[16:17], exec, s[8:9]
	s_cbranch_execz .LBB135_499
; %bb.489:
	s_and_saveexec_b64 s[4:5], s[2:3]
	s_xor_b64 s[2:3], exec, s[4:5]
; %bb.490:
	v_xor_b32_e32 v33, 0xffffff80, v28
; %bb.491:
	s_or_b64 exec, exec, s[2:3]
	s_mov_b64 s[2:3], exec
	v_readlane_b32 s4, v47, 12
	v_readlane_b32 s5, v47, 13
	;; [unrolled: 1-line block ×4, first 2 shown]
	s_and_b64 s[4:5], s[2:3], s[4:5]
	v_readlane_b32 s25, v47, 47
	v_readlane_b32 s53, v47, 21
	s_mov_b64 exec, s[4:5]
; %bb.492:
	v_mov_b32_e32 v2, 0
	v_mov_b32_e32 v3, v2
	ds_write_b64 v2, v[2:3] offset:5136
; %bb.493:
	s_or_b64 exec, exec, s[2:3]
	v_mov_b32_e32 v14, 0
	s_waitcnt lgkmcnt(0)
	s_barrier
	s_mov_b64 s[2:3], exec
	v_readlane_b32 s4, v47, 28
	v_readlane_b32 s5, v47, 29
	s_and_b64 s[4:5], s[2:3], s[4:5]
	s_mov_b64 exec, s[4:5]
	s_cbranch_execz .LBB135_495
; %bb.494:
	global_load_ubyte v14, v[12:13], off
.LBB135_495:
	s_or_b64 exec, exec, s[2:3]
	s_add_u32 s2, s28, 63
	s_addc_u32 s9, s29, 0
	s_and_b32 s8, s2, 0xffffffc0
	v_readlane_b32 s4, v47, 2
	v_readlane_b32 s2, v47, 0
	;; [unrolled: 1-line block ×4, first 2 shown]
	s_mov_b32 s22, s2
	s_mul_i32 s2, s2, s5
	s_mul_hi_u32 s3, s22, s4
	s_add_i32 s3, s3, s2
	s_mul_i32 s2, s22, s4
	v_readlane_b32 s4, v47, 14
	v_readlane_b32 s36, v47, 16
	;; [unrolled: 1-line block ×3, first 2 shown]
	s_sub_u32 s2, s4, s2
	v_readlane_b32 s38, v47, 18
	v_readlane_b32 s39, v47, 19
	s_mov_b32 s20, s4
	s_subb_u32 s3, 0, s3
	s_mul_i32 s4, s2, s39
	s_mul_hi_u32 s5, s2, s38
	v_readlane_b32 s37, v47, 17
	s_add_i32 s4, s5, s4
	s_mul_i32 s3, s3, s38
	s_add_i32 s6, s4, s3
	s_mul_i32 s7, s2, s38
	s_mul_i32 s2, s22, s37
	s_mul_hi_u32 s3, s22, s36
	s_add_i32 s18, s3, s2
	v_readlane_b32 s4, v47, 6
	v_readlane_b32 s2, v47, 4
	s_mul_i32 s19, s22, s36
	v_readlane_b32 s5, v47, 7
	v_readlane_b32 s3, v47, 5
	s_mov_b32 s22, s2
	s_mul_i32 s2, s2, s5
	s_mul_hi_u32 s3, s22, s4
	s_add_i32 s3, s3, s2
	s_mul_i32 s2, s22, s4
	v_readlane_b32 s36, v47, 48
	s_sub_u32 s2, s20, s2
	v_readlane_b32 s38, v47, 50
	v_readlane_b32 s39, v47, 51
	s_subb_u32 s3, 0, s3
	s_mul_i32 s4, s2, s39
	s_mul_hi_u32 s5, s2, s38
	v_readlane_b32 s37, v47, 49
	s_add_i32 s4, s5, s4
	s_mul_i32 s3, s3, s38
	s_add_i32 s3, s4, s3
	s_mul_i32 s4, s22, s37
	s_mul_hi_u32 s5, s22, s36
	s_add_i32 s5, s5, s4
	v_readlane_b32 s20, v47, 10
	v_readlane_b32 s21, v47, 11
	s_add_u32 s19, s20, s19
	s_addc_u32 s20, s21, s18
	s_mul_i32 s4, s22, s36
	s_add_u32 s18, s19, s7
	s_addc_u32 s19, s20, s6
	s_lshl_b64 s[4:5], s[4:5], 3
	v_readlane_b32 s6, v47, 8
	s_load_dwordx2 s[20:21], s[24:25], 0x368
	s_load_dwordx2 s[22:23], s[24:25], 0x510
	s_mul_i32 s2, s2, s38
	v_readlane_b32 s7, v47, 9
	s_add_u32 s4, s6, s4
	s_addc_u32 s5, s7, s5
	s_lshl_b64 s[2:3], s[2:3], 3
	s_add_u32 s48, s4, s2
	v_cmp_gt_u64_e32 vcc, s[8:9], v[0:1]
	s_addc_u32 s49, s5, s3
	s_mov_b64 s[36:37], -1
	s_mov_b64 s[2:3], 0
	s_mov_b64 s[4:5], 0
	s_and_saveexec_b64 s[24:25], vcc
	s_cbranch_execnz .LBB135_506
; %bb.496:
	s_or_b64 exec, exec, s[24:25]
	s_and_saveexec_b64 s[6:7], s[36:37]
	s_cbranch_execnz .LBB135_521
.LBB135_497:
	s_or_b64 exec, exec, s[6:7]
	s_and_saveexec_b64 s[0:1], s[4:5]
	s_xor_b64 s[0:1], exec, s[0:1]
	s_cbranch_execnz .LBB135_544
.LBB135_498:
	s_or_b64 exec, exec, s[0:1]
	s_and_b64 s[6:7], s[2:3], exec
.LBB135_499:
	s_andn2_saveexec_b64 s[0:1], s[16:17]
	s_cbranch_execnz .LBB135_546
.LBB135_500:
	s_or_b64 exec, exec, s[0:1]
	s_and_b64 s[6:7], s[6:7], exec
.LBB135_501:
	s_andn2_saveexec_b64 s[0:1], s[14:15]
	s_cbranch_execnz .LBB135_545
.LBB135_502:
	s_or_b64 exec, exec, s[0:1]
	s_and_b64 s[6:7], s[6:7], exec
.LBB135_503:
	s_andn2_saveexec_b64 s[0:1], s[12:13]
	s_cbranch_execnz .LBB135_540
.LBB135_504:
	s_or_b64 exec, exec, s[0:1]
	s_and_b64 s[6:7], s[6:7], exec
	s_andn2_saveexec_b64 s[0:1], s[10:11]
	s_cbranch_execz .LBB135_483
.LBB135_505:
	s_or_b64 s[6:7], s[6:7], exec
	s_trap 2
	s_or_b64 exec, exec, s[0:1]
	s_and_saveexec_b64 s[0:1], s[6:7]
	s_cbranch_execnz .LBB135_484
	s_branch .LBB135_485
.LBB135_506:
	s_movk_i32 s50, 0x80
	v_mov_b32_e32 v9, v1
	v_add_u32_sdwa v15, sext(v33), s50 dst_sel:DWORD dst_unused:UNUSED_PAD src0_sel:BYTE_0 src1_sel:DWORD
	s_mov_b64 s[36:37], 0
	v_mov_b32_e32 v3, 0
	v_mov_b32_e32 v8, v0
                                        ; implicit-def: $sgpr38_sgpr39
                                        ; implicit-def: $vgpr6_vgpr7
	s_branch .LBB135_508
.LBB135_507:                            ;   in Loop: Header=BB135_508 Depth=1
	s_or_b64 exec, exec, s[42:43]
	s_xor_b64 s[4:5], s[40:41], -1
	s_and_b64 s[6:7], exec, s[6:7]
	s_or_b64 s[36:37], s[6:7], s[36:37]
	s_andn2_b64 s[6:7], s[38:39], exec
	s_and_b64 s[4:5], s[4:5], exec
	v_mov_b32_e32 v9, v5
	s_or_b64 s[38:39], s[6:7], s[4:5]
	v_mov_b32_e32 v14, v16
	v_mov_b32_e32 v8, v4
	s_andn2_b64 exec, exec, s[36:37]
	s_cbranch_execz .LBB135_520
.LBB135_508:                            ; =>This Inner Loop Header: Depth=1
	v_add_co_u32_e64 v4, s[4:5], s33, v8
	v_addc_co_u32_e64 v5, s[4:5], 0, v9, s[4:5]
	v_cmp_gt_u64_e64 s[4:5], s[28:29], v[4:5]
	v_mov_b32_e32 v16, 0
	s_and_saveexec_b64 s[6:7], s[4:5]
	s_cbranch_execz .LBB135_510
; %bb.509:                              ;   in Loop: Header=BB135_508 Depth=1
	v_mov_b32_e32 v10, s34
	v_mov_b32_e32 v11, s35
	v_mad_u64_u32 v[10:11], s[4:5], v4, s26, v[10:11]
	v_mul_lo_u32 v2, v4, s27
	v_mul_lo_u32 v16, v5, s26
	v_add3_u32 v11, v16, v11, v2
	global_load_ubyte v16, v[10:11], off
.LBB135_510:                            ;   in Loop: Header=BB135_508 Depth=1
	s_or_b64 exec, exec, s[6:7]
	s_waitcnt vmcnt(0)
	v_add_u32_sdwa v2, sext(v14), s50 dst_sel:DWORD dst_unused:UNUSED_PAD src0_sel:BYTE_0 src1_sel:DWORD
	v_cmp_gt_u32_e64 s[6:7], v2, v15
	v_cndmask_b32_e64 v10, 0, 1, s[6:7]
	v_cmp_lt_u32_e64 s[6:7], v2, v15
	v_cndmask_b32_e64 v2, 0, 1, s[6:7]
	v_cndmask_b32_e64 v2, v2, v10, s[52:53]
	v_cmp_gt_u64_e64 s[4:5], s[28:29], v[8:9]
	v_and_b32_e32 v2, 1, v2
	v_cmp_eq_u32_e64 s[6:7], 1, v2
	s_and_b64 s[40:41], s[4:5], s[6:7]
	v_cndmask_b32_e64 v2, 0, 1, s[40:41]
	v_cmp_ne_u32_e64 s[4:5], 0, v2
	s_cmp_lg_u64 s[4:5], 0
	s_cselect_b64 s[6:7], -1, 0
	s_and_b64 s[6:7], s[0:1], s[6:7]
	s_and_saveexec_b64 s[42:43], s[6:7]
	s_cbranch_execz .LBB135_514
; %bb.511:                              ;   in Loop: Header=BB135_508 Depth=1
	s_mov_b64 s[46:47], exec
	v_mbcnt_lo_u32_b32 v2, s46, 0
	v_mbcnt_hi_u32_b32 v10, s47, v2
	s_bcnt1_i32_b64 s51, s[4:5]
	v_cmp_eq_u32_e64 s[6:7], 0, v10
                                        ; implicit-def: $vgpr6_vgpr7
	s_and_saveexec_b64 s[44:45], s[6:7]
	s_cbranch_execz .LBB135_513
; %bb.512:                              ;   in Loop: Header=BB135_508 Depth=1
	s_bcnt1_i32_b64 s6, s[46:47]
	s_mul_i32 s6, s51, s6
	v_mov_b32_e32 v2, s6
	s_waitcnt lgkmcnt(0)
	ds_add_rtn_u64 v[6:7], v3, v[2:3] offset:5136
.LBB135_513:                            ;   in Loop: Header=BB135_508 Depth=1
	s_or_b64 exec, exec, s[44:45]
	s_waitcnt lgkmcnt(0)
	v_readfirstlane_b32 s6, v7
	v_readfirstlane_b32 s7, v6
	v_mov_b32_e32 v6, s7
	v_mov_b32_e32 v7, s6
	v_mad_u64_u32 v[6:7], s[6:7], s51, v10, v[6:7]
.LBB135_514:                            ;   in Loop: Header=BB135_508 Depth=1
	s_or_b64 exec, exec, s[42:43]
	s_waitcnt lgkmcnt(0)
	ds_bpermute_b32 v6, v23, v6
	ds_bpermute_b32 v7, v23, v7
	s_mov_b64 s[6:7], -1
	s_mov_b64 s[44:45], -1
	s_and_saveexec_b64 s[42:43], s[40:41]
	s_cbranch_execz .LBB135_518
; %bb.515:                              ;   in Loop: Header=BB135_508 Depth=1
	v_and_b32_e32 v10, s4, v25
	v_and_b32_e32 v2, s5, v24
	v_bcnt_u32_b32 v10, v10, 0
	v_bcnt_u32_b32 v2, v2, v10
	s_waitcnt lgkmcnt(0)
	v_add_co_u32_e64 v10, s[4:5], v6, v2
	v_addc_co_u32_e64 v11, s[4:5], 0, v7, s[4:5]
	v_cmp_gt_u64_e64 s[4:5], s[30:31], v[10:11]
	s_mov_b64 s[40:41], 0
	s_and_saveexec_b64 s[44:45], s[4:5]
; %bb.516:                              ;   in Loop: Header=BB135_508 Depth=1
	v_mov_b32_e32 v20, s19
	v_mul_lo_u32 v2, v11, s22
	v_mul_lo_u32 v21, v10, s23
	v_mad_u64_u32 v[17:18], s[4:5], v10, s22, 0
	v_mov_b32_e32 v19, s18
	v_mad_u64_u32 v[19:20], s[4:5], v10, s20, v[19:20]
	v_mul_lo_u32 v10, v10, s21
	v_mul_lo_u32 v11, v11, s20
	v_add3_u32 v18, v18, v21, v2
	v_mov_b32_e32 v2, s49
	s_mov_b64 s[40:41], exec
	v_add3_u32 v20, v11, v20, v10
	v_lshlrev_b64 v[10:11], 3, v[17:18]
	global_store_byte v[19:20], v14, off
	v_add_co_u32_e64 v10, s[4:5], s48, v10
	v_addc_co_u32_e64 v11, s[4:5], v2, v11, s[4:5]
	global_store_dwordx2 v[10:11], v[8:9], off
; %bb.517:                              ;   in Loop: Header=BB135_508 Depth=1
	s_or_b64 exec, exec, s[44:45]
	s_orn2_b64 s[44:45], s[40:41], exec
.LBB135_518:                            ;   in Loop: Header=BB135_508 Depth=1
	s_or_b64 exec, exec, s[42:43]
	s_mov_b64 s[40:41], -1
	s_and_saveexec_b64 s[42:43], s[44:45]
	s_cbranch_execz .LBB135_507
; %bb.519:                              ;   in Loop: Header=BB135_508 Depth=1
	v_cmp_le_u64_e64 s[4:5], s[8:9], v[4:5]
	s_xor_b64 s[40:41], exec, -1
	s_orn2_b64 s[6:7], s[4:5], exec
	s_branch .LBB135_507
.LBB135_520:
	s_or_b64 exec, exec, s[36:37]
	s_mov_b64 s[4:5], exec
	s_orn2_b64 s[36:37], s[38:39], exec
	s_or_b64 exec, exec, s[24:25]
	s_and_saveexec_b64 s[6:7], s[36:37]
	s_cbranch_execz .LBB135_497
.LBB135_521:
	v_mov_b32_e32 v2, 0
	s_waitcnt vmcnt(0) lgkmcnt(0)
	s_barrier
	s_mov_b64 s[2:3], exec
	v_readlane_b32 s24, v47, 28
	v_readlane_b32 s25, v47, 29
	s_and_b64 s[24:25], s[2:3], s[24:25]
	s_mov_b64 exec, s[24:25]
	s_cbranch_execz .LBB135_523
; %bb.522:
	global_load_ubyte v2, v[12:13], off
.LBB135_523:
	s_or_b64 exec, exec, s[2:3]
	s_mov_b64 s[2:3], 0
	s_and_saveexec_b64 s[24:25], vcc
	s_cbranch_execz .LBB135_543
; %bb.524:
	s_mov_b64 s[36:37], 0
	v_mov_b32_e32 v3, 0
                                        ; implicit-def: $sgpr38_sgpr39
                                        ; implicit-def: $vgpr6_vgpr7
	s_branch .LBB135_527
.LBB135_525:                            ;   in Loop: Header=BB135_527 Depth=1
	s_or_b64 exec, exec, s[42:43]
	s_orn2_b64 s[44:45], s[46:47], exec
	s_orn2_b64 s[42:43], s[40:41], exec
.LBB135_526:                            ;   in Loop: Header=BB135_527 Depth=1
	s_or_b64 exec, exec, s[2:3]
	s_xor_b64 s[2:3], s[44:45], -1
	s_and_b64 s[40:41], exec, s[42:43]
	s_or_b64 s[36:37], s[40:41], s[36:37]
	s_andn2_b64 s[38:39], s[38:39], exec
	s_and_b64 s[2:3], s[2:3], exec
	v_mov_b32_e32 v0, v4
	s_or_b64 s[38:39], s[38:39], s[2:3]
	v_mov_b32_e32 v1, v5
	v_mov_b32_e32 v2, v10
	s_andn2_b64 exec, exec, s[36:37]
	s_cbranch_execz .LBB135_541
.LBB135_527:                            ; =>This Inner Loop Header: Depth=1
	v_add_co_u32_e32 v4, vcc, s33, v0
	v_addc_co_u32_e32 v5, vcc, 0, v1, vcc
	v_cmp_gt_u64_e32 vcc, s[28:29], v[4:5]
	v_mov_b32_e32 v10, 0
	s_and_saveexec_b64 s[2:3], vcc
	s_cbranch_execz .LBB135_529
; %bb.528:                              ;   in Loop: Header=BB135_527 Depth=1
	v_mov_b32_e32 v8, s34
	v_mov_b32_e32 v9, s35
	v_mad_u64_u32 v[8:9], s[40:41], v4, s26, v[8:9]
	v_mul_lo_u32 v10, v4, s27
	v_mul_lo_u32 v11, v5, s26
	v_add3_u32 v9, v11, v9, v10
	global_load_ubyte v10, v[8:9], off
.LBB135_529:                            ;   in Loop: Header=BB135_527 Depth=1
	s_or_b64 exec, exec, s[2:3]
	v_cmp_gt_u64_e32 vcc, s[28:29], v[0:1]
	s_waitcnt vmcnt(0)
	v_cmp_eq_u16_sdwa s[2:3], v2, v33 src0_sel:BYTE_0 src1_sel:BYTE_0
	s_and_b64 s[40:41], vcc, s[2:3]
	v_cndmask_b32_e64 v2, 0, 1, s[40:41]
	v_cmp_ne_u32_e32 vcc, 0, v2
	s_cmp_lg_u64 vcc, 0
	s_cselect_b64 s[2:3], -1, 0
	s_and_b64 s[2:3], s[0:1], s[2:3]
	s_and_saveexec_b64 s[42:43], s[2:3]
	s_cbranch_execz .LBB135_533
; %bb.530:                              ;   in Loop: Header=BB135_527 Depth=1
	s_mov_b64 s[46:47], exec
	v_mbcnt_lo_u32_b32 v2, s46, 0
	v_mbcnt_hi_u32_b32 v8, s47, v2
	s_bcnt1_i32_b64 s50, vcc
	v_cmp_eq_u32_e64 s[2:3], 0, v8
                                        ; implicit-def: $vgpr6_vgpr7
	s_and_saveexec_b64 s[44:45], s[2:3]
; %bb.531:                              ;   in Loop: Header=BB135_527 Depth=1
	s_bcnt1_i32_b64 s2, s[46:47]
	s_mul_i32 s2, s50, s2
	v_mov_b32_e32 v2, s2
	ds_add_rtn_u64 v[6:7], v3, v[2:3] offset:5136
; %bb.532:                              ;   in Loop: Header=BB135_527 Depth=1
	s_or_b64 exec, exec, s[44:45]
	s_waitcnt lgkmcnt(0)
	v_readfirstlane_b32 s2, v7
	v_readfirstlane_b32 s3, v6
	v_mov_b32_e32 v6, s3
	v_mov_b32_e32 v7, s2
	v_mad_u64_u32 v[6:7], s[2:3], s50, v8, v[6:7]
.LBB135_533:                            ;   in Loop: Header=BB135_527 Depth=1
	s_or_b64 exec, exec, s[42:43]
	ds_bpermute_b32 v6, v23, v6
	ds_bpermute_b32 v7, v23, v7
	s_cmp_eq_u64 vcc, 0
	s_cselect_b64 s[44:45], -1, 0
	s_mov_b64 s[42:43], -1
	s_waitcnt lgkmcnt(0)
	v_cmp_gt_u64_e64 s[2:3], s[30:31], v[6:7]
	s_or_b64 s[46:47], s[44:45], s[2:3]
	s_mov_b64 s[44:45], -1
	s_and_saveexec_b64 s[2:3], s[46:47]
	s_cbranch_execz .LBB135_526
; %bb.534:                              ;   in Loop: Header=BB135_527 Depth=1
	v_and_b32_e32 v8, vcc_lo, v25
	v_and_b32_e32 v2, vcc_hi, v24
	v_bcnt_u32_b32 v8, v8, 0
	v_bcnt_u32_b32 v2, v2, v8
	v_mov_b32_e32 v9, s31
	v_sub_co_u32_e32 v8, vcc, s30, v6
	v_subb_co_u32_e32 v9, vcc, v9, v7, vcc
	v_cmp_gt_u64_e32 vcc, v[8:9], v[2:3]
	s_mov_b64 s[46:47], -1
	s_and_b64 s[50:51], s[40:41], vcc
	s_mov_b64 s[40:41], -1
	s_and_saveexec_b64 s[42:43], s[50:51]
	s_cbranch_execz .LBB135_538
; %bb.535:                              ;   in Loop: Header=BB135_527 Depth=1
	v_add_co_u32_e32 v8, vcc, v6, v2
	v_addc_co_u32_e32 v9, vcc, 0, v7, vcc
	v_cmp_gt_u64_e32 vcc, s[30:31], v[8:9]
	s_mov_b64 s[44:45], 0
	s_and_saveexec_b64 s[46:47], vcc
; %bb.536:                              ;   in Loop: Header=BB135_527 Depth=1
	v_mov_b32_e32 v13, s18
	v_mul_lo_u32 v2, v9, s22
	v_mul_lo_u32 v15, v8, s23
	v_mad_u64_u32 v[11:12], s[50:51], v8, s22, 0
	v_mov_b32_e32 v14, s19
	v_mad_u64_u32 v[13:14], s[50:51], v8, s20, v[13:14]
	v_mul_lo_u32 v8, v8, s21
	v_mul_lo_u32 v9, v9, s20
	v_add3_u32 v12, v12, v15, v2
	v_mov_b32_e32 v2, s49
	s_mov_b64 s[44:45], exec
	v_add3_u32 v14, v9, v14, v8
	v_lshlrev_b64 v[8:9], 3, v[11:12]
	global_store_byte v[13:14], v33, off
	v_add_co_u32_e32 v8, vcc, s48, v8
	v_addc_co_u32_e32 v9, vcc, v2, v9, vcc
	global_store_dwordx2 v[8:9], v[0:1], off
; %bb.537:                              ;   in Loop: Header=BB135_527 Depth=1
	s_or_b64 exec, exec, s[46:47]
	s_xor_b64 s[46:47], exec, -1
	s_orn2_b64 s[44:45], s[44:45], exec
.LBB135_538:                            ;   in Loop: Header=BB135_527 Depth=1
	s_or_b64 exec, exec, s[42:43]
	s_and_saveexec_b64 s[42:43], s[44:45]
	s_cbranch_execz .LBB135_525
; %bb.539:                              ;   in Loop: Header=BB135_527 Depth=1
	v_cmp_le_u64_e32 vcc, s[8:9], v[4:5]
	s_or_b64 s[46:47], s[46:47], exec
	s_orn2_b64 s[40:41], vcc, exec
	s_branch .LBB135_525
.LBB135_540:
	s_or_b64 s[6:7], s[6:7], exec
	s_trap 2
	s_branch .LBB135_504
.LBB135_541:
	s_or_b64 exec, exec, s[36:37]
	s_mov_b64 s[0:1], 0
	s_and_saveexec_b64 s[2:3], s[38:39]
	s_xor_b64 s[2:3], exec, s[2:3]
	s_cbranch_execnz .LBB135_547
.LBB135_542:
	s_or_b64 exec, exec, s[2:3]
	s_and_b64 s[2:3], s[0:1], exec
.LBB135_543:
	s_or_b64 exec, exec, s[24:25]
	s_and_b64 s[2:3], s[2:3], exec
	s_andn2_b64 s[4:5], s[4:5], exec
	s_or_b64 exec, exec, s[6:7]
	s_and_saveexec_b64 s[0:1], s[4:5]
	s_xor_b64 s[0:1], exec, s[0:1]
	s_cbranch_execz .LBB135_498
.LBB135_544:
	s_trap 2
	s_or_b64 s[2:3], s[2:3], exec
	s_branch .LBB135_498
.LBB135_545:
	s_or_b64 s[6:7], s[6:7], exec
	s_trap 2
	s_branch .LBB135_502
.LBB135_546:
	s_trap 2
	s_or_b64 s[6:7], s[6:7], exec
	s_branch .LBB135_500
.LBB135_547:
	s_mov_b64 s[0:1], exec
	s_trap 2
	s_branch .LBB135_542
	.section	.rodata,"a",@progbits
	.p2align	6, 0x0
	.amdhsa_kernel _ZN2at6native6sbtopk10gatherTopKIamLi2ELb0EEEvNS_4cuda6detail10TensorInfoIKT_T0_EES8_S8_bS8_S8_NS5_IS6_S8_EES8_NS5_IlS8_EES8_PS6_
		.amdhsa_group_segment_fixed_size 5152
		.amdhsa_private_segment_fixed_size 0
		.amdhsa_kernarg_size 1568
		.amdhsa_user_sgpr_count 6
		.amdhsa_user_sgpr_private_segment_buffer 1
		.amdhsa_user_sgpr_dispatch_ptr 0
		.amdhsa_user_sgpr_queue_ptr 0
		.amdhsa_user_sgpr_kernarg_segment_ptr 1
		.amdhsa_user_sgpr_dispatch_id 0
		.amdhsa_user_sgpr_flat_scratch_init 0
		.amdhsa_user_sgpr_private_segment_size 0
		.amdhsa_uses_dynamic_stack 0
		.amdhsa_system_sgpr_private_segment_wavefront_offset 0
		.amdhsa_system_sgpr_workgroup_id_x 1
		.amdhsa_system_sgpr_workgroup_id_y 1
		.amdhsa_system_sgpr_workgroup_id_z 1
		.amdhsa_system_sgpr_workgroup_info 0
		.amdhsa_system_vgpr_workitem_id 0
		.amdhsa_next_free_vgpr 48
		.amdhsa_next_free_sgpr 96
		.amdhsa_reserve_vcc 1
		.amdhsa_reserve_flat_scratch 0
		.amdhsa_float_round_mode_32 0
		.amdhsa_float_round_mode_16_64 0
		.amdhsa_float_denorm_mode_32 3
		.amdhsa_float_denorm_mode_16_64 3
		.amdhsa_dx10_clamp 1
		.amdhsa_ieee_mode 1
		.amdhsa_fp16_overflow 0
		.amdhsa_exception_fp_ieee_invalid_op 0
		.amdhsa_exception_fp_denorm_src 0
		.amdhsa_exception_fp_ieee_div_zero 0
		.amdhsa_exception_fp_ieee_overflow 0
		.amdhsa_exception_fp_ieee_underflow 0
		.amdhsa_exception_fp_ieee_inexact 0
		.amdhsa_exception_int_div_zero 0
	.end_amdhsa_kernel
	.section	.text._ZN2at6native6sbtopk10gatherTopKIamLi2ELb0EEEvNS_4cuda6detail10TensorInfoIKT_T0_EES8_S8_bS8_S8_NS5_IS6_S8_EES8_NS5_IlS8_EES8_PS6_,"axG",@progbits,_ZN2at6native6sbtopk10gatherTopKIamLi2ELb0EEEvNS_4cuda6detail10TensorInfoIKT_T0_EES8_S8_bS8_S8_NS5_IS6_S8_EES8_NS5_IlS8_EES8_PS6_,comdat
.Lfunc_end135:
	.size	_ZN2at6native6sbtopk10gatherTopKIamLi2ELb0EEEvNS_4cuda6detail10TensorInfoIKT_T0_EES8_S8_bS8_S8_NS5_IS6_S8_EES8_NS5_IlS8_EES8_PS6_, .Lfunc_end135-_ZN2at6native6sbtopk10gatherTopKIamLi2ELb0EEEvNS_4cuda6detail10TensorInfoIKT_T0_EES8_S8_bS8_S8_NS5_IS6_S8_EES8_NS5_IlS8_EES8_PS6_
                                        ; -- End function
	.set _ZN2at6native6sbtopk10gatherTopKIamLi2ELb0EEEvNS_4cuda6detail10TensorInfoIKT_T0_EES8_S8_bS8_S8_NS5_IS6_S8_EES8_NS5_IlS8_EES8_PS6_.num_vgpr, 48
	.set _ZN2at6native6sbtopk10gatherTopKIamLi2ELb0EEEvNS_4cuda6detail10TensorInfoIKT_T0_EES8_S8_bS8_S8_NS5_IS6_S8_EES8_NS5_IlS8_EES8_PS6_.num_agpr, 0
	.set _ZN2at6native6sbtopk10gatherTopKIamLi2ELb0EEEvNS_4cuda6detail10TensorInfoIKT_T0_EES8_S8_bS8_S8_NS5_IS6_S8_EES8_NS5_IlS8_EES8_PS6_.numbered_sgpr, 96
	.set _ZN2at6native6sbtopk10gatherTopKIamLi2ELb0EEEvNS_4cuda6detail10TensorInfoIKT_T0_EES8_S8_bS8_S8_NS5_IS6_S8_EES8_NS5_IlS8_EES8_PS6_.num_named_barrier, 0
	.set _ZN2at6native6sbtopk10gatherTopKIamLi2ELb0EEEvNS_4cuda6detail10TensorInfoIKT_T0_EES8_S8_bS8_S8_NS5_IS6_S8_EES8_NS5_IlS8_EES8_PS6_.private_seg_size, 0
	.set _ZN2at6native6sbtopk10gatherTopKIamLi2ELb0EEEvNS_4cuda6detail10TensorInfoIKT_T0_EES8_S8_bS8_S8_NS5_IS6_S8_EES8_NS5_IlS8_EES8_PS6_.uses_vcc, 1
	.set _ZN2at6native6sbtopk10gatherTopKIamLi2ELb0EEEvNS_4cuda6detail10TensorInfoIKT_T0_EES8_S8_bS8_S8_NS5_IS6_S8_EES8_NS5_IlS8_EES8_PS6_.uses_flat_scratch, 0
	.set _ZN2at6native6sbtopk10gatherTopKIamLi2ELb0EEEvNS_4cuda6detail10TensorInfoIKT_T0_EES8_S8_bS8_S8_NS5_IS6_S8_EES8_NS5_IlS8_EES8_PS6_.has_dyn_sized_stack, 0
	.set _ZN2at6native6sbtopk10gatherTopKIamLi2ELb0EEEvNS_4cuda6detail10TensorInfoIKT_T0_EES8_S8_bS8_S8_NS5_IS6_S8_EES8_NS5_IlS8_EES8_PS6_.has_recursion, 0
	.set _ZN2at6native6sbtopk10gatherTopKIamLi2ELb0EEEvNS_4cuda6detail10TensorInfoIKT_T0_EES8_S8_bS8_S8_NS5_IS6_S8_EES8_NS5_IlS8_EES8_PS6_.has_indirect_call, 0
	.section	.AMDGPU.csdata,"",@progbits
; Kernel info:
; codeLenInByte = 26468
; TotalNumSgprs: 100
; NumVgprs: 48
; ScratchSize: 0
; MemoryBound: 0
; FloatMode: 240
; IeeeMode: 1
; LDSByteSize: 5152 bytes/workgroup (compile time only)
; SGPRBlocks: 12
; VGPRBlocks: 11
; NumSGPRsForWavesPerEU: 100
; NumVGPRsForWavesPerEU: 48
; Occupancy: 5
; WaveLimiterHint : 1
; COMPUTE_PGM_RSRC2:SCRATCH_EN: 0
; COMPUTE_PGM_RSRC2:USER_SGPR: 6
; COMPUTE_PGM_RSRC2:TRAP_HANDLER: 0
; COMPUTE_PGM_RSRC2:TGID_X_EN: 1
; COMPUTE_PGM_RSRC2:TGID_Y_EN: 1
; COMPUTE_PGM_RSRC2:TGID_Z_EN: 1
; COMPUTE_PGM_RSRC2:TIDIG_COMP_CNT: 0
	.section	.text._ZN2at6native6mbtopk23computeBlockDigitCountsIamjLi3EEEvNS_4cuda6detail10TensorInfoIKT_T0_EEjPjjS8_iijT1_PSB_Ps,"axG",@progbits,_ZN2at6native6mbtopk23computeBlockDigitCountsIamjLi3EEEvNS_4cuda6detail10TensorInfoIKT_T0_EEjPjjS8_iijT1_PSB_Ps,comdat
	.protected	_ZN2at6native6mbtopk23computeBlockDigitCountsIamjLi3EEEvNS_4cuda6detail10TensorInfoIKT_T0_EEjPjjS8_iijT1_PSB_Ps ; -- Begin function _ZN2at6native6mbtopk23computeBlockDigitCountsIamjLi3EEEvNS_4cuda6detail10TensorInfoIKT_T0_EEjPjjS8_iijT1_PSB_Ps
	.globl	_ZN2at6native6mbtopk23computeBlockDigitCountsIamjLi3EEEvNS_4cuda6detail10TensorInfoIKT_T0_EEjPjjS8_iijT1_PSB_Ps
	.p2align	8
	.type	_ZN2at6native6mbtopk23computeBlockDigitCountsIamjLi3EEEvNS_4cuda6detail10TensorInfoIKT_T0_EEjPjjS8_iijT1_PSB_Ps,@function
_ZN2at6native6mbtopk23computeBlockDigitCountsIamjLi3EEEvNS_4cuda6detail10TensorInfoIKT_T0_EEjPjjS8_iijT1_PSB_Ps: ; @_ZN2at6native6mbtopk23computeBlockDigitCountsIamjLi3EEEvNS_4cuda6detail10TensorInfoIKT_T0_EEjPjjS8_iijT1_PSB_Ps
; %bb.0:
	s_load_dwordx4 s[0:3], s[4:5], 0x1c0
	s_load_dword s9, s[4:5], 0x1b0
	s_load_dwordx2 s[10:11], s[4:5], 0x1e0
	s_mov_b32 s21, 0
	s_waitcnt lgkmcnt(0)
	v_cvt_f32_u32_e32 v1, s2
	s_mul_i32 s8, s11, s8
	s_add_i32 s7, s8, s7
	v_rcp_iflag_f32_e32 v1, v1
	s_mul_i32 s24, s7, s10
	s_sub_i32 s11, 0, s2
	s_add_i32 s24, s24, s6
	v_mul_f32_e32 v1, 0x4f7ffffe, v1
	v_cvt_u32_f32_e32 v1, v1
	v_readfirstlane_b32 s6, v1
	s_mul_i32 s11, s11, s6
	s_mul_hi_u32 s7, s6, s11
	s_add_i32 s6, s6, s7
	s_mul_hi_u32 s6, s24, s6
	s_mul_i32 s7, s6, s2
	s_sub_i32 s7, s24, s7
	s_add_i32 s8, s6, 1
	s_sub_i32 s10, s7, s2
	s_cmp_ge_u32 s7, s2
	s_cselect_b32 s6, s8, s6
	s_cselect_b32 s7, s10, s7
	s_add_i32 s8, s6, 1
	s_cmp_ge_u32 s7, s2
	s_cselect_b32 s20, s8, s6
	s_cmp_ge_u32 s20, s9
	s_cbranch_scc1 .LBB136_25
; %bb.1:
	s_load_dwordx4 s[8:11], s[4:5], 0x1d0
	s_load_dwordx4 s[12:15], s[4:5], 0x10
	s_lshl_b64 s[16:17], s[20:21], 2
	s_mov_b64 s[6:7], 0
	s_waitcnt lgkmcnt(0)
	s_add_u32 s22, s8, s16
	v_mov_b32_e32 v1, s14
	v_mov_b32_e32 v2, s15
	v_cmp_lt_u64_e32 vcc, s[20:21], v[1:2]
	s_addc_u32 s23, s9, s17
	s_mov_b64 s[8:9], 0
	s_cbranch_vccnz .LBB136_3
; %bb.2:
	v_cvt_f32_u32_e32 v1, s14
	s_sub_i32 s7, 0, s14
	s_mov_b32 s9, 0
	v_rcp_iflag_f32_e32 v1, v1
	v_mul_f32_e32 v1, 0x4f7ffffe, v1
	v_cvt_u32_f32_e32 v1, v1
	v_readfirstlane_b32 s8, v1
	s_mul_i32 s7, s7, s8
	s_mul_hi_u32 s7, s8, s7
	s_add_i32 s8, s8, s7
	s_mul_hi_u32 s7, s20, s8
	s_mul_i32 s16, s7, s14
	s_sub_i32 s16, s20, s16
	s_add_i32 s8, s7, 1
	s_sub_i32 s17, s16, s14
	s_cmp_ge_u32 s16, s14
	s_cselect_b32 s7, s8, s7
	s_cselect_b32 s16, s17, s16
	s_add_i32 s8, s7, 1
	s_cmp_ge_u32 s16, s14
	s_cselect_b32 s8, s8, s7
.LBB136_3:
	v_mov_b32_e32 v1, s12
	v_mov_b32_e32 v2, s13
	v_cmp_lt_u64_e32 vcc, s[8:9], v[1:2]
	s_cbranch_vccnz .LBB136_5
; %bb.4:
	v_cvt_f32_u32_e32 v1, s12
	s_sub_i32 s6, 0, s12
	v_rcp_iflag_f32_e32 v1, v1
	v_mul_f32_e32 v1, 0x4f7ffffe, v1
	v_cvt_u32_f32_e32 v1, v1
	v_readfirstlane_b32 s7, v1
	s_mul_i32 s6, s6, s7
	s_mul_hi_u32 s6, s7, s6
	s_add_i32 s7, s7, s6
	s_mul_hi_u32 s6, s8, s7
	s_mul_i32 s16, s6, s12
	s_sub_i32 s16, s8, s16
	s_add_i32 s7, s6, 1
	s_sub_i32 s17, s16, s12
	s_cmp_ge_u32 s16, s12
	s_cselect_b32 s6, s7, s6
	s_cselect_b32 s16, s17, s16
	s_add_i32 s7, s6, 1
	s_cmp_ge_u32 s16, s12
	s_cselect_b32 s6, s7, s6
.LBB136_5:
	s_movk_i32 s7, 0x100
	v_cmp_gt_u32_e32 vcc, s7, v0
	v_lshlrev_b32_e32 v1, 2, v0
	s_and_saveexec_b64 s[16:17], vcc
; %bb.6:
	v_mov_b32_e32 v2, 0
	ds_write_b32 v1, v2
; %bb.7:
	s_or_b64 exec, exec, s[16:17]
	s_load_dword s21, s[4:5], 0x1a0
	s_mul_i32 s7, s20, s2
	s_sub_i32 s7, s24, s7
	s_add_i32 s18, s7, 1
	s_mul_i32 s7, s1, s7
	s_lshl_b32 s26, s7, 8
	s_waitcnt lgkmcnt(0)
	s_sub_i32 s7, s21, s26
	s_add_u32 s16, s7, 0xff
	s_addc_u32 s17, 0, 0
	s_lshr_b64 s[16:17], s[16:17], 8
	s_cmp_lt_u32 s18, s2
	s_cselect_b32 s25, s1, s16
	s_cmp_lt_i32 s25, 1
	s_mov_b32 s1, 0
	s_barrier
	s_cbranch_scc1 .LBB136_23
; %bb.8:
	s_mul_i32 s7, s8, s15
	s_mul_hi_u32 s15, s8, s14
	s_load_dwordx2 s[28:29], s[4:5], 0xe0
	s_load_dwordx4 s[16:19], s[4:5], 0xd0
	s_load_dwordx2 s[30:31], s[4:5], 0x0
	s_load_dword s2, s[22:23], 0x0
	s_add_i32 s15, s15, s7
	s_mul_i32 s7, s8, s14
	s_sub_u32 s7, s20, s7
	s_subb_u32 s14, 0, s15
	s_waitcnt lgkmcnt(0)
	s_mul_i32 s15, s7, s29
	s_mul_hi_u32 s20, s7, s28
	s_add_i32 s15, s20, s15
	s_mul_i32 s14, s14, s28
	s_add_i32 s15, s15, s14
	s_mul_i32 s13, s6, s13
	s_mul_hi_u32 s14, s6, s12
	s_add_i32 s14, s14, s13
	s_mul_i32 s12, s6, s12
	s_sub_u32 s8, s8, s12
	s_subb_u32 s9, s9, s14
	s_mul_i32 s12, s8, s19
	s_mul_hi_u32 s13, s8, s18
	s_add_i32 s12, s13, s12
	s_mul_i32 s9, s9, s18
	s_add_i32 s12, s12, s9
	s_mul_i32 s9, s6, s17
	s_mul_hi_u32 s13, s6, s16
	s_add_i32 s13, s13, s9
	s_mul_i32 s6, s6, s16
	s_add_u32 s6, s30, s6
	s_mul_i32 s8, s8, s18
	s_addc_u32 s9, s31, s13
	s_load_dwordx2 s[4:5], s[4:5], 0x1b8
	s_add_u32 s6, s6, s8
	s_mul_i32 s7, s7, s28
	s_addc_u32 s8, s9, s12
	s_add_u32 s6, s6, s7
	s_addc_u32 s7, s8, s15
	s_and_b32 s12, s0, 0xff
	s_cmp_eq_u32 s25, 1
	v_add_u32_e32 v2, s26, v0
	s_cbranch_scc1 .LBB136_18
; %bb.9:
	s_and_b32 s13, s25, 0x7ffffffe
	s_mov_b32 s14, 0
	v_mov_b32_e32 v3, 1
	v_mov_b32_e32 v4, v2
	s_branch .LBB136_11
.LBB136_10:                             ;   in Loop: Header=BB136_11 Depth=1
	s_or_b64 exec, exec, s[8:9]
	s_add_i32 s14, s14, 2
	s_cmp_eq_u32 s13, s14
	v_add_u32_e32 v4, 0x200, v4
	s_cbranch_scc1 .LBB136_17
.LBB136_11:                             ; =>This Inner Loop Header: Depth=1
	v_cmp_gt_u32_e64 s[0:1], s21, v4
	s_and_saveexec_b64 s[8:9], s[0:1]
	s_cbranch_execz .LBB136_14
; %bb.12:                               ;   in Loop: Header=BB136_11 Depth=1
	v_mov_b32_e32 v5, s6
	v_mov_b32_e32 v6, s7
	s_waitcnt lgkmcnt(0)
	v_mad_u64_u32 v[5:6], s[0:1], s4, v4, v[5:6]
	v_mad_u64_u32 v[6:7], s[0:1], s5, v4, v[6:7]
	global_load_sbyte v5, v[5:6], off
	s_waitcnt vmcnt(0)
	v_add_u32_e32 v5, 0x80, v5
	v_xor_b32_e32 v6, s2, v5
	v_and_b32_e32 v6, s3, v6
	v_cmp_eq_u32_e64 s[0:1], 0, v6
	s_and_b64 exec, exec, s[0:1]
; %bb.13:                               ;   in Loop: Header=BB136_11 Depth=1
	v_lshrrev_b32_e32 v5, s12, v5
	v_lshlrev_b32_e32 v5, 2, v5
	ds_add_u32 v5, v3
.LBB136_14:                             ;   in Loop: Header=BB136_11 Depth=1
	s_or_b64 exec, exec, s[8:9]
	v_add_u32_e32 v5, 0x100, v4
	v_cmp_gt_u32_e64 s[0:1], s21, v5
	s_and_saveexec_b64 s[8:9], s[0:1]
	s_cbranch_execz .LBB136_10
; %bb.15:                               ;   in Loop: Header=BB136_11 Depth=1
	v_mov_b32_e32 v6, s6
	v_mov_b32_e32 v7, s7
	s_waitcnt lgkmcnt(0)
	v_mad_u64_u32 v[6:7], s[0:1], s4, v5, v[6:7]
	v_mad_u64_u32 v[7:8], s[0:1], s5, v5, v[7:8]
	global_load_sbyte v5, v[6:7], off
	s_waitcnt vmcnt(0)
	v_add_u32_e32 v5, 0x80, v5
	v_xor_b32_e32 v6, s2, v5
	v_and_b32_e32 v6, s3, v6
	v_cmp_eq_u32_e64 s[0:1], 0, v6
	s_and_b64 exec, exec, s[0:1]
	s_cbranch_execz .LBB136_10
; %bb.16:                               ;   in Loop: Header=BB136_11 Depth=1
	v_lshrrev_b32_e32 v5, s12, v5
	v_lshlrev_b32_e32 v5, 2, v5
	ds_add_u32 v5, v3
	s_branch .LBB136_10
.LBB136_17:
	s_lshl_b32 s1, s13, 8
.LBB136_18:
	s_bitcmp0_b32 s25, 0
	s_cbranch_scc1 .LBB136_23
; %bb.19:
	v_add_u32_e32 v2, s1, v2
	v_cmp_gt_u32_e64 s[0:1], s21, v2
	s_and_saveexec_b64 s[8:9], s[0:1]
	s_cbranch_execz .LBB136_22
; %bb.20:
	v_mov_b32_e32 v3, s6
	v_mov_b32_e32 v4, s7
	s_waitcnt lgkmcnt(0)
	v_mad_u64_u32 v[3:4], s[0:1], s4, v2, v[3:4]
	v_mad_u64_u32 v[4:5], s[0:1], s5, v2, v[4:5]
	global_load_sbyte v2, v[3:4], off
	s_waitcnt vmcnt(0)
	v_add_u32_e32 v2, 0x80, v2
	v_xor_b32_e32 v3, s2, v2
	v_and_b32_e32 v3, s3, v3
	v_cmp_eq_u32_e64 s[0:1], 0, v3
	s_and_b64 exec, exec, s[0:1]
; %bb.21:
	v_lshrrev_b32_e32 v2, s12, v2
	v_lshlrev_b32_e32 v2, 2, v2
	v_mov_b32_e32 v3, 1
	ds_add_u32 v2, v3
.LBB136_22:
	s_or_b64 exec, exec, s[8:9]
.LBB136_23:
	s_waitcnt lgkmcnt(0)
	s_barrier
	s_and_saveexec_b64 s[0:1], vcc
	s_cbranch_execz .LBB136_25
; %bb.24:
	v_lshl_or_b32 v2, s24, 8, v0
	v_mov_b32_e32 v3, 0
	ds_read_b32 v5, v1
	v_lshlrev_b64 v[2:3], 1, v[2:3]
	v_mov_b32_e32 v4, s11
	v_add_co_u32_e32 v0, vcc, s10, v2
	v_addc_co_u32_e32 v1, vcc, v4, v3, vcc
	s_waitcnt lgkmcnt(0)
	global_store_short v[0:1], v5, off
.LBB136_25:
	s_endpgm
	.section	.rodata,"a",@progbits
	.p2align	6, 0x0
	.amdhsa_kernel _ZN2at6native6mbtopk23computeBlockDigitCountsIamjLi3EEEvNS_4cuda6detail10TensorInfoIKT_T0_EEjPjjS8_iijT1_PSB_Ps
		.amdhsa_group_segment_fixed_size 1024
		.amdhsa_private_segment_fixed_size 0
		.amdhsa_kernarg_size 736
		.amdhsa_user_sgpr_count 6
		.amdhsa_user_sgpr_private_segment_buffer 1
		.amdhsa_user_sgpr_dispatch_ptr 0
		.amdhsa_user_sgpr_queue_ptr 0
		.amdhsa_user_sgpr_kernarg_segment_ptr 1
		.amdhsa_user_sgpr_dispatch_id 0
		.amdhsa_user_sgpr_flat_scratch_init 0
		.amdhsa_user_sgpr_private_segment_size 0
		.amdhsa_uses_dynamic_stack 0
		.amdhsa_system_sgpr_private_segment_wavefront_offset 0
		.amdhsa_system_sgpr_workgroup_id_x 1
		.amdhsa_system_sgpr_workgroup_id_y 1
		.amdhsa_system_sgpr_workgroup_id_z 1
		.amdhsa_system_sgpr_workgroup_info 0
		.amdhsa_system_vgpr_workitem_id 0
		.amdhsa_next_free_vgpr 9
		.amdhsa_next_free_sgpr 32
		.amdhsa_reserve_vcc 1
		.amdhsa_reserve_flat_scratch 0
		.amdhsa_float_round_mode_32 0
		.amdhsa_float_round_mode_16_64 0
		.amdhsa_float_denorm_mode_32 3
		.amdhsa_float_denorm_mode_16_64 3
		.amdhsa_dx10_clamp 1
		.amdhsa_ieee_mode 1
		.amdhsa_fp16_overflow 0
		.amdhsa_exception_fp_ieee_invalid_op 0
		.amdhsa_exception_fp_denorm_src 0
		.amdhsa_exception_fp_ieee_div_zero 0
		.amdhsa_exception_fp_ieee_overflow 0
		.amdhsa_exception_fp_ieee_underflow 0
		.amdhsa_exception_fp_ieee_inexact 0
		.amdhsa_exception_int_div_zero 0
	.end_amdhsa_kernel
	.section	.text._ZN2at6native6mbtopk23computeBlockDigitCountsIamjLi3EEEvNS_4cuda6detail10TensorInfoIKT_T0_EEjPjjS8_iijT1_PSB_Ps,"axG",@progbits,_ZN2at6native6mbtopk23computeBlockDigitCountsIamjLi3EEEvNS_4cuda6detail10TensorInfoIKT_T0_EEjPjjS8_iijT1_PSB_Ps,comdat
.Lfunc_end136:
	.size	_ZN2at6native6mbtopk23computeBlockDigitCountsIamjLi3EEEvNS_4cuda6detail10TensorInfoIKT_T0_EEjPjjS8_iijT1_PSB_Ps, .Lfunc_end136-_ZN2at6native6mbtopk23computeBlockDigitCountsIamjLi3EEEvNS_4cuda6detail10TensorInfoIKT_T0_EEjPjjS8_iijT1_PSB_Ps
                                        ; -- End function
	.set _ZN2at6native6mbtopk23computeBlockDigitCountsIamjLi3EEEvNS_4cuda6detail10TensorInfoIKT_T0_EEjPjjS8_iijT1_PSB_Ps.num_vgpr, 9
	.set _ZN2at6native6mbtopk23computeBlockDigitCountsIamjLi3EEEvNS_4cuda6detail10TensorInfoIKT_T0_EEjPjjS8_iijT1_PSB_Ps.num_agpr, 0
	.set _ZN2at6native6mbtopk23computeBlockDigitCountsIamjLi3EEEvNS_4cuda6detail10TensorInfoIKT_T0_EEjPjjS8_iijT1_PSB_Ps.numbered_sgpr, 32
	.set _ZN2at6native6mbtopk23computeBlockDigitCountsIamjLi3EEEvNS_4cuda6detail10TensorInfoIKT_T0_EEjPjjS8_iijT1_PSB_Ps.num_named_barrier, 0
	.set _ZN2at6native6mbtopk23computeBlockDigitCountsIamjLi3EEEvNS_4cuda6detail10TensorInfoIKT_T0_EEjPjjS8_iijT1_PSB_Ps.private_seg_size, 0
	.set _ZN2at6native6mbtopk23computeBlockDigitCountsIamjLi3EEEvNS_4cuda6detail10TensorInfoIKT_T0_EEjPjjS8_iijT1_PSB_Ps.uses_vcc, 1
	.set _ZN2at6native6mbtopk23computeBlockDigitCountsIamjLi3EEEvNS_4cuda6detail10TensorInfoIKT_T0_EEjPjjS8_iijT1_PSB_Ps.uses_flat_scratch, 0
	.set _ZN2at6native6mbtopk23computeBlockDigitCountsIamjLi3EEEvNS_4cuda6detail10TensorInfoIKT_T0_EEjPjjS8_iijT1_PSB_Ps.has_dyn_sized_stack, 0
	.set _ZN2at6native6mbtopk23computeBlockDigitCountsIamjLi3EEEvNS_4cuda6detail10TensorInfoIKT_T0_EEjPjjS8_iijT1_PSB_Ps.has_recursion, 0
	.set _ZN2at6native6mbtopk23computeBlockDigitCountsIamjLi3EEEvNS_4cuda6detail10TensorInfoIKT_T0_EEjPjjS8_iijT1_PSB_Ps.has_indirect_call, 0
	.section	.AMDGPU.csdata,"",@progbits
; Kernel info:
; codeLenInByte = 1156
; TotalNumSgprs: 36
; NumVgprs: 9
; ScratchSize: 0
; MemoryBound: 0
; FloatMode: 240
; IeeeMode: 1
; LDSByteSize: 1024 bytes/workgroup (compile time only)
; SGPRBlocks: 4
; VGPRBlocks: 2
; NumSGPRsForWavesPerEU: 36
; NumVGPRsForWavesPerEU: 9
; Occupancy: 10
; WaveLimiterHint : 1
; COMPUTE_PGM_RSRC2:SCRATCH_EN: 0
; COMPUTE_PGM_RSRC2:USER_SGPR: 6
; COMPUTE_PGM_RSRC2:TRAP_HANDLER: 0
; COMPUTE_PGM_RSRC2:TGID_X_EN: 1
; COMPUTE_PGM_RSRC2:TGID_Y_EN: 1
; COMPUTE_PGM_RSRC2:TGID_Z_EN: 1
; COMPUTE_PGM_RSRC2:TIDIG_COMP_CNT: 0
	.section	.text._ZN2at6native6mbtopk10gatherTopKIamLi3EEEvNS_4cuda6detail10TensorInfoIKT_T0_EES8_S8_bjS8_NS5_IS6_S8_EES8_NS5_IlS8_EES8_jjPS6_PjSD_j,"axG",@progbits,_ZN2at6native6mbtopk10gatherTopKIamLi3EEEvNS_4cuda6detail10TensorInfoIKT_T0_EES8_S8_bjS8_NS5_IS6_S8_EES8_NS5_IlS8_EES8_jjPS6_PjSD_j,comdat
	.protected	_ZN2at6native6mbtopk10gatherTopKIamLi3EEEvNS_4cuda6detail10TensorInfoIKT_T0_EES8_S8_bjS8_NS5_IS6_S8_EES8_NS5_IlS8_EES8_jjPS6_PjSD_j ; -- Begin function _ZN2at6native6mbtopk10gatherTopKIamLi3EEEvNS_4cuda6detail10TensorInfoIKT_T0_EES8_S8_bjS8_NS5_IS6_S8_EES8_NS5_IlS8_EES8_jjPS6_PjSD_j
	.globl	_ZN2at6native6mbtopk10gatherTopKIamLi3EEEvNS_4cuda6detail10TensorInfoIKT_T0_EES8_S8_bjS8_NS5_IS6_S8_EES8_NS5_IlS8_EES8_jjPS6_PjSD_j
	.p2align	8
	.type	_ZN2at6native6mbtopk10gatherTopKIamLi3EEEvNS_4cuda6detail10TensorInfoIKT_T0_EES8_S8_bjS8_NS5_IS6_S8_EES8_NS5_IlS8_EES8_jjPS6_PjSD_j,@function
_ZN2at6native6mbtopk10gatherTopKIamLi3EEEvNS_4cuda6detail10TensorInfoIKT_T0_EES8_S8_bjS8_NS5_IS6_S8_EES8_NS5_IlS8_EES8_jjPS6_PjSD_j: ; @_ZN2at6native6mbtopk10gatherTopKIamLi3EEEvNS_4cuda6detail10TensorInfoIKT_T0_EES8_S8_bjS8_NS5_IS6_S8_EES8_NS5_IlS8_EES8_jjPS6_PjSD_j
; %bb.0:
	s_load_dwordx2 s[0:1], s[4:5], 0x538
	s_load_dword s2, s[4:5], 0x530
	s_waitcnt lgkmcnt(0)
	s_mul_i32 s1, s1, s8
	s_add_i32 s1, s1, s7
	s_mul_i32 s0, s1, s0
	s_add_i32 s0, s0, s6
	s_cmp_ge_u32 s0, s2
	s_cbranch_scc1 .LBB137_54
; %bb.1:
	s_load_dwordx2 s[34:35], s[4:5], 0x510
	s_load_dwordx4 s[8:11], s[4:5], 0x1a0
	s_load_dwordx4 s[12:15], s[4:5], 0x10
	s_mov_b32 s7, 0
	s_waitcnt lgkmcnt(0)
	v_cvt_f32_u32_e32 v1, s35
	s_sub_i32 s2, 0, s35
	s_lshl_b32 s1, s34, 8
	v_rcp_iflag_f32_e32 v1, v1
	v_mul_f32_e32 v1, 0x4f7ffffe, v1
	v_cvt_u32_f32_e32 v1, v1
	v_readfirstlane_b32 s3, v1
	s_mul_i32 s2, s2, s3
	s_mul_hi_u32 s2, s3, s2
	s_add_i32 s3, s3, s2
	s_mul_hi_u32 s2, s0, s3
	s_mul_i32 s3, s2, s35
	s_sub_i32 s3, s0, s3
	s_add_i32 s6, s2, 1
	s_sub_i32 s16, s3, s35
	s_cmp_ge_u32 s3, s35
	s_cselect_b32 s2, s6, s2
	s_cselect_b32 s3, s16, s3
	s_add_i32 s6, s2, 1
	s_cmp_ge_u32 s3, s35
	s_cselect_b32 s6, s6, s2
	s_mul_i32 s52, s6, s35
	s_sub_i32 s76, s0, s52
	s_add_i32 s0, s76, 1
	s_cmp_lt_u32 s0, s35
	s_mul_i32 s33, s76, s1
	s_cbranch_scc1 .LBB137_3
; %bb.2:
	s_sub_u32 s0, s8, s33
	s_subb_u32 s1, s9, 0
	s_add_u32 s0, s0, 0xff
	s_addc_u32 s1, s1, 0
	s_ashr_i32 s2, s1, 31
	s_lshr_b32 s2, s2, 24
	s_add_u32 s0, s0, s2
	s_addc_u32 s1, s1, 0
	s_lshr_b64 s[0:1], s[0:1], 8
	s_mov_b32 s34, s0
.LBB137_3:
	v_mov_b32_e32 v1, s14
	v_mov_b32_e32 v2, s15
	v_cmp_lt_u64_e32 vcc, s[6:7], v[1:2]
	s_mov_b64 s[50:51], 0
	s_mov_b64 s[48:49], 0
	s_cbranch_vccnz .LBB137_5
; %bb.4:
	v_cvt_f32_u32_e32 v1, s14
	s_sub_i32 s0, 0, s14
	s_mov_b32 s49, 0
	v_rcp_iflag_f32_e32 v1, v1
	v_mul_f32_e32 v1, 0x4f7ffffe, v1
	v_cvt_u32_f32_e32 v1, v1
	v_readfirstlane_b32 s1, v1
	s_mul_i32 s0, s0, s1
	s_mul_hi_u32 s0, s1, s0
	s_add_i32 s1, s1, s0
	s_mul_hi_u32 s0, s6, s1
	s_mul_i32 s2, s0, s14
	s_sub_i32 s2, s6, s2
	s_add_i32 s1, s0, 1
	s_sub_i32 s3, s2, s14
	s_cmp_ge_u32 s2, s14
	s_cselect_b32 s0, s1, s0
	s_cselect_b32 s2, s3, s2
	s_add_i32 s1, s0, 1
	s_cmp_ge_u32 s2, s14
	s_cselect_b32 s48, s1, s0
.LBB137_5:
	s_load_dwordx4 s[16:19], s[4:5], 0x1d0
	v_mov_b32_e32 v1, s12
	v_mov_b32_e32 v2, s13
	v_cmp_lt_u64_e32 vcc, s[48:49], v[1:2]
	s_cbranch_vccnz .LBB137_7
; %bb.6:
	v_cvt_f32_u32_e32 v1, s12
	s_sub_i32 s0, 0, s12
	v_rcp_iflag_f32_e32 v1, v1
	v_mul_f32_e32 v1, 0x4f7ffffe, v1
	v_cvt_u32_f32_e32 v1, v1
	v_readfirstlane_b32 s1, v1
	s_mul_i32 s0, s0, s1
	s_mul_hi_u32 s0, s1, s0
	s_add_i32 s1, s1, s0
	s_mul_hi_u32 s0, s48, s1
	s_mul_i32 s2, s0, s12
	s_sub_i32 s2, s48, s2
	s_add_i32 s1, s0, 1
	s_sub_i32 s3, s2, s12
	s_cmp_ge_u32 s2, s12
	s_cselect_b32 s0, s1, s0
	s_cselect_b32 s2, s3, s2
	s_add_i32 s1, s0, 1
	s_cmp_ge_u32 s2, s12
	s_cselect_b32 s50, s1, s0
.LBB137_7:
	s_waitcnt lgkmcnt(0)
	v_mov_b32_e32 v1, s18
	v_mov_b32_e32 v2, s19
	v_cmp_lt_u64_e32 vcc, s[6:7], v[1:2]
	s_mov_b64 s[56:57], 0
	s_mov_b64 s[54:55], 0
	s_cbranch_vccnz .LBB137_9
; %bb.8:
	v_cvt_f32_u32_e32 v1, s18
	s_sub_i32 s0, 0, s18
	s_mov_b32 s55, 0
	v_rcp_iflag_f32_e32 v1, v1
	v_mul_f32_e32 v1, 0x4f7ffffe, v1
	v_cvt_u32_f32_e32 v1, v1
	v_readfirstlane_b32 s1, v1
	s_mul_i32 s0, s0, s1
	s_mul_hi_u32 s0, s1, s0
	s_add_i32 s1, s1, s0
	s_mul_hi_u32 s0, s6, s1
	s_mul_i32 s2, s0, s18
	s_sub_i32 s2, s6, s2
	s_add_i32 s1, s0, 1
	s_sub_i32 s3, s2, s18
	s_cmp_ge_u32 s2, s18
	s_cselect_b32 s0, s1, s0
	s_cselect_b32 s2, s3, s2
	s_add_i32 s1, s0, 1
	s_cmp_ge_u32 s2, s18
	s_cselect_b32 s54, s1, s0
.LBB137_9:
	s_load_dwordx4 s[28:31], s[4:5], 0x378
	v_mov_b32_e32 v1, s16
	v_mov_b32_e32 v2, s17
	v_cmp_lt_u64_e32 vcc, s[54:55], v[1:2]
	s_cbranch_vccnz .LBB137_11
; %bb.10:
	v_cvt_f32_u32_e32 v1, s16
	s_sub_i32 s0, 0, s16
	v_rcp_iflag_f32_e32 v1, v1
	v_mul_f32_e32 v1, 0x4f7ffffe, v1
	v_cvt_u32_f32_e32 v1, v1
	v_readfirstlane_b32 s1, v1
	s_mul_i32 s0, s0, s1
	s_mul_hi_u32 s0, s1, s0
	s_add_i32 s1, s1, s0
	s_mul_hi_u32 s0, s54, s1
	s_mul_i32 s2, s0, s16
	s_sub_i32 s2, s54, s2
	s_add_i32 s1, s0, 1
	s_sub_i32 s3, s2, s16
	s_cmp_ge_u32 s2, s16
	s_cselect_b32 s0, s1, s0
	s_cselect_b32 s2, s3, s2
	s_add_i32 s1, s0, 1
	s_cmp_ge_u32 s2, s16
	s_cselect_b32 s56, s1, s0
.LBB137_11:
	s_waitcnt lgkmcnt(0)
	v_mov_b32_e32 v1, s30
	v_mov_b32_e32 v2, s31
	v_cmp_lt_u64_e32 vcc, s[6:7], v[1:2]
	s_mov_b64 s[58:59], 0
	s_mov_b64 s[60:61], 0
	s_cbranch_vccnz .LBB137_13
; %bb.12:
	v_cvt_f32_u32_e32 v1, s30
	s_sub_i32 s0, 0, s30
	s_mov_b32 s61, 0
	v_rcp_iflag_f32_e32 v1, v1
	v_mul_f32_e32 v1, 0x4f7ffffe, v1
	v_cvt_u32_f32_e32 v1, v1
	v_readfirstlane_b32 s1, v1
	s_mul_i32 s0, s0, s1
	s_mul_hi_u32 s0, s1, s0
	s_add_i32 s1, s1, s0
	s_mul_hi_u32 s0, s6, s1
	s_mul_i32 s2, s0, s30
	s_sub_i32 s2, s6, s2
	s_add_i32 s1, s0, 1
	s_sub_i32 s3, s2, s30
	s_cmp_ge_u32 s2, s30
	s_cselect_b32 s0, s1, s0
	s_cselect_b32 s2, s3, s2
	s_add_i32 s1, s0, 1
	s_cmp_ge_u32 s2, s30
	s_cselect_b32 s60, s1, s0
.LBB137_13:
	s_load_dwordx2 s[62:63], s[4:5], 0xe0
	s_load_dwordx4 s[40:43], s[4:5], 0xd0
	s_load_dwordx2 s[66:67], s[4:5], 0x2a0
	s_load_dwordx4 s[44:47], s[4:5], 0x290
	;; [unrolled: 2-line block ×3, first 2 shown]
	v_mov_b32_e32 v1, s28
	v_mov_b32_e32 v2, s29
	v_cmp_lt_u64_e32 vcc, s[60:61], v[1:2]
	s_cbranch_vccnz .LBB137_15
; %bb.14:
	v_cvt_f32_u32_e32 v1, s28
	s_sub_i32 s0, 0, s28
	v_rcp_iflag_f32_e32 v1, v1
	v_mul_f32_e32 v1, 0x4f7ffffe, v1
	v_cvt_u32_f32_e32 v1, v1
	v_readfirstlane_b32 s1, v1
	s_mul_i32 s0, s0, s1
	s_mul_hi_u32 s0, s1, s0
	s_add_i32 s1, s1, s0
	s_mul_hi_u32 s0, s60, s1
	s_mul_i32 s2, s0, s28
	s_sub_i32 s2, s60, s2
	s_add_i32 s1, s0, 1
	s_sub_i32 s3, s2, s28
	s_cmp_ge_u32 s2, s28
	s_cselect_b32 s0, s1, s0
	s_cselect_b32 s2, s3, s2
	s_add_i32 s1, s0, 1
	s_cmp_ge_u32 s2, s28
	s_cselect_b32 s58, s1, s0
.LBB137_15:
	s_load_dwordx4 s[20:23], s[4:5], 0x518
	s_load_dwordx2 s[64:65], s[4:5], 0x0
	v_mov_b32_e32 v1, 0
	s_mov_b32 s53, 0
	v_cmp_eq_u32_e64 s[2:3], 0, v0
	s_waitcnt lgkmcnt(0)
	s_add_u32 s0, s20, s6
	s_addc_u32 s1, s21, 0
	global_load_ubyte v8, v1, s[0:1]
	v_cmp_ne_u32_e64 s[0:1], 0, v0
	s_and_saveexec_b64 s[20:21], s[2:3]
	s_cbranch_execz .LBB137_31
; %bb.16:
	s_load_dwordx2 s[70:71], s[4:5], 0x528
	s_lshl_b64 s[72:73], s[52:53], 2
	s_add_u32 s24, s22, s72
	s_addc_u32 s25, s23, s73
	s_mov_b32 s51, 0
	s_waitcnt lgkmcnt(0)
	s_add_u32 s26, s70, s72
	s_addc_u32 s27, s71, s73
	s_cmp_lt_u32 s35, 4
	s_cbranch_scc1 .LBB137_28
; %bb.17:
	s_mov_b32 s52, 0
.LBB137_18:                             ; =>This Inner Loop Header: Depth=1
	s_add_u32 s74, s22, s72
	s_addc_u32 s75, s23, s73
	s_load_dwordx4 s[24:27], s[74:75], 0x0
	s_add_u32 s74, s70, s72
	s_addc_u32 s75, s71, s73
	s_cmp_ge_u32 s52, s76
	s_cbranch_scc0 .LBB137_25
; %bb.19:                               ;   in Loop: Header=BB137_18 Depth=1
	s_add_i32 s57, s52, 1
	s_cmp_ge_u32 s57, s76
	s_cbranch_scc0 .LBB137_26
.LBB137_20:                             ;   in Loop: Header=BB137_18 Depth=1
	s_add_i32 s57, s57, 1
	s_cmp_ge_u32 s57, s76
	s_cbranch_scc0 .LBB137_27
.LBB137_21:                             ;   in Loop: Header=BB137_18 Depth=1
	s_add_i32 s57, s57, 1
	s_cmp_ge_u32 s57, s76
	s_cbranch_scc1 .LBB137_23
.LBB137_22:                             ;   in Loop: Header=BB137_18 Depth=1
	s_load_dword s59, s[74:75], 0xc
	s_waitcnt lgkmcnt(0)
	s_add_i32 s53, s53, s27
	s_add_i32 s7, s59, s7
.LBB137_23:                             ;   in Loop: Header=BB137_18 Depth=1
	s_waitcnt lgkmcnt(0)
	s_add_i32 s24, s24, s51
	s_add_i32 s24, s24, s25
	;; [unrolled: 1-line block ×4, first 2 shown]
	s_add_u32 s22, s22, 16
	s_addc_u32 s23, s23, 0
	s_add_u32 s70, s70, 16
	s_addc_u32 s71, s71, 0
	s_add_i32 s59, s57, 4
	s_add_u32 s26, s70, s72
	s_addc_u32 s27, s71, s73
	s_add_u32 s24, s22, s72
	s_addc_u32 s25, s23, s73
	s_add_i32 s57, s57, 1
	s_cmp_ge_u32 s59, s35
	s_cbranch_scc1 .LBB137_29
; %bb.24:                               ;   in Loop: Header=BB137_18 Depth=1
	s_mov_b32 s52, s57
	s_branch .LBB137_18
.LBB137_25:                             ;   in Loop: Header=BB137_18 Depth=1
	s_load_dword s57, s[74:75], 0x0
	s_waitcnt lgkmcnt(0)
	s_add_i32 s53, s24, s53
	s_add_i32 s7, s57, s7
	;; [unrolled: 1-line block ×3, first 2 shown]
	s_cmp_ge_u32 s57, s76
	s_cbranch_scc1 .LBB137_20
.LBB137_26:                             ;   in Loop: Header=BB137_18 Depth=1
	s_load_dword s59, s[74:75], 0x4
	s_waitcnt lgkmcnt(0)
	s_add_i32 s53, s53, s25
	s_add_i32 s7, s59, s7
	;; [unrolled: 1-line block ×3, first 2 shown]
	s_cmp_ge_u32 s57, s76
	s_cbranch_scc1 .LBB137_21
.LBB137_27:                             ;   in Loop: Header=BB137_18 Depth=1
	s_load_dword s59, s[74:75], 0x8
	s_waitcnt lgkmcnt(0)
	s_add_i32 s53, s53, s26
	s_add_i32 s7, s59, s7
	;; [unrolled: 1-line block ×3, first 2 shown]
	s_cmp_ge_u32 s57, s76
	s_cbranch_scc0 .LBB137_22
	s_branch .LBB137_23
.LBB137_28:
	s_mov_b32 s22, 0
	s_cmp_ge_u32 s22, s35
	s_cbranch_scc0 .LBB137_52
	s_branch .LBB137_30
.LBB137_29:
	s_add_i32 s22, s52, 4
	s_cmp_ge_u32 s22, s35
	s_cbranch_scc0 .LBB137_52
.LBB137_30:
	v_mov_b32_e32 v1, s7
	v_mov_b32_e32 v2, s51
	v_mov_b32_e32 v3, s53
	v_mov_b32_e32 v4, 0
	ds_write_b96 v4, v[1:3] offset:1056
.LBB137_31:
	s_or_b64 exec, exec, s[20:21]
	s_load_dwordx4 s[20:23], s[4:5], 0x1b8
	s_load_dwordx4 s[24:27], s[4:5], 0x360
	s_cmp_eq_u32 s34, 0
	s_waitcnt vmcnt(0) lgkmcnt(0)
	s_barrier
	s_cbranch_scc1 .LBB137_54
; %bb.32:
	s_mul_i32 s7, s60, s31
	s_mul_hi_u32 s31, s60, s30
	s_add_i32 s31, s31, s7
	s_mul_i32 s7, s60, s30
	s_sub_u32 s7, s6, s7
	s_subb_u32 s30, 0, s31
	s_mul_i32 s31, s7, s69
	s_mul_hi_u32 s35, s7, s68
	s_add_i32 s31, s35, s31
	s_mul_i32 s30, s30, s68
	s_add_i32 s31, s31, s30
	s_mul_i32 s30, s7, s68
	s_mul_i32 s7, s56, s17
	s_mul_hi_u32 s17, s56, s16
	s_add_i32 s17, s17, s7
	s_mul_i32 s7, s56, s16
	s_sub_u32 s7, s54, s7
	s_subb_u32 s16, s55, s17
	s_mul_i32 s17, s7, s47
	s_mul_hi_u32 s35, s7, s46
	s_add_i32 s17, s35, s17
	s_mul_i32 s16, s16, s46
	s_add_i32 s35, s17, s16
	s_mul_i32 s16, s56, s45
	s_mul_hi_u32 s17, s56, s44
	s_add_i32 s45, s17, s16
	s_mul_i32 s46, s7, s46
	s_mul_i32 s7, s54, s19
	s_mul_hi_u32 s16, s54, s18
	s_add_i32 s16, s16, s7
	s_mul_i32 s7, s54, s18
	s_sub_u32 s7, s6, s7
	s_subb_u32 s16, 0, s16
	s_mul_i32 s17, s7, s67
	s_mul_hi_u32 s18, s7, s66
	s_add_i32 s17, s18, s17
	s_mul_i32 s16, s16, s66
	s_mul_i32 s19, s7, s66
	;; [unrolled: 1-line block ×3, first 2 shown]
	s_mul_hi_u32 s13, s50, s12
	s_add_i32 s18, s17, s16
	s_add_i32 s13, s13, s7
	s_mul_i32 s7, s50, s12
	s_sub_u32 s7, s48, s7
	s_subb_u32 s12, s49, s13
	s_mul_i32 s13, s7, s43
	s_mul_hi_u32 s16, s7, s42
	s_add_i32 s13, s16, s13
	s_mul_i32 s12, s12, s42
	s_add_i32 s13, s13, s12
	s_mul_i32 s12, s7, s42
	s_mul_i32 s7, s50, s41
	s_mul_hi_u32 s16, s50, s40
	s_add_i32 s41, s16, s7
	s_mul_i32 s7, s48, s15
	s_mul_hi_u32 s15, s48, s14
	s_add_i32 s15, s15, s7
	s_mul_i32 s7, s48, s14
	s_sub_u32 s6, s6, s7
	s_subb_u32 s7, 0, s15
	s_mul_i32 s14, s6, s63
	s_mul_hi_u32 s15, s6, s62
	s_add_i32 s14, s15, s14
	s_mul_i32 s7, s7, s62
	s_add_i32 s14, s14, s7
	s_mul_i32 s15, s6, s62
	s_mul_i32 s6, s58, s29
	s_mul_hi_u32 s7, s58, s28
	s_add_i32 s7, s7, s6
	s_mul_i32 s6, s58, s28
	s_sub_u32 s6, s60, s6
	s_subb_u32 s7, s61, s7
	s_mul_i32 s16, s6, s39
	s_mul_hi_u32 s17, s6, s38
	s_add_i32 s16, s17, s16
	s_mul_i32 s7, s7, s38
	s_add_i32 s7, s16, s7
	s_mul_i32 s16, s58, s37
	s_mul_hi_u32 s17, s58, s36
	s_mul_i32 s40, s50, s40
	s_add_i32 s17, s17, s16
	s_add_u32 s28, s64, s40
	s_addc_u32 s29, s65, s41
	s_add_u32 s12, s28, s12
	s_addc_u32 s13, s29, s13
	s_add_u32 s12, s12, s15
	s_mul_i32 s44, s56, s44
	s_addc_u32 s13, s13, s14
	s_add_u32 s14, s22, s44
	s_addc_u32 s15, s23, s45
	s_add_u32 s14, s14, s46
	s_addc_u32 s15, s15, s35
	v_mov_b32_e32 v5, 0
	s_mul_i32 s16, s58, s36
	s_add_u32 s14, s14, s19
	ds_read_b96 v[1:3], v5 offset:1056
	s_addc_u32 s15, s15, s18
	s_lshl_b64 s[16:17], s[16:17], 3
	s_mul_i32 s6, s6, s38
	s_add_u32 s16, s26, s16
	s_addc_u32 s17, s27, s17
	s_lshl_b64 s[6:7], s[6:7], 3
	s_add_u32 s16, s16, s6
	s_addc_u32 s17, s17, s7
	s_lshl_b64 s[6:7], s[30:31], 3
	s_waitcnt lgkmcnt(0)
	v_add_u32_e32 v1, v1, v2
	v_lshrrev_b32_e32 v2, 3, v0
	s_add_u32 s22, s16, s6
	s_load_dword s6, s[4:5], 0x1b0
	v_and_b32_e32 v2, 28, v2
	v_lshl_add_u32 v10, v0, 2, v2
	v_lshrrev_b32_e32 v2, 1, v0
	s_addc_u32 s23, s17, s7
	s_load_dwordx2 s[16:17], s[4:5], 0x508
	v_and_b32_e32 v11, 0x7c, v2
	v_add_u32_e32 v2, -1, v0
	v_lshrrev_b32_e32 v4, 3, v2
	v_and_b32_e32 v4, 0x1ffffffc, v4
	s_movk_i32 s26, 0x80
	s_waitcnt lgkmcnt(0)
	s_bitcmp1_b32 s6, 0
	v_cmp_gt_u32_e64 s[6:7], 64, v0
	v_lshlrev_b32_e32 v12, 4, v0
	v_lshl_add_u32 v13, v2, 2, v4
	v_add_u32_e32 v4, s33, v0
	v_mbcnt_lo_u32_b32 v0, -1, 0
	v_add_u32_sdwa v9, sext(v8), s26 dst_sel:DWORD dst_unused:UNUSED_PAD src0_sel:BYTE_0 src1_sel:DWORD
	s_cselect_b64 s[4:5], -1, 0
	v_mbcnt_hi_u32_b32 v0, -1, v0
                                        ; implicit-def: $vgpr14
	s_branch .LBB137_35
.LBB137_33:                             ;   in Loop: Header=BB137_35 Depth=1
	s_or_b64 exec, exec, s[18:19]
	v_add_u32_e32 v1, v2, v1
.LBB137_34:                             ;   in Loop: Header=BB137_35 Depth=1
	s_add_i32 s34, s34, -1
	v_add_u32_e32 v3, v15, v3
	s_cmp_lg_u32 s34, 0
	v_add_u32_e32 v4, 0x100, v4
	s_cbranch_scc0 .LBB137_54
.LBB137_35:                             ; =>This Inner Loop Header: Depth=1
	v_cmp_gt_u64_e32 vcc, s[8:9], v[4:5]
	v_mov_b32_e32 v2, v5
	v_mov_b32_e32 v6, v5
	s_and_saveexec_b64 s[18:19], vcc
	s_cbranch_execz .LBB137_37
; %bb.36:                               ;   in Loop: Header=BB137_35 Depth=1
	v_mov_b32_e32 v6, s12
	v_mov_b32_e32 v7, s13
	v_mad_u64_u32 v[6:7], s[28:29], s20, v4, v[6:7]
	v_mov_b32_e32 v2, v7
	v_mad_u64_u32 v[14:15], s[28:29], s21, v4, v[2:3]
	v_mov_b32_e32 v7, v14
	global_load_ubyte v14, v[6:7], off
	s_waitcnt vmcnt(0)
	v_add_u32_sdwa v2, sext(v14), s26 dst_sel:DWORD dst_unused:UNUSED_PAD src0_sel:BYTE_0 src1_sel:DWORD
	v_cmp_gt_u32_e32 vcc, v2, v9
	v_cndmask_b32_e64 v6, 0, 1, vcc
	v_cmp_lt_u32_e32 vcc, v2, v9
	v_cndmask_b32_e64 v2, 0, 1, vcc
	v_cndmask_b32_e64 v2, v2, v6, s[4:5]
	v_cmp_eq_u16_sdwa s[28:29], v14, v8 src0_sel:DWORD src1_sel:BYTE_0
	v_and_b32_e32 v2, 1, v2
	v_cndmask_b32_e64 v6, 0, 1, s[28:29]
.LBB137_37:                             ;   in Loop: Header=BB137_35 Depth=1
	s_or_b64 exec, exec, s[18:19]
	ds_write_b32 v10, v2
	s_waitcnt vmcnt(0) lgkmcnt(0)
	s_barrier
	s_and_saveexec_b64 s[18:19], s[6:7]
	s_cbranch_execz .LBB137_39
; %bb.38:                               ;   in Loop: Header=BB137_35 Depth=1
	v_add_u32_e32 v7, v11, v12
	ds_read2_b32 v[15:16], v7 offset1:1
	ds_read2_b32 v[17:18], v7 offset0:2 offset1:3
	v_and_b32_e32 v19, 15, v0
	v_cmp_ne_u32_e32 vcc, 0, v19
	s_waitcnt lgkmcnt(1)
	v_add_u32_e32 v16, v16, v15
	s_waitcnt lgkmcnt(0)
	v_add3_u32 v16, v16, v17, v18
	v_bfe_i32 v18, v0, 4, 1
	; wave barrier
	s_nop 0
	v_mov_b32_dpp v17, v16 row_shr:1 row_mask:0xf bank_mask:0xf
	v_cndmask_b32_e32 v17, 0, v17, vcc
	v_add_u32_e32 v16, v17, v16
	v_cmp_lt_u32_e32 vcc, 1, v19
	s_nop 0
	v_mov_b32_dpp v17, v16 row_shr:2 row_mask:0xf bank_mask:0xf
	v_cndmask_b32_e32 v17, 0, v17, vcc
	v_add_u32_e32 v16, v16, v17
	v_cmp_lt_u32_e32 vcc, 3, v19
	s_nop 0
	v_mov_b32_dpp v17, v16 row_shr:4 row_mask:0xf bank_mask:0xf
	v_cndmask_b32_e32 v17, 0, v17, vcc
	v_add_u32_e32 v16, v16, v17
	v_cmp_lt_u32_e32 vcc, 7, v19
	s_nop 0
	v_mov_b32_dpp v17, v16 row_shr:8 row_mask:0xf bank_mask:0xf
	v_cndmask_b32_e32 v17, 0, v17, vcc
	v_add_u32_e32 v16, v16, v17
	v_cmp_lt_u32_e32 vcc, 31, v0
	s_nop 0
	v_mov_b32_dpp v17, v16 row_bcast:15 row_mask:0xf bank_mask:0xf
	v_and_b32_e32 v17, v18, v17
	v_add_u32_e32 v16, v16, v17
	v_and_b32_e32 v18, 64, v0
	s_nop 0
	v_mov_b32_dpp v17, v16 row_bcast:31 row_mask:0xf bank_mask:0xf
	v_cndmask_b32_e32 v17, 0, v17, vcc
	v_add_u32_e32 v16, v16, v17
	v_add_u32_e32 v17, -1, v0
	v_cmp_lt_i32_e32 vcc, v17, v18
	v_cndmask_b32_e32 v17, v17, v0, vcc
	v_lshlrev_b32_e32 v17, 2, v17
	ds_bpermute_b32 v16, v17, v16
	s_waitcnt lgkmcnt(0)
	v_add_u32_e32 v15, v16, v15
	v_cndmask_b32_e64 v17, v15, v2, s[2:3]
	ds_write_b32 v7, v17
	; wave barrier
	ds_read2_b32 v[15:16], v7 offset0:1 offset1:2
	ds_read_b32 v18, v7 offset:12
	s_waitcnt lgkmcnt(1)
	v_add_u32_e32 v15, v15, v17
	v_add_u32_e32 v16, v16, v15
	ds_write2_b32 v7, v15, v16 offset0:1 offset1:2
	s_waitcnt lgkmcnt(1)
	v_add_u32_e32 v15, v18, v16
	ds_write_b32 v7, v15 offset:12
.LBB137_39:                             ;   in Loop: Header=BB137_35 Depth=1
	s_or_b64 exec, exec, s[18:19]
	v_mov_b32_e32 v7, 0
	s_waitcnt lgkmcnt(0)
	s_barrier
	s_and_saveexec_b64 s[18:19], s[0:1]
; %bb.40:                               ;   in Loop: Header=BB137_35 Depth=1
	ds_read_b32 v7, v13
; %bb.41:                               ;   in Loop: Header=BB137_35 Depth=1
	s_or_b64 exec, exec, s[18:19]
	ds_read_b32 v15, v5 offset:1048
	v_cmp_ne_u32_e32 vcc, 0, v2
	s_waitcnt lgkmcnt(0)
	s_barrier
	s_and_saveexec_b64 s[18:19], vcc
	s_cbranch_execz .LBB137_43
; %bb.42:                               ;   in Loop: Header=BB137_35 Depth=1
	v_mov_b32_e32 v17, s15
	v_add_u32_e32 v7, v7, v3
	v_mov_b32_e32 v16, s14
	v_mad_u64_u32 v[16:17], s[28:29], s24, v7, v[16:17]
	v_mad_u64_u32 v[18:19], s[28:29], s16, v7, 0
	v_mov_b32_e32 v2, v17
	v_mad_u64_u32 v[20:21], s[28:29], s25, v7, v[2:3]
	v_mov_b32_e32 v2, v19
	;; [unrolled: 2-line block ×3, first 2 shown]
	global_store_byte v[16:17], v14, off
	v_mov_b32_e32 v19, v21
	v_lshlrev_b64 v[16:17], 3, v[18:19]
	v_mov_b32_e32 v2, s23
	v_add_co_u32_e32 v16, vcc, s22, v16
	v_addc_co_u32_e32 v17, vcc, v2, v17, vcc
	global_store_dwordx2 v[16:17], v[4:5], off
.LBB137_43:                             ;   in Loop: Header=BB137_35 Depth=1
	s_or_b64 exec, exec, s[18:19]
	v_mov_b32_e32 v2, v5
	v_cmp_le_u64_e32 vcc, s[10:11], v[1:2]
	s_cbranch_vccnz .LBB137_34
; %bb.44:                               ;   in Loop: Header=BB137_35 Depth=1
	ds_write_b32 v10, v6
	s_waitcnt vmcnt(0) lgkmcnt(0)
	s_barrier
	s_and_saveexec_b64 s[18:19], s[6:7]
	s_cbranch_execz .LBB137_46
; %bb.45:                               ;   in Loop: Header=BB137_35 Depth=1
	v_add_u32_e32 v2, v11, v12
	ds_read2_b32 v[16:17], v2 offset1:1
	ds_read2_b32 v[18:19], v2 offset0:2 offset1:3
	v_and_b32_e32 v7, 15, v0
	v_cmp_ne_u32_e32 vcc, 0, v7
	s_waitcnt lgkmcnt(1)
	v_add_u32_e32 v17, v17, v16
	s_waitcnt lgkmcnt(0)
	v_add3_u32 v17, v17, v18, v19
	; wave barrier
	s_nop 1
	v_mov_b32_dpp v18, v17 row_shr:1 row_mask:0xf bank_mask:0xf
	v_cndmask_b32_e32 v18, 0, v18, vcc
	v_add_u32_e32 v17, v18, v17
	v_cmp_lt_u32_e32 vcc, 1, v7
	s_nop 0
	v_mov_b32_dpp v18, v17 row_shr:2 row_mask:0xf bank_mask:0xf
	v_cndmask_b32_e32 v18, 0, v18, vcc
	v_add_u32_e32 v17, v17, v18
	v_cmp_lt_u32_e32 vcc, 3, v7
	;; [unrolled: 5-line block ×3, first 2 shown]
	s_nop 0
	v_mov_b32_dpp v18, v17 row_shr:8 row_mask:0xf bank_mask:0xf
	v_cndmask_b32_e32 v7, 0, v18, vcc
	v_add_u32_e32 v7, v17, v7
	v_bfe_i32 v18, v0, 4, 1
	v_cmp_lt_u32_e32 vcc, 31, v0
	v_mov_b32_dpp v17, v7 row_bcast:15 row_mask:0xf bank_mask:0xf
	v_and_b32_e32 v17, v18, v17
	v_add_u32_e32 v7, v7, v17
	v_and_b32_e32 v18, 64, v0
	s_nop 0
	v_mov_b32_dpp v17, v7 row_bcast:31 row_mask:0xf bank_mask:0xf
	v_cndmask_b32_e32 v17, 0, v17, vcc
	v_add_u32_e32 v7, v7, v17
	v_add_u32_e32 v17, -1, v0
	v_cmp_lt_i32_e32 vcc, v17, v18
	v_cndmask_b32_e32 v17, v17, v0, vcc
	v_lshlrev_b32_e32 v17, 2, v17
	ds_bpermute_b32 v7, v17, v7
	s_waitcnt lgkmcnt(0)
	v_add_u32_e32 v7, v7, v16
	v_cndmask_b32_e64 v7, v7, v6, s[2:3]
	ds_write_b32 v2, v7
	; wave barrier
	ds_read2_b32 v[16:17], v2 offset0:1 offset1:2
	ds_read_b32 v18, v2 offset:12
	s_waitcnt lgkmcnt(1)
	v_add_u32_e32 v7, v16, v7
	v_add_u32_e32 v16, v17, v7
	ds_write2_b32 v2, v7, v16 offset0:1 offset1:2
	s_waitcnt lgkmcnt(1)
	v_add_u32_e32 v7, v18, v16
	ds_write_b32 v2, v7 offset:12
.LBB137_46:                             ;   in Loop: Header=BB137_35 Depth=1
	s_or_b64 exec, exec, s[18:19]
	v_mov_b32_e32 v7, 0
	s_waitcnt lgkmcnt(0)
	s_barrier
	s_and_saveexec_b64 s[18:19], s[0:1]
; %bb.47:                               ;   in Loop: Header=BB137_35 Depth=1
	ds_read_b32 v7, v13
; %bb.48:                               ;   in Loop: Header=BB137_35 Depth=1
	s_or_b64 exec, exec, s[18:19]
	ds_read_b32 v2, v5 offset:1048
	v_cmp_ne_u32_e32 vcc, 0, v6
	s_waitcnt lgkmcnt(0)
	s_barrier
	s_and_saveexec_b64 s[18:19], vcc
	s_cbranch_execz .LBB137_33
; %bb.49:                               ;   in Loop: Header=BB137_35 Depth=1
	v_add_u32_e32 v6, v7, v1
	v_mov_b32_e32 v7, v5
	v_cmp_gt_u64_e32 vcc, s[10:11], v[6:7]
	s_and_b64 exec, exec, vcc
	s_cbranch_execz .LBB137_33
; %bb.50:                               ;   in Loop: Header=BB137_35 Depth=1
	v_mov_b32_e32 v17, s15
	v_mov_b32_e32 v16, s14
	v_mad_u64_u32 v[16:17], s[28:29], s24, v6, v[16:17]
	v_mad_u64_u32 v[18:19], s[28:29], s16, v6, 0
	v_mov_b32_e32 v7, v17
	v_mad_u64_u32 v[20:21], s[28:29], s25, v6, v[7:8]
	v_mov_b32_e32 v7, v19
	;; [unrolled: 2-line block ×3, first 2 shown]
	global_store_byte v[16:17], v14, off
	v_mov_b32_e32 v19, v6
	v_lshlrev_b64 v[6:7], 3, v[18:19]
	v_mov_b32_e32 v16, s23
	v_add_co_u32_e32 v6, vcc, s22, v6
	v_addc_co_u32_e32 v7, vcc, v16, v7, vcc
	global_store_dwordx2 v[6:7], v[4:5], off
	s_branch .LBB137_33
.LBB137_51:                             ;   in Loop: Header=BB137_52 Depth=1
	s_add_u32 s24, s24, 4
	s_addc_u32 s25, s25, 0
	s_waitcnt lgkmcnt(0)
	s_add_i32 s51, s23, s51
	s_add_u32 s26, s26, 4
	s_addc_u32 s27, s27, 0
	s_add_i32 s22, s22, 1
	s_cmp_lt_u32 s22, s35
	s_cbranch_scc0 .LBB137_30
.LBB137_52:                             ; =>This Inner Loop Header: Depth=1
	s_load_dword s23, s[24:25], 0x0
	s_cmp_ge_u32 s22, s76
	s_cbranch_scc1 .LBB137_51
; %bb.53:                               ;   in Loop: Header=BB137_52 Depth=1
	s_load_dword s52, s[26:27], 0x0
	s_waitcnt lgkmcnt(0)
	s_add_i32 s53, s23, s53
	s_add_i32 s7, s52, s7
	s_branch .LBB137_51
.LBB137_54:
	s_endpgm
	.section	.rodata,"a",@progbits
	.p2align	6, 0x0
	.amdhsa_kernel _ZN2at6native6mbtopk10gatherTopKIamLi3EEEvNS_4cuda6detail10TensorInfoIKT_T0_EES8_S8_bjS8_NS5_IS6_S8_EES8_NS5_IlS8_EES8_jjPS6_PjSD_j
		.amdhsa_group_segment_fixed_size 1068
		.amdhsa_private_segment_fixed_size 0
		.amdhsa_kernarg_size 1592
		.amdhsa_user_sgpr_count 6
		.amdhsa_user_sgpr_private_segment_buffer 1
		.amdhsa_user_sgpr_dispatch_ptr 0
		.amdhsa_user_sgpr_queue_ptr 0
		.amdhsa_user_sgpr_kernarg_segment_ptr 1
		.amdhsa_user_sgpr_dispatch_id 0
		.amdhsa_user_sgpr_flat_scratch_init 0
		.amdhsa_user_sgpr_private_segment_size 0
		.amdhsa_uses_dynamic_stack 0
		.amdhsa_system_sgpr_private_segment_wavefront_offset 0
		.amdhsa_system_sgpr_workgroup_id_x 1
		.amdhsa_system_sgpr_workgroup_id_y 1
		.amdhsa_system_sgpr_workgroup_id_z 1
		.amdhsa_system_sgpr_workgroup_info 0
		.amdhsa_system_vgpr_workitem_id 0
		.amdhsa_next_free_vgpr 23
		.amdhsa_next_free_sgpr 77
		.amdhsa_reserve_vcc 1
		.amdhsa_reserve_flat_scratch 0
		.amdhsa_float_round_mode_32 0
		.amdhsa_float_round_mode_16_64 0
		.amdhsa_float_denorm_mode_32 3
		.amdhsa_float_denorm_mode_16_64 3
		.amdhsa_dx10_clamp 1
		.amdhsa_ieee_mode 1
		.amdhsa_fp16_overflow 0
		.amdhsa_exception_fp_ieee_invalid_op 0
		.amdhsa_exception_fp_denorm_src 0
		.amdhsa_exception_fp_ieee_div_zero 0
		.amdhsa_exception_fp_ieee_overflow 0
		.amdhsa_exception_fp_ieee_underflow 0
		.amdhsa_exception_fp_ieee_inexact 0
		.amdhsa_exception_int_div_zero 0
	.end_amdhsa_kernel
	.section	.text._ZN2at6native6mbtopk10gatherTopKIamLi3EEEvNS_4cuda6detail10TensorInfoIKT_T0_EES8_S8_bjS8_NS5_IS6_S8_EES8_NS5_IlS8_EES8_jjPS6_PjSD_j,"axG",@progbits,_ZN2at6native6mbtopk10gatherTopKIamLi3EEEvNS_4cuda6detail10TensorInfoIKT_T0_EES8_S8_bjS8_NS5_IS6_S8_EES8_NS5_IlS8_EES8_jjPS6_PjSD_j,comdat
.Lfunc_end137:
	.size	_ZN2at6native6mbtopk10gatherTopKIamLi3EEEvNS_4cuda6detail10TensorInfoIKT_T0_EES8_S8_bjS8_NS5_IS6_S8_EES8_NS5_IlS8_EES8_jjPS6_PjSD_j, .Lfunc_end137-_ZN2at6native6mbtopk10gatherTopKIamLi3EEEvNS_4cuda6detail10TensorInfoIKT_T0_EES8_S8_bjS8_NS5_IS6_S8_EES8_NS5_IlS8_EES8_jjPS6_PjSD_j
                                        ; -- End function
	.set _ZN2at6native6mbtopk10gatherTopKIamLi3EEEvNS_4cuda6detail10TensorInfoIKT_T0_EES8_S8_bjS8_NS5_IS6_S8_EES8_NS5_IlS8_EES8_jjPS6_PjSD_j.num_vgpr, 23
	.set _ZN2at6native6mbtopk10gatherTopKIamLi3EEEvNS_4cuda6detail10TensorInfoIKT_T0_EES8_S8_bjS8_NS5_IS6_S8_EES8_NS5_IlS8_EES8_jjPS6_PjSD_j.num_agpr, 0
	.set _ZN2at6native6mbtopk10gatherTopKIamLi3EEEvNS_4cuda6detail10TensorInfoIKT_T0_EES8_S8_bjS8_NS5_IS6_S8_EES8_NS5_IlS8_EES8_jjPS6_PjSD_j.numbered_sgpr, 77
	.set _ZN2at6native6mbtopk10gatherTopKIamLi3EEEvNS_4cuda6detail10TensorInfoIKT_T0_EES8_S8_bjS8_NS5_IS6_S8_EES8_NS5_IlS8_EES8_jjPS6_PjSD_j.num_named_barrier, 0
	.set _ZN2at6native6mbtopk10gatherTopKIamLi3EEEvNS_4cuda6detail10TensorInfoIKT_T0_EES8_S8_bjS8_NS5_IS6_S8_EES8_NS5_IlS8_EES8_jjPS6_PjSD_j.private_seg_size, 0
	.set _ZN2at6native6mbtopk10gatherTopKIamLi3EEEvNS_4cuda6detail10TensorInfoIKT_T0_EES8_S8_bjS8_NS5_IS6_S8_EES8_NS5_IlS8_EES8_jjPS6_PjSD_j.uses_vcc, 1
	.set _ZN2at6native6mbtopk10gatherTopKIamLi3EEEvNS_4cuda6detail10TensorInfoIKT_T0_EES8_S8_bjS8_NS5_IS6_S8_EES8_NS5_IlS8_EES8_jjPS6_PjSD_j.uses_flat_scratch, 0
	.set _ZN2at6native6mbtopk10gatherTopKIamLi3EEEvNS_4cuda6detail10TensorInfoIKT_T0_EES8_S8_bjS8_NS5_IS6_S8_EES8_NS5_IlS8_EES8_jjPS6_PjSD_j.has_dyn_sized_stack, 0
	.set _ZN2at6native6mbtopk10gatherTopKIamLi3EEEvNS_4cuda6detail10TensorInfoIKT_T0_EES8_S8_bjS8_NS5_IS6_S8_EES8_NS5_IlS8_EES8_jjPS6_PjSD_j.has_recursion, 0
	.set _ZN2at6native6mbtopk10gatherTopKIamLi3EEEvNS_4cuda6detail10TensorInfoIKT_T0_EES8_S8_bjS8_NS5_IS6_S8_EES8_NS5_IlS8_EES8_jjPS6_PjSD_j.has_indirect_call, 0
	.section	.AMDGPU.csdata,"",@progbits
; Kernel info:
; codeLenInByte = 3200
; TotalNumSgprs: 81
; NumVgprs: 23
; ScratchSize: 0
; MemoryBound: 0
; FloatMode: 240
; IeeeMode: 1
; LDSByteSize: 1068 bytes/workgroup (compile time only)
; SGPRBlocks: 10
; VGPRBlocks: 5
; NumSGPRsForWavesPerEU: 81
; NumVGPRsForWavesPerEU: 23
; Occupancy: 9
; WaveLimiterHint : 1
; COMPUTE_PGM_RSRC2:SCRATCH_EN: 0
; COMPUTE_PGM_RSRC2:USER_SGPR: 6
; COMPUTE_PGM_RSRC2:TRAP_HANDLER: 0
; COMPUTE_PGM_RSRC2:TGID_X_EN: 1
; COMPUTE_PGM_RSRC2:TGID_Y_EN: 1
; COMPUTE_PGM_RSRC2:TGID_Z_EN: 1
; COMPUTE_PGM_RSRC2:TIDIG_COMP_CNT: 0
	.section	.text._ZN2at6native6sbtopk10gatherTopKIamLi3ELb0EEEvNS_4cuda6detail10TensorInfoIKT_T0_EES8_S8_bS8_S8_NS5_IS6_S8_EES8_NS5_IlS8_EES8_PS6_,"axG",@progbits,_ZN2at6native6sbtopk10gatherTopKIamLi3ELb0EEEvNS_4cuda6detail10TensorInfoIKT_T0_EES8_S8_bS8_S8_NS5_IS6_S8_EES8_NS5_IlS8_EES8_PS6_,comdat
	.protected	_ZN2at6native6sbtopk10gatherTopKIamLi3ELb0EEEvNS_4cuda6detail10TensorInfoIKT_T0_EES8_S8_bS8_S8_NS5_IS6_S8_EES8_NS5_IlS8_EES8_PS6_ ; -- Begin function _ZN2at6native6sbtopk10gatherTopKIamLi3ELb0EEEvNS_4cuda6detail10TensorInfoIKT_T0_EES8_S8_bS8_S8_NS5_IS6_S8_EES8_NS5_IlS8_EES8_PS6_
	.globl	_ZN2at6native6sbtopk10gatherTopKIamLi3ELb0EEEvNS_4cuda6detail10TensorInfoIKT_T0_EES8_S8_bS8_S8_NS5_IS6_S8_EES8_NS5_IlS8_EES8_PS6_
	.p2align	8
	.type	_ZN2at6native6sbtopk10gatherTopKIamLi3ELb0EEEvNS_4cuda6detail10TensorInfoIKT_T0_EES8_S8_bS8_S8_NS5_IS6_S8_EES8_NS5_IlS8_EES8_PS6_,@function
_ZN2at6native6sbtopk10gatherTopKIamLi3ELb0EEEvNS_4cuda6detail10TensorInfoIKT_T0_EES8_S8_bS8_S8_NS5_IS6_S8_EES8_NS5_IlS8_EES8_PS6_: ; @_ZN2at6native6sbtopk10gatherTopKIamLi3ELb0EEEvNS_4cuda6detail10TensorInfoIKT_T0_EES8_S8_bS8_S8_NS5_IS6_S8_EES8_NS5_IlS8_EES8_PS6_
; %bb.0:
	s_load_dwordx2 s[18:19], s[4:5], 0x520
	s_load_dwordx4 s[24:27], s[4:5], 0x1b8
	s_mov_b64 s[34:35], s[4:5]
	s_add_u32 s16, s34, 0x520
	s_addc_u32 s17, s35, 0
	s_waitcnt lgkmcnt(0)
	s_mul_i32 s0, s19, s8
	s_add_i32 s0, s0, s7
	s_mul_i32 s0, s0, s18
	s_add_i32 s36, s0, s6
	s_mov_b32 s37, 0
	v_mov_b32_e32 v1, s36
	v_mov_b32_e32 v2, s37
	v_cmp_le_u64_e32 vcc, s[24:25], v[1:2]
	s_cbranch_vccnz .LBB138_492
; %bb.1:
	s_load_dwordx4 s[0:3], s[34:35], 0x10
	s_mov_b64 s[10:11], 0
	s_mov_b64 s[8:9], 0
	s_waitcnt lgkmcnt(0)
	v_mov_b32_e32 v1, s2
	v_mov_b32_e32 v2, s3
	v_cmp_lt_u64_e32 vcc, s[36:37], v[1:2]
	s_cbranch_vccnz .LBB138_3
; %bb.2:
	v_cvt_f32_u32_e32 v1, s2
	s_sub_i32 s4, 0, s2
	s_mov_b32 s9, 0
	v_rcp_iflag_f32_e32 v1, v1
	v_mul_f32_e32 v1, 0x4f7ffffe, v1
	v_cvt_u32_f32_e32 v1, v1
	v_readfirstlane_b32 s5, v1
	s_mul_i32 s4, s4, s5
	s_mul_hi_u32 s4, s5, s4
	s_add_i32 s5, s5, s4
	s_mul_hi_u32 s4, s36, s5
	s_mul_i32 s7, s4, s2
	s_sub_i32 s7, s36, s7
	s_add_i32 s5, s4, 1
	s_sub_i32 s8, s7, s2
	s_cmp_ge_u32 s7, s2
	s_cselect_b32 s4, s5, s4
	s_cselect_b32 s7, s8, s7
	s_add_i32 s5, s4, 1
	s_cmp_ge_u32 s7, s2
	s_cselect_b32 s8, s5, s4
.LBB138_3:
	s_load_dwordx4 s[12:15], s[34:35], 0x1d8
	v_mov_b32_e32 v2, s1
	v_mov_b32_e32 v1, s0
	v_cmp_lt_u64_e32 vcc, s[8:9], v[1:2]
	s_cbranch_vccnz .LBB138_5
; %bb.4:
	v_cvt_f32_u32_e32 v1, s0
	s_sub_i32 s4, 0, s0
	v_rcp_iflag_f32_e32 v1, v1
	v_mul_f32_e32 v1, 0x4f7ffffe, v1
	v_cvt_u32_f32_e32 v1, v1
	v_readfirstlane_b32 s5, v1
	s_mul_i32 s4, s4, s5
	s_mul_hi_u32 s4, s5, s4
	s_add_i32 s5, s5, s4
	s_mul_hi_u32 s4, s8, s5
	s_mul_i32 s7, s4, s0
	s_sub_i32 s7, s8, s7
	s_add_i32 s5, s4, 1
	s_sub_i32 s10, s7, s0
	s_cmp_ge_u32 s7, s0
	s_cselect_b32 s4, s5, s4
	s_cselect_b32 s7, s10, s7
	s_add_i32 s5, s4, 1
	s_cmp_ge_u32 s7, s0
	s_cselect_b32 s10, s5, s4
.LBB138_5:
	s_waitcnt lgkmcnt(0)
	v_mov_b32_e32 v1, s14
	v_mov_b32_e32 v2, s15
	v_cmp_lt_u64_e32 vcc, s[36:37], v[1:2]
	s_mov_b64 s[22:23], 0
	s_mov_b64 s[20:21], 0
	s_cbranch_vccnz .LBB138_7
; %bb.6:
	v_cvt_f32_u32_e32 v1, s14
	s_sub_i32 s4, 0, s14
	s_mov_b32 s21, 0
	v_rcp_iflag_f32_e32 v1, v1
	v_mul_f32_e32 v1, 0x4f7ffffe, v1
	v_cvt_u32_f32_e32 v1, v1
	v_readfirstlane_b32 s5, v1
	s_mul_i32 s4, s4, s5
	s_mul_hi_u32 s4, s5, s4
	s_add_i32 s5, s5, s4
	s_mul_hi_u32 s4, s36, s5
	s_mul_i32 s7, s4, s14
	s_sub_i32 s7, s36, s7
	s_add_i32 s5, s4, 1
	s_sub_i32 s11, s7, s14
	s_cmp_ge_u32 s7, s14
	s_cselect_b32 s4, s5, s4
	s_cselect_b32 s7, s11, s7
	s_add_i32 s5, s4, 1
	s_cmp_ge_u32 s7, s14
	s_cselect_b32 s20, s5, s4
.LBB138_7:
	s_load_dwordx4 s[28:31], s[34:35], 0x380
	v_mov_b32_e32 v1, s12
	v_mov_b32_e32 v2, s13
	v_cmp_lt_u64_e32 vcc, s[20:21], v[1:2]
	s_cbranch_vccnz .LBB138_9
; %bb.8:
	v_cvt_f32_u32_e32 v1, s12
	s_sub_i32 s4, 0, s12
	v_rcp_iflag_f32_e32 v1, v1
	v_mul_f32_e32 v1, 0x4f7ffffe, v1
	v_cvt_u32_f32_e32 v1, v1
	v_readfirstlane_b32 s5, v1
	s_mul_i32 s4, s4, s5
	s_mul_hi_u32 s4, s5, s4
	s_add_i32 s5, s5, s4
	s_mul_hi_u32 s4, s20, s5
	s_mul_i32 s7, s4, s12
	s_sub_i32 s7, s20, s7
	s_add_i32 s5, s4, 1
	s_sub_i32 s11, s7, s12
	s_cmp_ge_u32 s7, s12
	s_cselect_b32 s4, s5, s4
	s_cselect_b32 s7, s11, s7
	s_add_i32 s5, s4, 1
	s_cmp_ge_u32 s7, s12
	s_cselect_b32 s22, s5, s4
.LBB138_9:
                                        ; implicit-def: $vgpr47 : SGPR spill to VGPR lane
	s_waitcnt lgkmcnt(0)
	v_mov_b32_e32 v1, s30
	v_writelane_b32 v47, s22, 0
	v_writelane_b32 v47, s23, 1
	v_writelane_b32 v47, s20, 2
	v_writelane_b32 v47, s21, 3
	v_writelane_b32 v47, s12, 4
	v_writelane_b32 v47, s13, 5
	v_writelane_b32 v47, s14, 6
	v_writelane_b32 v47, s15, 7
	s_load_dwordx2 s[20:21], s[34:35], 0xe0
	s_load_dwordx4 s[12:15], s[34:35], 0xd0
	v_mov_b32_e32 v2, s31
	v_cmp_lt_u64_e32 vcc, s[36:37], v[1:2]
	s_mov_b64 s[4:5], 0
	v_writelane_b32 v47, s4, 8
	s_mov_b64 s[22:23], 0
	v_writelane_b32 v47, s5, 9
	s_cbranch_vccnz .LBB138_11
; %bb.10:
	v_cvt_f32_u32_e32 v1, s30
	s_sub_i32 s4, 0, s30
	s_mov_b32 s23, 0
	v_rcp_iflag_f32_e32 v1, v1
	v_mul_f32_e32 v1, 0x4f7ffffe, v1
	v_cvt_u32_f32_e32 v1, v1
	v_readfirstlane_b32 s5, v1
	s_mul_i32 s4, s4, s5
	s_mul_hi_u32 s4, s5, s4
	s_add_i32 s5, s5, s4
	s_mul_hi_u32 s4, s36, s5
	s_mul_i32 s7, s4, s30
	s_sub_i32 s7, s36, s7
	s_add_i32 s5, s4, 1
	s_sub_i32 s11, s7, s30
	s_cmp_ge_u32 s7, s30
	s_cselect_b32 s4, s5, s4
	s_cselect_b32 s7, s11, s7
	s_add_i32 s5, s4, 1
	s_cmp_ge_u32 s7, s30
	s_cselect_b32 s22, s5, s4
.LBB138_11:
	s_load_dwordx2 s[4:5], s[34:35], 0x450
	s_load_dwordx4 s[40:43], s[34:35], 0x440
	v_mov_b32_e32 v1, s28
	v_mov_b32_e32 v2, s29
	s_waitcnt lgkmcnt(0)
	v_writelane_b32 v47, s4, 10
	v_writelane_b32 v47, s5, 11
	s_load_dwordx2 s[4:5], s[34:35], 0x2a8
	v_writelane_b32 v47, s40, 12
	v_writelane_b32 v47, s41, 13
	;; [unrolled: 1-line block ×4, first 2 shown]
	s_load_dwordx4 s[40:43], s[34:35], 0x298
	s_waitcnt lgkmcnt(0)
	v_writelane_b32 v47, s4, 16
	v_writelane_b32 v47, s5, 17
	s_mov_b64 s[4:5], s[22:23]
	s_load_dwordx2 s[22:23], s[34:35], 0x0
	v_writelane_b32 v47, s40, 18
	v_writelane_b32 v47, s41, 19
	;; [unrolled: 1-line block ×5, first 2 shown]
	v_cmp_lt_u64_e32 vcc, s[4:5], v[1:2]
	v_writelane_b32 v47, s5, 23
	s_cbranch_vccnz .LBB138_13
; %bb.12:
	v_cvt_f32_u32_e32 v1, s28
	s_sub_i32 s4, 0, s28
	v_readlane_b32 s24, v47, 22
	v_readlane_b32 s25, v47, 23
	v_rcp_iflag_f32_e32 v1, v1
	v_mul_f32_e32 v1, 0x4f7ffffe, v1
	v_cvt_u32_f32_e32 v1, v1
	v_readfirstlane_b32 s5, v1
	s_mul_i32 s4, s4, s5
	s_mul_hi_u32 s4, s5, s4
	s_add_i32 s5, s5, s4
	s_mul_hi_u32 s4, s24, s5
	s_mul_i32 s7, s4, s28
	s_sub_i32 s7, s24, s7
	s_add_i32 s5, s4, 1
	s_sub_i32 s11, s7, s28
	s_cmp_ge_u32 s7, s28
	s_cselect_b32 s4, s5, s4
	s_cselect_b32 s7, s11, s7
	s_add_i32 s5, s4, 1
	s_cmp_ge_u32 s7, s28
	s_cselect_b32 s4, s5, s4
	v_writelane_b32 v47, s4, 8
	v_writelane_b32 v47, s5, 9
.LBB138_13:
	s_load_dwordx2 s[4:5], s[34:35], 0x370
	v_writelane_b32 v47, s28, 24
	v_writelane_b32 v47, s29, 25
	;; [unrolled: 1-line block ×4, first 2 shown]
	s_waitcnt lgkmcnt(0)
	v_writelane_b32 v47, s4, 28
	v_writelane_b32 v47, s5, 29
	s_load_dwordx2 s[4:5], s[34:35], 0x1c8
	s_load_dwordx4 s[28:31], s[34:35], 0x1a0
	s_mov_b32 s71, 0
	v_cmp_eq_u32_e64 s[24:25], 0, v0
	s_waitcnt lgkmcnt(0)
	v_writelane_b32 v47, s4, 30
	v_writelane_b32 v47, s5, 31
	s_mov_b64 s[4:5], exec
	v_writelane_b32 v47, s24, 32
	v_writelane_b32 v47, s25, 33
	s_and_b64 s[24:25], s[4:5], s[24:25]
	s_mov_b64 exec, s[24:25]
	s_cbranch_execz .LBB138_15
; %bb.14:
	v_mov_b32_e32 v1, 0
	v_mov_b32_e32 v3, s28
	;; [unrolled: 1-line block ×4, first 2 shown]
	ds_write_b32 v1, v1 offset:5144
	ds_write_b128 v1, v[1:4] offset:5120
.LBB138_15:
	s_or_b64 exec, exec, s[4:5]
	s_mul_i32 s1, s10, s1
	s_mul_hi_u32 s4, s10, s0
	s_add_i32 s4, s4, s1
	s_mul_i32 s0, s10, s0
	s_sub_u32 s0, s8, s0
	s_subb_u32 s1, s9, s4
	s_mul_i32 s4, s0, s15
	s_mul_hi_u32 s5, s0, s14
	s_add_i32 s4, s5, s4
	s_mul_i32 s1, s1, s14
	s_add_i32 s4, s4, s1
	s_mul_i32 s1, s10, s13
	s_mul_hi_u32 s5, s10, s12
	s_mul_i32 s3, s8, s3
	s_mul_hi_u32 s7, s8, s2
	s_add_i32 s5, s5, s1
	s_add_i32 s7, s7, s3
	s_mul_i32 s2, s8, s2
	s_mov_b32 s8, s36
	v_writelane_b32 v47, s8, 34
	s_sub_u32 s2, s36, s2
	v_writelane_b32 v47, s9, 35
	s_subb_u32 s3, 0, s7
	s_mul_i32 s7, s2, s21
	s_mul_hi_u32 s8, s2, s20
	s_add_i32 s7, s8, s7
	s_mul_i32 s3, s3, s20
	s_mul_i32 s1, s10, s12
	s_add_i32 s7, s7, s3
	s_add_u32 s1, s22, s1
	s_mul_i32 s0, s0, s14
	s_addc_u32 s3, s23, s5
	v_writelane_b32 v47, s34, 36
	s_load_dword s5, s[34:35], 0x1b0
	s_add_u32 s0, s1, s0
	s_mul_i32 s2, s2, s20
	s_addc_u32 s1, s3, s4
	v_writelane_b32 v47, s35, 37
	s_add_u32 s34, s0, s2
	s_addc_u32 s35, s1, s7
	v_mbcnt_lo_u32_b32 v1, -1, 0
	s_waitcnt lgkmcnt(0)
	s_bitcmp1_b32 s5, 0
	v_mbcnt_hi_u32_b32 v26, -1, v1
	v_mov_b32_e32 v1, s34
	s_cselect_b64 s[0:1], -1, 0
	v_mov_b32_e32 v2, s35
	v_writelane_b32 v47, s0, 38
	v_mad_u64_u32 v[12:13], s[2:3], s26, v0, v[1:2]
	v_writelane_b32 v47, s1, 39
	s_xor_b64 s[0:1], s[0:1], -1
	v_writelane_b32 v47, s0, 40
	v_cmp_gt_u32_e32 vcc, 64, v0
	v_cmp_gt_i32_e64 s[10:11], 4, v26
	v_writelane_b32 v47, s1, 41
	s_and_b64 s[2:3], vcc, s[10:11]
	v_writelane_b32 v47, s2, 42
	v_mov_b32_e32 v1, 0xc00
	v_mov_b32_e32 v3, v13
	v_writelane_b32 v47, s3, 43
	v_mov_b32_e32 v2, 0
	v_mad_u64_u32 v[4:5], s[2:3], s27, v0, v[3:4]
	v_cmp_gt_u64_e64 s[2:3], s[28:29], v[1:2]
	v_mov_b32_e32 v3, 0
	v_writelane_b32 v47, s2, 44
	v_mov_b32_e32 v1, v3
	v_writelane_b32 v47, s3, 45
	v_cmp_gt_u64_e64 s[2:3], s[28:29], v[0:1]
	v_writelane_b32 v47, s2, 46
	v_writelane_b32 v47, s3, 47
	v_cmp_gt_u32_e64 s[2:3], 2, v0
	v_writelane_b32 v47, s2, 48
	s_barrier
	v_writelane_b32 v47, s3, 49
	s_load_dword s2, s[16:17], 0xc
	v_lshlrev_b32_e32 v2, 2, v26
	v_and_b32_e32 v23, 0x100, v2
	v_lshrrev_b32_e32 v2, 1, v0
	v_and_b32_e32 v2, 0x1e0, v2
	s_waitcnt lgkmcnt(0)
	s_and_b32 s33, s2, 0xffff
	s_bfe_u32 s2, s2, 0xa0006
	s_cmp_gt_u32 s33, 63
	s_cselect_b64 s[4:5], -1, 0
	v_writelane_b32 v47, s4, 50
	s_add_u32 s3, s33, -1
	v_writelane_b32 v47, s5, 51
	s_addc_u32 s4, 0, -1
	v_writelane_b32 v47, s3, 52
	s_add_u32 s3, s3, s28
	v_mov_b32_e32 v13, v4
	v_lshlrev_b64 v[4:5], v26, -1
	v_writelane_b32 v47, s3, 53
	v_or_b32_e32 v27, 0xc00, v2
	v_add_u32_e32 v2, 2, v0
	v_writelane_b32 v47, s4, 54
	s_addc_u32 s3, s4, s29
	v_cmp_gt_u64_e32 vcc, s[28:29], v[2:3]
	v_not_b32_e32 v25, v4
	v_writelane_b32 v47, s2, 55
	s_cmp_lt_u32 s6, s18
	v_mov_b32_e32 v4, s29
	v_not_b32_e32 v24, v5
	v_writelane_b32 v47, s3, 56
	s_cselect_b32 s3, 12, 18
	v_cndmask_b32_e32 v5, 0, v4, vcc
	v_mov_b32_e32 v4, s28
	s_add_u32 s4, s16, s3
	v_cndmask_b32_e32 v2, v2, v4, vcc
	v_not_b32_e32 v4, v0
	s_addc_u32 s5, s17, 0
	v_add_co_u32_e32 v4, vcc, v2, v4
	v_writelane_b32 v47, s4, 57
	v_addc_co_u32_e32 v5, vcc, -1, v5, vcc
	v_writelane_b32 v47, s5, 58
	v_cmp_lt_u64_e64 s[4:5], 3, v[4:5]
	s_add_i32 s3, s2, -1
	v_writelane_b32 v47, s4, 59
	v_writelane_b32 v47, s5, 60
	s_bfe_u32 s4, s33, 0x30006
	s_and_b32 s3, s3, 0xffff
	s_cmp_gt_u32 s3, 6
	s_cselect_b64 s[6:7], -1, 0
	s_and_b32 s80, s2, 0x3f8
	s_cmp_lg_u32 s4, 0
	s_cselect_b64 s[2:3], -1, 0
                                        ; implicit-def: $vgpr46 : SGPR spill to VGPR lane
	v_and_b32_e32 v16, -4, v4
	v_mov_b32_e32 v17, v5
	v_writelane_b32 v46, s2, 0
	v_writelane_b32 v46, s3, 1
	v_cmp_ne_u64_e64 s[2:3], v[4:5], v[16:17]
	v_writelane_b32 v47, s6, 61
	v_writelane_b32 v46, s2, 2
	v_mov_b32_e32 v2, 0xc00
	v_mov_b32_e32 v19, s30
	v_writelane_b32 v46, s3, 3
	s_mov_b32 s2, 0
	v_cmp_eq_u32_e64 s[0:1], 0, v26
	v_lshlrev_b32_e32 v14, 2, v0
	v_mov_b32_e32 v15, v3
	s_mov_b32 s70, s26
	s_mov_b32 s74, s27
	s_mov_b32 s75, s26
	s_mov_b32 s83, s27
	s_mov_b32 s78, s26
	s_mov_b32 s79, s27
	s_mov_b32 s81, 6
	v_writelane_b32 v47, s7, 62
	v_lshl_or_b32 v29, v26, 3, v2
	s_mov_b64 s[86:87], 0
	s_movk_i32 s82, 0x80
	s_mov_b32 s15, 0xc0c0004
	v_mov_b32_e32 v30, 0x4f800000
	v_mov_b32_e32 v31, 8
	;; [unrolled: 1-line block ×4, first 2 shown]
	v_add_co_u32_e32 v18, vcc, v16, v0
	v_mov_b32_e32 v20, s31
	v_mov_b32_e32 v32, 0
	v_writelane_b32 v46, s2, 4
	v_writelane_b32 v47, s4, 63
                                        ; implicit-def: $sgpr88_sgpr89
                                        ; implicit-def: $sgpr90_sgpr91
                                        ; implicit-def: $sgpr94_sgpr95
                                        ; implicit-def: $sgpr64_sgpr65
                                        ; implicit-def: $sgpr92_sgpr93
                                        ; implicit-def: $sgpr66_sgpr67
                                        ; implicit-def: $sgpr62_sgpr63
                                        ; implicit-def: $sgpr68_sgpr69
                                        ; implicit-def: $sgpr44_sgpr45
                                        ; implicit-def: $sgpr46_sgpr47
	v_writelane_b32 v46, s70, 5
	s_branch .LBB138_18
.LBB138_16:                             ;   in Loop: Header=BB138_18 Depth=1
	s_or_b64 exec, exec, s[4:5]
	s_andn2_b64 s[4:5], s[46:47], exec
	s_and_b64 s[8:9], s[8:9], exec
	v_mov_b32_e32 v20, v5
	s_or_b64 s[46:47], s[4:5], s[8:9]
	s_andn2_b64 s[44:45], s[44:45], exec
	s_andn2_b64 s[68:69], s[68:69], exec
	;; [unrolled: 1-line block ×4, first 2 shown]
	s_orn2_b64 s[6:7], s[6:7], exec
	v_mov_b32_e32 v19, v4
.LBB138_17:                             ;   in Loop: Header=BB138_18 Depth=1
	s_or_b64 exec, exec, s[2:3]
	s_and_b64 s[2:3], exec, s[6:7]
	s_or_b64 s[86:87], s[2:3], s[86:87]
	s_andn2_b64 s[2:3], s[92:93], exec
	s_and_b64 s[4:5], s[46:47], exec
	s_or_b64 s[92:93], s[2:3], s[4:5]
	s_andn2_b64 s[2:3], s[64:65], exec
	s_and_b64 s[4:5], s[44:45], exec
	;; [unrolled: 3-line block ×5, first 2 shown]
	s_or_b64 s[88:89], s[2:3], s[4:5]
	s_andn2_b64 exec, exec, s[86:87]
	s_cbranch_execz .LBB138_488
.LBB138_18:                             ; =>This Loop Header: Depth=1
                                        ;     Child Loop BB138_23 Depth 2
                                        ;     Child Loop BB138_37 Depth 2
	;; [unrolled: 1-line block ×25, first 2 shown]
	ds_read_b128 v[4:7], v3 offset:5120
	s_waitcnt lgkmcnt(0)
	v_readfirstlane_b32 s3, v5
	v_readfirstlane_b32 s2, v4
	s_cmp_lg_u64 s[2:3], 0
	s_cbranch_scc1 .LBB138_50
; %bb.19:                               ;   in Loop: Header=BB138_18 Depth=1
	v_readlane_b32 s2, v47, 44
	v_readlane_b32 s3, v47, 45
	s_and_b64 vcc, exec, s[2:3]
	s_cbranch_vccz .LBB138_31
; %bb.20:                               ;   in Loop: Header=BB138_18 Depth=1
	s_mov_b64 s[2:3], 0xc01
	v_cmp_gt_u64_e32 vcc, s[2:3], v[6:7]
	s_mov_b64 s[2:3], 0
	s_mov_b64 s[6:7], 0
	s_cbranch_vccz .LBB138_32
; %bb.21:                               ;   in Loop: Header=BB138_18 Depth=1
	v_readlane_b32 s4, v47, 57
	v_readlane_b32 s5, v47, 58
	global_load_ubyte v6, v[12:13], off
	v_mov_b32_e32 v5, v1
	s_mov_b64 s[8:9], 0
	v_mov_b32_e32 v4, v0
	s_nop 0
	global_load_ushort v2, v3, s[4:5]
	s_branch .LBB138_23
.LBB138_22:                             ;   in Loop: Header=BB138_23 Depth=2
	s_or_b64 exec, exec, s[4:5]
	s_waitcnt vmcnt(0)
	v_mov_b32_e32 v6, v7
	s_andn2_b64 exec, exec, s[8:9]
	s_cbranch_execz .LBB138_105
.LBB138_23:                             ;   Parent Loop BB138_18 Depth=1
                                        ; =>  This Inner Loop Header: Depth=2
	s_waitcnt vmcnt(0)
	v_add_co_u32_sdwa v4, vcc, v4, v2 dst_sel:DWORD dst_unused:UNUSED_PAD src0_sel:DWORD src1_sel:WORD_0
	v_addc_co_u32_e32 v5, vcc, 0, v5, vcc
	v_cmp_gt_u64_e64 s[6:7], s[28:29], v[4:5]
	v_cmp_le_u64_e32 vcc, s[28:29], v[4:5]
	s_waitcnt lgkmcnt(0)
	v_mov_b32_e32 v8, 0
	v_mov_b32_e32 v7, 0
	s_and_saveexec_b64 s[4:5], s[6:7]
	s_cbranch_execz .LBB138_25
; %bb.24:                               ;   in Loop: Header=BB138_23 Depth=2
	v_mov_b32_e32 v9, s34
	v_mov_b32_e32 v10, s35
	v_mad_u64_u32 v[9:10], s[6:7], v4, s26, v[9:10]
	v_mul_lo_u32 v7, v4, s27
	v_mul_lo_u32 v11, v5, s26
	v_add3_u32 v10, v11, v10, v7
	global_load_ubyte v7, v[9:10], off
.LBB138_25:                             ;   in Loop: Header=BB138_23 Depth=2
	s_or_b64 exec, exec, s[4:5]
	v_add_u32_sdwa v9, sext(v6), s82 dst_sel:DWORD dst_unused:UNUSED_PAD src0_sel:BYTE_0 src1_sel:DWORD
	v_and_b32_e32 v9, v9, v32
	v_cmp_eq_u32_e64 s[18:19], v9, v28
	s_cmp_lg_u64 s[18:19], 0
	s_cselect_b64 s[4:5], -1, 0
	s_and_b64 s[4:5], s[0:1], s[4:5]
	s_and_saveexec_b64 s[10:11], s[4:5]
	s_cbranch_execz .LBB138_29
; %bb.26:                               ;   in Loop: Header=BB138_23 Depth=2
	s_mov_b64 s[12:13], exec
	v_mbcnt_lo_u32_b32 v8, s12, 0
	v_mbcnt_hi_u32_b32 v8, s13, v8
	s_bcnt1_i32_b64 s14, s[18:19]
	v_cmp_eq_u32_e64 s[6:7], 0, v8
                                        ; implicit-def: $vgpr9
	s_and_saveexec_b64 s[4:5], s[6:7]
; %bb.27:                               ;   in Loop: Header=BB138_23 Depth=2
	s_bcnt1_i32_b64 s6, s[12:13]
	s_mul_i32 s6, s14, s6
	v_mov_b32_e32 v9, s6
	ds_add_rtn_u32 v9, v3, v9 offset:5144
; %bb.28:                               ;   in Loop: Header=BB138_23 Depth=2
	s_or_b64 exec, exec, s[4:5]
	s_waitcnt lgkmcnt(0)
	v_readfirstlane_b32 s4, v9
	v_mov_b32_e32 v9, s4
	v_mad_u32_u24 v8, s14, v8, v9
.LBB138_29:                             ;   in Loop: Header=BB138_23 Depth=2
	s_or_b64 exec, exec, s[10:11]
	ds_bpermute_b32 v8, v23, v8
	s_and_b64 s[4:5], exec, vcc
	s_or_b64 s[8:9], s[4:5], s[8:9]
	s_and_saveexec_b64 s[4:5], s[18:19]
	s_cbranch_execz .LBB138_22
; %bb.30:                               ;   in Loop: Header=BB138_23 Depth=2
	v_and_b32_e32 v10, s18, v25
	v_and_b32_e32 v9, s19, v24
	v_bcnt_u32_b32 v10, v10, 0
	v_bcnt_u32_b32 v9, v9, v10
	s_waitcnt lgkmcnt(0)
	v_add_u32_e32 v8, v8, v9
	ds_write_b8 v8, v6
	s_branch .LBB138_22
.LBB138_31:                             ;   in Loop: Header=BB138_18 Depth=1
	s_mov_b64 s[2:3], -1
	s_mov_b64 s[6:7], 0
.LBB138_32:                             ;   in Loop: Header=BB138_18 Depth=1
	s_and_b64 vcc, exec, s[2:3]
	s_cbranch_vccz .LBB138_48
.LBB138_33:                             ;   in Loop: Header=BB138_18 Depth=1
	s_mov_b64 s[2:3], exec
	v_readlane_b32 s4, v47, 46
	v_readlane_b32 s5, v47, 47
	s_and_b64 s[4:5], s[2:3], s[4:5]
	s_mov_b64 exec, s[4:5]
	s_cbranch_execz .LBB138_45
; %bb.34:                               ;   in Loop: Header=BB138_18 Depth=1
	v_readlane_b32 s4, v47, 57
	v_readlane_b32 s5, v47, 58
	s_nop 4
	global_load_ushort v2, v3, s[4:5]
	global_load_ubyte v34, v[12:13], off
	v_mov_b32_e32 v4, v0
	s_waitcnt vmcnt(1)
	v_readfirstlane_b32 s4, v2
	v_add_u32_sdwa v2, v2, v0 dst_sel:DWORD dst_unused:UNUSED_PAD src0_sel:WORD_0 src1_sel:DWORD
	v_cmp_gt_u64_e32 vcc, s[28:29], v[2:3]
	s_and_saveexec_b64 s[8:9], vcc
	s_cbranch_execz .LBB138_44
; %bb.35:                               ;   in Loop: Header=BB138_18 Depth=1
	s_and_b32 s4, s4, 0xffff
	s_cmp_eq_u32 s4, 1
	v_readlane_b32 s10, v47, 59
                                        ; implicit-def: $vgpr4_vgpr5
	s_cselect_b64 s[6:7], -1, 0
	v_readlane_b32 s11, v47, 60
	v_mov_b32_e32 v8, v1
	v_mov_b32_e32 v6, v3
	s_and_b64 s[10:11], s[10:11], s[6:7]
	s_mov_b64 s[12:13], -1
	v_mov_b32_e32 v7, v0
	v_mov_b32_e32 v5, v2
	s_and_saveexec_b64 s[6:7], s[10:11]
	s_cbranch_execz .LBB138_39
; %bb.36:                               ;   in Loop: Header=BB138_18 Depth=1
	v_add_co_u32_e32 v8, vcc, 3, v2
	v_addc_co_u32_e64 v9, s[10:11], 0, 0, vcc
	v_add_co_u32_e32 v6, vcc, 2, v2
	v_addc_co_u32_e64 v7, s[10:11], 0, 0, vcc
	;; [unrolled: 2-line block ×3, first 2 shown]
	v_mov_b32_e32 v22, v17
	v_mov_b32_e32 v11, v9
	s_waitcnt vmcnt(0)
	v_lshlrev_b32_e32 v36, 24, v34
	s_mov_b64 s[10:11], 0
	v_mov_b32_e32 v21, v16
	v_mov_b32_e32 v35, v0
	;; [unrolled: 1-line block ×9, first 2 shown]
.LBB138_37:                             ;   Parent Loop BB138_18 Depth=1
                                        ; =>  This Inner Loop Header: Depth=2
	v_mul_lo_u32 v34, v9, s75
	v_mul_lo_u32 v39, v8, s83
	v_mad_u64_u32 v[37:38], s[12:13], v8, s75, 0
	v_mul_lo_u32 v40, v7, s26
	v_mul_lo_u32 v41, v6, s27
	v_add3_u32 v34, v38, v39, v34
	v_mad_u64_u32 v[38:39], s[12:13], v6, s26, 0
	v_mul_lo_u32 v43, v4, s74
	v_mul_lo_u32 v45, v11, s78
	v_add3_u32 v42, v39, v41, v40
	v_mul_lo_u32 v41, v5, s70
	v_mad_u64_u32 v[39:40], s[12:13], v4, s70, 0
	s_mov_b32 s5, 0xc0c0007
	v_add3_u32 v40, v40, v43, v41
	v_add_co_u32_e32 v39, vcc, s34, v39
	v_mov_b32_e32 v41, s35
	v_addc_co_u32_e32 v40, vcc, v41, v40, vcc
	v_add_co_u32_e32 v41, vcc, s34, v38
	v_mov_b32_e32 v38, s35
	v_addc_co_u32_e32 v42, vcc, v38, v42, vcc
	v_mov_b32_e32 v44, s35
	v_add_co_u32_e32 v37, vcc, s34, v37
	v_mov_b32_e32 v43, s34
	v_addc_co_u32_e32 v38, vcc, v38, v34, vcc
	v_mad_u64_u32 v[43:44], s[12:13], v10, s78, v[43:44]
	v_mul_lo_u32 v34, v10, s79
	v_add_co_u32_e32 v10, vcc, 4, v10
	v_addc_co_u32_e32 v11, vcc, 0, v11, vcc
	v_add3_u32 v44, v45, v44, v34
	global_load_ubyte v34, v[43:44], off
	s_nop 0
	global_load_ubyte v41, v[41:42], off
	s_nop 0
	global_load_ubyte v39, v[39:40], off
	v_add_co_u32_e32 v8, vcc, 4, v8
	global_load_ubyte v37, v[37:38], off
	v_addc_co_u32_e32 v9, vcc, 0, v9, vcc
	v_add_co_u32_e32 v6, vcc, 4, v6
	v_addc_co_u32_e32 v7, vcc, 0, v7, vcc
	v_add_co_u32_e32 v4, vcc, 4, v4
	v_addc_co_u32_e32 v5, vcc, 0, v5, vcc
	v_add_co_u32_e32 v21, vcc, -4, v21
	v_addc_co_u32_e32 v22, vcc, -1, v22, vcc
	v_cmp_eq_u64_e32 vcc, 0, v[21:22]
	s_or_b64 s[10:11], vcc, s[10:11]
	s_waitcnt vmcnt(1)
	v_perm_b32 v40, v39, v41, s15
	v_perm_b32 v36, v36, v39, s5
	s_waitcnt vmcnt(0)
	v_perm_b32 v38, v37, v34, s15
	v_perm_b32 v37, v41, v37, s15
	v_lshl_or_b32 v38, v38, 16, v40
	v_lshl_or_b32 v36, v37, 16, v36
	ds_write_b32 v35, v36
	v_add_u32_e32 v35, 4, v35
	v_mov_b32_e32 v36, v38
	s_andn2_b64 exec, exec, s[10:11]
	s_cbranch_execnz .LBB138_37
; %bb.38:                               ;   in Loop: Header=BB138_18 Depth=1
	s_or_b64 exec, exec, s[10:11]
	v_readlane_b32 s10, v46, 2
	v_add_co_u32_e32 v5, vcc, v2, v16
	v_readlane_b32 s11, v46, 3
	v_addc_co_u32_e32 v6, vcc, 0, v17, vcc
	v_add_co_u32_e32 v4, vcc, -1, v5
	s_orn2_b64 s[12:13], s[10:11], exec
	v_mov_b32_e32 v7, v18
	v_mov_b32_e32 v8, v19
.LBB138_39:                             ;   in Loop: Header=BB138_18 Depth=1
	s_or_b64 exec, exec, s[6:7]
	s_and_saveexec_b64 s[10:11], s[12:13]
	s_cbranch_execz .LBB138_43
; %bb.40:                               ;   in Loop: Header=BB138_18 Depth=1
	s_mov_b64 s[12:13], 0
	s_sub_u32 s5, 0, s4
.LBB138_41:                             ;   Parent Loop BB138_18 Depth=1
                                        ; =>  This Inner Loop Header: Depth=2
	v_mov_b32_e32 v9, v6
	v_mov_b32_e32 v8, v5
	;; [unrolled: 1-line block ×4, first 2 shown]
	v_mad_u64_u32 v[4:5], s[6:7], v8, s26, v[4:5]
	v_mul_lo_u32 v2, v8, s27
	v_mul_lo_u32 v6, v9, s26
	s_waitcnt vmcnt(0)
	ds_write_b8 v7, v34
	v_add3_u32 v5, v6, v5, v2
	global_load_ubyte v2, v[4:5], off
	v_add_co_u32_e32 v5, vcc, s4, v8
	v_addc_co_u32_e32 v6, vcc, 0, v9, vcc
	v_cmp_le_u64_e32 vcc, s[28:29], v[5:6]
	v_mov_b32_e32 v7, v8
	v_add_co_u32_e64 v4, s[6:7], s5, v5
	s_or_b64 s[12:13], vcc, s[12:13]
	v_mov_b32_e32 v8, v9
	s_waitcnt vmcnt(0)
	v_mov_b32_e32 v34, v2
	s_andn2_b64 exec, exec, s[12:13]
	s_cbranch_execnz .LBB138_41
; %bb.42:                               ;   in Loop: Header=BB138_18 Depth=1
	s_or_b64 exec, exec, s[12:13]
	v_mov_b32_e32 v34, v2
.LBB138_43:                             ;   in Loop: Header=BB138_18 Depth=1
	s_or_b64 exec, exec, s[10:11]
.LBB138_44:                             ;   in Loop: Header=BB138_18 Depth=1
	s_or_b64 exec, exec, s[8:9]
	s_waitcnt vmcnt(0)
	ds_write_b8 v4, v34
.LBB138_45:                             ;   in Loop: Header=BB138_18 Depth=1
	s_or_b64 exec, exec, s[2:3]
	s_waitcnt lgkmcnt(0)
	s_barrier
	s_mov_b64 s[2:3], exec
	v_readlane_b32 s4, v47, 32
	v_readlane_b32 s5, v47, 33
	s_and_b64 s[4:5], s[2:3], s[4:5]
	s_mov_b64 exec, s[4:5]
; %bb.46:                               ;   in Loop: Header=BB138_18 Depth=1
	v_mov_b32_e32 v4, s28
	v_mov_b32_e32 v5, s29
	ds_write_b64 v3, v[4:5] offset:5120
; %bb.47:                               ;   in Loop: Header=BB138_18 Depth=1
	s_or_b64 exec, exec, s[2:3]
	s_mov_b64 s[6:7], -1
	s_waitcnt lgkmcnt(0)
	s_barrier
.LBB138_48:                             ;   in Loop: Header=BB138_18 Depth=1
	s_mov_b64 s[2:3], 0
	s_and_b64 vcc, exec, s[6:7]
	s_cbranch_vccz .LBB138_50
; %bb.49:                               ;   in Loop: Header=BB138_18 Depth=1
	ds_read_b64 v[4:5], v3 offset:5120
	s_waitcnt lgkmcnt(0)
	v_readfirstlane_b32 s2, v4
.LBB138_50:                             ;   in Loop: Header=BB138_18 Depth=1
	s_cmp_lt_i32 s2, 1
	s_mov_b64 s[6:7], -1
                                        ; implicit-def: $vgpr10_vgpr11
                                        ; implicit-def: $vgpr6_vgpr7
	s_cbranch_scc0 .LBB138_65
; %bb.51:                               ;   in Loop: Header=BB138_18 Depth=1
	v_readlane_b32 s4, v47, 57
	v_readlane_b32 s5, v47, 58
	s_nop 4
	global_load_ushort v2, v3, s[4:5]
	s_mov_b32 s4, s71
	s_mov_b32 s5, s29
	s_waitcnt vmcnt(0)
	v_readfirstlane_b32 s3, v2
	s_and_b32 s3, 0xffff, s3
	s_lshl_b32 s3, s3, 2
	s_cmp_lg_u64 s[4:5], 0
	s_cbranch_scc0 .LBB138_83
; %bb.52:                               ;   in Loop: Header=BB138_18 Depth=1
	v_cvt_f32_u32_e32 v4, s3
	s_sub_u32 s6, 0, s3
	s_subb_u32 s7, 0, 0
	v_mac_f32_e32 v4, 0, v30
	v_rcp_f32_e32 v4, v4
	v_mul_f32_e32 v4, 0x5f7ffffc, v4
	v_mul_f32_e32 v5, 0x2f800000, v4
	v_trunc_f32_e32 v5, v5
	v_mac_f32_e32 v4, 0xcf800000, v5
	v_cvt_u32_f32_e32 v5, v5
	v_cvt_u32_f32_e32 v4, v4
	v_readfirstlane_b32 s8, v5
	v_readfirstlane_b32 s4, v4
	s_mul_i32 s5, s6, s8
	s_mul_hi_u32 s10, s6, s4
	s_mul_i32 s9, s7, s4
	s_add_i32 s5, s10, s5
	s_mul_i32 s11, s6, s4
	s_add_i32 s5, s5, s9
	s_mul_hi_u32 s10, s4, s11
	s_mul_i32 s12, s4, s5
	s_mul_hi_u32 s9, s4, s5
	s_add_u32 s10, s10, s12
	s_addc_u32 s9, 0, s9
	s_mul_hi_u32 s13, s8, s11
	s_mul_i32 s11, s8, s11
	s_add_u32 s10, s10, s11
	s_mul_hi_u32 s12, s8, s5
	s_addc_u32 s9, s9, s13
	s_addc_u32 s10, s12, 0
	s_mul_i32 s5, s8, s5
	s_add_u32 s5, s9, s5
	s_addc_u32 s9, 0, s10
	s_add_u32 s10, s4, s5
	s_cselect_b64 s[4:5], -1, 0
	s_cmp_lg_u64 s[4:5], 0
	s_addc_u32 s8, s8, s9
	s_mul_i32 s4, s6, s8
	s_mul_hi_u32 s5, s6, s10
	s_add_i32 s4, s5, s4
	s_mul_i32 s7, s7, s10
	s_add_i32 s4, s4, s7
	s_mul_i32 s6, s6, s10
	s_mul_hi_u32 s7, s8, s6
	s_mul_i32 s9, s8, s6
	s_mul_i32 s12, s10, s4
	s_mul_hi_u32 s6, s10, s6
	s_mul_hi_u32 s11, s10, s4
	s_add_u32 s6, s6, s12
	s_addc_u32 s11, 0, s11
	s_add_u32 s6, s6, s9
	s_mul_hi_u32 s5, s8, s4
	s_addc_u32 s6, s11, s7
	s_addc_u32 s5, s5, 0
	s_mul_i32 s4, s8, s4
	s_add_u32 s4, s6, s4
	s_addc_u32 s6, 0, s5
	s_add_u32 s7, s10, s4
	s_cselect_b64 s[4:5], -1, 0
	s_cmp_lg_u64 s[4:5], 0
	s_addc_u32 s4, s8, s6
	s_mul_i32 s6, s28, s4
	s_mul_hi_u32 s8, s28, s7
	s_mul_hi_u32 s5, s28, s4
	s_add_u32 s6, s8, s6
	s_addc_u32 s5, 0, s5
	s_mul_hi_u32 s9, s29, s7
	s_mul_i32 s7, s29, s7
	s_add_u32 s6, s6, s7
	s_mul_hi_u32 s8, s29, s4
	s_addc_u32 s5, s5, s9
	s_addc_u32 s6, s8, 0
	s_mul_i32 s4, s29, s4
	s_add_u32 s4, s5, s4
	s_addc_u32 s5, 0, s6
	s_mul_i32 s5, s3, s5
	s_mul_hi_u32 s6, s3, s4
	s_add_i32 s6, s6, s5
	s_mul_i32 s4, s3, s4
	s_sub_u32 s8, s28, s4
	s_cselect_b64 s[4:5], -1, 0
	s_cmp_lg_u64 s[4:5], 0
	s_subb_u32 s6, s29, s6
	s_sub_u32 s7, s8, s3
	s_cselect_b64 s[4:5], -1, 0
	s_cmp_lg_u64 s[4:5], 0
	s_subb_u32 s9, s6, 0
	;; [unrolled: 4-line block ×3, first 2 shown]
	s_cmp_ge_u32 s7, s3
	s_cselect_b32 s5, -1, 0
	s_cmp_eq_u32 s9, 0
	s_cselect_b32 s5, s5, -1
	s_cmp_lg_u32 s5, 0
	s_cselect_b32 s4, s4, s9
	s_cselect_b32 s5, s10, s7
	s_cmp_ge_u32 s8, s3
	s_cselect_b32 s7, -1, 0
	s_cmp_eq_u32 s6, 0
	s_cselect_b32 s7, s7, -1
	s_cmp_lg_u32 s7, 0
	s_cselect_b32 s7, s4, s6
	s_cselect_b32 s6, s5, s8
	s_cbranch_execnz .LBB138_54
.LBB138_53:                             ;   in Loop: Header=BB138_18 Depth=1
	v_cvt_f32_u32_e32 v4, s3
	s_sub_i32 s4, 0, s3
	s_mov_b32 s8, s70
	v_rcp_iflag_f32_e32 v4, v4
	v_mul_f32_e32 v4, 0x4f7ffffe, v4
	v_cvt_u32_f32_e32 v4, v4
	v_readfirstlane_b32 s5, v4
	s_mul_i32 s4, s4, s5
	s_mul_hi_u32 s4, s5, s4
	s_add_i32 s5, s5, s4
	s_mul_hi_u32 s4, s28, s5
	s_mul_i32 s4, s4, s3
	s_sub_i32 s4, s28, s4
	s_sub_i32 s5, s4, s3
	s_cmp_ge_u32 s4, s3
	s_cselect_b32 s4, s5, s4
	s_sub_i32 s5, s4, s3
	s_cmp_ge_u32 s4, s3
	s_cselect_b32 s70, s5, s4
	s_mov_b64 s[6:7], s[70:71]
	s_mov_b32 s70, s8
.LBB138_54:                             ;   in Loop: Header=BB138_18 Depth=1
	s_sub_u32 s14, s28, s6
	s_subb_u32 s15, s29, s7
	v_cmp_gt_u64_e32 vcc, s[14:15], v[14:15]
	v_mov_b32_e32 v4, 0
	v_mov_b32_e32 v6, 0
	;; [unrolled: 1-line block ×8, first 2 shown]
	s_and_saveexec_b64 s[16:17], vcc
	s_cbranch_execz .LBB138_58
; %bb.55:                               ;   in Loop: Header=BB138_18 Depth=1
	v_mov_b32_e32 v22, v15
	s_mov_b64 s[36:37], 0
	s_mov_b64 s[38:39], 0
	;; [unrolled: 1-line block ×5, first 2 shown]
	v_mov_b32_e32 v21, v14
.LBB138_56:                             ;   Parent Loop BB138_18 Depth=1
                                        ; =>  This Inner Loop Header: Depth=2
	v_mov_b32_e32 v4, s34
	v_mov_b32_e32 v5, s35
	v_mad_u64_u32 v[4:5], s[4:5], v21, s26, v[4:5]
	v_mul_lo_u32 v6, v21, s27
	v_mul_lo_u32 v7, v22, s26
	v_mov_b32_e32 v8, s27
	v_mov_b32_e32 v9, s27
	v_add3_u32 v5, v7, v5, v6
	global_load_sbyte v6, v[4:5], off
	v_add_co_u32_e32 v4, vcc, s26, v4
	v_mov_b32_e32 v7, s27
	v_addc_co_u32_e32 v5, vcc, v5, v7, vcc
	global_load_sbyte v7, v[4:5], off
	v_add_co_u32_e32 v4, vcc, s26, v4
	v_addc_co_u32_e32 v5, vcc, v5, v8, vcc
	global_load_sbyte v8, v[4:5], off
	v_add_co_u32_e32 v4, vcc, s26, v4
	v_addc_co_u32_e32 v5, vcc, v5, v9, vcc
	global_load_sbyte v4, v[4:5], off
	s_waitcnt vmcnt(3)
	v_add_u32_e32 v5, 0x80, v6
	s_waitcnt vmcnt(2)
	v_add_u32_e32 v6, 0x80, v7
	s_waitcnt vmcnt(1)
	v_add_u32_e32 v7, 0x80, v8
	v_and_b32_e32 v8, v5, v32
	v_bfe_u32 v5, v5, s81, 2
	v_cmp_eq_u32_e32 vcc, v8, v28
	v_and_b32_e32 v8, v6, v32
	v_bfe_u32 v6, v6, s81, 2
	v_cmp_eq_u32_e64 s[24:25], 0, v5
	s_waitcnt vmcnt(0)
	v_add_u32_e32 v4, 0x80, v4
	v_cmp_eq_u32_e64 s[6:7], v8, v28
	v_and_b32_e32 v8, v7, v32
	v_bfe_u32 v7, v7, s81, 2
	s_and_b64 s[4:5], vcc, s[24:25]
	v_cmp_eq_u32_e64 s[24:25], 0, v6
	v_cmp_eq_u32_e64 s[18:19], v8, v28
	v_and_b32_e32 v8, v4, v32
	v_bfe_u32 v4, v4, s81, 2
	s_and_b64 s[8:9], s[6:7], s[24:25]
	v_cmp_eq_u32_e64 s[24:25], 0, v7
	v_cmp_eq_u32_e64 s[22:23], v8, v28
	s_and_b64 s[10:11], s[18:19], s[24:25]
	v_cmp_eq_u32_e64 s[24:25], 0, v4
	v_cndmask_b32_e64 v8, 0, 1, s[4:5]
	s_and_b64 s[12:13], s[22:23], s[24:25]
	v_cmp_ne_u32_e64 s[24:25], 0, v8
	v_cndmask_b32_e64 v8, 0, 1, s[8:9]
	s_bcnt1_i32_b64 s4, s[24:25]
	v_cmp_ne_u32_e64 s[24:25], 0, v8
	v_cndmask_b32_e64 v8, 0, 1, s[10:11]
	s_bcnt1_i32_b64 s5, s[24:25]
	;; [unrolled: 3-line block ×3, first 2 shown]
	v_cmp_ne_u32_e64 s[24:25], 0, v8
	s_bcnt1_i32_b64 s9, s[24:25]
	s_add_u32 s4, s4, s48
	s_addc_u32 s10, 0, s49
	s_add_u32 s4, s4, s5
	s_addc_u32 s5, s10, 0
	;; [unrolled: 2-line block ×3, first 2 shown]
	s_add_u32 s48, s4, s9
	v_cmp_eq_u32_e64 s[24:25], 1, v5
	s_addc_u32 s49, s5, 0
	s_and_b64 s[4:5], vcc, s[24:25]
	v_cmp_eq_u32_e64 s[24:25], 1, v6
	s_and_b64 s[8:9], s[6:7], s[24:25]
	v_cmp_eq_u32_e64 s[24:25], 1, v7
	s_and_b64 s[10:11], s[18:19], s[24:25]
	v_cmp_eq_u32_e64 s[24:25], 1, v4
	v_cndmask_b32_e64 v8, 0, 1, s[4:5]
	s_and_b64 s[12:13], s[22:23], s[24:25]
	v_cmp_ne_u32_e64 s[24:25], 0, v8
	v_cndmask_b32_e64 v8, 0, 1, s[8:9]
	s_bcnt1_i32_b64 s4, s[24:25]
	v_cmp_ne_u32_e64 s[24:25], 0, v8
	v_cndmask_b32_e64 v8, 0, 1, s[10:11]
	s_bcnt1_i32_b64 s5, s[24:25]
	;; [unrolled: 3-line block ×3, first 2 shown]
	v_cmp_ne_u32_e64 s[24:25], 0, v8
	s_bcnt1_i32_b64 s9, s[24:25]
	s_add_u32 s4, s4, s42
	s_addc_u32 s10, 0, s43
	s_add_u32 s4, s4, s5
	s_addc_u32 s5, s10, 0
	;; [unrolled: 2-line block ×3, first 2 shown]
	s_add_u32 s42, s4, s9
	v_cmp_eq_u32_e64 s[24:25], 2, v5
	s_addc_u32 s43, s5, 0
	s_and_b64 s[4:5], vcc, s[24:25]
	v_cmp_eq_u32_e64 s[24:25], 2, v6
	s_and_b64 s[8:9], s[6:7], s[24:25]
	v_cmp_eq_u32_e64 s[24:25], 2, v7
	s_and_b64 s[10:11], s[18:19], s[24:25]
	v_cmp_eq_u32_e64 s[24:25], 2, v4
	v_cndmask_b32_e64 v8, 0, 1, s[4:5]
	s_and_b64 s[12:13], s[22:23], s[24:25]
	v_cmp_ne_u32_e64 s[24:25], 0, v8
	v_cndmask_b32_e64 v8, 0, 1, s[8:9]
	s_bcnt1_i32_b64 s4, s[24:25]
	v_cmp_ne_u32_e64 s[24:25], 0, v8
	v_cndmask_b32_e64 v8, 0, 1, s[10:11]
	s_bcnt1_i32_b64 s5, s[24:25]
	v_cmp_ne_u32_e64 s[24:25], 0, v8
	v_cndmask_b32_e64 v8, 0, 1, s[12:13]
	s_bcnt1_i32_b64 s8, s[24:25]
	v_cmp_ne_u32_e64 s[24:25], 0, v8
	s_bcnt1_i32_b64 s9, s[24:25]
	s_add_u32 s4, s4, s40
	s_addc_u32 s10, 0, s41
	s_add_u32 s4, s4, s5
	s_addc_u32 s5, s10, 0
	;; [unrolled: 2-line block ×3, first 2 shown]
	s_add_u32 s40, s4, s9
	v_cmp_eq_u32_e64 s[24:25], 3, v5
	s_addc_u32 s41, s5, 0
	s_and_b64 s[4:5], vcc, s[24:25]
	v_cmp_eq_u32_e32 vcc, 3, v6
	s_and_b64 s[6:7], s[6:7], vcc
	v_cmp_eq_u32_e32 vcc, 3, v7
	s_and_b64 s[8:9], s[18:19], vcc
	v_cmp_eq_u32_e32 vcc, 3, v4
	v_cndmask_b32_e64 v4, 0, 1, s[4:5]
	s_and_b64 s[10:11], s[22:23], vcc
	v_cmp_ne_u32_e32 vcc, 0, v4
	v_cndmask_b32_e64 v4, 0, 1, s[6:7]
	s_bcnt1_i32_b64 s4, vcc
	v_cmp_ne_u32_e32 vcc, 0, v4
	v_cndmask_b32_e64 v4, 0, 1, s[8:9]
	s_bcnt1_i32_b64 s5, vcc
	;; [unrolled: 3-line block ×3, first 2 shown]
	v_cmp_ne_u32_e32 vcc, 0, v4
	s_bcnt1_i32_b64 s7, vcc
	s_add_u32 s4, s4, s38
	s_addc_u32 s8, 0, s39
	s_add_u32 s4, s4, s5
	s_addc_u32 s5, s8, 0
	s_add_u32 s4, s4, s6
	v_add_co_u32_e32 v21, vcc, s3, v21
	s_addc_u32 s5, s5, 0
	v_addc_co_u32_e32 v22, vcc, 0, v22, vcc
	s_add_u32 s38, s4, s7
	v_cmp_le_u64_e32 vcc, s[14:15], v[21:22]
	s_addc_u32 s39, s5, 0
	v_mov_b32_e32 v4, s48
	v_mov_b32_e32 v6, s42
	;; [unrolled: 1-line block ×4, first 2 shown]
	s_or_b64 s[36:37], vcc, s[36:37]
	v_mov_b32_e32 v5, s49
	v_mov_b32_e32 v7, s43
	;; [unrolled: 1-line block ×4, first 2 shown]
	s_andn2_b64 exec, exec, s[36:37]
	s_cbranch_execnz .LBB138_56
; %bb.57:                               ;   in Loop: Header=BB138_18 Depth=1
	s_or_b64 exec, exec, s[36:37]
.LBB138_58:                             ;   in Loop: Header=BB138_18 Depth=1
	s_or_b64 exec, exec, s[16:17]
	v_mov_b32_e32 v22, s15
	v_add_co_u32_e32 v21, vcc, s14, v0
	v_addc_co_u32_e32 v22, vcc, 0, v22, vcc
	v_cmp_gt_u64_e32 vcc, s[28:29], v[21:22]
	s_and_saveexec_b64 s[8:9], vcc
	s_cbranch_execz .LBB138_64
; %bb.59:                               ;   in Loop: Header=BB138_18 Depth=1
	v_mov_b32_e32 v34, s34
	v_mov_b32_e32 v35, s35
	v_mad_u64_u32 v[34:35], s[4:5], v21, s26, v[34:35]
	v_mul_lo_u32 v36, v21, s27
	v_mul_lo_u32 v37, v22, s26
	s_mov_b64 s[10:11], 0
	v_add3_u32 v35, v37, v35, v36
	global_load_ubyte v35, v[34:35], off
	s_branch .LBB138_61
.LBB138_60:                             ;   in Loop: Header=BB138_61 Depth=2
	s_or_b64 exec, exec, s[4:5]
	s_waitcnt vmcnt(0)
	v_add_u32_sdwa v35, sext(v35), s82 dst_sel:DWORD dst_unused:UNUSED_PAD src0_sel:BYTE_0 src1_sel:DWORD
	s_and_b64 s[4:5], exec, vcc
	v_and_b32_e32 v36, v35, v32
	v_bfe_u32 v35, v35, s81, 2
	s_or_b64 s[10:11], s[4:5], s[10:11]
	v_cmp_eq_u32_e32 vcc, v36, v28
	v_cmp_eq_u32_e64 s[6:7], 0, v35
	s_and_b64 s[4:5], vcc, s[6:7]
	v_cndmask_b32_e64 v36, 0, 1, s[4:5]
	v_cmp_ne_u32_e64 s[6:7], 0, v36
	s_bcnt1_i32_b64 s3, s[6:7]
	v_add_co_u32_e64 v4, s[6:7], s3, v4
	v_addc_co_u32_e64 v5, s[6:7], 0, v5, s[6:7]
	v_cmp_eq_u32_e64 s[6:7], 1, v35
	s_and_b64 s[4:5], vcc, s[6:7]
	v_cndmask_b32_e64 v36, 0, 1, s[4:5]
	v_cmp_ne_u32_e64 s[6:7], 0, v36
	s_bcnt1_i32_b64 s3, s[6:7]
	v_add_co_u32_e64 v6, s[6:7], s3, v6
	v_addc_co_u32_e64 v7, s[6:7], 0, v7, s[6:7]
	;; [unrolled: 7-line block ×3, first 2 shown]
	v_cmp_eq_u32_e64 s[6:7], 3, v35
	s_and_b64 s[4:5], vcc, s[6:7]
	v_cndmask_b32_e64 v35, 0, 1, s[4:5]
	v_cmp_ne_u32_e32 vcc, 0, v35
	s_bcnt1_i32_b64 s3, vcc
	v_add_co_u32_e32 v10, vcc, s3, v10
	v_addc_co_u32_e32 v11, vcc, 0, v11, vcc
	v_mov_b32_e32 v35, v34
	s_andn2_b64 exec, exec, s[10:11]
	s_cbranch_execz .LBB138_63
.LBB138_61:                             ;   Parent Loop BB138_18 Depth=1
                                        ; =>  This Inner Loop Header: Depth=2
	v_add_co_u32_sdwa v21, vcc, v21, v2 dst_sel:DWORD dst_unused:UNUSED_PAD src0_sel:DWORD src1_sel:WORD_0
	v_addc_co_u32_e32 v22, vcc, 0, v22, vcc
	v_cmp_gt_u64_e64 s[6:7], s[28:29], v[21:22]
	v_cmp_le_u64_e32 vcc, s[28:29], v[21:22]
	v_mov_b32_e32 v34, 0
	s_and_saveexec_b64 s[4:5], s[6:7]
	s_cbranch_execz .LBB138_60
; %bb.62:                               ;   in Loop: Header=BB138_61 Depth=2
	v_mov_b32_e32 v37, s35
	v_mov_b32_e32 v36, s34
	v_mad_u64_u32 v[36:37], s[6:7], v21, s26, v[36:37]
	v_mul_lo_u32 v34, v21, s27
	v_mul_lo_u32 v38, v22, s26
	v_add3_u32 v37, v38, v37, v34
	global_load_ubyte v34, v[36:37], off
	s_branch .LBB138_60
.LBB138_63:                             ;   in Loop: Header=BB138_18 Depth=1
	s_or_b64 exec, exec, s[10:11]
.LBB138_64:                             ;   in Loop: Header=BB138_18 Depth=1
	s_or_b64 exec, exec, s[8:9]
	s_mov_b64 s[6:7], 0
.LBB138_65:                             ;   in Loop: Header=BB138_18 Depth=1
	s_and_b64 vcc, exec, s[6:7]
	s_cbranch_vccz .LBB138_75
; %bb.66:                               ;   in Loop: Header=BB138_18 Depth=1
	v_readlane_b32 s4, v47, 57
	v_readlane_b32 s5, v47, 58
	v_mov_b32_e32 v8, 0
	v_mov_b32_e32 v9, 0
	s_nop 2
	global_load_ushort v2, v3, s[4:5]
	s_waitcnt vmcnt(0)
	v_readfirstlane_b32 s3, v2
	s_and_b32 s4, 0xffff, s3
	s_lshl_b32 s3, s4, 2
	v_cvt_f32_u32_e32 v4, s3
	s_sub_i32 s5, 0, s3
	v_rcp_iflag_f32_e32 v6, v4
	v_mov_b32_e32 v4, 0
	v_mov_b32_e32 v5, 0
	v_mul_f32_e32 v6, 0x4f7ffffe, v6
	v_cvt_u32_f32_e32 v10, v6
	v_mov_b32_e32 v6, 0
	v_mov_b32_e32 v7, 0
	v_readfirstlane_b32 s6, v10
	s_mul_i32 s5, s5, s6
	s_mul_hi_u32 s5, s6, s5
	s_add_i32 s6, s6, s5
	s_mul_hi_u32 s5, s2, s6
	s_mul_i32 s6, s5, s3
	s_sub_i32 s6, s2, s6
	s_add_i32 s7, s5, 1
	s_sub_i32 s8, s6, s3
	s_cmp_ge_u32 s6, s3
	s_cselect_b32 s5, s7, s5
	s_cselect_b32 s6, s8, s6
	s_add_i32 s7, s5, 1
	s_cmp_ge_u32 s6, s3
	s_cselect_b32 s5, s7, s5
	s_mul_hi_u32 s15, s4, s5
	s_mul_i32 s14, s4, s5
	s_lshl_b64 s[16:17], s[14:15], 2
	v_cmp_gt_u64_e32 vcc, s[16:17], v[14:15]
	v_mov_b32_e32 v10, 0
	v_mov_b32_e32 v11, 0
	s_and_saveexec_b64 s[36:37], vcc
	s_cbranch_execz .LBB138_70
; %bb.67:                               ;   in Loop: Header=BB138_18 Depth=1
	v_mov_b32_e32 v22, v15
	s_mov_b64 s[38:39], 0
	v_mov_b32_e32 v34, v14
	s_mov_b64 s[40:41], 0
	s_mov_b64 s[42:43], 0
	;; [unrolled: 1-line block ×4, first 2 shown]
	v_mov_b32_e32 v21, v14
.LBB138_68:                             ;   Parent Loop BB138_18 Depth=1
                                        ; =>  This Inner Loop Header: Depth=2
	ds_read_b32 v4, v34
	v_add_u32_e32 v34, s3, v34
	s_waitcnt lgkmcnt(0)
	v_add_u32_sdwa v5, sext(v4), s82 dst_sel:DWORD dst_unused:UNUSED_PAD src0_sel:BYTE_0 src1_sel:DWORD
	v_add_u32_sdwa v6, sext(v4), s82 dst_sel:DWORD dst_unused:UNUSED_PAD src0_sel:BYTE_1 src1_sel:DWORD
	v_and_b32_e32 v8, v5, v32
	v_bfe_u32 v5, v5, s81, 2
	v_add_u32_sdwa v7, sext(v4), s82 dst_sel:DWORD dst_unused:UNUSED_PAD src0_sel:BYTE_2 src1_sel:DWORD
	v_cmp_eq_u32_e32 vcc, v8, v28
	v_and_b32_e32 v8, v6, v32
	v_bfe_u32 v6, v6, s81, 2
	v_cmp_eq_u32_e64 s[24:25], 0, v5
	v_add_u32_sdwa v4, sext(v4), s82 dst_sel:DWORD dst_unused:UNUSED_PAD src0_sel:BYTE_3 src1_sel:DWORD
	v_cmp_eq_u32_e64 s[6:7], v8, v28
	v_and_b32_e32 v8, v7, v32
	v_bfe_u32 v7, v7, s81, 2
	s_and_b64 s[8:9], vcc, s[24:25]
	v_cmp_eq_u32_e64 s[24:25], 0, v6
	v_cmp_eq_u32_e64 s[18:19], v8, v28
	v_and_b32_e32 v8, v4, v32
	v_bfe_u32 v4, v4, s81, 2
	s_and_b64 s[10:11], s[6:7], s[24:25]
	v_cmp_eq_u32_e64 s[24:25], 0, v7
	v_cmp_eq_u32_e64 s[22:23], v8, v28
	s_and_b64 s[12:13], s[18:19], s[24:25]
	v_cmp_eq_u32_e64 s[24:25], 0, v4
	v_cndmask_b32_e64 v8, 0, 1, s[8:9]
	s_and_b64 s[20:21], s[22:23], s[24:25]
	v_cmp_ne_u32_e64 s[24:25], 0, v8
	v_cndmask_b32_e64 v8, 0, 1, s[10:11]
	s_bcnt1_i32_b64 s5, s[24:25]
	v_cmp_ne_u32_e64 s[24:25], 0, v8
	v_cndmask_b32_e64 v8, 0, 1, s[12:13]
	s_bcnt1_i32_b64 s8, s[24:25]
	;; [unrolled: 3-line block ×3, first 2 shown]
	v_cmp_ne_u32_e64 s[24:25], 0, v8
	s_bcnt1_i32_b64 s10, s[24:25]
	s_add_u32 s5, s5, s50
	s_addc_u32 s11, 0, s51
	s_add_u32 s5, s5, s8
	s_addc_u32 s8, s11, 0
	;; [unrolled: 2-line block ×3, first 2 shown]
	s_add_u32 s50, s5, s10
	v_cmp_eq_u32_e64 s[24:25], 1, v5
	s_addc_u32 s51, s8, 0
	s_and_b64 s[8:9], vcc, s[24:25]
	v_cmp_eq_u32_e64 s[24:25], 1, v6
	s_and_b64 s[10:11], s[6:7], s[24:25]
	v_cmp_eq_u32_e64 s[24:25], 1, v7
	s_and_b64 s[12:13], s[18:19], s[24:25]
	v_cmp_eq_u32_e64 s[24:25], 1, v4
	v_cndmask_b32_e64 v8, 0, 1, s[8:9]
	s_and_b64 s[20:21], s[22:23], s[24:25]
	v_cmp_ne_u32_e64 s[24:25], 0, v8
	v_cndmask_b32_e64 v8, 0, 1, s[10:11]
	s_bcnt1_i32_b64 s5, s[24:25]
	v_cmp_ne_u32_e64 s[24:25], 0, v8
	v_cndmask_b32_e64 v8, 0, 1, s[12:13]
	s_bcnt1_i32_b64 s8, s[24:25]
	;; [unrolled: 3-line block ×3, first 2 shown]
	v_cmp_ne_u32_e64 s[24:25], 0, v8
	s_bcnt1_i32_b64 s10, s[24:25]
	s_add_u32 s5, s5, s48
	s_addc_u32 s11, 0, s49
	s_add_u32 s5, s5, s8
	s_addc_u32 s8, s11, 0
	;; [unrolled: 2-line block ×3, first 2 shown]
	s_add_u32 s48, s5, s10
	v_cmp_eq_u32_e64 s[24:25], 2, v5
	s_addc_u32 s49, s8, 0
	s_and_b64 s[8:9], vcc, s[24:25]
	v_cmp_eq_u32_e64 s[24:25], 2, v6
	s_and_b64 s[10:11], s[6:7], s[24:25]
	v_cmp_eq_u32_e64 s[24:25], 2, v7
	s_and_b64 s[12:13], s[18:19], s[24:25]
	v_cmp_eq_u32_e64 s[24:25], 2, v4
	v_cndmask_b32_e64 v8, 0, 1, s[8:9]
	s_and_b64 s[20:21], s[22:23], s[24:25]
	v_cmp_ne_u32_e64 s[24:25], 0, v8
	v_cndmask_b32_e64 v8, 0, 1, s[10:11]
	s_bcnt1_i32_b64 s5, s[24:25]
	v_cmp_ne_u32_e64 s[24:25], 0, v8
	v_cndmask_b32_e64 v8, 0, 1, s[12:13]
	s_bcnt1_i32_b64 s8, s[24:25]
	;; [unrolled: 3-line block ×3, first 2 shown]
	v_cmp_ne_u32_e64 s[24:25], 0, v8
	s_bcnt1_i32_b64 s10, s[24:25]
	s_add_u32 s5, s5, s42
	s_addc_u32 s11, 0, s43
	s_add_u32 s5, s5, s8
	s_addc_u32 s8, s11, 0
	;; [unrolled: 2-line block ×3, first 2 shown]
	s_add_u32 s42, s5, s10
	v_cmp_eq_u32_e64 s[24:25], 3, v5
	s_addc_u32 s43, s8, 0
	s_and_b64 s[8:9], vcc, s[24:25]
	v_cmp_eq_u32_e32 vcc, 3, v6
	s_and_b64 s[6:7], s[6:7], vcc
	v_cmp_eq_u32_e32 vcc, 3, v7
	s_and_b64 s[10:11], s[18:19], vcc
	v_cmp_eq_u32_e32 vcc, 3, v4
	v_cndmask_b32_e64 v4, 0, 1, s[8:9]
	s_and_b64 s[12:13], s[22:23], vcc
	v_cmp_ne_u32_e32 vcc, 0, v4
	v_cndmask_b32_e64 v4, 0, 1, s[6:7]
	s_bcnt1_i32_b64 s5, vcc
	v_cmp_ne_u32_e32 vcc, 0, v4
	v_cndmask_b32_e64 v4, 0, 1, s[10:11]
	s_bcnt1_i32_b64 s6, vcc
	;; [unrolled: 3-line block ×3, first 2 shown]
	v_cmp_ne_u32_e32 vcc, 0, v4
	s_bcnt1_i32_b64 s8, vcc
	s_add_u32 s5, s5, s40
	s_addc_u32 s9, 0, s41
	s_add_u32 s5, s5, s6
	s_addc_u32 s6, s9, 0
	s_add_u32 s5, s5, s7
	v_add_co_u32_e32 v21, vcc, s3, v21
	s_addc_u32 s6, s6, 0
	v_addc_co_u32_e32 v22, vcc, 0, v22, vcc
	s_add_u32 s40, s5, s8
	v_cmp_le_u64_e32 vcc, s[16:17], v[21:22]
	s_addc_u32 s41, s6, 0
	v_mov_b32_e32 v4, s50
	v_mov_b32_e32 v6, s48
	;; [unrolled: 1-line block ×4, first 2 shown]
	s_or_b64 s[38:39], vcc, s[38:39]
	v_mov_b32_e32 v5, s51
	v_mov_b32_e32 v7, s49
	;; [unrolled: 1-line block ×4, first 2 shown]
	s_andn2_b64 exec, exec, s[38:39]
	s_cbranch_execnz .LBB138_68
; %bb.69:                               ;   in Loop: Header=BB138_18 Depth=1
	s_or_b64 exec, exec, s[38:39]
.LBB138_70:                             ;   in Loop: Header=BB138_18 Depth=1
	s_or_b64 exec, exec, s[36:37]
	v_mov_b32_e32 v22, s17
	v_add_co_u32_e32 v21, vcc, s16, v0
	s_mov_b32 s10, s70
	s_and_b32 s70, s2, 0x7fffffff
	v_addc_co_u32_e32 v22, vcc, 0, v22, vcc
	v_cmp_gt_u64_e32 vcc, s[70:71], v[21:22]
	s_and_saveexec_b64 s[2:3], vcc
	s_cbranch_execz .LBB138_74
; %bb.71:                               ;   in Loop: Header=BB138_18 Depth=1
	v_lshl_add_u32 v34, s14, 2, v0
	s_mov_b64 s[8:9], 0
.LBB138_72:                             ;   Parent Loop BB138_18 Depth=1
                                        ; =>  This Inner Loop Header: Depth=2
	ds_read_i8 v35, v34
	v_add_u32_e32 v34, s4, v34
	s_waitcnt lgkmcnt(0)
	v_add_u32_e32 v35, 0x80, v35
	v_and_b32_e32 v36, v35, v32
	v_bfe_u32 v35, v35, s81, 2
	v_cmp_eq_u32_e32 vcc, v36, v28
	v_cmp_eq_u32_e64 s[6:7], 0, v35
	s_and_b64 s[6:7], vcc, s[6:7]
	v_cndmask_b32_e64 v36, 0, 1, s[6:7]
	v_cmp_ne_u32_e64 s[6:7], 0, v36
	s_bcnt1_i32_b64 s5, s[6:7]
	v_add_co_u32_e64 v4, s[6:7], s5, v4
	v_addc_co_u32_e64 v5, s[6:7], 0, v5, s[6:7]
	v_cmp_eq_u32_e64 s[6:7], 1, v35
	s_and_b64 s[6:7], vcc, s[6:7]
	v_cndmask_b32_e64 v36, 0, 1, s[6:7]
	v_cmp_ne_u32_e64 s[6:7], 0, v36
	s_bcnt1_i32_b64 s5, s[6:7]
	v_add_co_u32_e64 v6, s[6:7], s5, v6
	v_addc_co_u32_e64 v7, s[6:7], 0, v7, s[6:7]
	;; [unrolled: 7-line block ×3, first 2 shown]
	v_cmp_eq_u32_e64 s[6:7], 3, v35
	s_and_b64 s[6:7], vcc, s[6:7]
	v_cndmask_b32_e64 v35, 0, 1, s[6:7]
	v_cmp_ne_u32_e32 vcc, 0, v35
	s_bcnt1_i32_b64 s5, vcc
	v_add_co_u32_e32 v10, vcc, s5, v10
	v_addc_co_u32_e32 v11, vcc, 0, v11, vcc
	v_add_co_u32_sdwa v21, vcc, v21, v2 dst_sel:DWORD dst_unused:UNUSED_PAD src0_sel:DWORD src1_sel:WORD_0
	v_addc_co_u32_e32 v22, vcc, 0, v22, vcc
	v_cmp_le_u64_e32 vcc, s[70:71], v[21:22]
	s_or_b64 s[8:9], vcc, s[8:9]
	s_andn2_b64 exec, exec, s[8:9]
	s_cbranch_execnz .LBB138_72
; %bb.73:                               ;   in Loop: Header=BB138_18 Depth=1
	s_or_b64 exec, exec, s[8:9]
.LBB138_74:                             ;   in Loop: Header=BB138_18 Depth=1
	s_or_b64 exec, exec, s[2:3]
	s_mov_b32 s70, s10
.LBB138_75:                             ;   in Loop: Header=BB138_18 Depth=1
	v_readlane_b32 s2, v46, 4
	s_lshl_b32 s4, s2, 6
	s_and_saveexec_b64 s[2:3], s[0:1]
	s_cbranch_execz .LBB138_77
; %bb.76:                               ;   in Loop: Header=BB138_18 Depth=1
	v_lshl_add_u32 v2, s4, 3, v27
	ds_write_b128 v2, v[4:7]
	ds_write_b128 v2, v[8:11] offset:16
.LBB138_77:                             ;   in Loop: Header=BB138_18 Depth=1
	s_or_b64 exec, exec, s[2:3]
	s_waitcnt lgkmcnt(0)
	s_barrier
	s_mov_b64 s[2:3], exec
	v_readlane_b32 s6, v47, 42
	v_readlane_b32 s7, v47, 43
	s_and_b64 s[6:7], s[2:3], s[6:7]
	s_mov_b64 exec, s[6:7]
	s_cbranch_execz .LBB138_89
; %bb.78:                               ;   in Loop: Header=BB138_18 Depth=1
	v_readlane_b32 s6, v47, 50
	v_mov_b32_e32 v4, 0
	v_readlane_b32 s7, v47, 51
	v_mov_b32_e32 v5, 0
	s_andn2_b64 vcc, exec, s[6:7]
	s_cbranch_vccnz .LBB138_88
; %bb.79:                               ;   in Loop: Header=BB138_18 Depth=1
	v_readlane_b32 s6, v47, 61
	v_readlane_b32 s7, v47, 62
	s_andn2_b64 vcc, exec, s[6:7]
	s_cbranch_vccnz .LBB138_84
; %bb.80:                               ;   in Loop: Header=BB138_18 Depth=1
	v_readlane_b32 s5, v46, 4
	v_mov_b32_e32 v4, 0
	v_lshl_add_u32 v2, s5, 9, v29
	v_mov_b32_e32 v5, 0
	s_mov_b32 s5, 0
.LBB138_81:                             ;   Parent Loop BB138_18 Depth=1
                                        ; =>  This Inner Loop Header: Depth=2
	ds_read2_b64 v[6:9], v2 offset1:4
	s_add_i32 s5, s5, 8
	s_cmp_eq_u32 s80, s5
	s_waitcnt lgkmcnt(0)
	v_add_co_u32_e32 v4, vcc, v6, v4
	v_addc_co_u32_e32 v5, vcc, v7, v5, vcc
	v_add_co_u32_e32 v8, vcc, v8, v4
	v_addc_co_u32_e32 v9, vcc, v9, v5, vcc
	ds_read2_b64 v[4:7], v2 offset0:8 offset1:12
	s_waitcnt lgkmcnt(0)
	v_add_co_u32_e32 v4, vcc, v4, v8
	v_addc_co_u32_e32 v5, vcc, v5, v9, vcc
	v_add_co_u32_e32 v8, vcc, v6, v4
	v_addc_co_u32_e32 v9, vcc, v7, v5, vcc
	ds_read2_b64 v[4:7], v2 offset0:16 offset1:20
	;; [unrolled: 6-line block ×3, first 2 shown]
	v_add_u32_e32 v2, 0x100, v2
	s_waitcnt lgkmcnt(0)
	v_add_co_u32_e32 v4, vcc, v4, v8
	v_addc_co_u32_e32 v5, vcc, v5, v9, vcc
	v_add_co_u32_e32 v4, vcc, v6, v4
	v_addc_co_u32_e32 v5, vcc, v7, v5, vcc
	s_cbranch_scc0 .LBB138_81
; %bb.82:                               ;   in Loop: Header=BB138_18 Depth=1
	s_mov_b32 s5, s80
	s_branch .LBB138_85
.LBB138_83:                             ;   in Loop: Header=BB138_18 Depth=1
                                        ; implicit-def: $sgpr6_sgpr7
	s_branch .LBB138_53
.LBB138_84:                             ;   in Loop: Header=BB138_18 Depth=1
	v_mov_b32_e32 v4, 0
	v_mov_b32_e32 v5, 0
	s_mov_b32 s5, 0
.LBB138_85:                             ;   in Loop: Header=BB138_18 Depth=1
	v_readlane_b32 s6, v46, 0
	v_readlane_b32 s7, v46, 1
	s_andn2_b64 vcc, exec, s[6:7]
	s_cbranch_vccnz .LBB138_88
; %bb.86:                               ;   in Loop: Header=BB138_18 Depth=1
	v_readlane_b32 s6, v46, 4
	s_lshl_b32 s6, s6, 9
	s_lshl_b32 s5, s5, 5
	s_add_i32 s6, s6, s5
	v_add_u32_e32 v2, s6, v29
	v_readlane_b32 s5, v47, 63
.LBB138_87:                             ;   Parent Loop BB138_18 Depth=1
                                        ; =>  This Inner Loop Header: Depth=2
	ds_read_b64 v[6:7], v2
	s_add_i32 s5, s5, -1
	v_add_u32_e32 v2, 32, v2
	s_cmp_lg_u32 s5, 0
	s_waitcnt lgkmcnt(0)
	v_add_co_u32_e32 v4, vcc, v6, v4
	v_addc_co_u32_e32 v5, vcc, v7, v5, vcc
	s_cbranch_scc1 .LBB138_87
.LBB138_88:                             ;   in Loop: Header=BB138_18 Depth=1
	v_add_lshl_u32 v2, s4, v26, 3
	ds_write_b64 v2, v[4:5] offset:3072
.LBB138_89:                             ;   in Loop: Header=BB138_18 Depth=1
	s_or_b64 exec, exec, s[2:3]
	s_lshl_b32 s2, s4, 3
	v_mov_b32_e32 v2, s2
	s_waitcnt lgkmcnt(0)
	s_barrier
	ds_read_b128 v[4:7], v2 offset:3072
	ds_read_b128 v[8:11], v2 offset:3088
	v_readlane_b32 s2, v47, 40
	s_lshl_b32 s72, 3, s81
	v_cmp_eq_u64_e64 s[18:19], 1, v[19:20]
	v_readlane_b32 s3, v47, 41
	s_waitcnt lgkmcnt(1)
	v_readfirstlane_b32 s23, v5
	v_readfirstlane_b32 s22, v4
	;; [unrolled: 1-line block ×4, first 2 shown]
	s_waitcnt lgkmcnt(0)
	v_readfirstlane_b32 s51, v9
	v_readfirstlane_b32 s50, v8
	;; [unrolled: 1-line block ×4, first 2 shown]
	s_not_b32 s73, s72
	s_mov_b64 s[36:37], -1
	s_mov_b64 s[24:25], 0
	s_andn2_b64 vcc, exec, s[2:3]
	s_mov_b64 s[58:59], 0
	s_mov_b64 s[56:57], 0
                                        ; implicit-def: $sgpr14_sgpr15
                                        ; implicit-def: $sgpr2_sgpr3
                                        ; implicit-def: $vgpr4_vgpr5
                                        ; implicit-def: $vgpr2
                                        ; implicit-def: $vgpr9
                                        ; implicit-def: $vgpr8
                                        ; implicit-def: $vgpr10
	s_cbranch_vccnz .LBB138_288
; %bb.90:                               ;   in Loop: Header=BB138_18 Depth=1
	s_cmp_eq_u64 s[22:23], 1
	s_cselect_b64 s[2:3], -1, 0
	s_and_b64 s[6:7], s[2:3], s[18:19]
	s_mov_b64 s[8:9], -1
	v_mov_b32_e32 v9, v28
	v_mov_b32_e32 v8, v32
	;; [unrolled: 1-line block ×3, first 2 shown]
                                        ; implicit-def: $sgpr2_sgpr3
                                        ; implicit-def: $sgpr14_sgpr15
	s_and_saveexec_b64 s[20:21], s[6:7]
	s_cbranch_execz .LBB138_128
; %bb.91:                               ;   in Loop: Header=BB138_18 Depth=1
	ds_read_b64 v[4:5], v3 offset:5120
	s_waitcnt lgkmcnt(0)
	s_barrier
	v_readfirstlane_b32 s10, v4
	v_readfirstlane_b32 s11, v5
	s_mov_b64 s[2:3], exec
	v_readlane_b32 s4, v47, 48
	v_readlane_b32 s5, v47, 49
	s_and_b64 s[4:5], s[2:3], s[4:5]
	s_mov_b64 exec, s[4:5]
; %bb.92:                               ;   in Loop: Header=BB138_18 Depth=1
	ds_write_b8 v0, v3 offset:3072
; %bb.93:                               ;   in Loop: Header=BB138_18 Depth=1
	s_or_b64 exec, exec, s[2:3]
	v_and_b32_e32 v9, s73, v28
	v_or_b32_e32 v8, s72, v32
	s_mov_b64 s[14:15], -1
	s_mov_b64 s[2:3], 0
	s_cmp_eq_u64 s[10:11], 0
	s_mov_b64 s[8:9], 0
	s_waitcnt lgkmcnt(0)
	s_barrier
                                        ; implicit-def: $vgpr10
	s_cbranch_scc1 .LBB138_110
; %bb.94:                               ;   in Loop: Header=BB138_18 Depth=1
	v_readlane_b32 s4, v47, 52
	s_add_u32 s36, s10, s4
	v_readlane_b32 s4, v47, 54
	s_addc_u32 s9, s11, s4
	s_mov_b32 s8, s71
	s_cmp_lg_u64 s[8:9], 0
	s_cbranch_scc0 .LBB138_113
; %bb.95:                               ;   in Loop: Header=BB138_18 Depth=1
	v_cvt_f32_u32_e32 v2, s33
	s_sub_u32 s8, 0, s33
	s_subb_u32 s12, 0, 0
	v_mac_f32_e32 v2, 0, v30
	v_rcp_f32_e32 v2, v2
	v_mul_f32_e32 v2, 0x5f7ffffc, v2
	v_mul_f32_e32 v4, 0x2f800000, v2
	v_trunc_f32_e32 v4, v4
	v_mac_f32_e32 v2, 0xcf800000, v4
	v_cvt_u32_f32_e32 v4, v4
	v_cvt_u32_f32_e32 v2, v2
	v_readfirstlane_b32 s13, v4
	v_readfirstlane_b32 s4, v2
	s_mul_i32 s5, s8, s13
	s_mul_hi_u32 s38, s8, s4
	s_mul_i32 s37, s12, s4
	s_add_i32 s5, s38, s5
	s_mul_i32 s39, s8, s4
	s_add_i32 s5, s5, s37
	s_mul_hi_u32 s38, s4, s39
	s_mul_i32 s40, s4, s5
	s_mul_hi_u32 s37, s4, s5
	s_add_u32 s38, s38, s40
	s_addc_u32 s37, 0, s37
	s_mul_hi_u32 s41, s13, s39
	s_mul_i32 s39, s13, s39
	s_add_u32 s38, s38, s39
	s_mul_hi_u32 s40, s13, s5
	s_addc_u32 s37, s37, s41
	s_addc_u32 s38, s40, 0
	s_mul_i32 s5, s13, s5
	s_add_u32 s5, s37, s5
	s_addc_u32 s37, 0, s38
	s_add_u32 s38, s4, s5
	s_cselect_b64 s[4:5], -1, 0
	s_cmp_lg_u64 s[4:5], 0
	s_addc_u32 s13, s13, s37
	s_mul_i32 s4, s8, s13
	s_mul_hi_u32 s5, s8, s38
	s_add_i32 s4, s5, s4
	s_mul_i32 s12, s12, s38
	s_add_i32 s4, s4, s12
	s_mul_i32 s8, s8, s38
	s_mul_hi_u32 s12, s13, s8
	s_mul_i32 s37, s13, s8
	s_mul_i32 s40, s38, s4
	s_mul_hi_u32 s8, s38, s8
	s_mul_hi_u32 s39, s38, s4
	s_add_u32 s8, s8, s40
	s_addc_u32 s39, 0, s39
	s_add_u32 s8, s8, s37
	s_mul_hi_u32 s5, s13, s4
	s_addc_u32 s8, s39, s12
	s_addc_u32 s5, s5, 0
	s_mul_i32 s4, s13, s4
	s_add_u32 s4, s8, s4
	s_addc_u32 s8, 0, s5
	s_add_u32 s12, s38, s4
	s_cselect_b64 s[4:5], -1, 0
	s_cmp_lg_u64 s[4:5], 0
	s_addc_u32 s4, s13, s8
	s_mul_i32 s8, s36, s4
	s_mul_hi_u32 s13, s36, s12
	s_mul_hi_u32 s5, s36, s4
	s_add_u32 s8, s13, s8
	s_addc_u32 s5, 0, s5
	s_mul_hi_u32 s37, s9, s12
	s_mul_i32 s12, s9, s12
	s_add_u32 s8, s8, s12
	s_mul_hi_u32 s13, s9, s4
	s_addc_u32 s5, s5, s37
	s_addc_u32 s8, s13, 0
	s_mul_i32 s4, s9, s4
	s_add_u32 s4, s5, s4
	s_addc_u32 s5, 0, s8
	s_mul_i32 s5, s33, s5
	s_mul_hi_u32 s8, s33, s4
	s_add_i32 s8, s8, s5
	s_mul_i32 s4, s33, s4
	s_sub_u32 s12, s36, s4
	s_cselect_b64 s[4:5], -1, 0
	s_cmp_lg_u64 s[4:5], 0
	s_subb_u32 s8, s9, s8
	s_sub_u32 s13, s12, s33
	s_cselect_b64 s[4:5], -1, 0
	s_cmp_lg_u64 s[4:5], 0
	s_subb_u32 s37, s8, 0
	;; [unrolled: 4-line block ×3, first 2 shown]
	s_cmp_ge_u32 s13, s33
	s_cselect_b32 s5, -1, 0
	s_cmp_eq_u32 s37, 0
	s_cselect_b32 s5, s5, -1
	s_cmp_lg_u32 s5, 0
	s_cselect_b32 s4, s4, s37
	s_cselect_b32 s5, s38, s13
	s_cmp_ge_u32 s12, s33
	s_cselect_b32 s13, -1, 0
	s_cmp_eq_u32 s8, 0
	s_cselect_b32 s13, s13, -1
	s_cmp_lg_u32 s13, 0
	s_cselect_b32 s13, s4, s8
	s_cselect_b32 s12, s5, s12
	s_cbranch_execnz .LBB138_97
.LBB138_96:                             ;   in Loop: Header=BB138_18 Depth=1
	v_cvt_f32_u32_e32 v2, s33
	s_sub_i32 s4, 0, s33
	s_mov_b32 s8, s70
	v_rcp_iflag_f32_e32 v2, v2
	v_mul_f32_e32 v2, 0x4f7ffffe, v2
	v_cvt_u32_f32_e32 v2, v2
	v_readfirstlane_b32 s5, v2
	s_mul_i32 s4, s4, s5
	s_mul_hi_u32 s4, s5, s4
	s_add_i32 s5, s5, s4
	s_mul_hi_u32 s4, s36, s5
	s_mul_i32 s4, s4, s33
	s_sub_i32 s4, s36, s4
	s_sub_i32 s5, s4, s33
	s_cmp_ge_u32 s4, s33
	s_cselect_b32 s4, s5, s4
	s_sub_i32 s5, s4, s33
	s_cmp_ge_u32 s4, s33
	s_cselect_b32 s70, s5, s4
	s_mov_b64 s[12:13], s[70:71]
	s_mov_b32 s70, s8
.LBB138_97:                             ;   in Loop: Header=BB138_18 Depth=1
	s_sub_u32 s40, s36, s12
	s_subb_u32 s41, s9, s13
	v_cmp_gt_u64_e32 vcc, s[40:41], v[0:1]
	s_mov_b64 s[36:37], 0
	s_mov_b64 s[8:9], 0
                                        ; implicit-def: $vgpr10
	s_and_saveexec_b64 s[38:39], vcc
	s_cbranch_execz .LBB138_109
; %bb.98:                               ;   in Loop: Header=BB138_18 Depth=1
	v_mov_b32_e32 v5, v1
	v_mov_b32_e32 v2, v0
	;; [unrolled: 1-line block ×3, first 2 shown]
                                        ; implicit-def: $sgpr12_sgpr13
	s_branch .LBB138_101
.LBB138_99:                             ;   in Loop: Header=BB138_101 Depth=2
	s_or_b64 exec, exec, s[4:5]
	s_waitcnt lgkmcnt(0)
	s_barrier
	ds_read_u16 v6, v3 offset:3072
	s_mov_b64 s[4:5], -1
	s_waitcnt lgkmcnt(0)
	s_barrier
	v_cmp_ne_u32_sdwa s[42:43], v6, v3 src0_sel:BYTE_0 src1_sel:DWORD
	s_and_b64 vcc, exec, s[42:43]
	s_mov_b64 s[42:43], -1
	s_cbranch_vccz .LBB138_104
.LBB138_100:                            ;   in Loop: Header=BB138_101 Depth=2
	s_and_b64 s[4:5], exec, s[4:5]
	s_or_b64 s[8:9], s[4:5], s[8:9]
	s_andn2_b64 s[4:5], s[12:13], exec
	s_and_b64 s[12:13], s[42:43], exec
	s_or_b64 s[12:13], s[4:5], s[12:13]
	s_andn2_b64 exec, exec, s[8:9]
	s_cbranch_execz .LBB138_108
.LBB138_101:                            ;   Parent Loop BB138_18 Depth=1
                                        ; =>  This Inner Loop Header: Depth=2
	v_cmp_gt_u64_e32 vcc, s[10:11], v[4:5]
	s_and_saveexec_b64 s[4:5], vcc
	s_cbranch_execz .LBB138_99
; %bb.102:                              ;   in Loop: Header=BB138_101 Depth=2
	ds_read_u8 v6, v2
	s_waitcnt lgkmcnt(0)
	v_add_u32_sdwa v7, sext(v6), s82 dst_sel:DWORD dst_unused:UNUSED_PAD src0_sel:BYTE_0 src1_sel:DWORD
	v_and_b32_e32 v7, v7, v8
	v_cmp_eq_u32_e32 vcc, v7, v9
	s_and_b64 exec, exec, vcc
	s_cbranch_execz .LBB138_99
; %bb.103:                              ;   in Loop: Header=BB138_101 Depth=2
	v_lshlrev_b16_e32 v6, 8, v6
	v_or_b32_e32 v6, 1, v6
	ds_write_b16 v3, v6 offset:3072
	s_branch .LBB138_99
.LBB138_104:                            ;   in Loop: Header=BB138_101 Depth=2
	v_add_co_u32_e32 v4, vcc, s33, v4
	v_addc_co_u32_e32 v5, vcc, 0, v5, vcc
	v_cmp_le_u64_e32 vcc, s[40:41], v[4:5]
	v_add_u32_e32 v2, s33, v2
	s_mov_b64 s[42:43], 0
	s_orn2_b64 s[4:5], vcc, exec
	s_branch .LBB138_100
.LBB138_105:                            ;   in Loop: Header=BB138_18 Depth=1
	s_or_b64 exec, exec, s[8:9]
	s_waitcnt lgkmcnt(0)
	s_barrier
	s_mov_b64 s[4:5], exec
	v_readlane_b32 s6, v47, 32
	v_readlane_b32 s7, v47, 33
	s_and_b64 s[6:7], s[4:5], s[6:7]
	s_mov_b64 exec, s[6:7]
	s_cbranch_execz .LBB138_107
; %bb.106:                              ;   in Loop: Header=BB138_18 Depth=1
	ds_read_b32 v4, v3 offset:5144
	s_waitcnt lgkmcnt(0)
	v_ashrrev_i32_e32 v5, 31, v4
	ds_write_b64 v3, v[4:5] offset:5120
.LBB138_107:                            ;   in Loop: Header=BB138_18 Depth=1
	s_or_b64 exec, exec, s[4:5]
	s_waitcnt lgkmcnt(0)
	s_barrier
	s_mov_b64 s[6:7], -1
	s_and_b64 vcc, exec, s[2:3]
	s_cbranch_vccnz .LBB138_33
	s_branch .LBB138_48
.LBB138_108:                            ;   in Loop: Header=BB138_18 Depth=1
	s_or_b64 exec, exec, s[8:9]
	v_lshrrev_b32_sdwa v10, v31, v6 dst_sel:DWORD dst_unused:UNUSED_PAD src0_sel:DWORD src1_sel:WORD_0
	s_and_b64 s[8:9], s[12:13], exec
.LBB138_109:                            ;   in Loop: Header=BB138_18 Depth=1
	s_or_b64 exec, exec, s[38:39]
.LBB138_110:                            ;   in Loop: Header=BB138_18 Depth=1
	s_and_b64 vcc, exec, s[36:37]
	s_cbranch_vccz .LBB138_127
; %bb.111:                              ;   in Loop: Header=BB138_18 Depth=1
	v_readlane_b32 s36, v47, 55
	v_readlane_b32 s37, v47, 56
	s_mov_b32 s36, s71
	s_cmp_lg_u64 s[36:37], 0
	v_writelane_b32 v47, s36, 55
	v_writelane_b32 v47, s37, 56
	s_cbranch_scc0 .LBB138_114
; %bb.112:                              ;   in Loop: Header=BB138_18 Depth=1
	v_cvt_f32_u32_e32 v2, s33
	s_sub_u32 s4, 0, s33
	s_subb_u32 s5, 0, 0
	v_mac_f32_e32 v2, 0, v30
	v_rcp_f32_e32 v2, v2
	v_mul_f32_e32 v2, 0x5f7ffffc, v2
	v_mul_f32_e32 v4, 0x2f800000, v2
	v_trunc_f32_e32 v4, v4
	v_mac_f32_e32 v2, 0xcf800000, v4
	v_cvt_u32_f32_e32 v4, v4
	v_cvt_u32_f32_e32 v2, v2
	v_readfirstlane_b32 s10, v4
	v_readfirstlane_b32 s2, v2
	s_mul_i32 s3, s4, s10
	s_mul_hi_u32 s12, s4, s2
	s_mul_i32 s11, s5, s2
	s_add_i32 s3, s12, s3
	s_mul_i32 s13, s4, s2
	s_add_i32 s3, s3, s11
	s_mul_hi_u32 s12, s2, s13
	s_mul_i32 s14, s2, s3
	s_mul_hi_u32 s11, s2, s3
	s_add_u32 s12, s12, s14
	s_addc_u32 s11, 0, s11
	s_mul_hi_u32 s15, s10, s13
	s_mul_i32 s13, s10, s13
	s_add_u32 s12, s12, s13
	s_mul_hi_u32 s14, s10, s3
	s_addc_u32 s11, s11, s15
	s_addc_u32 s12, s14, 0
	s_mul_i32 s3, s10, s3
	s_add_u32 s3, s11, s3
	s_addc_u32 s11, 0, s12
	s_add_u32 s12, s2, s3
	s_cselect_b64 s[2:3], -1, 0
	s_cmp_lg_u64 s[2:3], 0
	s_addc_u32 s10, s10, s11
	s_mul_i32 s2, s4, s10
	s_mul_hi_u32 s3, s4, s12
	s_add_i32 s2, s3, s2
	s_mul_i32 s5, s5, s12
	s_add_i32 s2, s2, s5
	s_mul_i32 s4, s4, s12
	s_mul_hi_u32 s5, s10, s4
	s_mul_i32 s11, s10, s4
	s_mul_i32 s14, s12, s2
	s_mul_hi_u32 s4, s12, s4
	s_mul_hi_u32 s13, s12, s2
	s_add_u32 s4, s4, s14
	s_addc_u32 s13, 0, s13
	s_add_u32 s4, s4, s11
	s_mul_hi_u32 s3, s10, s2
	s_addc_u32 s4, s13, s5
	s_addc_u32 s3, s3, 0
	s_mul_i32 s2, s10, s2
	s_add_u32 s2, s4, s2
	s_addc_u32 s4, 0, s3
	s_add_u32 s5, s12, s2
	s_cselect_b64 s[2:3], -1, 0
	s_cmp_lg_u64 s[2:3], 0
	s_addc_u32 s2, s10, s4
	v_readlane_b32 s13, v47, 53
	s_mul_i32 s4, s13, s2
	s_mul_hi_u32 s10, s13, s5
	s_mul_hi_u32 s3, s13, s2
	s_add_u32 s4, s10, s4
	s_addc_u32 s3, 0, s3
	s_mul_hi_u32 s11, s37, s5
	s_mul_i32 s5, s37, s5
	s_add_u32 s4, s4, s5
	s_mul_hi_u32 s10, s37, s2
	s_addc_u32 s3, s3, s11
	s_addc_u32 s4, s10, 0
	s_mul_i32 s2, s37, s2
	s_add_u32 s2, s3, s2
	s_addc_u32 s3, 0, s4
	s_mul_i32 s3, s33, s3
	s_mul_hi_u32 s4, s33, s2
	s_add_i32 s4, s4, s3
	s_mul_i32 s2, s33, s2
	s_sub_u32 s5, s13, s2
	s_cselect_b64 s[2:3], -1, 0
	s_cmp_lg_u64 s[2:3], 0
	s_subb_u32 s4, s37, s4
	s_sub_u32 s10, s5, s33
	s_cselect_b64 s[2:3], -1, 0
	s_cmp_lg_u64 s[2:3], 0
	s_subb_u32 s11, s4, 0
	;; [unrolled: 4-line block ×3, first 2 shown]
	s_cmp_ge_u32 s10, s33
	s_cselect_b32 s3, -1, 0
	s_cmp_eq_u32 s11, 0
	s_cselect_b32 s3, s3, -1
	s_cmp_lg_u32 s3, 0
	s_cselect_b32 s2, s2, s11
	s_cselect_b32 s10, s12, s10
	s_cmp_ge_u32 s5, s33
	s_cselect_b32 s3, -1, 0
	s_cmp_eq_u32 s4, 0
	s_cselect_b32 s3, s3, -1
	s_cmp_lg_u32 s3, 0
	s_cselect_b32 s3, s2, s4
	s_cselect_b32 s2, s10, s5
	s_mov_b64 s[4:5], 0
	s_branch .LBB138_115
.LBB138_113:                            ;   in Loop: Header=BB138_18 Depth=1
                                        ; implicit-def: $sgpr12_sgpr13
	s_branch .LBB138_96
.LBB138_114:                            ;   in Loop: Header=BB138_18 Depth=1
	s_mov_b64 s[4:5], -1
	v_readlane_b32 s13, v47, 53
                                        ; implicit-def: $sgpr2_sgpr3
.LBB138_115:                            ;   in Loop: Header=BB138_18 Depth=1
	s_andn2_b64 vcc, exec, s[4:5]
	v_readlane_b32 s70, v46, 5
	s_cbranch_vccnz .LBB138_117
; %bb.116:                              ;   in Loop: Header=BB138_18 Depth=1
	v_cvt_f32_u32_e32 v2, s33
	s_sub_i32 s2, 0, s33
	s_mov_b32 s4, s70
	v_rcp_iflag_f32_e32 v2, v2
	v_mul_f32_e32 v2, 0x4f7ffffe, v2
	v_cvt_u32_f32_e32 v2, v2
	v_readfirstlane_b32 s3, v2
	s_mul_i32 s2, s2, s3
	s_mul_hi_u32 s2, s3, s2
	s_add_i32 s3, s3, s2
	s_mul_hi_u32 s2, s13, s3
	s_mul_i32 s2, s2, s33
	s_sub_i32 s2, s13, s2
	s_sub_i32 s3, s2, s33
	s_cmp_ge_u32 s2, s33
	s_cselect_b32 s2, s3, s2
	s_sub_i32 s3, s2, s33
	s_cmp_ge_u32 s2, s33
	s_cselect_b32 s70, s3, s2
	s_mov_b64 s[2:3], s[70:71]
	s_mov_b32 s70, s4
.LBB138_117:                            ;   in Loop: Header=BB138_18 Depth=1
	v_readlane_b32 s4, v47, 55
	s_sub_u32 s10, s13, s2
	v_readlane_b32 s5, v47, 56
	s_subb_u32 s11, s5, s3
	v_cmp_gt_u64_e32 vcc, s[10:11], v[0:1]
                                        ; implicit-def: $vgpr10
	s_and_saveexec_b64 s[2:3], vcc
	s_cbranch_execz .LBB138_126
; %bb.118:                              ;   in Loop: Header=BB138_18 Depth=1
	v_mov_b32_e32 v5, v1
	s_mov_b64 s[14:15], 0
	v_mov_b32_e32 v4, v0
                                        ; implicit-def: $sgpr36_sgpr37
	s_branch .LBB138_121
.LBB138_119:                            ;   in Loop: Header=BB138_121 Depth=2
	s_or_b64 exec, exec, s[12:13]
	s_waitcnt lgkmcnt(0)
	s_barrier
	ds_read_u16 v2, v3 offset:3072
	s_mov_b64 s[4:5], -1
	s_waitcnt lgkmcnt(0)
	s_barrier
	v_cmp_ne_u32_sdwa s[12:13], v2, v3 src0_sel:BYTE_0 src1_sel:DWORD
	s_and_b64 vcc, exec, s[12:13]
	s_mov_b64 s[12:13], -1
	s_cbranch_vccz .LBB138_124
.LBB138_120:                            ;   in Loop: Header=BB138_121 Depth=2
	s_and_b64 s[4:5], exec, s[4:5]
	s_or_b64 s[14:15], s[4:5], s[14:15]
	s_andn2_b64 s[4:5], s[36:37], exec
	s_and_b64 s[12:13], s[12:13], exec
	s_or_b64 s[36:37], s[4:5], s[12:13]
	s_andn2_b64 exec, exec, s[14:15]
	s_cbranch_execz .LBB138_125
.LBB138_121:                            ;   Parent Loop BB138_18 Depth=1
                                        ; =>  This Inner Loop Header: Depth=2
	v_cmp_gt_u64_e32 vcc, s[28:29], v[4:5]
	s_and_saveexec_b64 s[12:13], vcc
	s_cbranch_execz .LBB138_119
; %bb.122:                              ;   in Loop: Header=BB138_121 Depth=2
	v_mov_b32_e32 v6, s34
	v_mov_b32_e32 v7, s35
	v_mad_u64_u32 v[6:7], s[4:5], v4, s26, v[6:7]
	v_mul_lo_u32 v2, v4, s27
	v_mul_lo_u32 v10, v5, s26
	v_add3_u32 v7, v10, v7, v2
	global_load_ubyte v2, v[6:7], off
	s_waitcnt vmcnt(0)
	v_add_u32_sdwa v6, sext(v2), s82 dst_sel:DWORD dst_unused:UNUSED_PAD src0_sel:BYTE_0 src1_sel:DWORD
	v_and_b32_e32 v6, v6, v8
	v_cmp_eq_u32_e32 vcc, v6, v9
	s_and_b64 exec, exec, vcc
	s_cbranch_execz .LBB138_119
; %bb.123:                              ;   in Loop: Header=BB138_121 Depth=2
	v_lshlrev_b16_e32 v2, 8, v2
	v_or_b32_e32 v2, 1, v2
	ds_write_b16 v3, v2 offset:3072
	s_branch .LBB138_119
.LBB138_124:                            ;   in Loop: Header=BB138_121 Depth=2
	v_add_co_u32_e32 v4, vcc, s33, v4
	v_addc_co_u32_e32 v5, vcc, 0, v5, vcc
	v_cmp_le_u64_e32 vcc, s[10:11], v[4:5]
	s_mov_b64 s[12:13], 0
	s_orn2_b64 s[4:5], vcc, exec
	s_branch .LBB138_120
.LBB138_125:                            ;   in Loop: Header=BB138_18 Depth=1
	s_or_b64 exec, exec, s[14:15]
	s_andn2_b64 s[4:5], s[8:9], exec
	s_and_b64 s[8:9], s[36:37], exec
	v_lshrrev_b32_sdwa v10, v31, v2 dst_sel:DWORD dst_unused:UNUSED_PAD src0_sel:DWORD src1_sel:WORD_0
	s_or_b64 s[8:9], s[4:5], s[8:9]
.LBB138_126:                            ;   in Loop: Header=BB138_18 Depth=1
	s_or_b64 exec, exec, s[2:3]
	s_mov_b64 s[14:15], 0
	s_mov_b64 s[2:3], -1
.LBB138_127:                            ;   in Loop: Header=BB138_18 Depth=1
	s_orn2_b64 s[8:9], s[8:9], exec
.LBB138_128:                            ;   in Loop: Header=BB138_18 Depth=1
	s_or_b64 exec, exec, s[20:21]
	s_mov_b64 s[36:37], 0
	s_mov_b64 s[58:59], 0
	;; [unrolled: 1-line block ×3, first 2 shown]
                                        ; implicit-def: $vgpr4_vgpr5
                                        ; implicit-def: $vgpr2
	s_and_saveexec_b64 s[38:39], s[8:9]
	s_cbranch_execz .LBB138_287
; %bb.129:                              ;   in Loop: Header=BB138_18 Depth=1
	v_mov_b32_e32 v4, 1
	s_xor_b64 s[4:5], s[6:7], -1
	v_mov_b32_e32 v2, 1
	v_mov_b32_e32 v5, 0
	s_mov_b64 s[10:11], 0
	s_and_saveexec_b64 s[6:7], s[4:5]
	s_cbranch_execz .LBB138_138
; %bb.130:                              ;   in Loop: Header=BB138_18 Depth=1
	v_cmp_ge_u64_e32 vcc, s[22:23], v[19:20]
	s_and_saveexec_b64 s[4:5], vcc
	s_xor_b64 s[8:9], exec, s[4:5]
	s_cbranch_execz .LBB138_135
; %bb.131:                              ;   in Loop: Header=BB138_18 Depth=1
	ds_read_b64 v[4:5], v3 offset:5120
	v_and_b32_e32 v9, s73, v9
	v_or_b32_e32 v8, s72, v8
	s_waitcnt lgkmcnt(0)
	v_cmp_ne_u64_e32 vcc, 0, v[4:5]
	s_cbranch_vccnz .LBB138_135
; %bb.132:                              ;   in Loop: Header=BB138_18 Depth=1
	s_mov_b64 s[4:5], exec
	v_readlane_b32 s10, v47, 32
	v_readlane_b32 s11, v47, 33
	s_and_b64 s[10:11], s[4:5], s[10:11]
	s_mov_b64 exec, s[10:11]
; %bb.133:                              ;   in Loop: Header=BB138_18 Depth=1
	v_mov_b32_e32 v4, s22
	v_mov_b32_e32 v5, s23
	ds_write_b64 v3, v[4:5] offset:5128
; %bb.134:                              ;   in Loop: Header=BB138_18 Depth=1
	s_or_b64 exec, exec, s[4:5]
	s_waitcnt lgkmcnt(0)
	s_barrier
.LBB138_135:                            ;   in Loop: Header=BB138_18 Depth=1
	s_or_saveexec_b64 s[8:9], s[8:9]
	v_mov_b32_e32 v4, v19
	s_mov_b64 s[10:11], 0
	v_mov_b32_e32 v2, 8
	v_mov_b32_e32 v5, v20
	s_xor_b64 exec, exec, s[8:9]
; %bb.136:                              ;   in Loop: Header=BB138_18 Depth=1
	v_subrev_co_u32_e32 v4, vcc, s22, v19
	v_mov_b32_e32 v2, s23
	v_subb_co_u32_e32 v5, vcc, v20, v2, vcc
	v_mov_b32_e32 v2, 0
	s_mov_b64 s[10:11], exec
; %bb.137:                              ;   in Loop: Header=BB138_18 Depth=1
	s_or_b64 exec, exec, s[8:9]
	s_and_b64 s[10:11], s[10:11], exec
.LBB138_138:                            ;   in Loop: Header=BB138_18 Depth=1
	s_or_b64 exec, exec, s[6:7]
	s_mov_b64 s[8:9], -1
                                        ; implicit-def: $sgpr56_sgpr57
                                        ; implicit-def: $sgpr58_sgpr59
	s_and_saveexec_b64 s[4:5], s[10:11]
	s_xor_b64 s[6:7], exec, s[4:5]
	s_cbranch_execz .LBB138_284
; %bb.139:                              ;   in Loop: Header=BB138_18 Depth=1
	s_cmp_eq_u64 s[48:49], 1
	v_cmp_eq_u64_e32 vcc, 1, v[4:5]
	s_cselect_b64 s[4:5], -1, 0
	s_and_b64 s[20:21], s[4:5], vcc
                                        ; implicit-def: $sgpr58_sgpr59
                                        ; implicit-def: $sgpr56_sgpr57
	s_and_saveexec_b64 s[40:41], s[20:21]
	s_cbranch_execz .LBB138_174
; %bb.140:                              ;   in Loop: Header=BB138_18 Depth=1
	ds_read_b64 v[6:7], v3 offset:5120
	s_waitcnt lgkmcnt(0)
	s_barrier
	v_readfirstlane_b32 s10, v6
	v_readfirstlane_b32 s11, v7
	s_mov_b64 s[4:5], exec
	v_readlane_b32 s8, v47, 48
	v_readlane_b32 s9, v47, 49
	s_and_b64 s[8:9], s[4:5], s[8:9]
	s_mov_b64 exec, s[8:9]
; %bb.141:                              ;   in Loop: Header=BB138_18 Depth=1
	ds_write_b8 v0, v3 offset:3072
; %bb.142:                              ;   in Loop: Header=BB138_18 Depth=1
	s_or_b64 exec, exec, s[4:5]
	v_and_b32_e32 v6, s73, v9
	v_lshl_or_b32 v9, 1, s81, v6
	v_or_b32_e32 v8, s72, v8
	s_mov_b64 s[56:57], -1
	s_mov_b64 s[58:59], 0
	s_cmp_eq_u64 s[10:11], 0
	s_mov_b64 s[8:9], 0
	s_mov_b64 s[42:43], -1
	s_waitcnt lgkmcnt(0)
	s_barrier
                                        ; implicit-def: $vgpr10
	s_cbranch_scc1 .LBB138_156
; %bb.143:                              ;   in Loop: Header=BB138_18 Depth=1
	v_readlane_b32 s4, v47, 52
	s_add_u32 s42, s10, s4
	v_readlane_b32 s4, v47, 54
	s_addc_u32 s9, s11, s4
	s_mov_b32 s8, s71
	s_cmp_lg_u64 s[8:9], 0
	s_cbranch_scc0 .LBB138_159
; %bb.144:                              ;   in Loop: Header=BB138_18 Depth=1
	v_cvt_f32_u32_e32 v6, s33
	s_sub_u32 s8, 0, s33
	s_subb_u32 s12, 0, 0
	v_mac_f32_e32 v6, 0, v30
	v_rcp_f32_e32 v6, v6
	v_mul_f32_e32 v6, 0x5f7ffffc, v6
	v_mul_f32_e32 v7, 0x2f800000, v6
	v_trunc_f32_e32 v7, v7
	v_mac_f32_e32 v6, 0xcf800000, v7
	v_cvt_u32_f32_e32 v7, v7
	v_cvt_u32_f32_e32 v6, v6
	v_readfirstlane_b32 s13, v7
	v_readfirstlane_b32 s4, v6
	s_mul_i32 s5, s8, s13
	s_mul_hi_u32 s52, s8, s4
	s_mul_i32 s43, s12, s4
	s_add_i32 s5, s52, s5
	s_mul_i32 s53, s8, s4
	s_add_i32 s5, s5, s43
	s_mul_hi_u32 s52, s4, s53
	s_mul_i32 s54, s4, s5
	s_mul_hi_u32 s43, s4, s5
	s_add_u32 s52, s52, s54
	s_addc_u32 s43, 0, s43
	s_mul_hi_u32 s55, s13, s53
	s_mul_i32 s53, s13, s53
	s_add_u32 s52, s52, s53
	s_mul_hi_u32 s54, s13, s5
	s_addc_u32 s43, s43, s55
	s_addc_u32 s52, s54, 0
	s_mul_i32 s5, s13, s5
	s_add_u32 s5, s43, s5
	s_addc_u32 s43, 0, s52
	s_add_u32 s52, s4, s5
	s_cselect_b64 s[4:5], -1, 0
	s_cmp_lg_u64 s[4:5], 0
	s_addc_u32 s13, s13, s43
	s_mul_i32 s4, s8, s13
	s_mul_hi_u32 s5, s8, s52
	s_add_i32 s4, s5, s4
	s_mul_i32 s12, s12, s52
	s_add_i32 s4, s4, s12
	s_mul_i32 s8, s8, s52
	s_mul_hi_u32 s12, s13, s8
	s_mul_i32 s43, s13, s8
	s_mul_i32 s54, s52, s4
	s_mul_hi_u32 s8, s52, s8
	s_mul_hi_u32 s53, s52, s4
	s_add_u32 s8, s8, s54
	s_addc_u32 s53, 0, s53
	s_add_u32 s8, s8, s43
	s_mul_hi_u32 s5, s13, s4
	s_addc_u32 s8, s53, s12
	s_addc_u32 s5, s5, 0
	s_mul_i32 s4, s13, s4
	s_add_u32 s4, s8, s4
	s_addc_u32 s8, 0, s5
	s_add_u32 s12, s52, s4
	s_cselect_b64 s[4:5], -1, 0
	s_cmp_lg_u64 s[4:5], 0
	s_addc_u32 s4, s13, s8
	s_mul_i32 s8, s42, s4
	s_mul_hi_u32 s13, s42, s12
	s_mul_hi_u32 s5, s42, s4
	s_add_u32 s8, s13, s8
	s_addc_u32 s5, 0, s5
	s_mul_hi_u32 s43, s9, s12
	s_mul_i32 s12, s9, s12
	s_add_u32 s8, s8, s12
	s_mul_hi_u32 s13, s9, s4
	s_addc_u32 s5, s5, s43
	s_addc_u32 s8, s13, 0
	s_mul_i32 s4, s9, s4
	s_add_u32 s4, s5, s4
	s_addc_u32 s5, 0, s8
	s_mul_i32 s5, s33, s5
	s_mul_hi_u32 s8, s33, s4
	s_add_i32 s8, s8, s5
	s_mul_i32 s4, s33, s4
	s_sub_u32 s12, s42, s4
	s_cselect_b64 s[4:5], -1, 0
	s_cmp_lg_u64 s[4:5], 0
	s_subb_u32 s8, s9, s8
	s_sub_u32 s13, s12, s33
	s_cselect_b64 s[4:5], -1, 0
	s_cmp_lg_u64 s[4:5], 0
	s_subb_u32 s43, s8, 0
	;; [unrolled: 4-line block ×3, first 2 shown]
	s_cmp_ge_u32 s13, s33
	s_cselect_b32 s5, -1, 0
	s_cmp_eq_u32 s43, 0
	s_cselect_b32 s5, s5, -1
	s_cmp_lg_u32 s5, 0
	s_cselect_b32 s4, s4, s43
	s_cselect_b32 s5, s52, s13
	s_cmp_ge_u32 s12, s33
	s_cselect_b32 s13, -1, 0
	s_cmp_eq_u32 s8, 0
	s_cselect_b32 s13, s13, -1
	s_cmp_lg_u32 s13, 0
	s_cselect_b32 s13, s4, s8
	s_cselect_b32 s12, s5, s12
	s_cbranch_execnz .LBB138_146
.LBB138_145:                            ;   in Loop: Header=BB138_18 Depth=1
	v_cvt_f32_u32_e32 v6, s33
	s_sub_i32 s4, 0, s33
	s_mov_b32 s8, s70
	v_rcp_iflag_f32_e32 v6, v6
	v_mul_f32_e32 v6, 0x4f7ffffe, v6
	v_cvt_u32_f32_e32 v6, v6
	v_readfirstlane_b32 s5, v6
	s_mul_i32 s4, s4, s5
	s_mul_hi_u32 s4, s5, s4
	s_add_i32 s5, s5, s4
	s_mul_hi_u32 s4, s42, s5
	s_mul_i32 s4, s4, s33
	s_sub_i32 s4, s42, s4
	s_sub_i32 s5, s4, s33
	s_cmp_ge_u32 s4, s33
	s_cselect_b32 s4, s5, s4
	s_sub_i32 s5, s4, s33
	s_cmp_ge_u32 s4, s33
	s_cselect_b32 s70, s5, s4
	s_mov_b64 s[12:13], s[70:71]
	s_mov_b32 s70, s8
.LBB138_146:                            ;   in Loop: Header=BB138_18 Depth=1
	s_sub_u32 s54, s42, s12
	s_subb_u32 s55, s9, s13
	v_cmp_gt_u64_e32 vcc, s[54:55], v[0:1]
	s_mov_b64 s[42:43], 0
	s_mov_b64 s[8:9], 0
                                        ; implicit-def: $vgpr10
	s_and_saveexec_b64 s[52:53], vcc
	s_cbranch_execz .LBB138_155
; %bb.147:                              ;   in Loop: Header=BB138_18 Depth=1
	v_mov_b32_e32 v7, v1
	v_mov_b32_e32 v10, v0
	;; [unrolled: 1-line block ×3, first 2 shown]
                                        ; implicit-def: $sgpr60_sgpr61
	s_branch .LBB138_150
.LBB138_148:                            ;   in Loop: Header=BB138_150 Depth=2
	s_or_b64 exec, exec, s[12:13]
	s_waitcnt lgkmcnt(0)
	s_barrier
	ds_read_u16 v11, v3 offset:3072
	s_mov_b64 s[4:5], -1
	s_waitcnt lgkmcnt(0)
	s_barrier
	v_cmp_ne_u32_sdwa s[12:13], v11, v3 src0_sel:BYTE_0 src1_sel:DWORD
	s_and_b64 vcc, exec, s[12:13]
	s_mov_b64 s[12:13], -1
	s_cbranch_vccz .LBB138_153
.LBB138_149:                            ;   in Loop: Header=BB138_150 Depth=2
	s_and_b64 s[4:5], exec, s[4:5]
	s_or_b64 s[8:9], s[4:5], s[8:9]
	s_andn2_b64 s[4:5], s[60:61], exec
	s_and_b64 s[12:13], s[12:13], exec
	s_or_b64 s[60:61], s[4:5], s[12:13]
	s_andn2_b64 exec, exec, s[8:9]
	s_cbranch_execz .LBB138_154
.LBB138_150:                            ;   Parent Loop BB138_18 Depth=1
                                        ; =>  This Inner Loop Header: Depth=2
	v_cmp_gt_u64_e32 vcc, s[10:11], v[6:7]
	s_and_saveexec_b64 s[12:13], vcc
	s_cbranch_execz .LBB138_148
; %bb.151:                              ;   in Loop: Header=BB138_150 Depth=2
	ds_read_u8 v11, v10
	s_waitcnt lgkmcnt(0)
	v_add_u32_sdwa v21, sext(v11), s82 dst_sel:DWORD dst_unused:UNUSED_PAD src0_sel:BYTE_0 src1_sel:DWORD
	v_and_b32_e32 v21, v21, v8
	v_cmp_eq_u32_e32 vcc, v21, v9
	s_and_b64 exec, exec, vcc
	s_cbranch_execz .LBB138_148
; %bb.152:                              ;   in Loop: Header=BB138_150 Depth=2
	v_lshlrev_b16_e32 v11, 8, v11
	v_or_b32_e32 v11, 1, v11
	ds_write_b16 v3, v11 offset:3072
	s_branch .LBB138_148
.LBB138_153:                            ;   in Loop: Header=BB138_150 Depth=2
	v_add_co_u32_e32 v6, vcc, s33, v6
	v_addc_co_u32_e32 v7, vcc, 0, v7, vcc
	v_cmp_le_u64_e32 vcc, s[54:55], v[6:7]
	v_add_u32_e32 v10, s33, v10
	s_mov_b64 s[12:13], 0
	s_orn2_b64 s[4:5], vcc, exec
	s_branch .LBB138_149
.LBB138_154:                            ;   in Loop: Header=BB138_18 Depth=1
	s_or_b64 exec, exec, s[8:9]
	v_lshrrev_b32_sdwa v10, v31, v11 dst_sel:DWORD dst_unused:UNUSED_PAD src0_sel:DWORD src1_sel:WORD_0
	s_and_b64 s[8:9], s[60:61], exec
.LBB138_155:                            ;   in Loop: Header=BB138_18 Depth=1
	s_or_b64 exec, exec, s[52:53]
.LBB138_156:                            ;   in Loop: Header=BB138_18 Depth=1
	s_and_b64 vcc, exec, s[42:43]
	s_cbranch_vccz .LBB138_173
; %bb.157:                              ;   in Loop: Header=BB138_18 Depth=1
	v_readlane_b32 s54, v47, 55
	v_readlane_b32 s55, v47, 56
	s_mov_b32 s54, s71
	s_cmp_lg_u64 s[54:55], 0
	v_writelane_b32 v47, s54, 55
	v_writelane_b32 v47, s55, 56
	s_cbranch_scc0 .LBB138_160
; %bb.158:                              ;   in Loop: Header=BB138_18 Depth=1
	v_cvt_f32_u32_e32 v6, s33
	s_sub_u32 s10, 0, s33
	s_subb_u32 s11, 0, 0
	v_mac_f32_e32 v6, 0, v30
	v_rcp_f32_e32 v6, v6
	v_mul_f32_e32 v6, 0x5f7ffffc, v6
	v_mul_f32_e32 v7, 0x2f800000, v6
	v_trunc_f32_e32 v7, v7
	v_mac_f32_e32 v6, 0xcf800000, v7
	v_cvt_u32_f32_e32 v7, v7
	v_cvt_u32_f32_e32 v6, v6
	v_readfirstlane_b32 s12, v7
	v_readfirstlane_b32 s4, v6
	s_mul_i32 s5, s10, s12
	s_mul_hi_u32 s42, s10, s4
	s_mul_i32 s13, s11, s4
	s_add_i32 s5, s42, s5
	s_mul_i32 s43, s10, s4
	s_add_i32 s5, s5, s13
	s_mul_hi_u32 s42, s4, s43
	s_mul_i32 s52, s4, s5
	s_mul_hi_u32 s13, s4, s5
	s_add_u32 s42, s42, s52
	s_addc_u32 s13, 0, s13
	s_mul_hi_u32 s53, s12, s43
	s_mul_i32 s43, s12, s43
	s_add_u32 s42, s42, s43
	s_mul_hi_u32 s52, s12, s5
	s_addc_u32 s13, s13, s53
	s_addc_u32 s42, s52, 0
	s_mul_i32 s5, s12, s5
	s_add_u32 s5, s13, s5
	s_addc_u32 s13, 0, s42
	s_add_u32 s42, s4, s5
	s_cselect_b64 s[4:5], -1, 0
	s_cmp_lg_u64 s[4:5], 0
	s_addc_u32 s12, s12, s13
	s_mul_i32 s4, s10, s12
	s_mul_hi_u32 s5, s10, s42
	s_add_i32 s4, s5, s4
	s_mul_i32 s11, s11, s42
	s_add_i32 s4, s4, s11
	s_mul_i32 s10, s10, s42
	s_mul_hi_u32 s11, s12, s10
	s_mul_i32 s13, s12, s10
	s_mul_i32 s52, s42, s4
	s_mul_hi_u32 s10, s42, s10
	s_mul_hi_u32 s43, s42, s4
	s_add_u32 s10, s10, s52
	s_addc_u32 s43, 0, s43
	s_add_u32 s10, s10, s13
	s_mul_hi_u32 s5, s12, s4
	s_addc_u32 s10, s43, s11
	s_addc_u32 s5, s5, 0
	s_mul_i32 s4, s12, s4
	s_add_u32 s4, s10, s4
	s_addc_u32 s10, 0, s5
	s_add_u32 s11, s42, s4
	s_cselect_b64 s[4:5], -1, 0
	s_cmp_lg_u64 s[4:5], 0
	s_addc_u32 s4, s12, s10
	v_readlane_b32 s43, v47, 53
	s_mul_i32 s10, s43, s4
	s_mul_hi_u32 s12, s43, s11
	s_mul_hi_u32 s5, s43, s4
	s_add_u32 s10, s12, s10
	s_addc_u32 s5, 0, s5
	s_mul_hi_u32 s13, s55, s11
	s_mul_i32 s11, s55, s11
	s_add_u32 s10, s10, s11
	s_mul_hi_u32 s12, s55, s4
	s_addc_u32 s5, s5, s13
	s_addc_u32 s10, s12, 0
	s_mul_i32 s4, s55, s4
	s_add_u32 s4, s5, s4
	s_addc_u32 s5, 0, s10
	s_mul_i32 s5, s33, s5
	s_mul_hi_u32 s10, s33, s4
	s_add_i32 s10, s10, s5
	s_mul_i32 s4, s33, s4
	s_sub_u32 s12, s43, s4
	s_cselect_b64 s[4:5], -1, 0
	s_cmp_lg_u64 s[4:5], 0
	s_subb_u32 s10, s55, s10
	s_sub_u32 s11, s12, s33
	s_cselect_b64 s[4:5], -1, 0
	s_cmp_lg_u64 s[4:5], 0
	s_subb_u32 s13, s10, 0
	;; [unrolled: 4-line block ×3, first 2 shown]
	s_cmp_ge_u32 s11, s33
	s_cselect_b32 s5, -1, 0
	s_cmp_eq_u32 s13, 0
	s_cselect_b32 s5, s5, -1
	s_cmp_lg_u32 s5, 0
	s_cselect_b32 s4, s4, s13
	s_cselect_b32 s5, s42, s11
	s_cmp_ge_u32 s12, s33
	s_cselect_b32 s11, -1, 0
	s_cmp_eq_u32 s10, 0
	s_cselect_b32 s11, s11, -1
	s_cmp_lg_u32 s11, 0
	s_cselect_b32 s11, s4, s10
	s_cselect_b32 s10, s5, s12
	s_mov_b64 s[4:5], 0
	s_branch .LBB138_161
.LBB138_159:                            ;   in Loop: Header=BB138_18 Depth=1
                                        ; implicit-def: $sgpr12_sgpr13
	s_branch .LBB138_145
.LBB138_160:                            ;   in Loop: Header=BB138_18 Depth=1
	s_mov_b64 s[4:5], -1
	v_readlane_b32 s43, v47, 53
                                        ; implicit-def: $sgpr10_sgpr11
.LBB138_161:                            ;   in Loop: Header=BB138_18 Depth=1
	s_andn2_b64 vcc, exec, s[4:5]
	v_readlane_b32 s70, v46, 5
	s_cbranch_vccnz .LBB138_163
; %bb.162:                              ;   in Loop: Header=BB138_18 Depth=1
	v_cvt_f32_u32_e32 v6, s33
	s_sub_i32 s4, 0, s33
	s_mov_b32 s12, s70
	v_rcp_iflag_f32_e32 v6, v6
	v_mul_f32_e32 v6, 0x4f7ffffe, v6
	v_cvt_u32_f32_e32 v6, v6
	v_readfirstlane_b32 s5, v6
	s_mul_i32 s4, s4, s5
	s_mul_hi_u32 s4, s5, s4
	s_add_i32 s5, s5, s4
	s_mul_hi_u32 s4, s43, s5
	s_mul_i32 s4, s4, s33
	s_sub_i32 s4, s43, s4
	s_sub_i32 s5, s4, s33
	s_cmp_ge_u32 s4, s33
	s_cselect_b32 s4, s5, s4
	s_sub_i32 s5, s4, s33
	s_cmp_ge_u32 s4, s33
	s_cselect_b32 s70, s5, s4
	s_mov_b64 s[10:11], s[70:71]
	s_mov_b32 s70, s12
.LBB138_163:                            ;   in Loop: Header=BB138_18 Depth=1
	v_readlane_b32 s4, v47, 55
	s_sub_u32 s42, s43, s10
	v_readlane_b32 s5, v47, 56
	s_subb_u32 s43, s5, s11
	v_cmp_gt_u64_e32 vcc, s[42:43], v[0:1]
                                        ; implicit-def: $vgpr10
	s_and_saveexec_b64 s[10:11], vcc
	s_cbranch_execz .LBB138_172
; %bb.164:                              ;   in Loop: Header=BB138_18 Depth=1
	v_mov_b32_e32 v7, v1
	s_mov_b64 s[52:53], 0
	v_mov_b32_e32 v6, v0
                                        ; implicit-def: $sgpr54_sgpr55
	s_branch .LBB138_167
.LBB138_165:                            ;   in Loop: Header=BB138_167 Depth=2
	s_or_b64 exec, exec, s[12:13]
	s_waitcnt lgkmcnt(0)
	s_barrier
	ds_read_u16 v10, v3 offset:3072
	s_mov_b64 s[4:5], -1
	s_waitcnt lgkmcnt(0)
	s_barrier
	v_cmp_eq_u32_sdwa s[12:13], v10, v3 src0_sel:BYTE_0 src1_sel:DWORD
	s_and_b64 vcc, exec, s[12:13]
	s_mov_b64 s[12:13], -1
	s_cbranch_vccnz .LBB138_170
.LBB138_166:                            ;   in Loop: Header=BB138_167 Depth=2
	s_and_b64 s[4:5], exec, s[4:5]
	s_or_b64 s[52:53], s[4:5], s[52:53]
	s_andn2_b64 s[4:5], s[54:55], exec
	s_and_b64 s[12:13], s[12:13], exec
	s_or_b64 s[54:55], s[4:5], s[12:13]
	s_andn2_b64 exec, exec, s[52:53]
	s_cbranch_execz .LBB138_171
.LBB138_167:                            ;   Parent Loop BB138_18 Depth=1
                                        ; =>  This Inner Loop Header: Depth=2
	v_cmp_gt_u64_e32 vcc, s[28:29], v[6:7]
	s_and_saveexec_b64 s[12:13], vcc
	s_cbranch_execz .LBB138_165
; %bb.168:                              ;   in Loop: Header=BB138_167 Depth=2
	v_mov_b32_e32 v10, s34
	v_mov_b32_e32 v11, s35
	v_mad_u64_u32 v[10:11], s[4:5], v6, s26, v[10:11]
	v_mul_lo_u32 v21, v6, s27
	v_mul_lo_u32 v22, v7, s26
	v_add3_u32 v11, v22, v11, v21
	global_load_ubyte v10, v[10:11], off
	s_waitcnt vmcnt(0)
	v_add_u32_sdwa v11, sext(v10), s82 dst_sel:DWORD dst_unused:UNUSED_PAD src0_sel:BYTE_0 src1_sel:DWORD
	v_and_b32_e32 v11, v11, v8
	v_cmp_eq_u32_e32 vcc, v11, v9
	s_and_b64 exec, exec, vcc
	s_cbranch_execz .LBB138_165
; %bb.169:                              ;   in Loop: Header=BB138_167 Depth=2
	v_lshlrev_b16_e32 v10, 8, v10
	v_or_b32_e32 v10, 1, v10
	ds_write_b16 v3, v10 offset:3072
	s_branch .LBB138_165
.LBB138_170:                            ;   in Loop: Header=BB138_167 Depth=2
	v_add_co_u32_e32 v6, vcc, s33, v6
	v_addc_co_u32_e32 v7, vcc, 0, v7, vcc
	v_cmp_le_u64_e32 vcc, s[42:43], v[6:7]
	s_mov_b64 s[12:13], 0
	s_orn2_b64 s[4:5], vcc, exec
	s_branch .LBB138_166
.LBB138_171:                            ;   in Loop: Header=BB138_18 Depth=1
	s_or_b64 exec, exec, s[52:53]
	s_andn2_b64 s[4:5], s[8:9], exec
	s_and_b64 s[8:9], s[54:55], exec
	v_lshrrev_b32_sdwa v10, v31, v10 dst_sel:DWORD dst_unused:UNUSED_PAD src0_sel:DWORD src1_sel:WORD_0
	s_or_b64 s[8:9], s[4:5], s[8:9]
.LBB138_172:                            ;   in Loop: Header=BB138_18 Depth=1
	s_or_b64 exec, exec, s[10:11]
	s_mov_b64 s[56:57], 0
	s_mov_b64 s[58:59], -1
.LBB138_173:                            ;   in Loop: Header=BB138_18 Depth=1
	s_orn2_b64 s[8:9], s[8:9], exec
.LBB138_174:                            ;   in Loop: Header=BB138_18 Depth=1
	s_or_b64 exec, exec, s[40:41]
	s_mov_b64 s[10:11], 0
	s_and_saveexec_b64 s[40:41], s[8:9]
	s_cbranch_execz .LBB138_283
; %bb.175:                              ;   in Loop: Header=BB138_18 Depth=1
	v_mov_b32_e32 v6, 1
	s_xor_b64 s[4:5], s[20:21], -1
	v_mov_b32_e32 v2, 1
	v_mov_b32_e32 v7, 0
	s_and_saveexec_b64 s[8:9], s[4:5]
	s_cbranch_execz .LBB138_184
; %bb.176:                              ;   in Loop: Header=BB138_18 Depth=1
	v_cmp_ge_u64_e32 vcc, s[48:49], v[4:5]
	s_and_saveexec_b64 s[4:5], vcc
	s_xor_b64 s[10:11], exec, s[4:5]
	s_cbranch_execz .LBB138_181
; %bb.177:                              ;   in Loop: Header=BB138_18 Depth=1
	ds_read_b64 v[6:7], v3 offset:5120
	v_and_b32_e32 v2, s73, v9
	v_lshl_or_b32 v9, 1, s81, v2
	v_or_b32_e32 v8, s72, v8
	s_waitcnt lgkmcnt(0)
	v_cmp_ne_u64_e32 vcc, 0, v[6:7]
	s_cbranch_vccnz .LBB138_181
; %bb.178:                              ;   in Loop: Header=BB138_18 Depth=1
	s_mov_b64 s[4:5], exec
	v_readlane_b32 s12, v47, 32
	v_readlane_b32 s13, v47, 33
	s_and_b64 s[12:13], s[4:5], s[12:13]
	s_mov_b64 exec, s[12:13]
; %bb.179:                              ;   in Loop: Header=BB138_18 Depth=1
	v_mov_b32_e32 v6, s48
	v_mov_b32_e32 v7, s49
	ds_write_b64 v3, v[6:7] offset:5128
; %bb.180:                              ;   in Loop: Header=BB138_18 Depth=1
	s_or_b64 exec, exec, s[4:5]
	s_waitcnt lgkmcnt(0)
	s_barrier
.LBB138_181:                            ;   in Loop: Header=BB138_18 Depth=1
	s_or_saveexec_b64 s[10:11], s[10:11]
	s_mov_b64 s[12:13], 0
	v_mov_b32_e32 v2, 8
	s_xor_b64 exec, exec, s[10:11]
; %bb.182:                              ;   in Loop: Header=BB138_18 Depth=1
	v_subrev_co_u32_e32 v4, vcc, s48, v4
	v_mov_b32_e32 v2, s49
	v_subb_co_u32_e32 v5, vcc, v5, v2, vcc
	v_mov_b32_e32 v2, 0
	s_mov_b64 s[12:13], exec
; %bb.183:                              ;   in Loop: Header=BB138_18 Depth=1
	s_or_b64 exec, exec, s[10:11]
	v_mov_b32_e32 v7, v5
	s_and_b64 s[10:11], s[12:13], exec
	v_mov_b32_e32 v6, v4
.LBB138_184:                            ;   in Loop: Header=BB138_18 Depth=1
	s_or_b64 exec, exec, s[8:9]
	s_mov_b64 s[8:9], -1
                                        ; implicit-def: $sgpr60_sgpr61
                                        ; implicit-def: $sgpr54_sgpr55
	s_and_saveexec_b64 s[12:13], s[10:11]
	s_cbranch_execz .LBB138_282
; %bb.185:                              ;   in Loop: Header=BB138_18 Depth=1
	s_cmp_eq_u64 s[50:51], 1
	v_cmp_eq_u64_e32 vcc, 1, v[6:7]
	s_cselect_b64 s[4:5], -1, 0
	v_writelane_b32 v46, s12, 6
	s_and_b64 s[42:43], s[4:5], vcc
	v_writelane_b32 v46, s13, 7
                                        ; implicit-def: $sgpr54_sgpr55
                                        ; implicit-def: $sgpr60_sgpr61
	s_and_saveexec_b64 s[20:21], s[42:43]
	s_cbranch_execz .LBB138_220
; %bb.186:                              ;   in Loop: Header=BB138_18 Depth=1
	ds_read_b64 v[4:5], v3 offset:5120
	s_waitcnt lgkmcnt(0)
	s_barrier
	v_readfirstlane_b32 s10, v4
	v_readfirstlane_b32 s11, v5
	s_mov_b64 s[4:5], exec
	v_readlane_b32 s8, v47, 48
	v_readlane_b32 s9, v47, 49
	s_and_b64 s[8:9], s[4:5], s[8:9]
	s_mov_b64 exec, s[8:9]
; %bb.187:                              ;   in Loop: Header=BB138_18 Depth=1
	ds_write_b8 v0, v3 offset:3072
; %bb.188:                              ;   in Loop: Header=BB138_18 Depth=1
	s_or_b64 exec, exec, s[4:5]
	v_and_b32_e32 v4, s73, v9
	v_lshl_or_b32 v9, 2, s81, v4
	v_or_b32_e32 v8, s72, v8
	s_mov_b64 s[60:61], -1
	s_mov_b64 s[54:55], 0
	s_cmp_eq_u64 s[10:11], 0
	s_mov_b64 s[8:9], 0
	s_mov_b64 s[52:53], -1
	s_waitcnt lgkmcnt(0)
	s_barrier
                                        ; implicit-def: $vgpr10
	s_cbranch_scc1 .LBB138_202
; %bb.189:                              ;   in Loop: Header=BB138_18 Depth=1
	v_readlane_b32 s4, v47, 52
	s_add_u32 s52, s10, s4
	v_readlane_b32 s4, v47, 54
	s_addc_u32 s9, s11, s4
	s_mov_b32 s8, s71
	s_mov_b32 s60, s70
	s_cmp_lg_u64 s[8:9], 0
	s_cbranch_scc0 .LBB138_205
; %bb.190:                              ;   in Loop: Header=BB138_18 Depth=1
	v_cvt_f32_u32_e32 v4, s33
	s_sub_u32 s8, 0, s33
	s_subb_u32 s12, 0, 0
	v_mac_f32_e32 v4, 0, v30
	v_rcp_f32_e32 v4, v4
	v_mul_f32_e32 v4, 0x5f7ffffc, v4
	v_mul_f32_e32 v5, 0x2f800000, v4
	v_trunc_f32_e32 v5, v5
	v_mac_f32_e32 v4, 0xcf800000, v5
	v_cvt_u32_f32_e32 v5, v5
	v_cvt_u32_f32_e32 v4, v4
	v_readfirstlane_b32 s13, v5
	v_readfirstlane_b32 s4, v4
	s_mul_i32 s5, s8, s13
	s_mul_hi_u32 s54, s8, s4
	s_mul_i32 s53, s12, s4
	s_add_i32 s5, s54, s5
	s_mul_i32 s55, s8, s4
	s_add_i32 s5, s5, s53
	s_mul_hi_u32 s54, s4, s55
	s_mul_i32 s70, s4, s5
	s_mul_hi_u32 s53, s4, s5
	s_add_u32 s54, s54, s70
	s_addc_u32 s53, 0, s53
	s_mul_hi_u32 s76, s13, s55
	s_mul_i32 s55, s13, s55
	s_add_u32 s54, s54, s55
	s_mul_hi_u32 s70, s13, s5
	s_addc_u32 s53, s53, s76
	s_addc_u32 s54, s70, 0
	s_mul_i32 s5, s13, s5
	s_add_u32 s5, s53, s5
	s_addc_u32 s53, 0, s54
	s_add_u32 s54, s4, s5
	s_cselect_b64 s[4:5], -1, 0
	s_cmp_lg_u64 s[4:5], 0
	s_addc_u32 s13, s13, s53
	s_mul_i32 s4, s8, s13
	s_mul_hi_u32 s5, s8, s54
	s_add_i32 s4, s5, s4
	s_mul_i32 s12, s12, s54
	s_add_i32 s4, s4, s12
	s_mul_i32 s8, s8, s54
	s_mul_hi_u32 s12, s13, s8
	s_mul_i32 s53, s13, s8
	s_mul_i32 s70, s54, s4
	s_mul_hi_u32 s8, s54, s8
	s_mul_hi_u32 s55, s54, s4
	s_add_u32 s8, s8, s70
	s_addc_u32 s55, 0, s55
	s_add_u32 s8, s8, s53
	s_mul_hi_u32 s5, s13, s4
	s_addc_u32 s8, s55, s12
	s_addc_u32 s5, s5, 0
	s_mul_i32 s4, s13, s4
	s_add_u32 s4, s8, s4
	s_addc_u32 s8, 0, s5
	s_add_u32 s12, s54, s4
	s_cselect_b64 s[4:5], -1, 0
	s_cmp_lg_u64 s[4:5], 0
	s_addc_u32 s4, s13, s8
	s_mul_i32 s8, s52, s4
	s_mul_hi_u32 s13, s52, s12
	s_mul_hi_u32 s5, s52, s4
	s_add_u32 s8, s13, s8
	s_addc_u32 s5, 0, s5
	s_mul_hi_u32 s53, s9, s12
	s_mul_i32 s12, s9, s12
	s_add_u32 s8, s8, s12
	s_mul_hi_u32 s13, s9, s4
	s_addc_u32 s5, s5, s53
	s_addc_u32 s8, s13, 0
	s_mul_i32 s4, s9, s4
	s_add_u32 s4, s5, s4
	s_addc_u32 s5, 0, s8
	s_mul_i32 s5, s33, s5
	s_mul_hi_u32 s8, s33, s4
	s_add_i32 s8, s8, s5
	s_mul_i32 s4, s33, s4
	s_sub_u32 s12, s52, s4
	s_cselect_b64 s[4:5], -1, 0
	s_cmp_lg_u64 s[4:5], 0
	s_subb_u32 s8, s9, s8
	s_sub_u32 s13, s12, s33
	s_cselect_b64 s[4:5], -1, 0
	s_cmp_lg_u64 s[4:5], 0
	s_subb_u32 s53, s8, 0
	;; [unrolled: 4-line block ×3, first 2 shown]
	s_cmp_ge_u32 s13, s33
	s_cselect_b32 s5, -1, 0
	s_cmp_eq_u32 s53, 0
	s_cselect_b32 s5, s5, -1
	s_cmp_lg_u32 s5, 0
	s_cselect_b32 s4, s4, s53
	s_cselect_b32 s5, s54, s13
	s_cmp_ge_u32 s12, s33
	s_cselect_b32 s13, -1, 0
	s_cmp_eq_u32 s8, 0
	s_cselect_b32 s13, s13, -1
	s_cmp_lg_u32 s13, 0
	s_cselect_b32 s13, s4, s8
	s_cselect_b32 s12, s5, s12
	s_cbranch_execnz .LBB138_192
.LBB138_191:                            ;   in Loop: Header=BB138_18 Depth=1
	v_cvt_f32_u32_e32 v4, s33
	s_sub_i32 s4, 0, s33
	v_rcp_iflag_f32_e32 v4, v4
	v_mul_f32_e32 v4, 0x4f7ffffe, v4
	v_cvt_u32_f32_e32 v4, v4
	v_readfirstlane_b32 s5, v4
	s_mul_i32 s4, s4, s5
	s_mul_hi_u32 s4, s5, s4
	s_add_i32 s5, s5, s4
	s_mul_hi_u32 s4, s52, s5
	s_mul_i32 s4, s4, s33
	s_sub_i32 s4, s52, s4
	s_sub_i32 s5, s4, s33
	s_cmp_ge_u32 s4, s33
	s_cselect_b32 s4, s5, s4
	s_sub_i32 s5, s4, s33
	s_cmp_ge_u32 s4, s33
	s_cselect_b32 s70, s5, s4
	s_mov_b64 s[12:13], s[70:71]
.LBB138_192:                            ;   in Loop: Header=BB138_18 Depth=1
	s_sub_u32 s76, s52, s12
	s_subb_u32 s77, s9, s13
	v_cmp_gt_u64_e32 vcc, s[76:77], v[0:1]
	s_mov_b64 s[52:53], 0
	s_mov_b64 s[8:9], 0
                                        ; implicit-def: $vgpr10
	s_and_saveexec_b64 s[84:85], vcc
	s_mov_b32 s70, s60
	s_mov_b64 s[60:61], -1
	s_cbranch_execz .LBB138_201
; %bb.193:                              ;   in Loop: Header=BB138_18 Depth=1
	v_mov_b32_e32 v5, v1
	v_mov_b32_e32 v10, v0
	;; [unrolled: 1-line block ×3, first 2 shown]
                                        ; implicit-def: $sgpr12_sgpr13
	s_branch .LBB138_196
.LBB138_194:                            ;   in Loop: Header=BB138_196 Depth=2
	s_or_b64 exec, exec, s[54:55]
	s_waitcnt lgkmcnt(0)
	s_barrier
	ds_read_u16 v11, v3 offset:3072
	s_mov_b64 s[54:55], -1
	s_waitcnt lgkmcnt(0)
	s_barrier
	v_cmp_ne_u32_sdwa s[4:5], v11, v3 src0_sel:BYTE_0 src1_sel:DWORD
	s_and_b64 vcc, exec, s[4:5]
	s_mov_b64 s[4:5], -1
	s_cbranch_vccz .LBB138_199
.LBB138_195:                            ;   in Loop: Header=BB138_196 Depth=2
	s_and_b64 s[54:55], exec, s[54:55]
	s_or_b64 s[8:9], s[54:55], s[8:9]
	s_andn2_b64 s[12:13], s[12:13], exec
	s_and_b64 s[4:5], s[4:5], exec
	s_or_b64 s[12:13], s[12:13], s[4:5]
	s_andn2_b64 exec, exec, s[8:9]
	s_cbranch_execz .LBB138_200
.LBB138_196:                            ;   Parent Loop BB138_18 Depth=1
                                        ; =>  This Inner Loop Header: Depth=2
	v_cmp_gt_u64_e32 vcc, s[10:11], v[4:5]
	s_and_saveexec_b64 s[54:55], vcc
	s_cbranch_execz .LBB138_194
; %bb.197:                              ;   in Loop: Header=BB138_196 Depth=2
	ds_read_u8 v11, v10
	s_waitcnt lgkmcnt(0)
	v_add_u32_sdwa v21, sext(v11), s82 dst_sel:DWORD dst_unused:UNUSED_PAD src0_sel:BYTE_0 src1_sel:DWORD
	v_and_b32_e32 v21, v21, v8
	v_cmp_eq_u32_e32 vcc, v21, v9
	s_and_b64 exec, exec, vcc
	s_cbranch_execz .LBB138_194
; %bb.198:                              ;   in Loop: Header=BB138_196 Depth=2
	v_lshlrev_b16_e32 v11, 8, v11
	v_or_b32_e32 v11, 1, v11
	ds_write_b16 v3, v11 offset:3072
	s_branch .LBB138_194
.LBB138_199:                            ;   in Loop: Header=BB138_196 Depth=2
	v_add_co_u32_e32 v4, vcc, s33, v4
	v_addc_co_u32_e32 v5, vcc, 0, v5, vcc
	v_cmp_le_u64_e32 vcc, s[76:77], v[4:5]
	v_add_u32_e32 v10, s33, v10
	s_mov_b64 s[4:5], 0
	s_orn2_b64 s[54:55], vcc, exec
	s_branch .LBB138_195
.LBB138_200:                            ;   in Loop: Header=BB138_18 Depth=1
	s_or_b64 exec, exec, s[8:9]
	v_lshrrev_b32_sdwa v10, v31, v11 dst_sel:DWORD dst_unused:UNUSED_PAD src0_sel:DWORD src1_sel:WORD_0
	s_and_b64 s[8:9], s[12:13], exec
.LBB138_201:                            ;   in Loop: Header=BB138_18 Depth=1
	s_or_b64 exec, exec, s[84:85]
	s_mov_b64 s[54:55], 0
.LBB138_202:                            ;   in Loop: Header=BB138_18 Depth=1
	s_and_b64 vcc, exec, s[52:53]
	s_cbranch_vccz .LBB138_219
; %bb.203:                              ;   in Loop: Header=BB138_18 Depth=1
	v_readlane_b32 s60, v47, 55
	v_readlane_b32 s61, v47, 56
	s_mov_b32 s60, s71
	s_cmp_lg_u64 s[60:61], 0
	v_writelane_b32 v47, s60, 55
	v_writelane_b32 v47, s61, 56
	s_cbranch_scc0 .LBB138_206
; %bb.204:                              ;   in Loop: Header=BB138_18 Depth=1
	v_cvt_f32_u32_e32 v4, s33
	s_sub_u32 s10, 0, s33
	s_subb_u32 s11, 0, 0
	v_mac_f32_e32 v4, 0, v30
	v_rcp_f32_e32 v4, v4
	v_mul_f32_e32 v4, 0x5f7ffffc, v4
	v_mul_f32_e32 v5, 0x2f800000, v4
	v_trunc_f32_e32 v5, v5
	v_mac_f32_e32 v4, 0xcf800000, v5
	v_cvt_u32_f32_e32 v5, v5
	v_cvt_u32_f32_e32 v4, v4
	v_readfirstlane_b32 s12, v5
	v_readfirstlane_b32 s4, v4
	s_mul_i32 s5, s10, s12
	s_mul_hi_u32 s52, s10, s4
	s_mul_i32 s13, s11, s4
	s_add_i32 s5, s52, s5
	s_mul_i32 s53, s10, s4
	s_add_i32 s5, s5, s13
	s_mul_hi_u32 s52, s4, s53
	s_mul_i32 s54, s4, s5
	s_mul_hi_u32 s13, s4, s5
	s_add_u32 s52, s52, s54
	s_addc_u32 s13, 0, s13
	s_mul_hi_u32 s55, s12, s53
	s_mul_i32 s53, s12, s53
	s_add_u32 s52, s52, s53
	s_mul_hi_u32 s54, s12, s5
	s_addc_u32 s13, s13, s55
	s_addc_u32 s52, s54, 0
	s_mul_i32 s5, s12, s5
	s_add_u32 s5, s13, s5
	s_addc_u32 s13, 0, s52
	s_add_u32 s52, s4, s5
	s_cselect_b64 s[4:5], -1, 0
	s_cmp_lg_u64 s[4:5], 0
	s_addc_u32 s12, s12, s13
	s_mul_i32 s4, s10, s12
	s_mul_hi_u32 s5, s10, s52
	s_add_i32 s4, s5, s4
	s_mul_i32 s11, s11, s52
	s_add_i32 s4, s4, s11
	s_mul_i32 s10, s10, s52
	s_mul_hi_u32 s11, s12, s10
	s_mul_i32 s13, s12, s10
	s_mul_i32 s54, s52, s4
	s_mul_hi_u32 s10, s52, s10
	s_mul_hi_u32 s53, s52, s4
	s_add_u32 s10, s10, s54
	s_addc_u32 s53, 0, s53
	s_add_u32 s10, s10, s13
	s_mul_hi_u32 s5, s12, s4
	s_addc_u32 s10, s53, s11
	s_addc_u32 s5, s5, 0
	s_mul_i32 s4, s12, s4
	s_add_u32 s4, s10, s4
	s_addc_u32 s10, 0, s5
	s_add_u32 s11, s52, s4
	s_cselect_b64 s[4:5], -1, 0
	s_cmp_lg_u64 s[4:5], 0
	s_addc_u32 s4, s12, s10
	v_readlane_b32 s53, v47, 53
	s_mul_i32 s10, s53, s4
	s_mul_hi_u32 s12, s53, s11
	s_mul_hi_u32 s5, s53, s4
	s_add_u32 s10, s12, s10
	s_addc_u32 s5, 0, s5
	s_mul_hi_u32 s13, s61, s11
	s_mul_i32 s11, s61, s11
	s_add_u32 s10, s10, s11
	s_mul_hi_u32 s12, s61, s4
	s_addc_u32 s5, s5, s13
	s_addc_u32 s10, s12, 0
	s_mul_i32 s4, s61, s4
	s_add_u32 s4, s5, s4
	s_addc_u32 s5, 0, s10
	s_mul_i32 s5, s33, s5
	s_mul_hi_u32 s10, s33, s4
	s_add_i32 s10, s10, s5
	s_mul_i32 s4, s33, s4
	s_sub_u32 s12, s53, s4
	s_cselect_b64 s[4:5], -1, 0
	s_cmp_lg_u64 s[4:5], 0
	s_subb_u32 s10, s61, s10
	s_sub_u32 s11, s12, s33
	s_cselect_b64 s[4:5], -1, 0
	s_cmp_lg_u64 s[4:5], 0
	s_subb_u32 s13, s10, 0
	;; [unrolled: 4-line block ×3, first 2 shown]
	s_cmp_ge_u32 s11, s33
	s_cselect_b32 s5, -1, 0
	s_cmp_eq_u32 s13, 0
	s_cselect_b32 s5, s5, -1
	s_cmp_lg_u32 s5, 0
	s_cselect_b32 s4, s4, s13
	s_cselect_b32 s5, s52, s11
	s_cmp_ge_u32 s12, s33
	s_cselect_b32 s11, -1, 0
	s_cmp_eq_u32 s10, 0
	s_cselect_b32 s11, s11, -1
	s_cmp_lg_u32 s11, 0
	s_cselect_b32 s11, s4, s10
	s_cselect_b32 s10, s5, s12
	s_mov_b64 s[4:5], 0
	s_branch .LBB138_207
.LBB138_205:                            ;   in Loop: Header=BB138_18 Depth=1
                                        ; implicit-def: $sgpr12_sgpr13
	s_branch .LBB138_191
.LBB138_206:                            ;   in Loop: Header=BB138_18 Depth=1
	s_mov_b64 s[4:5], -1
	v_readlane_b32 s53, v47, 53
                                        ; implicit-def: $sgpr10_sgpr11
.LBB138_207:                            ;   in Loop: Header=BB138_18 Depth=1
	s_andn2_b64 vcc, exec, s[4:5]
	v_readlane_b32 s70, v46, 5
	s_cbranch_vccnz .LBB138_209
; %bb.208:                              ;   in Loop: Header=BB138_18 Depth=1
	v_cvt_f32_u32_e32 v4, s33
	s_sub_i32 s4, 0, s33
	s_mov_b32 s12, s70
	v_rcp_iflag_f32_e32 v4, v4
	v_mul_f32_e32 v4, 0x4f7ffffe, v4
	v_cvt_u32_f32_e32 v4, v4
	v_readfirstlane_b32 s5, v4
	s_mul_i32 s4, s4, s5
	s_mul_hi_u32 s4, s5, s4
	s_add_i32 s5, s5, s4
	s_mul_hi_u32 s4, s53, s5
	s_mul_i32 s4, s4, s33
	s_sub_i32 s4, s53, s4
	s_sub_i32 s5, s4, s33
	s_cmp_ge_u32 s4, s33
	s_cselect_b32 s4, s5, s4
	s_sub_i32 s5, s4, s33
	s_cmp_ge_u32 s4, s33
	s_cselect_b32 s70, s5, s4
	s_mov_b64 s[10:11], s[70:71]
	s_mov_b32 s70, s12
.LBB138_209:                            ;   in Loop: Header=BB138_18 Depth=1
	v_readlane_b32 s4, v47, 55
	s_sub_u32 s52, s53, s10
	v_readlane_b32 s5, v47, 56
	s_subb_u32 s53, s5, s11
	v_cmp_gt_u64_e32 vcc, s[52:53], v[0:1]
                                        ; implicit-def: $vgpr10
	s_and_saveexec_b64 s[10:11], vcc
	s_cbranch_execz .LBB138_218
; %bb.210:                              ;   in Loop: Header=BB138_18 Depth=1
	v_mov_b32_e32 v5, v1
	s_mov_b64 s[54:55], 0
	v_mov_b32_e32 v4, v0
                                        ; implicit-def: $sgpr60_sgpr61
	s_branch .LBB138_213
.LBB138_211:                            ;   in Loop: Header=BB138_213 Depth=2
	s_or_b64 exec, exec, s[12:13]
	s_waitcnt lgkmcnt(0)
	s_barrier
	ds_read_u16 v10, v3 offset:3072
	s_mov_b64 s[4:5], -1
	s_waitcnt lgkmcnt(0)
	s_barrier
	v_cmp_eq_u32_sdwa s[12:13], v10, v3 src0_sel:BYTE_0 src1_sel:DWORD
	s_and_b64 vcc, exec, s[12:13]
	s_mov_b64 s[12:13], -1
	s_cbranch_vccnz .LBB138_216
.LBB138_212:                            ;   in Loop: Header=BB138_213 Depth=2
	s_and_b64 s[4:5], exec, s[4:5]
	s_or_b64 s[54:55], s[4:5], s[54:55]
	s_andn2_b64 s[4:5], s[60:61], exec
	s_and_b64 s[12:13], s[12:13], exec
	s_or_b64 s[60:61], s[4:5], s[12:13]
	s_andn2_b64 exec, exec, s[54:55]
	s_cbranch_execz .LBB138_217
.LBB138_213:                            ;   Parent Loop BB138_18 Depth=1
                                        ; =>  This Inner Loop Header: Depth=2
	v_cmp_gt_u64_e32 vcc, s[28:29], v[4:5]
	s_and_saveexec_b64 s[12:13], vcc
	s_cbranch_execz .LBB138_211
; %bb.214:                              ;   in Loop: Header=BB138_213 Depth=2
	v_mov_b32_e32 v10, s34
	v_mov_b32_e32 v11, s35
	v_mad_u64_u32 v[10:11], s[4:5], v4, s26, v[10:11]
	v_mul_lo_u32 v21, v4, s27
	v_mul_lo_u32 v22, v5, s26
	v_add3_u32 v11, v22, v11, v21
	global_load_ubyte v10, v[10:11], off
	s_waitcnt vmcnt(0)
	v_add_u32_sdwa v11, sext(v10), s82 dst_sel:DWORD dst_unused:UNUSED_PAD src0_sel:BYTE_0 src1_sel:DWORD
	v_and_b32_e32 v11, v11, v8
	v_cmp_eq_u32_e32 vcc, v11, v9
	s_and_b64 exec, exec, vcc
	s_cbranch_execz .LBB138_211
; %bb.215:                              ;   in Loop: Header=BB138_213 Depth=2
	v_lshlrev_b16_e32 v10, 8, v10
	v_or_b32_e32 v10, 1, v10
	ds_write_b16 v3, v10 offset:3072
	s_branch .LBB138_211
.LBB138_216:                            ;   in Loop: Header=BB138_213 Depth=2
	v_add_co_u32_e32 v4, vcc, s33, v4
	v_addc_co_u32_e32 v5, vcc, 0, v5, vcc
	v_cmp_le_u64_e32 vcc, s[52:53], v[4:5]
	s_mov_b64 s[12:13], 0
	s_orn2_b64 s[4:5], vcc, exec
	s_branch .LBB138_212
.LBB138_217:                            ;   in Loop: Header=BB138_18 Depth=1
	s_or_b64 exec, exec, s[54:55]
	s_andn2_b64 s[4:5], s[8:9], exec
	s_and_b64 s[8:9], s[60:61], exec
	v_lshrrev_b32_sdwa v10, v31, v10 dst_sel:DWORD dst_unused:UNUSED_PAD src0_sel:DWORD src1_sel:WORD_0
	s_or_b64 s[8:9], s[4:5], s[8:9]
.LBB138_218:                            ;   in Loop: Header=BB138_18 Depth=1
	s_or_b64 exec, exec, s[10:11]
	s_mov_b64 s[60:61], 0
	s_mov_b64 s[54:55], -1
.LBB138_219:                            ;   in Loop: Header=BB138_18 Depth=1
	s_orn2_b64 s[8:9], s[8:9], exec
.LBB138_220:                            ;   in Loop: Header=BB138_18 Depth=1
	s_or_b64 exec, exec, s[20:21]
	s_mov_b64 s[10:11], 0
	s_and_saveexec_b64 s[20:21], s[8:9]
	v_readlane_b32 s12, v46, 6
	v_readlane_b32 s13, v46, 7
	s_cbranch_execz .LBB138_281
; %bb.221:                              ;   in Loop: Header=BB138_18 Depth=1
	v_mov_b32_e32 v4, 1
	s_xor_b64 s[4:5], s[42:43], -1
	v_mov_b32_e32 v2, 1
	v_mov_b32_e32 v5, 0
	s_and_saveexec_b64 s[8:9], s[4:5]
	s_cbranch_execz .LBB138_230
; %bb.222:                              ;   in Loop: Header=BB138_18 Depth=1
	v_cmp_ge_u64_e32 vcc, s[50:51], v[6:7]
	s_and_saveexec_b64 s[4:5], vcc
	s_xor_b64 s[10:11], exec, s[4:5]
	s_cbranch_execz .LBB138_227
; %bb.223:                              ;   in Loop: Header=BB138_18 Depth=1
	ds_read_b64 v[4:5], v3 offset:5120
	v_and_b32_e32 v2, s73, v9
	v_lshl_or_b32 v9, 2, s81, v2
	v_or_b32_e32 v8, s72, v8
	s_waitcnt lgkmcnt(0)
	v_cmp_ne_u64_e32 vcc, 0, v[4:5]
	s_cbranch_vccnz .LBB138_227
; %bb.224:                              ;   in Loop: Header=BB138_18 Depth=1
	s_mov_b64 s[4:5], exec
	v_readlane_b32 s12, v47, 32
	v_readlane_b32 s13, v47, 33
	s_and_b64 s[12:13], s[4:5], s[12:13]
	s_mov_b64 exec, s[12:13]
; %bb.225:                              ;   in Loop: Header=BB138_18 Depth=1
	v_mov_b32_e32 v4, s50
	v_mov_b32_e32 v5, s51
	ds_write_b64 v3, v[4:5] offset:5128
; %bb.226:                              ;   in Loop: Header=BB138_18 Depth=1
	s_or_b64 exec, exec, s[4:5]
	s_waitcnt lgkmcnt(0)
	s_barrier
.LBB138_227:                            ;   in Loop: Header=BB138_18 Depth=1
	s_or_saveexec_b64 s[10:11], s[10:11]
	s_mov_b64 s[12:13], 0
	v_mov_b32_e32 v2, 8
	s_xor_b64 exec, exec, s[10:11]
; %bb.228:                              ;   in Loop: Header=BB138_18 Depth=1
	v_subrev_co_u32_e32 v6, vcc, s50, v6
	v_mov_b32_e32 v2, s51
	v_subb_co_u32_e32 v7, vcc, v7, v2, vcc
	v_mov_b32_e32 v2, 0
	s_mov_b64 s[12:13], exec
; %bb.229:                              ;   in Loop: Header=BB138_18 Depth=1
	s_or_b64 exec, exec, s[10:11]
	s_and_b64 s[10:11], s[12:13], exec
	v_mov_b32_e32 v4, v6
	v_readlane_b32 s12, v46, 6
	v_mov_b32_e32 v5, v7
	v_readlane_b32 s13, v46, 7
.LBB138_230:                            ;   in Loop: Header=BB138_18 Depth=1
	s_or_b64 exec, exec, s[8:9]
	s_mov_b64 s[8:9], -1
                                        ; implicit-def: $sgpr84_sgpr85
                                        ; implicit-def: $sgpr76_sgpr77
	s_and_saveexec_b64 s[42:43], s[10:11]
	s_cbranch_execz .LBB138_280
; %bb.231:                              ;   in Loop: Header=BB138_18 Depth=1
	s_cmp_eq_u64 s[16:17], 1
	v_cmp_eq_u64_e32 vcc, 1, v[4:5]
	v_writelane_b32 v46, s42, 8
	s_cselect_b64 s[4:5], -1, 0
	v_writelane_b32 v46, s43, 9
	s_and_b64 s[4:5], s[4:5], vcc
                                        ; implicit-def: $sgpr84_sgpr85
                                        ; implicit-def: $sgpr76_sgpr77
	s_mov_b64 s[10:11], exec
	v_writelane_b32 v46, s4, 10
	v_writelane_b32 v46, s5, 11
	;; [unrolled: 1-line block ×3, first 2 shown]
	s_and_b64 s[4:5], s[10:11], s[4:5]
	v_writelane_b32 v46, s11, 13
	s_mov_b64 exec, s[4:5]
	s_cbranch_execz .LBB138_268
; %bb.232:                              ;   in Loop: Header=BB138_18 Depth=1
	ds_read_b64 v[6:7], v3 offset:5120
	s_waitcnt lgkmcnt(0)
	s_barrier
	v_readfirstlane_b32 s84, v6
	v_readfirstlane_b32 s85, v7
	s_mov_b64 s[4:5], exec
	v_readlane_b32 s8, v47, 48
	v_readlane_b32 s9, v47, 49
	s_and_b64 s[8:9], s[4:5], s[8:9]
	s_mov_b64 exec, s[8:9]
; %bb.233:                              ;   in Loop: Header=BB138_18 Depth=1
	ds_write_b8 v0, v3 offset:3072
; %bb.234:                              ;   in Loop: Header=BB138_18 Depth=1
	s_or_b64 exec, exec, s[4:5]
	v_or_b32_e32 v9, s72, v9
	v_or_b32_e32 v8, s72, v8
	s_cmp_eq_u64 s[84:85], 0
	s_mov_b64 s[42:43], 0
	s_mov_b64 s[52:53], -1
	s_waitcnt lgkmcnt(0)
	s_barrier
                                        ; implicit-def: $vgpr10
	s_cbranch_scc1 .LBB138_250
; %bb.235:                              ;   in Loop: Header=BB138_18 Depth=1
	v_readlane_b32 s4, v47, 52
	s_add_u32 s10, s84, s4
	v_readlane_b32 s4, v47, 54
	s_addc_u32 s53, s85, s4
	s_mov_b32 s52, s71
	s_cmp_lg_u64 s[52:53], 0
	s_cbranch_scc0 .LBB138_237
; %bb.236:                              ;   in Loop: Header=BB138_18 Depth=1
	v_cvt_f32_u32_e32 v6, s33
	s_sub_u32 s8, 0, s33
	s_subb_u32 s9, 0, 0
	v_mac_f32_e32 v6, 0, v30
	v_rcp_f32_e32 v6, v6
	v_mul_f32_e32 v6, 0x5f7ffffc, v6
	v_mul_f32_e32 v7, 0x2f800000, v6
	v_trunc_f32_e32 v7, v7
	v_mac_f32_e32 v6, 0xcf800000, v7
	v_cvt_u32_f32_e32 v7, v7
	v_cvt_u32_f32_e32 v6, v6
	v_readfirstlane_b32 s11, v7
	v_readfirstlane_b32 s4, v6
	s_mul_i32 s5, s8, s11
	s_mul_hi_u32 s13, s8, s4
	s_mul_i32 s12, s9, s4
	s_add_i32 s5, s13, s5
	s_mul_i32 s42, s8, s4
	s_add_i32 s5, s5, s12
	s_mul_hi_u32 s13, s4, s42
	s_mul_i32 s43, s4, s5
	s_mul_hi_u32 s12, s4, s5
	s_add_u32 s13, s13, s43
	s_addc_u32 s12, 0, s12
	s_mul_hi_u32 s52, s11, s42
	s_mul_i32 s42, s11, s42
	s_add_u32 s13, s13, s42
	s_mul_hi_u32 s43, s11, s5
	s_addc_u32 s12, s12, s52
	s_addc_u32 s13, s43, 0
	s_mul_i32 s5, s11, s5
	s_add_u32 s5, s12, s5
	s_addc_u32 s12, 0, s13
	s_add_u32 s13, s4, s5
	s_cselect_b64 s[4:5], -1, 0
	s_cmp_lg_u64 s[4:5], 0
	s_addc_u32 s11, s11, s12
	s_mul_i32 s4, s8, s11
	s_mul_hi_u32 s5, s8, s13
	s_add_i32 s4, s5, s4
	s_mul_i32 s9, s9, s13
	s_add_i32 s4, s4, s9
	s_mul_i32 s8, s8, s13
	s_mul_hi_u32 s9, s11, s8
	s_mul_i32 s12, s11, s8
	s_mul_i32 s43, s13, s4
	s_mul_hi_u32 s8, s13, s8
	s_mul_hi_u32 s42, s13, s4
	s_add_u32 s8, s8, s43
	s_addc_u32 s42, 0, s42
	s_add_u32 s8, s8, s12
	s_mul_hi_u32 s5, s11, s4
	s_addc_u32 s8, s42, s9
	s_addc_u32 s5, s5, 0
	s_mul_i32 s4, s11, s4
	s_add_u32 s4, s8, s4
	s_addc_u32 s8, 0, s5
	s_add_u32 s9, s13, s4
	s_cselect_b64 s[4:5], -1, 0
	s_cmp_lg_u64 s[4:5], 0
	s_addc_u32 s4, s11, s8
	s_mul_i32 s8, s10, s4
	s_mul_hi_u32 s11, s10, s9
	s_mul_hi_u32 s5, s10, s4
	s_add_u32 s8, s11, s8
	s_addc_u32 s5, 0, s5
	s_mul_hi_u32 s12, s53, s9
	s_mul_i32 s9, s53, s9
	s_add_u32 s8, s8, s9
	s_mul_hi_u32 s11, s53, s4
	s_addc_u32 s5, s5, s12
	s_addc_u32 s8, s11, 0
	s_mul_i32 s4, s53, s4
	s_add_u32 s4, s5, s4
	s_addc_u32 s5, 0, s8
	s_mul_i32 s5, s33, s5
	s_mul_hi_u32 s8, s33, s4
	s_add_i32 s8, s8, s5
	s_mul_i32 s4, s33, s4
	s_sub_u32 s11, s10, s4
	s_cselect_b64 s[4:5], -1, 0
	s_cmp_lg_u64 s[4:5], 0
	s_subb_u32 s8, s53, s8
	s_sub_u32 s9, s11, s33
	s_cselect_b64 s[4:5], -1, 0
	s_cmp_lg_u64 s[4:5], 0
	s_subb_u32 s12, s8, 0
	;; [unrolled: 4-line block ×3, first 2 shown]
	s_cmp_ge_u32 s9, s33
	s_cselect_b32 s5, -1, 0
	s_cmp_eq_u32 s12, 0
	s_cselect_b32 s5, s5, -1
	s_cmp_lg_u32 s5, 0
	s_cselect_b32 s4, s4, s12
	s_cselect_b32 s5, s13, s9
	s_cmp_ge_u32 s11, s33
	s_cselect_b32 s9, -1, 0
	s_cmp_eq_u32 s8, 0
	s_cselect_b32 s9, s9, -1
	s_cmp_lg_u32 s9, 0
	s_cselect_b32 s9, s4, s8
	s_cselect_b32 s8, s5, s11
	s_mov_b64 s[4:5], 0
	s_branch .LBB138_238
.LBB138_237:                            ;   in Loop: Header=BB138_18 Depth=1
	s_mov_b64 s[4:5], -1
                                        ; implicit-def: $sgpr8_sgpr9
.LBB138_238:                            ;   in Loop: Header=BB138_18 Depth=1
	s_andn2_b64 vcc, exec, s[4:5]
	s_cbranch_vccnz .LBB138_240
; %bb.239:                              ;   in Loop: Header=BB138_18 Depth=1
	v_cvt_f32_u32_e32 v6, s33
	s_sub_i32 s4, 0, s33
	s_mov_b32 s11, s70
	v_rcp_iflag_f32_e32 v6, v6
	v_mul_f32_e32 v6, 0x4f7ffffe, v6
	v_cvt_u32_f32_e32 v6, v6
	v_readfirstlane_b32 s5, v6
	s_mul_i32 s4, s4, s5
	s_mul_hi_u32 s4, s5, s4
	s_add_i32 s5, s5, s4
	s_mul_hi_u32 s4, s10, s5
	s_mul_i32 s4, s4, s33
	s_sub_i32 s4, s10, s4
	s_sub_i32 s5, s4, s33
	s_cmp_ge_u32 s4, s33
	s_cselect_b32 s4, s5, s4
	s_sub_i32 s5, s4, s33
	s_cmp_ge_u32 s4, s33
	s_cselect_b32 s70, s5, s4
	s_mov_b64 s[8:9], s[70:71]
	s_mov_b32 s70, s11
.LBB138_240:                            ;   in Loop: Header=BB138_18 Depth=1
	s_sub_u32 s76, s10, s8
	s_subb_u32 s77, s53, s9
	v_cmp_gt_u64_e32 vcc, s[76:77], v[0:1]
	s_mov_b64 s[52:53], 0
	s_mov_b64 s[42:43], 0
                                        ; implicit-def: $vgpr10
	s_and_saveexec_b64 s[8:9], vcc
	s_cbranch_execz .LBB138_249
; %bb.241:                              ;   in Loop: Header=BB138_18 Depth=1
	v_mov_b32_e32 v7, v1
	v_writelane_b32 v46, s54, 14
	s_mov_b64 s[10:11], 0
	v_mov_b32_e32 v10, v0
	v_mov_b32_e32 v6, v0
	v_writelane_b32 v46, s55, 15
                                        ; implicit-def: $sgpr12_sgpr13
	s_branch .LBB138_244
.LBB138_242:                            ;   in Loop: Header=BB138_244 Depth=2
	s_or_b64 exec, exec, s[54:55]
	s_waitcnt lgkmcnt(0)
	s_barrier
	ds_read_u16 v11, v3 offset:3072
	s_mov_b64 s[54:55], -1
	s_waitcnt lgkmcnt(0)
	s_barrier
	v_cmp_ne_u32_sdwa s[4:5], v11, v3 src0_sel:BYTE_0 src1_sel:DWORD
	s_and_b64 vcc, exec, s[4:5]
	s_mov_b64 s[4:5], -1
	s_cbranch_vccz .LBB138_247
.LBB138_243:                            ;   in Loop: Header=BB138_244 Depth=2
	s_and_b64 s[42:43], exec, s[54:55]
	s_or_b64 s[10:11], s[42:43], s[10:11]
	s_andn2_b64 s[12:13], s[12:13], exec
	s_and_b64 s[4:5], s[4:5], exec
	s_or_b64 s[12:13], s[12:13], s[4:5]
	s_andn2_b64 exec, exec, s[10:11]
	s_cbranch_execz .LBB138_248
.LBB138_244:                            ;   Parent Loop BB138_18 Depth=1
                                        ; =>  This Inner Loop Header: Depth=2
	v_cmp_gt_u64_e32 vcc, s[84:85], v[6:7]
	s_and_saveexec_b64 s[54:55], vcc
	s_cbranch_execz .LBB138_242
; %bb.245:                              ;   in Loop: Header=BB138_244 Depth=2
	ds_read_u8 v11, v10
	s_waitcnt lgkmcnt(0)
	v_add_u32_sdwa v21, sext(v11), s82 dst_sel:DWORD dst_unused:UNUSED_PAD src0_sel:BYTE_0 src1_sel:DWORD
	v_and_b32_e32 v21, v21, v8
	v_cmp_eq_u32_e32 vcc, v21, v9
	s_and_b64 exec, exec, vcc
	s_cbranch_execz .LBB138_242
; %bb.246:                              ;   in Loop: Header=BB138_244 Depth=2
	v_lshlrev_b16_e32 v11, 8, v11
	v_or_b32_e32 v11, 1, v11
	ds_write_b16 v3, v11 offset:3072
	s_branch .LBB138_242
.LBB138_247:                            ;   in Loop: Header=BB138_244 Depth=2
	v_add_co_u32_e32 v6, vcc, s33, v6
	v_addc_co_u32_e32 v7, vcc, 0, v7, vcc
	v_cmp_le_u64_e32 vcc, s[76:77], v[6:7]
	v_add_u32_e32 v10, s33, v10
	s_mov_b64 s[4:5], 0
	s_orn2_b64 s[54:55], vcc, exec
	s_branch .LBB138_243
.LBB138_248:                            ;   in Loop: Header=BB138_18 Depth=1
	s_or_b64 exec, exec, s[10:11]
	v_readlane_b32 s54, v46, 14
	v_lshrrev_b32_sdwa v10, v31, v11 dst_sel:DWORD dst_unused:UNUSED_PAD src0_sel:DWORD src1_sel:WORD_0
	s_and_b64 s[42:43], s[12:13], exec
	v_readlane_b32 s55, v46, 15
.LBB138_249:                            ;   in Loop: Header=BB138_18 Depth=1
	s_or_b64 exec, exec, s[8:9]
.LBB138_250:                            ;   in Loop: Header=BB138_18 Depth=1
	s_and_b64 vcc, exec, s[52:53]
	s_cbranch_vccz .LBB138_253
; %bb.251:                              ;   in Loop: Header=BB138_18 Depth=1
	v_readlane_b32 s52, v47, 55
	v_readlane_b32 s53, v47, 56
	s_mov_b32 s52, s71
	s_cmp_lg_u64 s[52:53], 0
	v_writelane_b32 v47, s52, 55
	v_writelane_b32 v47, s53, 56
	s_cbranch_scc0 .LBB138_254
; %bb.252:                              ;   in Loop: Header=BB138_18 Depth=1
	v_cvt_f32_u32_e32 v6, s33
	s_sub_u32 s8, 0, s33
	s_subb_u32 s9, 0, 0
	s_mov_b64 s[76:77], s[42:43]
	v_mac_f32_e32 v6, 0, v30
	v_rcp_f32_e32 v6, v6
	v_mul_f32_e32 v6, 0x5f7ffffc, v6
	v_mul_f32_e32 v7, 0x2f800000, v6
	v_trunc_f32_e32 v7, v7
	v_mac_f32_e32 v6, 0xcf800000, v7
	v_cvt_u32_f32_e32 v7, v7
	v_cvt_u32_f32_e32 v6, v6
	v_readfirstlane_b32 s10, v7
	v_readfirstlane_b32 s4, v6
	s_mul_i32 s5, s8, s10
	s_mul_hi_u32 s12, s8, s4
	s_mul_i32 s11, s9, s4
	s_add_i32 s5, s12, s5
	s_mul_i32 s13, s8, s4
	s_add_i32 s5, s5, s11
	s_mul_hi_u32 s12, s4, s13
	s_mul_i32 s42, s4, s5
	s_mul_hi_u32 s11, s4, s5
	s_add_u32 s12, s12, s42
	s_addc_u32 s11, 0, s11
	s_mul_hi_u32 s43, s10, s13
	s_mul_i32 s13, s10, s13
	s_add_u32 s12, s12, s13
	s_mul_hi_u32 s42, s10, s5
	s_addc_u32 s11, s11, s43
	s_addc_u32 s12, s42, 0
	s_mul_i32 s5, s10, s5
	s_add_u32 s5, s11, s5
	s_addc_u32 s11, 0, s12
	s_add_u32 s12, s4, s5
	s_cselect_b64 s[4:5], -1, 0
	s_cmp_lg_u64 s[4:5], 0
	s_addc_u32 s10, s10, s11
	s_mul_i32 s4, s8, s10
	s_mul_hi_u32 s5, s8, s12
	s_add_i32 s4, s5, s4
	s_mul_i32 s9, s9, s12
	s_add_i32 s4, s4, s9
	s_mul_i32 s8, s8, s12
	s_mul_hi_u32 s9, s10, s8
	s_mul_i32 s11, s10, s8
	s_mul_i32 s42, s12, s4
	s_mul_hi_u32 s8, s12, s8
	s_mul_hi_u32 s13, s12, s4
	s_add_u32 s8, s8, s42
	s_addc_u32 s13, 0, s13
	s_add_u32 s8, s8, s11
	s_mul_hi_u32 s5, s10, s4
	s_addc_u32 s8, s13, s9
	s_addc_u32 s5, s5, 0
	s_mul_i32 s4, s10, s4
	s_add_u32 s4, s8, s4
	s_addc_u32 s8, 0, s5
	s_add_u32 s9, s12, s4
	s_cselect_b64 s[4:5], -1, 0
	s_cmp_lg_u64 s[4:5], 0
	s_addc_u32 s4, s10, s8
	v_readlane_b32 s13, v47, 53
	s_mul_i32 s8, s13, s4
	s_mul_hi_u32 s10, s13, s9
	s_mul_hi_u32 s5, s13, s4
	s_add_u32 s8, s10, s8
	s_addc_u32 s5, 0, s5
	s_mul_hi_u32 s11, s53, s9
	s_mul_i32 s9, s53, s9
	s_add_u32 s8, s8, s9
	s_mul_hi_u32 s10, s53, s4
	s_addc_u32 s5, s5, s11
	s_addc_u32 s8, s10, 0
	s_mul_i32 s4, s53, s4
	s_add_u32 s4, s5, s4
	s_addc_u32 s5, 0, s8
	s_mul_i32 s5, s33, s5
	s_mul_hi_u32 s8, s33, s4
	s_add_i32 s8, s8, s5
	s_mul_i32 s4, s33, s4
	s_sub_u32 s10, s13, s4
	s_cselect_b64 s[4:5], -1, 0
	s_cmp_lg_u64 s[4:5], 0
	s_subb_u32 s8, s53, s8
	s_sub_u32 s9, s10, s33
	s_cselect_b64 s[4:5], -1, 0
	s_cmp_lg_u64 s[4:5], 0
	s_subb_u32 s11, s8, 0
	;; [unrolled: 4-line block ×3, first 2 shown]
	s_cmp_ge_u32 s9, s33
	s_cselect_b32 s5, -1, 0
	s_cmp_eq_u32 s11, 0
	s_cselect_b32 s5, s5, -1
	s_cmp_lg_u32 s5, 0
	s_cselect_b32 s4, s4, s11
	s_cselect_b32 s5, s12, s9
	s_cmp_ge_u32 s10, s33
	s_cselect_b32 s9, -1, 0
	s_cmp_eq_u32 s8, 0
	s_cselect_b32 s9, s9, -1
	s_cmp_lg_u32 s9, 0
	s_mov_b64 s[42:43], s[76:77]
	s_cselect_b32 s9, s4, s8
	s_cselect_b32 s8, s5, s10
	s_mov_b64 s[4:5], 0
	s_branch .LBB138_255
.LBB138_253:                            ;   in Loop: Header=BB138_18 Depth=1
	s_mov_b64 s[76:77], -1
	s_mov_b64 s[84:85], 0
	s_branch .LBB138_267
.LBB138_254:                            ;   in Loop: Header=BB138_18 Depth=1
	s_mov_b64 s[4:5], -1
	v_readlane_b32 s13, v47, 53
                                        ; implicit-def: $sgpr8_sgpr9
.LBB138_255:                            ;   in Loop: Header=BB138_18 Depth=1
	s_andn2_b64 vcc, exec, s[4:5]
	v_readlane_b32 s70, v46, 5
	s_cbranch_vccnz .LBB138_257
; %bb.256:                              ;   in Loop: Header=BB138_18 Depth=1
	v_cvt_f32_u32_e32 v6, s33
	s_sub_i32 s4, 0, s33
	s_mov_b32 s10, s70
	v_rcp_iflag_f32_e32 v6, v6
	v_mul_f32_e32 v6, 0x4f7ffffe, v6
	v_cvt_u32_f32_e32 v6, v6
	v_readfirstlane_b32 s5, v6
	s_mul_i32 s4, s4, s5
	s_mul_hi_u32 s4, s5, s4
	s_add_i32 s5, s5, s4
	s_mul_hi_u32 s4, s13, s5
	s_mul_i32 s4, s4, s33
	s_sub_i32 s4, s13, s4
	s_sub_i32 s5, s4, s33
	s_cmp_ge_u32 s4, s33
	s_cselect_b32 s4, s5, s4
	s_sub_i32 s5, s4, s33
	s_cmp_ge_u32 s4, s33
	s_cselect_b32 s70, s5, s4
	s_mov_b64 s[8:9], s[70:71]
	s_mov_b32 s70, s10
.LBB138_257:                            ;   in Loop: Header=BB138_18 Depth=1
	v_readlane_b32 s4, v47, 55
	s_sub_u32 s10, s13, s8
	v_readlane_b32 s5, v47, 56
	s_subb_u32 s11, s5, s9
	v_cmp_gt_u64_e32 vcc, s[10:11], v[0:1]
                                        ; implicit-def: $vgpr10
	s_and_saveexec_b64 s[8:9], vcc
	s_cbranch_execz .LBB138_266
; %bb.258:                              ;   in Loop: Header=BB138_18 Depth=1
	v_mov_b32_e32 v7, v1
	s_mov_b64 s[52:53], 0
	v_mov_b32_e32 v6, v0
                                        ; implicit-def: $sgpr76_sgpr77
	s_branch .LBB138_261
.LBB138_259:                            ;   in Loop: Header=BB138_261 Depth=2
	s_or_b64 exec, exec, s[12:13]
	s_waitcnt lgkmcnt(0)
	s_barrier
	ds_read_u16 v10, v3 offset:3072
	s_mov_b64 s[4:5], -1
	s_waitcnt lgkmcnt(0)
	s_barrier
	v_cmp_eq_u32_sdwa s[12:13], v10, v3 src0_sel:BYTE_0 src1_sel:DWORD
	s_and_b64 vcc, exec, s[12:13]
	s_mov_b64 s[12:13], -1
	s_cbranch_vccnz .LBB138_264
.LBB138_260:                            ;   in Loop: Header=BB138_261 Depth=2
	s_and_b64 s[4:5], exec, s[4:5]
	s_or_b64 s[52:53], s[4:5], s[52:53]
	s_andn2_b64 s[4:5], s[76:77], exec
	s_and_b64 s[12:13], s[12:13], exec
	s_or_b64 s[76:77], s[4:5], s[12:13]
	s_andn2_b64 exec, exec, s[52:53]
	s_cbranch_execz .LBB138_265
.LBB138_261:                            ;   Parent Loop BB138_18 Depth=1
                                        ; =>  This Inner Loop Header: Depth=2
	v_cmp_gt_u64_e32 vcc, s[28:29], v[6:7]
	s_and_saveexec_b64 s[12:13], vcc
	s_cbranch_execz .LBB138_259
; %bb.262:                              ;   in Loop: Header=BB138_261 Depth=2
	v_mov_b32_e32 v10, s34
	v_mov_b32_e32 v11, s35
	v_mad_u64_u32 v[10:11], s[4:5], v6, s26, v[10:11]
	v_mul_lo_u32 v21, v6, s27
	v_mul_lo_u32 v22, v7, s26
	v_add3_u32 v11, v22, v11, v21
	global_load_ubyte v10, v[10:11], off
	s_waitcnt vmcnt(0)
	v_add_u32_sdwa v11, sext(v10), s82 dst_sel:DWORD dst_unused:UNUSED_PAD src0_sel:BYTE_0 src1_sel:DWORD
	v_and_b32_e32 v11, v11, v8
	v_cmp_eq_u32_e32 vcc, v11, v9
	s_and_b64 exec, exec, vcc
	s_cbranch_execz .LBB138_259
; %bb.263:                              ;   in Loop: Header=BB138_261 Depth=2
	v_lshlrev_b16_e32 v10, 8, v10
	v_or_b32_e32 v10, 1, v10
	ds_write_b16 v3, v10 offset:3072
	s_branch .LBB138_259
.LBB138_264:                            ;   in Loop: Header=BB138_261 Depth=2
	v_add_co_u32_e32 v6, vcc, s33, v6
	v_addc_co_u32_e32 v7, vcc, 0, v7, vcc
	v_cmp_le_u64_e32 vcc, s[10:11], v[6:7]
	s_mov_b64 s[12:13], 0
	s_orn2_b64 s[4:5], vcc, exec
	s_branch .LBB138_260
.LBB138_265:                            ;   in Loop: Header=BB138_18 Depth=1
	s_or_b64 exec, exec, s[52:53]
	s_andn2_b64 s[4:5], s[42:43], exec
	s_and_b64 s[10:11], s[76:77], exec
	v_lshrrev_b32_sdwa v10, v31, v10 dst_sel:DWORD dst_unused:UNUSED_PAD src0_sel:DWORD src1_sel:WORD_0
	s_or_b64 s[42:43], s[4:5], s[10:11]
.LBB138_266:                            ;   in Loop: Header=BB138_18 Depth=1
	s_or_b64 exec, exec, s[8:9]
	s_mov_b64 s[76:77], 0
	s_mov_b64 s[84:85], -1
.LBB138_267:                            ;   in Loop: Header=BB138_18 Depth=1
	s_orn2_b64 s[8:9], s[42:43], exec
.LBB138_268:                            ;   in Loop: Header=BB138_18 Depth=1
	v_readlane_b32 s4, v46, 12
	v_readlane_b32 s5, v46, 13
	s_or_b64 exec, exec, s[4:5]
	s_mov_b64 s[10:11], 0
	s_and_saveexec_b64 s[52:53], s[8:9]
	v_readlane_b32 s12, v46, 6
	v_readlane_b32 s42, v46, 8
	;; [unrolled: 1-line block ×4, first 2 shown]
	s_cbranch_execz .LBB138_279
; %bb.269:                              ;   in Loop: Header=BB138_18 Depth=1
	v_readlane_b32 s4, v46, 10
	v_readlane_b32 s5, v46, 11
	v_mov_b32_e32 v6, 1
	s_xor_b64 s[4:5], s[4:5], -1
	v_mov_b32_e32 v7, 0
	v_mov_b32_e32 v2, 1
	s_and_saveexec_b64 s[8:9], s[4:5]
	s_cbranch_execz .LBB138_278
; %bb.270:                              ;   in Loop: Header=BB138_18 Depth=1
	v_cmp_ge_u64_e32 vcc, s[16:17], v[4:5]
	s_and_saveexec_b64 s[4:5], vcc
	s_xor_b64 s[10:11], exec, s[4:5]
	s_cbranch_execz .LBB138_275
; %bb.271:                              ;   in Loop: Header=BB138_18 Depth=1
	ds_read_b64 v[6:7], v3 offset:5120
	v_or_b32_e32 v9, s72, v9
	v_or_b32_e32 v8, s72, v8
	s_waitcnt lgkmcnt(0)
	v_cmp_ne_u64_e32 vcc, 0, v[6:7]
	s_cbranch_vccnz .LBB138_275
; %bb.272:                              ;   in Loop: Header=BB138_18 Depth=1
	s_mov_b64 s[4:5], exec
	v_readlane_b32 s12, v47, 32
	v_readlane_b32 s13, v47, 33
	s_and_b64 s[12:13], s[4:5], s[12:13]
	s_mov_b64 exec, s[12:13]
; %bb.273:                              ;   in Loop: Header=BB138_18 Depth=1
	v_mov_b32_e32 v6, s16
	v_mov_b32_e32 v7, s17
	ds_write_b64 v3, v[6:7] offset:5128
; %bb.274:                              ;   in Loop: Header=BB138_18 Depth=1
	s_or_b64 exec, exec, s[4:5]
	s_waitcnt lgkmcnt(0)
	s_barrier
.LBB138_275:                            ;   in Loop: Header=BB138_18 Depth=1
	s_andn2_saveexec_b64 s[10:11], s[10:11]
; %bb.276:                              ;   in Loop: Header=BB138_18 Depth=1
	v_mov_b32_e32 v2, s17
	v_subrev_co_u32_e32 v4, vcc, s16, v4
	v_subb_co_u32_e32 v5, vcc, v5, v2, vcc
; %bb.277:                              ;   in Loop: Header=BB138_18 Depth=1
	s_or_b64 exec, exec, s[10:11]
	v_mov_b32_e32 v7, v5
	v_readlane_b32 s12, v46, 6
	v_readlane_b32 s42, v46, 8
	v_mov_b32_e32 v2, 8
	v_mov_b32_e32 v6, v4
	v_readlane_b32 s13, v46, 7
	v_readlane_b32 s43, v46, 9
.LBB138_278:                            ;   in Loop: Header=BB138_18 Depth=1
	s_or_b64 exec, exec, s[8:9]
	v_mov_b32_e32 v4, v6
	s_mov_b64 s[10:11], exec
	v_mov_b32_e32 v5, v7
.LBB138_279:                            ;   in Loop: Header=BB138_18 Depth=1
	s_or_b64 exec, exec, s[52:53]
	s_orn2_b64 s[8:9], s[10:11], exec
.LBB138_280:                            ;   in Loop: Header=BB138_18 Depth=1
	s_or_b64 exec, exec, s[42:43]
	s_andn2_b64 s[4:5], s[54:55], exec
	s_and_b64 s[10:11], s[84:85], exec
	s_or_b64 s[54:55], s[4:5], s[10:11]
	s_andn2_b64 s[4:5], s[60:61], exec
	s_and_b64 s[10:11], s[76:77], exec
	v_mov_b32_e32 v7, v5
	s_or_b64 s[60:61], s[4:5], s[10:11]
	s_and_b64 s[10:11], s[8:9], exec
	v_mov_b32_e32 v6, v4
.LBB138_281:                            ;   in Loop: Header=BB138_18 Depth=1
	s_or_b64 exec, exec, s[20:21]
	s_orn2_b64 s[8:9], s[10:11], exec
.LBB138_282:                            ;   in Loop: Header=BB138_18 Depth=1
	s_or_b64 exec, exec, s[12:13]
	s_andn2_b64 s[4:5], s[58:59], exec
	s_and_b64 s[10:11], s[54:55], exec
	s_or_b64 s[58:59], s[4:5], s[10:11]
	s_andn2_b64 s[4:5], s[56:57], exec
	s_and_b64 s[10:11], s[60:61], exec
	v_mov_b32_e32 v4, v6
	s_or_b64 s[56:57], s[4:5], s[10:11]
	s_and_b64 s[10:11], s[8:9], exec
	v_mov_b32_e32 v5, v7
.LBB138_283:                            ;   in Loop: Header=BB138_18 Depth=1
	s_or_b64 exec, exec, s[40:41]
	s_orn2_b64 s[8:9], s[10:11], exec
.LBB138_284:                            ;   in Loop: Header=BB138_18 Depth=1
	s_or_b64 exec, exec, s[6:7]
	s_mov_b64 s[6:7], 0
	s_mov_b64 s[10:11], 0
	s_and_saveexec_b64 s[4:5], s[8:9]
	s_xor_b64 s[4:5], exec, s[4:5]
; %bb.285:                              ;   in Loop: Header=BB138_18 Depth=1
	v_cmp_eq_u32_e32 vcc, 8, v2
	v_cmp_ne_u32_e64 s[6:7], 8, v2
	s_and_b64 s[10:11], s[6:7], exec
	s_and_b64 s[6:7], vcc, exec
; %bb.286:                              ;   in Loop: Header=BB138_18 Depth=1
	s_or_b64 exec, exec, s[4:5]
	s_andn2_b64 s[2:3], s[2:3], exec
	s_and_b64 s[4:5], s[58:59], exec
	s_or_b64 s[2:3], s[2:3], s[4:5]
	s_andn2_b64 s[4:5], s[14:15], exec
	s_and_b64 s[8:9], s[56:57], exec
	s_or_b64 s[14:15], s[4:5], s[8:9]
	s_and_b64 s[56:57], s[10:11], exec
	s_and_b64 s[58:59], s[6:7], exec
.LBB138_287:                            ;   in Loop: Header=BB138_18 Depth=1
	s_or_b64 exec, exec, s[38:39]
.LBB138_288:                            ;   in Loop: Header=BB138_18 Depth=1
	s_and_b64 vcc, exec, s[36:37]
	s_cbranch_vccz .LBB138_304
; %bb.289:                              ;   in Loop: Header=BB138_18 Depth=1
	s_cmp_eq_u64 s[16:17], 1
	s_cselect_b64 s[2:3], -1, 0
	s_and_b64 s[6:7], s[2:3], s[18:19]
	s_mov_b64 s[8:9], -1
                                        ; implicit-def: $sgpr18_sgpr19
                                        ; implicit-def: $sgpr24_sgpr25
	s_and_saveexec_b64 s[2:3], s[6:7]
	s_cbranch_execz .LBB138_325
; %bb.290:                              ;   in Loop: Header=BB138_18 Depth=1
	ds_read_b64 v[4:5], v3 offset:5120
	s_waitcnt lgkmcnt(0)
	s_barrier
	v_readfirstlane_b32 s10, v4
	v_readfirstlane_b32 s11, v5
	s_mov_b64 s[4:5], exec
	v_readlane_b32 s8, v47, 48
	v_readlane_b32 s9, v47, 49
	s_and_b64 s[8:9], s[4:5], s[8:9]
	s_mov_b64 exec, s[8:9]
; %bb.291:                              ;   in Loop: Header=BB138_18 Depth=1
	ds_write_b8 v0, v3 offset:3072
; %bb.292:                              ;   in Loop: Header=BB138_18 Depth=1
	s_or_b64 exec, exec, s[4:5]
	v_or_b32_e32 v28, s72, v28
	v_or_b32_e32 v32, s72, v32
	s_mov_b64 s[24:25], -1
	s_mov_b64 s[18:19], 0
	s_cmp_eq_u64 s[10:11], 0
	s_mov_b64 s[8:9], 0
	s_mov_b64 s[14:15], -1
	s_waitcnt lgkmcnt(0)
	s_barrier
                                        ; implicit-def: $vgpr33
	s_cbranch_scc1 .LBB138_307
; %bb.293:                              ;   in Loop: Header=BB138_18 Depth=1
	v_readlane_b32 s4, v47, 52
	s_add_u32 s14, s10, s4
	v_readlane_b32 s4, v47, 54
	s_addc_u32 s9, s11, s4
	s_mov_b32 s8, s71
	s_cmp_lg_u64 s[8:9], 0
	s_cbranch_scc0 .LBB138_310
; %bb.294:                              ;   in Loop: Header=BB138_18 Depth=1
	v_cvt_f32_u32_e32 v2, s33
	s_sub_u32 s8, 0, s33
	s_subb_u32 s12, 0, 0
	v_mac_f32_e32 v2, 0, v30
	v_rcp_f32_e32 v2, v2
	v_mul_f32_e32 v2, 0x5f7ffffc, v2
	v_mul_f32_e32 v4, 0x2f800000, v2
	v_trunc_f32_e32 v4, v4
	v_mac_f32_e32 v2, 0xcf800000, v4
	v_cvt_u32_f32_e32 v4, v4
	v_cvt_u32_f32_e32 v2, v2
	v_readfirstlane_b32 s13, v4
	v_readfirstlane_b32 s4, v2
	s_mul_i32 s5, s8, s13
	s_mul_hi_u32 s20, s8, s4
	s_mul_i32 s15, s12, s4
	s_add_i32 s5, s20, s5
	s_mul_i32 s21, s8, s4
	s_add_i32 s5, s5, s15
	s_mul_hi_u32 s20, s4, s21
	s_mul_i32 s36, s4, s5
	s_mul_hi_u32 s15, s4, s5
	s_add_u32 s20, s20, s36
	s_addc_u32 s15, 0, s15
	s_mul_hi_u32 s37, s13, s21
	s_mul_i32 s21, s13, s21
	s_add_u32 s20, s20, s21
	s_mul_hi_u32 s36, s13, s5
	s_addc_u32 s15, s15, s37
	s_addc_u32 s20, s36, 0
	s_mul_i32 s5, s13, s5
	s_add_u32 s5, s15, s5
	s_addc_u32 s15, 0, s20
	s_add_u32 s20, s4, s5
	s_cselect_b64 s[4:5], -1, 0
	s_cmp_lg_u64 s[4:5], 0
	s_addc_u32 s13, s13, s15
	s_mul_i32 s4, s8, s13
	s_mul_hi_u32 s5, s8, s20
	s_add_i32 s4, s5, s4
	s_mul_i32 s12, s12, s20
	s_add_i32 s4, s4, s12
	s_mul_i32 s8, s8, s20
	s_mul_hi_u32 s12, s13, s8
	s_mul_i32 s15, s13, s8
	s_mul_i32 s36, s20, s4
	s_mul_hi_u32 s8, s20, s8
	s_mul_hi_u32 s21, s20, s4
	s_add_u32 s8, s8, s36
	s_addc_u32 s21, 0, s21
	s_add_u32 s8, s8, s15
	s_mul_hi_u32 s5, s13, s4
	s_addc_u32 s8, s21, s12
	s_addc_u32 s5, s5, 0
	s_mul_i32 s4, s13, s4
	s_add_u32 s4, s8, s4
	s_addc_u32 s8, 0, s5
	s_add_u32 s12, s20, s4
	s_cselect_b64 s[4:5], -1, 0
	s_cmp_lg_u64 s[4:5], 0
	s_addc_u32 s4, s13, s8
	s_mul_i32 s8, s14, s4
	s_mul_hi_u32 s13, s14, s12
	s_mul_hi_u32 s5, s14, s4
	s_add_u32 s8, s13, s8
	s_addc_u32 s5, 0, s5
	s_mul_hi_u32 s15, s9, s12
	s_mul_i32 s12, s9, s12
	s_add_u32 s8, s8, s12
	s_mul_hi_u32 s13, s9, s4
	s_addc_u32 s5, s5, s15
	s_addc_u32 s8, s13, 0
	s_mul_i32 s4, s9, s4
	s_add_u32 s4, s5, s4
	s_addc_u32 s5, 0, s8
	s_mul_i32 s5, s33, s5
	s_mul_hi_u32 s8, s33, s4
	s_add_i32 s8, s8, s5
	s_mul_i32 s4, s33, s4
	s_sub_u32 s12, s14, s4
	s_cselect_b64 s[4:5], -1, 0
	s_cmp_lg_u64 s[4:5], 0
	s_subb_u32 s8, s9, s8
	s_sub_u32 s13, s12, s33
	s_cselect_b64 s[4:5], -1, 0
	s_cmp_lg_u64 s[4:5], 0
	s_subb_u32 s15, s8, 0
	;; [unrolled: 4-line block ×3, first 2 shown]
	s_cmp_ge_u32 s13, s33
	s_cselect_b32 s5, -1, 0
	s_cmp_eq_u32 s15, 0
	s_cselect_b32 s5, s5, -1
	s_cmp_lg_u32 s5, 0
	s_cselect_b32 s4, s4, s15
	s_cselect_b32 s5, s20, s13
	s_cmp_ge_u32 s12, s33
	s_cselect_b32 s13, -1, 0
	s_cmp_eq_u32 s8, 0
	s_cselect_b32 s13, s13, -1
	s_cmp_lg_u32 s13, 0
	s_cselect_b32 s13, s4, s8
	s_cselect_b32 s12, s5, s12
	s_cbranch_execnz .LBB138_296
.LBB138_295:                            ;   in Loop: Header=BB138_18 Depth=1
	v_cvt_f32_u32_e32 v2, s33
	s_sub_i32 s4, 0, s33
	s_mov_b32 s8, s70
	v_rcp_iflag_f32_e32 v2, v2
	v_mul_f32_e32 v2, 0x4f7ffffe, v2
	v_cvt_u32_f32_e32 v2, v2
	v_readfirstlane_b32 s5, v2
	s_mul_i32 s4, s4, s5
	s_mul_hi_u32 s4, s5, s4
	s_add_i32 s5, s5, s4
	s_mul_hi_u32 s4, s14, s5
	s_mul_i32 s4, s4, s33
	s_sub_i32 s4, s14, s4
	s_sub_i32 s5, s4, s33
	s_cmp_ge_u32 s4, s33
	s_cselect_b32 s4, s5, s4
	s_sub_i32 s5, s4, s33
	s_cmp_ge_u32 s4, s33
	s_cselect_b32 s70, s5, s4
	s_mov_b64 s[12:13], s[70:71]
	s_mov_b32 s70, s8
.LBB138_296:                            ;   in Loop: Header=BB138_18 Depth=1
	s_sub_u32 s36, s14, s12
	s_subb_u32 s37, s9, s13
	v_cmp_gt_u64_e32 vcc, s[36:37], v[0:1]
	s_mov_b64 s[14:15], 0
	s_mov_b64 s[8:9], 0
                                        ; implicit-def: $vgpr33
	s_and_saveexec_b64 s[20:21], vcc
	s_cbranch_execz .LBB138_306
; %bb.297:                              ;   in Loop: Header=BB138_18 Depth=1
	v_mov_b32_e32 v5, v1
	v_mov_b32_e32 v2, v0
	;; [unrolled: 1-line block ×3, first 2 shown]
                                        ; implicit-def: $sgpr38_sgpr39
	s_branch .LBB138_300
.LBB138_298:                            ;   in Loop: Header=BB138_300 Depth=2
	s_or_b64 exec, exec, s[12:13]
	s_waitcnt lgkmcnt(0)
	s_barrier
	ds_read_u16 v6, v3 offset:3072
	s_mov_b64 s[4:5], -1
	s_waitcnt lgkmcnt(0)
	s_barrier
	v_cmp_ne_u32_sdwa s[12:13], v6, v3 src0_sel:BYTE_0 src1_sel:DWORD
	s_and_b64 vcc, exec, s[12:13]
	s_mov_b64 s[12:13], -1
	s_cbranch_vccz .LBB138_303
.LBB138_299:                            ;   in Loop: Header=BB138_300 Depth=2
	s_and_b64 s[4:5], exec, s[4:5]
	s_or_b64 s[8:9], s[4:5], s[8:9]
	s_andn2_b64 s[4:5], s[38:39], exec
	s_and_b64 s[12:13], s[12:13], exec
	s_or_b64 s[38:39], s[4:5], s[12:13]
	s_andn2_b64 exec, exec, s[8:9]
	s_cbranch_execz .LBB138_305
.LBB138_300:                            ;   Parent Loop BB138_18 Depth=1
                                        ; =>  This Inner Loop Header: Depth=2
	v_cmp_gt_u64_e32 vcc, s[10:11], v[4:5]
	s_and_saveexec_b64 s[12:13], vcc
	s_cbranch_execz .LBB138_298
; %bb.301:                              ;   in Loop: Header=BB138_300 Depth=2
	ds_read_u8 v6, v2
	s_waitcnt lgkmcnt(0)
	v_add_u32_sdwa v7, sext(v6), s82 dst_sel:DWORD dst_unused:UNUSED_PAD src0_sel:BYTE_0 src1_sel:DWORD
	v_and_b32_e32 v7, v7, v32
	v_cmp_eq_u32_e32 vcc, v7, v28
	s_and_b64 exec, exec, vcc
	s_cbranch_execz .LBB138_298
; %bb.302:                              ;   in Loop: Header=BB138_300 Depth=2
	v_lshlrev_b16_e32 v6, 8, v6
	v_or_b32_e32 v6, 1, v6
	ds_write_b16 v3, v6 offset:3072
	s_branch .LBB138_298
.LBB138_303:                            ;   in Loop: Header=BB138_300 Depth=2
	v_add_co_u32_e32 v4, vcc, s33, v4
	v_addc_co_u32_e32 v5, vcc, 0, v5, vcc
	v_cmp_le_u64_e32 vcc, s[36:37], v[4:5]
	v_add_u32_e32 v2, s33, v2
	s_mov_b64 s[12:13], 0
	s_orn2_b64 s[4:5], vcc, exec
	s_branch .LBB138_299
.LBB138_304:                            ;   in Loop: Header=BB138_18 Depth=1
	s_mov_b64 s[18:19], 0
	v_mov_b32_e32 v28, v9
	v_mov_b32_e32 v32, v8
	v_mov_b32_e32 v33, v10
	s_and_saveexec_b64 s[4:5], s[58:59]
	s_cbranch_execnz .LBB138_484
	s_branch .LBB138_485
.LBB138_305:                            ;   in Loop: Header=BB138_18 Depth=1
	s_or_b64 exec, exec, s[8:9]
	v_lshrrev_b32_sdwa v33, v31, v6 dst_sel:DWORD dst_unused:UNUSED_PAD src0_sel:DWORD src1_sel:WORD_0
	s_and_b64 s[8:9], s[38:39], exec
.LBB138_306:                            ;   in Loop: Header=BB138_18 Depth=1
	s_or_b64 exec, exec, s[20:21]
.LBB138_307:                            ;   in Loop: Header=BB138_18 Depth=1
	s_and_b64 vcc, exec, s[14:15]
	s_cbranch_vccz .LBB138_324
; %bb.308:                              ;   in Loop: Header=BB138_18 Depth=1
	v_readlane_b32 s20, v47, 55
	v_readlane_b32 s21, v47, 56
	s_mov_b32 s20, s71
	s_cmp_lg_u64 s[20:21], 0
	v_writelane_b32 v47, s20, 55
	v_writelane_b32 v47, s21, 56
	s_cbranch_scc0 .LBB138_311
; %bb.309:                              ;   in Loop: Header=BB138_18 Depth=1
	v_cvt_f32_u32_e32 v2, s33
	s_sub_u32 s10, 0, s33
	s_subb_u32 s11, 0, 0
	v_mac_f32_e32 v2, 0, v30
	v_rcp_f32_e32 v2, v2
	v_mul_f32_e32 v2, 0x5f7ffffc, v2
	v_mul_f32_e32 v4, 0x2f800000, v2
	v_trunc_f32_e32 v4, v4
	v_mac_f32_e32 v2, 0xcf800000, v4
	v_cvt_u32_f32_e32 v4, v4
	v_cvt_u32_f32_e32 v2, v2
	v_readfirstlane_b32 s12, v4
	v_readfirstlane_b32 s4, v2
	s_mul_i32 s5, s10, s12
	s_mul_hi_u32 s14, s10, s4
	s_mul_i32 s13, s11, s4
	s_add_i32 s5, s14, s5
	s_mul_i32 s15, s10, s4
	s_add_i32 s5, s5, s13
	s_mul_hi_u32 s14, s4, s15
	s_mul_i32 s18, s4, s5
	s_mul_hi_u32 s13, s4, s5
	s_add_u32 s14, s14, s18
	s_addc_u32 s13, 0, s13
	s_mul_hi_u32 s19, s12, s15
	s_mul_i32 s15, s12, s15
	s_add_u32 s14, s14, s15
	s_mul_hi_u32 s18, s12, s5
	s_addc_u32 s13, s13, s19
	s_addc_u32 s14, s18, 0
	s_mul_i32 s5, s12, s5
	s_add_u32 s5, s13, s5
	s_addc_u32 s13, 0, s14
	s_add_u32 s14, s4, s5
	s_cselect_b64 s[4:5], -1, 0
	s_cmp_lg_u64 s[4:5], 0
	s_addc_u32 s12, s12, s13
	s_mul_i32 s4, s10, s12
	s_mul_hi_u32 s5, s10, s14
	s_add_i32 s4, s5, s4
	s_mul_i32 s11, s11, s14
	s_add_i32 s4, s4, s11
	s_mul_i32 s10, s10, s14
	s_mul_hi_u32 s11, s12, s10
	s_mul_i32 s13, s12, s10
	s_mul_i32 s18, s14, s4
	s_mul_hi_u32 s10, s14, s10
	s_mul_hi_u32 s15, s14, s4
	s_add_u32 s10, s10, s18
	s_addc_u32 s15, 0, s15
	s_add_u32 s10, s10, s13
	s_mul_hi_u32 s5, s12, s4
	s_addc_u32 s10, s15, s11
	s_addc_u32 s5, s5, 0
	s_mul_i32 s4, s12, s4
	s_add_u32 s4, s10, s4
	s_addc_u32 s10, 0, s5
	s_add_u32 s11, s14, s4
	s_cselect_b64 s[4:5], -1, 0
	s_cmp_lg_u64 s[4:5], 0
	s_addc_u32 s4, s12, s10
	v_readlane_b32 s15, v47, 53
	s_mul_i32 s10, s15, s4
	s_mul_hi_u32 s12, s15, s11
	s_mul_hi_u32 s5, s15, s4
	s_add_u32 s10, s12, s10
	s_addc_u32 s5, 0, s5
	s_mul_hi_u32 s13, s21, s11
	s_mul_i32 s11, s21, s11
	s_add_u32 s10, s10, s11
	s_mul_hi_u32 s12, s21, s4
	s_addc_u32 s5, s5, s13
	s_addc_u32 s10, s12, 0
	s_mul_i32 s4, s21, s4
	s_add_u32 s4, s5, s4
	s_addc_u32 s5, 0, s10
	s_mul_i32 s5, s33, s5
	s_mul_hi_u32 s10, s33, s4
	s_add_i32 s10, s10, s5
	s_mul_i32 s4, s33, s4
	s_sub_u32 s12, s15, s4
	s_cselect_b64 s[4:5], -1, 0
	s_cmp_lg_u64 s[4:5], 0
	s_subb_u32 s10, s21, s10
	s_sub_u32 s11, s12, s33
	s_cselect_b64 s[4:5], -1, 0
	s_cmp_lg_u64 s[4:5], 0
	s_subb_u32 s13, s10, 0
	;; [unrolled: 4-line block ×3, first 2 shown]
	s_cmp_ge_u32 s11, s33
	s_cselect_b32 s5, -1, 0
	s_cmp_eq_u32 s13, 0
	s_cselect_b32 s5, s5, -1
	s_cmp_lg_u32 s5, 0
	s_cselect_b32 s4, s4, s13
	s_cselect_b32 s5, s14, s11
	s_cmp_ge_u32 s12, s33
	s_cselect_b32 s11, -1, 0
	s_cmp_eq_u32 s10, 0
	s_cselect_b32 s11, s11, -1
	s_cmp_lg_u32 s11, 0
	s_cselect_b32 s11, s4, s10
	s_cselect_b32 s10, s5, s12
	s_mov_b64 s[4:5], 0
	s_branch .LBB138_312
.LBB138_310:                            ;   in Loop: Header=BB138_18 Depth=1
                                        ; implicit-def: $sgpr12_sgpr13
	s_branch .LBB138_295
.LBB138_311:                            ;   in Loop: Header=BB138_18 Depth=1
	s_mov_b64 s[4:5], -1
	v_readlane_b32 s15, v47, 53
                                        ; implicit-def: $sgpr10_sgpr11
.LBB138_312:                            ;   in Loop: Header=BB138_18 Depth=1
	s_andn2_b64 vcc, exec, s[4:5]
	v_readlane_b32 s70, v46, 5
	s_cbranch_vccnz .LBB138_314
; %bb.313:                              ;   in Loop: Header=BB138_18 Depth=1
	v_cvt_f32_u32_e32 v2, s33
	s_sub_i32 s4, 0, s33
	s_mov_b32 s12, s70
	v_rcp_iflag_f32_e32 v2, v2
	v_mul_f32_e32 v2, 0x4f7ffffe, v2
	v_cvt_u32_f32_e32 v2, v2
	v_readfirstlane_b32 s5, v2
	s_mul_i32 s4, s4, s5
	s_mul_hi_u32 s4, s5, s4
	s_add_i32 s5, s5, s4
	s_mul_hi_u32 s4, s15, s5
	s_mul_i32 s4, s4, s33
	s_sub_i32 s4, s15, s4
	s_sub_i32 s5, s4, s33
	s_cmp_ge_u32 s4, s33
	s_cselect_b32 s4, s5, s4
	s_sub_i32 s5, s4, s33
	s_cmp_ge_u32 s4, s33
	s_cselect_b32 s70, s5, s4
	s_mov_b64 s[10:11], s[70:71]
	s_mov_b32 s70, s12
.LBB138_314:                            ;   in Loop: Header=BB138_18 Depth=1
	v_readlane_b32 s4, v47, 55
	s_sub_u32 s14, s15, s10
	v_readlane_b32 s5, v47, 56
	s_subb_u32 s15, s5, s11
	v_cmp_gt_u64_e32 vcc, s[14:15], v[0:1]
                                        ; implicit-def: $vgpr33
	s_and_saveexec_b64 s[10:11], vcc
	s_cbranch_execz .LBB138_323
; %bb.315:                              ;   in Loop: Header=BB138_18 Depth=1
	v_mov_b32_e32 v5, v1
	s_mov_b64 s[18:19], 0
	v_mov_b32_e32 v4, v0
                                        ; implicit-def: $sgpr20_sgpr21
	s_branch .LBB138_318
.LBB138_316:                            ;   in Loop: Header=BB138_318 Depth=2
	s_or_b64 exec, exec, s[12:13]
	s_waitcnt lgkmcnt(0)
	s_barrier
	ds_read_u16 v2, v3 offset:3072
	s_mov_b64 s[4:5], -1
	s_waitcnt lgkmcnt(0)
	s_barrier
	v_cmp_ne_u32_sdwa s[12:13], v2, v3 src0_sel:BYTE_0 src1_sel:DWORD
	s_and_b64 vcc, exec, s[12:13]
	s_mov_b64 s[12:13], -1
	s_cbranch_vccz .LBB138_321
.LBB138_317:                            ;   in Loop: Header=BB138_318 Depth=2
	s_and_b64 s[4:5], exec, s[4:5]
	s_or_b64 s[18:19], s[4:5], s[18:19]
	s_andn2_b64 s[4:5], s[20:21], exec
	s_and_b64 s[12:13], s[12:13], exec
	s_or_b64 s[20:21], s[4:5], s[12:13]
	s_andn2_b64 exec, exec, s[18:19]
	s_cbranch_execz .LBB138_322
.LBB138_318:                            ;   Parent Loop BB138_18 Depth=1
                                        ; =>  This Inner Loop Header: Depth=2
	v_cmp_gt_u64_e32 vcc, s[28:29], v[4:5]
	s_and_saveexec_b64 s[12:13], vcc
	s_cbranch_execz .LBB138_316
; %bb.319:                              ;   in Loop: Header=BB138_318 Depth=2
	v_mov_b32_e32 v6, s34
	v_mov_b32_e32 v7, s35
	v_mad_u64_u32 v[6:7], s[4:5], v4, s26, v[6:7]
	v_mul_lo_u32 v2, v4, s27
	v_mul_lo_u32 v8, v5, s26
	v_add3_u32 v7, v8, v7, v2
	global_load_ubyte v2, v[6:7], off
	s_waitcnt vmcnt(0)
	v_add_u32_sdwa v6, sext(v2), s82 dst_sel:DWORD dst_unused:UNUSED_PAD src0_sel:BYTE_0 src1_sel:DWORD
	v_and_b32_e32 v6, v6, v32
	v_cmp_eq_u32_e32 vcc, v6, v28
	s_and_b64 exec, exec, vcc
	s_cbranch_execz .LBB138_316
; %bb.320:                              ;   in Loop: Header=BB138_318 Depth=2
	v_lshlrev_b16_e32 v2, 8, v2
	v_or_b32_e32 v2, 1, v2
	ds_write_b16 v3, v2 offset:3072
	s_branch .LBB138_316
.LBB138_321:                            ;   in Loop: Header=BB138_318 Depth=2
	v_add_co_u32_e32 v4, vcc, s33, v4
	v_addc_co_u32_e32 v5, vcc, 0, v5, vcc
	v_cmp_le_u64_e32 vcc, s[14:15], v[4:5]
	s_mov_b64 s[12:13], 0
	s_orn2_b64 s[4:5], vcc, exec
	s_branch .LBB138_317
.LBB138_322:                            ;   in Loop: Header=BB138_18 Depth=1
	s_or_b64 exec, exec, s[18:19]
	s_andn2_b64 s[4:5], s[8:9], exec
	s_and_b64 s[8:9], s[20:21], exec
	v_lshrrev_b32_sdwa v33, v31, v2 dst_sel:DWORD dst_unused:UNUSED_PAD src0_sel:DWORD src1_sel:WORD_0
	s_or_b64 s[8:9], s[4:5], s[8:9]
.LBB138_323:                            ;   in Loop: Header=BB138_18 Depth=1
	s_or_b64 exec, exec, s[10:11]
	s_mov_b64 s[24:25], 0
	s_mov_b64 s[18:19], -1
.LBB138_324:                            ;   in Loop: Header=BB138_18 Depth=1
	s_orn2_b64 s[8:9], s[8:9], exec
.LBB138_325:                            ;   in Loop: Header=BB138_18 Depth=1
	s_or_b64 exec, exec, s[2:3]
                                        ; implicit-def: $vgpr4_vgpr5
                                        ; implicit-def: $vgpr2
	s_and_saveexec_b64 s[2:3], s[8:9]
	s_cbranch_execz .LBB138_483
; %bb.326:                              ;   in Loop: Header=BB138_18 Depth=1
	v_mov_b32_e32 v4, 1
	s_xor_b64 s[4:5], s[6:7], -1
	v_mov_b32_e32 v2, 1
	v_mov_b32_e32 v5, 0
	s_mov_b64 s[10:11], 0
	s_and_saveexec_b64 s[6:7], s[4:5]
	s_cbranch_execz .LBB138_335
; %bb.327:                              ;   in Loop: Header=BB138_18 Depth=1
	v_cmp_ge_u64_e32 vcc, s[16:17], v[19:20]
	s_and_saveexec_b64 s[4:5], vcc
	s_xor_b64 s[8:9], exec, s[4:5]
	s_cbranch_execz .LBB138_332
; %bb.328:                              ;   in Loop: Header=BB138_18 Depth=1
	ds_read_b64 v[4:5], v3 offset:5120
	v_or_b32_e32 v28, s72, v28
	v_or_b32_e32 v32, s72, v32
	s_waitcnt lgkmcnt(0)
	v_cmp_ne_u64_e32 vcc, 0, v[4:5]
	s_cbranch_vccnz .LBB138_332
; %bb.329:                              ;   in Loop: Header=BB138_18 Depth=1
	s_mov_b64 s[4:5], exec
	v_readlane_b32 s10, v47, 32
	v_readlane_b32 s11, v47, 33
	s_and_b64 s[10:11], s[4:5], s[10:11]
	s_mov_b64 exec, s[10:11]
; %bb.330:                              ;   in Loop: Header=BB138_18 Depth=1
	v_mov_b32_e32 v4, s16
	v_mov_b32_e32 v5, s17
	ds_write_b64 v3, v[4:5] offset:5128
; %bb.331:                              ;   in Loop: Header=BB138_18 Depth=1
	s_or_b64 exec, exec, s[4:5]
	s_waitcnt lgkmcnt(0)
	s_barrier
.LBB138_332:                            ;   in Loop: Header=BB138_18 Depth=1
	s_or_saveexec_b64 s[8:9], s[8:9]
	s_mov_b64 s[10:11], 0
	v_mov_b32_e32 v2, 5
	s_xor_b64 exec, exec, s[8:9]
; %bb.333:                              ;   in Loop: Header=BB138_18 Depth=1
	v_subrev_co_u32_e32 v19, vcc, s16, v19
	v_mov_b32_e32 v2, s17
	v_subb_co_u32_e32 v20, vcc, v20, v2, vcc
	v_mov_b32_e32 v2, 0
	s_mov_b64 s[10:11], exec
; %bb.334:                              ;   in Loop: Header=BB138_18 Depth=1
	s_or_b64 exec, exec, s[8:9]
	v_mov_b32_e32 v4, v19
	s_and_b64 s[10:11], s[10:11], exec
	v_mov_b32_e32 v5, v20
.LBB138_335:                            ;   in Loop: Header=BB138_18 Depth=1
	s_or_b64 exec, exec, s[6:7]
	s_mov_b64 s[8:9], -1
                                        ; implicit-def: $sgpr14_sgpr15
                                        ; implicit-def: $sgpr16_sgpr17
	s_and_saveexec_b64 s[4:5], s[10:11]
	s_xor_b64 s[6:7], exec, s[4:5]
	s_cbranch_execz .LBB138_480
; %bb.336:                              ;   in Loop: Header=BB138_18 Depth=1
	s_cmp_eq_u64 s[50:51], 1
	v_cmp_eq_u64_e32 vcc, 1, v[4:5]
	s_cselect_b64 s[4:5], -1, 0
	s_and_b64 s[20:21], s[4:5], vcc
                                        ; implicit-def: $sgpr16_sgpr17
                                        ; implicit-def: $sgpr14_sgpr15
	s_and_saveexec_b64 s[36:37], s[20:21]
	s_cbranch_execz .LBB138_371
; %bb.337:                              ;   in Loop: Header=BB138_18 Depth=1
	ds_read_b64 v[6:7], v3 offset:5120
	s_waitcnt lgkmcnt(0)
	s_barrier
	v_readfirstlane_b32 s10, v6
	v_readfirstlane_b32 s11, v7
	s_mov_b64 s[4:5], exec
	v_readlane_b32 s8, v47, 48
	v_readlane_b32 s9, v47, 49
	s_and_b64 s[8:9], s[4:5], s[8:9]
	s_mov_b64 exec, s[8:9]
; %bb.338:                              ;   in Loop: Header=BB138_18 Depth=1
	ds_write_b8 v0, v3 offset:3072
; %bb.339:                              ;   in Loop: Header=BB138_18 Depth=1
	s_or_b64 exec, exec, s[4:5]
	v_and_b32_e32 v6, s73, v28
	v_lshl_or_b32 v28, 2, s81, v6
	v_or_b32_e32 v32, s72, v32
	s_mov_b64 s[14:15], -1
	s_mov_b64 s[16:17], 0
	s_cmp_eq_u64 s[10:11], 0
	s_mov_b64 s[8:9], 0
	s_mov_b64 s[38:39], -1
	s_waitcnt lgkmcnt(0)
	s_barrier
                                        ; implicit-def: $vgpr33
	s_cbranch_scc1 .LBB138_353
; %bb.340:                              ;   in Loop: Header=BB138_18 Depth=1
	v_readlane_b32 s4, v47, 52
	s_add_u32 s38, s10, s4
	v_readlane_b32 s4, v47, 54
	s_addc_u32 s9, s11, s4
	s_mov_b32 s8, s71
	s_cmp_lg_u64 s[8:9], 0
	s_cbranch_scc0 .LBB138_356
; %bb.341:                              ;   in Loop: Header=BB138_18 Depth=1
	v_cvt_f32_u32_e32 v6, s33
	s_sub_u32 s8, 0, s33
	s_subb_u32 s12, 0, 0
	v_mac_f32_e32 v6, 0, v30
	v_rcp_f32_e32 v6, v6
	v_mul_f32_e32 v6, 0x5f7ffffc, v6
	v_mul_f32_e32 v7, 0x2f800000, v6
	v_trunc_f32_e32 v7, v7
	v_mac_f32_e32 v6, 0xcf800000, v7
	v_cvt_u32_f32_e32 v7, v7
	v_cvt_u32_f32_e32 v6, v6
	v_readfirstlane_b32 s13, v7
	v_readfirstlane_b32 s4, v6
	s_mul_i32 s5, s8, s13
	s_mul_hi_u32 s40, s8, s4
	s_mul_i32 s39, s12, s4
	s_add_i32 s5, s40, s5
	s_mul_i32 s41, s8, s4
	s_add_i32 s5, s5, s39
	s_mul_hi_u32 s40, s4, s41
	s_mul_i32 s42, s4, s5
	s_mul_hi_u32 s39, s4, s5
	s_add_u32 s40, s40, s42
	s_addc_u32 s39, 0, s39
	s_mul_hi_u32 s43, s13, s41
	s_mul_i32 s41, s13, s41
	s_add_u32 s40, s40, s41
	s_mul_hi_u32 s42, s13, s5
	s_addc_u32 s39, s39, s43
	s_addc_u32 s40, s42, 0
	s_mul_i32 s5, s13, s5
	s_add_u32 s5, s39, s5
	s_addc_u32 s39, 0, s40
	s_add_u32 s40, s4, s5
	s_cselect_b64 s[4:5], -1, 0
	s_cmp_lg_u64 s[4:5], 0
	s_addc_u32 s13, s13, s39
	s_mul_i32 s4, s8, s13
	s_mul_hi_u32 s5, s8, s40
	s_add_i32 s4, s5, s4
	s_mul_i32 s12, s12, s40
	s_add_i32 s4, s4, s12
	s_mul_i32 s8, s8, s40
	s_mul_hi_u32 s12, s13, s8
	s_mul_i32 s39, s13, s8
	s_mul_i32 s42, s40, s4
	s_mul_hi_u32 s8, s40, s8
	s_mul_hi_u32 s41, s40, s4
	s_add_u32 s8, s8, s42
	s_addc_u32 s41, 0, s41
	s_add_u32 s8, s8, s39
	s_mul_hi_u32 s5, s13, s4
	s_addc_u32 s8, s41, s12
	s_addc_u32 s5, s5, 0
	s_mul_i32 s4, s13, s4
	s_add_u32 s4, s8, s4
	s_addc_u32 s8, 0, s5
	s_add_u32 s12, s40, s4
	s_cselect_b64 s[4:5], -1, 0
	s_cmp_lg_u64 s[4:5], 0
	s_addc_u32 s4, s13, s8
	s_mul_i32 s8, s38, s4
	s_mul_hi_u32 s13, s38, s12
	s_mul_hi_u32 s5, s38, s4
	s_add_u32 s8, s13, s8
	s_addc_u32 s5, 0, s5
	s_mul_hi_u32 s39, s9, s12
	s_mul_i32 s12, s9, s12
	s_add_u32 s8, s8, s12
	s_mul_hi_u32 s13, s9, s4
	s_addc_u32 s5, s5, s39
	s_addc_u32 s8, s13, 0
	s_mul_i32 s4, s9, s4
	s_add_u32 s4, s5, s4
	s_addc_u32 s5, 0, s8
	s_mul_i32 s5, s33, s5
	s_mul_hi_u32 s8, s33, s4
	s_add_i32 s8, s8, s5
	s_mul_i32 s4, s33, s4
	s_sub_u32 s12, s38, s4
	s_cselect_b64 s[4:5], -1, 0
	s_cmp_lg_u64 s[4:5], 0
	s_subb_u32 s8, s9, s8
	s_sub_u32 s13, s12, s33
	s_cselect_b64 s[4:5], -1, 0
	s_cmp_lg_u64 s[4:5], 0
	s_subb_u32 s39, s8, 0
	;; [unrolled: 4-line block ×3, first 2 shown]
	s_cmp_ge_u32 s13, s33
	s_cselect_b32 s5, -1, 0
	s_cmp_eq_u32 s39, 0
	s_cselect_b32 s5, s5, -1
	s_cmp_lg_u32 s5, 0
	s_cselect_b32 s4, s4, s39
	s_cselect_b32 s5, s40, s13
	s_cmp_ge_u32 s12, s33
	s_cselect_b32 s13, -1, 0
	s_cmp_eq_u32 s8, 0
	s_cselect_b32 s13, s13, -1
	s_cmp_lg_u32 s13, 0
	s_cselect_b32 s13, s4, s8
	s_cselect_b32 s12, s5, s12
	s_cbranch_execnz .LBB138_343
.LBB138_342:                            ;   in Loop: Header=BB138_18 Depth=1
	v_cvt_f32_u32_e32 v6, s33
	s_sub_i32 s4, 0, s33
	s_mov_b32 s8, s70
	v_rcp_iflag_f32_e32 v6, v6
	v_mul_f32_e32 v6, 0x4f7ffffe, v6
	v_cvt_u32_f32_e32 v6, v6
	v_readfirstlane_b32 s5, v6
	s_mul_i32 s4, s4, s5
	s_mul_hi_u32 s4, s5, s4
	s_add_i32 s5, s5, s4
	s_mul_hi_u32 s4, s38, s5
	s_mul_i32 s4, s4, s33
	s_sub_i32 s4, s38, s4
	s_sub_i32 s5, s4, s33
	s_cmp_ge_u32 s4, s33
	s_cselect_b32 s4, s5, s4
	s_sub_i32 s5, s4, s33
	s_cmp_ge_u32 s4, s33
	s_cselect_b32 s70, s5, s4
	s_mov_b64 s[12:13], s[70:71]
	s_mov_b32 s70, s8
.LBB138_343:                            ;   in Loop: Header=BB138_18 Depth=1
	s_sub_u32 s42, s38, s12
	s_subb_u32 s43, s9, s13
	v_cmp_gt_u64_e32 vcc, s[42:43], v[0:1]
	s_mov_b64 s[38:39], 0
	s_mov_b64 s[8:9], 0
                                        ; implicit-def: $vgpr33
	s_and_saveexec_b64 s[40:41], vcc
	s_cbranch_execz .LBB138_352
; %bb.344:                              ;   in Loop: Header=BB138_18 Depth=1
	v_mov_b32_e32 v7, v1
	v_mov_b32_e32 v8, v0
	v_mov_b32_e32 v6, v0
                                        ; implicit-def: $sgpr52_sgpr53
	s_branch .LBB138_347
.LBB138_345:                            ;   in Loop: Header=BB138_347 Depth=2
	s_or_b64 exec, exec, s[12:13]
	s_waitcnt lgkmcnt(0)
	s_barrier
	ds_read_u16 v9, v3 offset:3072
	s_mov_b64 s[4:5], -1
	s_waitcnt lgkmcnt(0)
	s_barrier
	v_cmp_ne_u32_sdwa s[12:13], v9, v3 src0_sel:BYTE_0 src1_sel:DWORD
	s_and_b64 vcc, exec, s[12:13]
	s_mov_b64 s[12:13], -1
	s_cbranch_vccz .LBB138_350
.LBB138_346:                            ;   in Loop: Header=BB138_347 Depth=2
	s_and_b64 s[4:5], exec, s[4:5]
	s_or_b64 s[8:9], s[4:5], s[8:9]
	s_andn2_b64 s[4:5], s[52:53], exec
	s_and_b64 s[12:13], s[12:13], exec
	s_or_b64 s[52:53], s[4:5], s[12:13]
	s_andn2_b64 exec, exec, s[8:9]
	s_cbranch_execz .LBB138_351
.LBB138_347:                            ;   Parent Loop BB138_18 Depth=1
                                        ; =>  This Inner Loop Header: Depth=2
	v_cmp_gt_u64_e32 vcc, s[10:11], v[6:7]
	s_and_saveexec_b64 s[12:13], vcc
	s_cbranch_execz .LBB138_345
; %bb.348:                              ;   in Loop: Header=BB138_347 Depth=2
	ds_read_u8 v9, v8
	s_waitcnt lgkmcnt(0)
	v_add_u32_sdwa v10, sext(v9), s82 dst_sel:DWORD dst_unused:UNUSED_PAD src0_sel:BYTE_0 src1_sel:DWORD
	v_and_b32_e32 v10, v10, v32
	v_cmp_eq_u32_e32 vcc, v10, v28
	s_and_b64 exec, exec, vcc
	s_cbranch_execz .LBB138_345
; %bb.349:                              ;   in Loop: Header=BB138_347 Depth=2
	v_lshlrev_b16_e32 v9, 8, v9
	v_or_b32_e32 v9, 1, v9
	ds_write_b16 v3, v9 offset:3072
	s_branch .LBB138_345
.LBB138_350:                            ;   in Loop: Header=BB138_347 Depth=2
	v_add_co_u32_e32 v6, vcc, s33, v6
	v_addc_co_u32_e32 v7, vcc, 0, v7, vcc
	v_cmp_le_u64_e32 vcc, s[42:43], v[6:7]
	v_add_u32_e32 v8, s33, v8
	s_mov_b64 s[12:13], 0
	s_orn2_b64 s[4:5], vcc, exec
	s_branch .LBB138_346
.LBB138_351:                            ;   in Loop: Header=BB138_18 Depth=1
	s_or_b64 exec, exec, s[8:9]
	v_lshrrev_b32_sdwa v33, v31, v9 dst_sel:DWORD dst_unused:UNUSED_PAD src0_sel:DWORD src1_sel:WORD_0
	s_and_b64 s[8:9], s[52:53], exec
.LBB138_352:                            ;   in Loop: Header=BB138_18 Depth=1
	s_or_b64 exec, exec, s[40:41]
.LBB138_353:                            ;   in Loop: Header=BB138_18 Depth=1
	s_and_b64 vcc, exec, s[38:39]
	s_cbranch_vccz .LBB138_370
; %bb.354:                              ;   in Loop: Header=BB138_18 Depth=1
	v_readlane_b32 s38, v47, 55
	v_readlane_b32 s39, v47, 56
	s_mov_b32 s38, s71
	s_cmp_lg_u64 s[38:39], 0
	v_writelane_b32 v47, s38, 55
	v_writelane_b32 v47, s39, 56
	s_cbranch_scc0 .LBB138_357
; %bb.355:                              ;   in Loop: Header=BB138_18 Depth=1
	v_cvt_f32_u32_e32 v6, s33
	s_sub_u32 s10, 0, s33
	s_subb_u32 s11, 0, 0
	v_mac_f32_e32 v6, 0, v30
	v_rcp_f32_e32 v6, v6
	v_mul_f32_e32 v6, 0x5f7ffffc, v6
	v_mul_f32_e32 v7, 0x2f800000, v6
	v_trunc_f32_e32 v7, v7
	v_mac_f32_e32 v6, 0xcf800000, v7
	v_cvt_u32_f32_e32 v7, v7
	v_cvt_u32_f32_e32 v6, v6
	v_readfirstlane_b32 s12, v7
	v_readfirstlane_b32 s4, v6
	s_mul_i32 s5, s10, s12
	s_mul_hi_u32 s14, s10, s4
	s_mul_i32 s13, s11, s4
	s_add_i32 s5, s14, s5
	s_mul_i32 s15, s10, s4
	s_add_i32 s5, s5, s13
	s_mul_hi_u32 s14, s4, s15
	s_mul_i32 s16, s4, s5
	s_mul_hi_u32 s13, s4, s5
	s_add_u32 s14, s14, s16
	s_addc_u32 s13, 0, s13
	s_mul_hi_u32 s17, s12, s15
	s_mul_i32 s15, s12, s15
	s_add_u32 s14, s14, s15
	s_mul_hi_u32 s16, s12, s5
	s_addc_u32 s13, s13, s17
	s_addc_u32 s14, s16, 0
	s_mul_i32 s5, s12, s5
	s_add_u32 s5, s13, s5
	s_addc_u32 s13, 0, s14
	s_add_u32 s14, s4, s5
	s_cselect_b64 s[4:5], -1, 0
	s_cmp_lg_u64 s[4:5], 0
	s_addc_u32 s12, s12, s13
	s_mul_i32 s4, s10, s12
	s_mul_hi_u32 s5, s10, s14
	s_add_i32 s4, s5, s4
	s_mul_i32 s11, s11, s14
	s_add_i32 s4, s4, s11
	s_mul_i32 s10, s10, s14
	s_mul_hi_u32 s11, s12, s10
	s_mul_i32 s13, s12, s10
	s_mul_i32 s16, s14, s4
	s_mul_hi_u32 s10, s14, s10
	s_mul_hi_u32 s15, s14, s4
	s_add_u32 s10, s10, s16
	s_addc_u32 s15, 0, s15
	s_add_u32 s10, s10, s13
	s_mul_hi_u32 s5, s12, s4
	s_addc_u32 s10, s15, s11
	s_addc_u32 s5, s5, 0
	s_mul_i32 s4, s12, s4
	s_add_u32 s4, s10, s4
	s_addc_u32 s10, 0, s5
	s_add_u32 s11, s14, s4
	s_cselect_b64 s[4:5], -1, 0
	s_cmp_lg_u64 s[4:5], 0
	s_addc_u32 s4, s12, s10
	v_readlane_b32 s15, v47, 53
	s_mul_i32 s10, s15, s4
	s_mul_hi_u32 s12, s15, s11
	s_mul_hi_u32 s5, s15, s4
	s_add_u32 s10, s12, s10
	s_addc_u32 s5, 0, s5
	s_mul_hi_u32 s13, s39, s11
	s_mul_i32 s11, s39, s11
	s_add_u32 s10, s10, s11
	s_mul_hi_u32 s12, s39, s4
	s_addc_u32 s5, s5, s13
	s_addc_u32 s10, s12, 0
	s_mul_i32 s4, s39, s4
	s_add_u32 s4, s5, s4
	s_addc_u32 s5, 0, s10
	s_mul_i32 s5, s33, s5
	s_mul_hi_u32 s10, s33, s4
	s_add_i32 s10, s10, s5
	s_mul_i32 s4, s33, s4
	s_sub_u32 s12, s15, s4
	s_cselect_b64 s[4:5], -1, 0
	s_cmp_lg_u64 s[4:5], 0
	s_subb_u32 s10, s39, s10
	s_sub_u32 s11, s12, s33
	s_cselect_b64 s[4:5], -1, 0
	s_cmp_lg_u64 s[4:5], 0
	s_subb_u32 s13, s10, 0
	;; [unrolled: 4-line block ×3, first 2 shown]
	s_cmp_ge_u32 s11, s33
	s_cselect_b32 s5, -1, 0
	s_cmp_eq_u32 s13, 0
	s_cselect_b32 s5, s5, -1
	s_cmp_lg_u32 s5, 0
	s_cselect_b32 s4, s4, s13
	s_cselect_b32 s5, s14, s11
	s_cmp_ge_u32 s12, s33
	s_cselect_b32 s11, -1, 0
	s_cmp_eq_u32 s10, 0
	s_cselect_b32 s11, s11, -1
	s_cmp_lg_u32 s11, 0
	s_cselect_b32 s11, s4, s10
	s_cselect_b32 s10, s5, s12
	s_mov_b64 s[4:5], 0
	s_branch .LBB138_358
.LBB138_356:                            ;   in Loop: Header=BB138_18 Depth=1
                                        ; implicit-def: $sgpr12_sgpr13
	s_branch .LBB138_342
.LBB138_357:                            ;   in Loop: Header=BB138_18 Depth=1
	s_mov_b64 s[4:5], -1
	v_readlane_b32 s15, v47, 53
                                        ; implicit-def: $sgpr10_sgpr11
.LBB138_358:                            ;   in Loop: Header=BB138_18 Depth=1
	s_andn2_b64 vcc, exec, s[4:5]
	v_readlane_b32 s70, v46, 5
	s_cbranch_vccnz .LBB138_360
; %bb.359:                              ;   in Loop: Header=BB138_18 Depth=1
	v_cvt_f32_u32_e32 v6, s33
	s_sub_i32 s4, 0, s33
	s_mov_b32 s12, s70
	v_rcp_iflag_f32_e32 v6, v6
	v_mul_f32_e32 v6, 0x4f7ffffe, v6
	v_cvt_u32_f32_e32 v6, v6
	v_readfirstlane_b32 s5, v6
	s_mul_i32 s4, s4, s5
	s_mul_hi_u32 s4, s5, s4
	s_add_i32 s5, s5, s4
	s_mul_hi_u32 s4, s15, s5
	s_mul_i32 s4, s4, s33
	s_sub_i32 s4, s15, s4
	s_sub_i32 s5, s4, s33
	s_cmp_ge_u32 s4, s33
	s_cselect_b32 s4, s5, s4
	s_sub_i32 s5, s4, s33
	s_cmp_ge_u32 s4, s33
	s_cselect_b32 s70, s5, s4
	s_mov_b64 s[10:11], s[70:71]
	s_mov_b32 s70, s12
.LBB138_360:                            ;   in Loop: Header=BB138_18 Depth=1
	v_readlane_b32 s4, v47, 55
	s_sub_u32 s14, s15, s10
	v_readlane_b32 s5, v47, 56
	s_subb_u32 s15, s5, s11
	v_cmp_gt_u64_e32 vcc, s[14:15], v[0:1]
                                        ; implicit-def: $vgpr33
	s_and_saveexec_b64 s[10:11], vcc
	s_cbranch_execz .LBB138_369
; %bb.361:                              ;   in Loop: Header=BB138_18 Depth=1
	v_mov_b32_e32 v7, v1
	s_mov_b64 s[16:17], 0
	v_mov_b32_e32 v6, v0
                                        ; implicit-def: $sgpr38_sgpr39
	s_branch .LBB138_364
.LBB138_362:                            ;   in Loop: Header=BB138_364 Depth=2
	s_or_b64 exec, exec, s[12:13]
	s_waitcnt lgkmcnt(0)
	s_barrier
	ds_read_u16 v8, v3 offset:3072
	s_mov_b64 s[4:5], -1
	s_waitcnt lgkmcnt(0)
	s_barrier
	v_cmp_eq_u32_sdwa s[12:13], v8, v3 src0_sel:BYTE_0 src1_sel:DWORD
	s_and_b64 vcc, exec, s[12:13]
	s_mov_b64 s[12:13], -1
	s_cbranch_vccnz .LBB138_367
.LBB138_363:                            ;   in Loop: Header=BB138_364 Depth=2
	s_and_b64 s[4:5], exec, s[4:5]
	s_or_b64 s[16:17], s[4:5], s[16:17]
	s_andn2_b64 s[4:5], s[38:39], exec
	s_and_b64 s[12:13], s[12:13], exec
	s_or_b64 s[38:39], s[4:5], s[12:13]
	s_andn2_b64 exec, exec, s[16:17]
	s_cbranch_execz .LBB138_368
.LBB138_364:                            ;   Parent Loop BB138_18 Depth=1
                                        ; =>  This Inner Loop Header: Depth=2
	v_cmp_gt_u64_e32 vcc, s[28:29], v[6:7]
	s_and_saveexec_b64 s[12:13], vcc
	s_cbranch_execz .LBB138_362
; %bb.365:                              ;   in Loop: Header=BB138_364 Depth=2
	v_mov_b32_e32 v8, s34
	v_mov_b32_e32 v9, s35
	v_mad_u64_u32 v[8:9], s[4:5], v6, s26, v[8:9]
	v_mul_lo_u32 v10, v6, s27
	v_mul_lo_u32 v11, v7, s26
	v_add3_u32 v9, v11, v9, v10
	global_load_ubyte v8, v[8:9], off
	s_waitcnt vmcnt(0)
	v_add_u32_sdwa v9, sext(v8), s82 dst_sel:DWORD dst_unused:UNUSED_PAD src0_sel:BYTE_0 src1_sel:DWORD
	v_and_b32_e32 v9, v9, v32
	v_cmp_eq_u32_e32 vcc, v9, v28
	s_and_b64 exec, exec, vcc
	s_cbranch_execz .LBB138_362
; %bb.366:                              ;   in Loop: Header=BB138_364 Depth=2
	v_lshlrev_b16_e32 v8, 8, v8
	v_or_b32_e32 v8, 1, v8
	ds_write_b16 v3, v8 offset:3072
	s_branch .LBB138_362
.LBB138_367:                            ;   in Loop: Header=BB138_364 Depth=2
	v_add_co_u32_e32 v6, vcc, s33, v6
	v_addc_co_u32_e32 v7, vcc, 0, v7, vcc
	v_cmp_le_u64_e32 vcc, s[14:15], v[6:7]
	s_mov_b64 s[12:13], 0
	s_orn2_b64 s[4:5], vcc, exec
	s_branch .LBB138_363
.LBB138_368:                            ;   in Loop: Header=BB138_18 Depth=1
	s_or_b64 exec, exec, s[16:17]
	s_andn2_b64 s[4:5], s[8:9], exec
	s_and_b64 s[8:9], s[38:39], exec
	v_lshrrev_b32_sdwa v33, v31, v8 dst_sel:DWORD dst_unused:UNUSED_PAD src0_sel:DWORD src1_sel:WORD_0
	s_or_b64 s[8:9], s[4:5], s[8:9]
.LBB138_369:                            ;   in Loop: Header=BB138_18 Depth=1
	s_or_b64 exec, exec, s[10:11]
	s_mov_b64 s[14:15], 0
	s_mov_b64 s[16:17], -1
.LBB138_370:                            ;   in Loop: Header=BB138_18 Depth=1
	s_orn2_b64 s[8:9], s[8:9], exec
.LBB138_371:                            ;   in Loop: Header=BB138_18 Depth=1
	s_or_b64 exec, exec, s[36:37]
	s_mov_b64 s[10:11], 0
	s_and_saveexec_b64 s[36:37], s[8:9]
	s_cbranch_execz .LBB138_479
; %bb.372:                              ;   in Loop: Header=BB138_18 Depth=1
	v_mov_b32_e32 v6, 1
	s_xor_b64 s[4:5], s[20:21], -1
	v_mov_b32_e32 v2, 1
	v_mov_b32_e32 v7, 0
	s_and_saveexec_b64 s[8:9], s[4:5]
	s_cbranch_execz .LBB138_381
; %bb.373:                              ;   in Loop: Header=BB138_18 Depth=1
	v_cmp_ge_u64_e32 vcc, s[50:51], v[4:5]
	s_and_saveexec_b64 s[4:5], vcc
	s_xor_b64 s[10:11], exec, s[4:5]
	s_cbranch_execz .LBB138_378
; %bb.374:                              ;   in Loop: Header=BB138_18 Depth=1
	ds_read_b64 v[6:7], v3 offset:5120
	v_and_b32_e32 v2, s73, v28
	v_lshl_or_b32 v28, 2, s81, v2
	v_or_b32_e32 v32, s72, v32
	s_waitcnt lgkmcnt(0)
	v_cmp_ne_u64_e32 vcc, 0, v[6:7]
	s_cbranch_vccnz .LBB138_378
; %bb.375:                              ;   in Loop: Header=BB138_18 Depth=1
	s_mov_b64 s[4:5], exec
	v_readlane_b32 s12, v47, 32
	v_readlane_b32 s13, v47, 33
	s_and_b64 s[12:13], s[4:5], s[12:13]
	s_mov_b64 exec, s[12:13]
; %bb.376:                              ;   in Loop: Header=BB138_18 Depth=1
	v_mov_b32_e32 v6, s50
	v_mov_b32_e32 v7, s51
	ds_write_b64 v3, v[6:7] offset:5128
; %bb.377:                              ;   in Loop: Header=BB138_18 Depth=1
	s_or_b64 exec, exec, s[4:5]
	s_waitcnt lgkmcnt(0)
	s_barrier
.LBB138_378:                            ;   in Loop: Header=BB138_18 Depth=1
	s_or_saveexec_b64 s[10:11], s[10:11]
	s_mov_b64 s[12:13], 0
	v_mov_b32_e32 v2, 5
	s_xor_b64 exec, exec, s[10:11]
; %bb.379:                              ;   in Loop: Header=BB138_18 Depth=1
	v_subrev_co_u32_e32 v4, vcc, s50, v4
	v_mov_b32_e32 v2, s51
	v_subb_co_u32_e32 v5, vcc, v5, v2, vcc
	v_mov_b32_e32 v2, 0
	s_mov_b64 s[12:13], exec
; %bb.380:                              ;   in Loop: Header=BB138_18 Depth=1
	s_or_b64 exec, exec, s[10:11]
	v_mov_b32_e32 v7, v5
	s_and_b64 s[10:11], s[12:13], exec
	v_mov_b32_e32 v6, v4
.LBB138_381:                            ;   in Loop: Header=BB138_18 Depth=1
	s_or_b64 exec, exec, s[8:9]
	s_mov_b64 s[8:9], -1
                                        ; implicit-def: $sgpr40_sgpr41
                                        ; implicit-def: $sgpr42_sgpr43
	s_and_saveexec_b64 s[38:39], s[10:11]
	s_cbranch_execz .LBB138_478
; %bb.382:                              ;   in Loop: Header=BB138_18 Depth=1
	s_cmp_eq_u64 s[48:49], 1
	v_cmp_eq_u64_e32 vcc, 1, v[6:7]
	s_cselect_b64 s[4:5], -1, 0
	s_and_b64 s[20:21], s[4:5], vcc
                                        ; implicit-def: $sgpr42_sgpr43
                                        ; implicit-def: $sgpr40_sgpr41
	s_and_saveexec_b64 s[50:51], s[20:21]
	s_cbranch_execz .LBB138_417
; %bb.383:                              ;   in Loop: Header=BB138_18 Depth=1
	ds_read_b64 v[4:5], v3 offset:5120
	s_waitcnt lgkmcnt(0)
	s_barrier
	v_readfirstlane_b32 s10, v4
	v_readfirstlane_b32 s11, v5
	s_mov_b64 s[4:5], exec
	v_readlane_b32 s8, v47, 48
	v_readlane_b32 s9, v47, 49
	s_and_b64 s[8:9], s[4:5], s[8:9]
	s_mov_b64 exec, s[8:9]
; %bb.384:                              ;   in Loop: Header=BB138_18 Depth=1
	ds_write_b8 v0, v3 offset:3072
; %bb.385:                              ;   in Loop: Header=BB138_18 Depth=1
	s_or_b64 exec, exec, s[4:5]
	v_and_b32_e32 v4, s73, v28
	v_lshl_or_b32 v28, 1, s81, v4
	v_or_b32_e32 v32, s72, v32
	s_mov_b64 s[40:41], -1
	s_mov_b64 s[42:43], 0
	s_cmp_eq_u64 s[10:11], 0
	s_mov_b64 s[8:9], 0
	s_mov_b64 s[52:53], -1
	s_waitcnt lgkmcnt(0)
	s_barrier
                                        ; implicit-def: $vgpr33
	s_cbranch_scc1 .LBB138_399
; %bb.386:                              ;   in Loop: Header=BB138_18 Depth=1
	v_readlane_b32 s4, v47, 52
	s_add_u32 s52, s10, s4
	v_readlane_b32 s4, v47, 54
	s_addc_u32 s9, s11, s4
	s_mov_b32 s8, s71
	s_cmp_lg_u64 s[8:9], 0
	s_cbranch_scc0 .LBB138_402
; %bb.387:                              ;   in Loop: Header=BB138_18 Depth=1
	v_cvt_f32_u32_e32 v4, s33
	s_sub_u32 s8, 0, s33
	s_subb_u32 s12, 0, 0
	v_mac_f32_e32 v4, 0, v30
	v_rcp_f32_e32 v4, v4
	v_mul_f32_e32 v4, 0x5f7ffffc, v4
	v_mul_f32_e32 v5, 0x2f800000, v4
	v_trunc_f32_e32 v5, v5
	v_mac_f32_e32 v4, 0xcf800000, v5
	v_cvt_u32_f32_e32 v5, v5
	v_cvt_u32_f32_e32 v4, v4
	v_readfirstlane_b32 s13, v5
	v_readfirstlane_b32 s4, v4
	s_mul_i32 s5, s8, s13
	s_mul_hi_u32 s54, s8, s4
	s_mul_i32 s53, s12, s4
	s_add_i32 s5, s54, s5
	s_mul_i32 s55, s8, s4
	s_add_i32 s5, s5, s53
	s_mul_hi_u32 s54, s4, s55
	s_mul_i32 s60, s4, s5
	s_mul_hi_u32 s53, s4, s5
	s_add_u32 s54, s54, s60
	s_addc_u32 s53, 0, s53
	s_mul_hi_u32 s61, s13, s55
	s_mul_i32 s55, s13, s55
	s_add_u32 s54, s54, s55
	s_mul_hi_u32 s60, s13, s5
	s_addc_u32 s53, s53, s61
	s_addc_u32 s54, s60, 0
	s_mul_i32 s5, s13, s5
	s_add_u32 s5, s53, s5
	s_addc_u32 s53, 0, s54
	s_add_u32 s54, s4, s5
	s_cselect_b64 s[4:5], -1, 0
	s_cmp_lg_u64 s[4:5], 0
	s_addc_u32 s13, s13, s53
	s_mul_i32 s4, s8, s13
	s_mul_hi_u32 s5, s8, s54
	s_add_i32 s4, s5, s4
	s_mul_i32 s12, s12, s54
	s_add_i32 s4, s4, s12
	s_mul_i32 s8, s8, s54
	s_mul_hi_u32 s12, s13, s8
	s_mul_i32 s53, s13, s8
	s_mul_i32 s60, s54, s4
	s_mul_hi_u32 s8, s54, s8
	s_mul_hi_u32 s55, s54, s4
	s_add_u32 s8, s8, s60
	s_addc_u32 s55, 0, s55
	s_add_u32 s8, s8, s53
	s_mul_hi_u32 s5, s13, s4
	s_addc_u32 s8, s55, s12
	s_addc_u32 s5, s5, 0
	s_mul_i32 s4, s13, s4
	s_add_u32 s4, s8, s4
	s_addc_u32 s8, 0, s5
	s_add_u32 s12, s54, s4
	s_cselect_b64 s[4:5], -1, 0
	s_cmp_lg_u64 s[4:5], 0
	s_addc_u32 s4, s13, s8
	s_mul_i32 s8, s52, s4
	s_mul_hi_u32 s13, s52, s12
	s_mul_hi_u32 s5, s52, s4
	s_add_u32 s8, s13, s8
	s_addc_u32 s5, 0, s5
	s_mul_hi_u32 s53, s9, s12
	s_mul_i32 s12, s9, s12
	s_add_u32 s8, s8, s12
	s_mul_hi_u32 s13, s9, s4
	s_addc_u32 s5, s5, s53
	s_addc_u32 s8, s13, 0
	s_mul_i32 s4, s9, s4
	s_add_u32 s4, s5, s4
	s_addc_u32 s5, 0, s8
	s_mul_i32 s5, s33, s5
	s_mul_hi_u32 s8, s33, s4
	s_add_i32 s8, s8, s5
	s_mul_i32 s4, s33, s4
	s_sub_u32 s12, s52, s4
	s_cselect_b64 s[4:5], -1, 0
	s_cmp_lg_u64 s[4:5], 0
	s_subb_u32 s8, s9, s8
	s_sub_u32 s13, s12, s33
	s_cselect_b64 s[4:5], -1, 0
	s_cmp_lg_u64 s[4:5], 0
	s_subb_u32 s53, s8, 0
	;; [unrolled: 4-line block ×3, first 2 shown]
	s_cmp_ge_u32 s13, s33
	s_cselect_b32 s5, -1, 0
	s_cmp_eq_u32 s53, 0
	s_cselect_b32 s5, s5, -1
	s_cmp_lg_u32 s5, 0
	s_cselect_b32 s4, s4, s53
	s_cselect_b32 s5, s54, s13
	s_cmp_ge_u32 s12, s33
	s_cselect_b32 s13, -1, 0
	s_cmp_eq_u32 s8, 0
	s_cselect_b32 s13, s13, -1
	s_cmp_lg_u32 s13, 0
	s_cselect_b32 s13, s4, s8
	s_cselect_b32 s12, s5, s12
	s_cbranch_execnz .LBB138_389
.LBB138_388:                            ;   in Loop: Header=BB138_18 Depth=1
	v_cvt_f32_u32_e32 v4, s33
	s_sub_i32 s4, 0, s33
	s_mov_b32 s8, s70
	v_rcp_iflag_f32_e32 v4, v4
	v_mul_f32_e32 v4, 0x4f7ffffe, v4
	v_cvt_u32_f32_e32 v4, v4
	v_readfirstlane_b32 s5, v4
	s_mul_i32 s4, s4, s5
	s_mul_hi_u32 s4, s5, s4
	s_add_i32 s5, s5, s4
	s_mul_hi_u32 s4, s52, s5
	s_mul_i32 s4, s4, s33
	s_sub_i32 s4, s52, s4
	s_sub_i32 s5, s4, s33
	s_cmp_ge_u32 s4, s33
	s_cselect_b32 s4, s5, s4
	s_sub_i32 s5, s4, s33
	s_cmp_ge_u32 s4, s33
	s_cselect_b32 s70, s5, s4
	s_mov_b64 s[12:13], s[70:71]
	s_mov_b32 s70, s8
.LBB138_389:                            ;   in Loop: Header=BB138_18 Depth=1
	s_sub_u32 s60, s52, s12
	s_subb_u32 s61, s9, s13
	v_cmp_gt_u64_e32 vcc, s[60:61], v[0:1]
	s_mov_b64 s[52:53], 0
	s_mov_b64 s[8:9], 0
                                        ; implicit-def: $vgpr33
	s_and_saveexec_b64 s[54:55], vcc
	s_cbranch_execz .LBB138_398
; %bb.390:                              ;   in Loop: Header=BB138_18 Depth=1
	v_mov_b32_e32 v5, v1
	v_mov_b32_e32 v8, v0
	;; [unrolled: 1-line block ×3, first 2 shown]
                                        ; implicit-def: $sgpr76_sgpr77
	s_branch .LBB138_393
.LBB138_391:                            ;   in Loop: Header=BB138_393 Depth=2
	s_or_b64 exec, exec, s[12:13]
	s_waitcnt lgkmcnt(0)
	s_barrier
	ds_read_u16 v9, v3 offset:3072
	s_mov_b64 s[4:5], -1
	s_waitcnt lgkmcnt(0)
	s_barrier
	v_cmp_ne_u32_sdwa s[12:13], v9, v3 src0_sel:BYTE_0 src1_sel:DWORD
	s_and_b64 vcc, exec, s[12:13]
	s_mov_b64 s[12:13], -1
	s_cbranch_vccz .LBB138_396
.LBB138_392:                            ;   in Loop: Header=BB138_393 Depth=2
	s_and_b64 s[4:5], exec, s[4:5]
	s_or_b64 s[8:9], s[4:5], s[8:9]
	s_andn2_b64 s[4:5], s[76:77], exec
	s_and_b64 s[12:13], s[12:13], exec
	s_or_b64 s[76:77], s[4:5], s[12:13]
	s_andn2_b64 exec, exec, s[8:9]
	s_cbranch_execz .LBB138_397
.LBB138_393:                            ;   Parent Loop BB138_18 Depth=1
                                        ; =>  This Inner Loop Header: Depth=2
	v_cmp_gt_u64_e32 vcc, s[10:11], v[4:5]
	s_and_saveexec_b64 s[12:13], vcc
	s_cbranch_execz .LBB138_391
; %bb.394:                              ;   in Loop: Header=BB138_393 Depth=2
	ds_read_u8 v9, v8
	s_waitcnt lgkmcnt(0)
	v_add_u32_sdwa v10, sext(v9), s82 dst_sel:DWORD dst_unused:UNUSED_PAD src0_sel:BYTE_0 src1_sel:DWORD
	v_and_b32_e32 v10, v10, v32
	v_cmp_eq_u32_e32 vcc, v10, v28
	s_and_b64 exec, exec, vcc
	s_cbranch_execz .LBB138_391
; %bb.395:                              ;   in Loop: Header=BB138_393 Depth=2
	v_lshlrev_b16_e32 v9, 8, v9
	v_or_b32_e32 v9, 1, v9
	ds_write_b16 v3, v9 offset:3072
	s_branch .LBB138_391
.LBB138_396:                            ;   in Loop: Header=BB138_393 Depth=2
	v_add_co_u32_e32 v4, vcc, s33, v4
	v_addc_co_u32_e32 v5, vcc, 0, v5, vcc
	v_cmp_le_u64_e32 vcc, s[60:61], v[4:5]
	v_add_u32_e32 v8, s33, v8
	s_mov_b64 s[12:13], 0
	s_orn2_b64 s[4:5], vcc, exec
	s_branch .LBB138_392
.LBB138_397:                            ;   in Loop: Header=BB138_18 Depth=1
	s_or_b64 exec, exec, s[8:9]
	v_lshrrev_b32_sdwa v33, v31, v9 dst_sel:DWORD dst_unused:UNUSED_PAD src0_sel:DWORD src1_sel:WORD_0
	s_and_b64 s[8:9], s[76:77], exec
.LBB138_398:                            ;   in Loop: Header=BB138_18 Depth=1
	s_or_b64 exec, exec, s[54:55]
.LBB138_399:                            ;   in Loop: Header=BB138_18 Depth=1
	s_and_b64 vcc, exec, s[52:53]
	s_cbranch_vccz .LBB138_416
; %bb.400:                              ;   in Loop: Header=BB138_18 Depth=1
	v_readlane_b32 s52, v47, 55
	v_readlane_b32 s53, v47, 56
	s_mov_b32 s52, s71
	s_cmp_lg_u64 s[52:53], 0
	v_writelane_b32 v47, s52, 55
	v_writelane_b32 v47, s53, 56
	s_cbranch_scc0 .LBB138_403
; %bb.401:                              ;   in Loop: Header=BB138_18 Depth=1
	v_cvt_f32_u32_e32 v4, s33
	s_sub_u32 s10, 0, s33
	s_subb_u32 s11, 0, 0
	v_mac_f32_e32 v4, 0, v30
	v_rcp_f32_e32 v4, v4
	v_mul_f32_e32 v4, 0x5f7ffffc, v4
	v_mul_f32_e32 v5, 0x2f800000, v4
	v_trunc_f32_e32 v5, v5
	v_mac_f32_e32 v4, 0xcf800000, v5
	v_cvt_u32_f32_e32 v5, v5
	v_cvt_u32_f32_e32 v4, v4
	v_readfirstlane_b32 s12, v5
	v_readfirstlane_b32 s4, v4
	s_mul_i32 s5, s10, s12
	s_mul_hi_u32 s40, s10, s4
	s_mul_i32 s13, s11, s4
	s_add_i32 s5, s40, s5
	s_mul_i32 s41, s10, s4
	s_add_i32 s5, s5, s13
	s_mul_hi_u32 s40, s4, s41
	s_mul_i32 s42, s4, s5
	s_mul_hi_u32 s13, s4, s5
	s_add_u32 s40, s40, s42
	s_addc_u32 s13, 0, s13
	s_mul_hi_u32 s43, s12, s41
	s_mul_i32 s41, s12, s41
	s_add_u32 s40, s40, s41
	s_mul_hi_u32 s42, s12, s5
	s_addc_u32 s13, s13, s43
	s_addc_u32 s40, s42, 0
	s_mul_i32 s5, s12, s5
	s_add_u32 s5, s13, s5
	s_addc_u32 s13, 0, s40
	s_add_u32 s40, s4, s5
	s_cselect_b64 s[4:5], -1, 0
	s_cmp_lg_u64 s[4:5], 0
	s_addc_u32 s12, s12, s13
	s_mul_i32 s4, s10, s12
	s_mul_hi_u32 s5, s10, s40
	s_add_i32 s4, s5, s4
	s_mul_i32 s11, s11, s40
	s_add_i32 s4, s4, s11
	s_mul_i32 s10, s10, s40
	s_mul_hi_u32 s11, s12, s10
	s_mul_i32 s13, s12, s10
	s_mul_i32 s42, s40, s4
	s_mul_hi_u32 s10, s40, s10
	s_mul_hi_u32 s41, s40, s4
	s_add_u32 s10, s10, s42
	s_addc_u32 s41, 0, s41
	s_add_u32 s10, s10, s13
	s_mul_hi_u32 s5, s12, s4
	s_addc_u32 s10, s41, s11
	s_addc_u32 s5, s5, 0
	s_mul_i32 s4, s12, s4
	s_add_u32 s4, s10, s4
	s_addc_u32 s10, 0, s5
	s_add_u32 s11, s40, s4
	s_cselect_b64 s[4:5], -1, 0
	s_cmp_lg_u64 s[4:5], 0
	s_addc_u32 s4, s12, s10
	v_readlane_b32 s41, v47, 53
	s_mul_i32 s10, s41, s4
	s_mul_hi_u32 s12, s41, s11
	s_mul_hi_u32 s5, s41, s4
	s_add_u32 s10, s12, s10
	s_addc_u32 s5, 0, s5
	s_mul_hi_u32 s13, s53, s11
	s_mul_i32 s11, s53, s11
	s_add_u32 s10, s10, s11
	s_mul_hi_u32 s12, s53, s4
	s_addc_u32 s5, s5, s13
	s_addc_u32 s10, s12, 0
	s_mul_i32 s4, s53, s4
	s_add_u32 s4, s5, s4
	s_addc_u32 s5, 0, s10
	s_mul_i32 s5, s33, s5
	s_mul_hi_u32 s10, s33, s4
	s_add_i32 s10, s10, s5
	s_mul_i32 s4, s33, s4
	s_sub_u32 s12, s41, s4
	s_cselect_b64 s[4:5], -1, 0
	s_cmp_lg_u64 s[4:5], 0
	s_subb_u32 s10, s53, s10
	s_sub_u32 s11, s12, s33
	s_cselect_b64 s[4:5], -1, 0
	s_cmp_lg_u64 s[4:5], 0
	s_subb_u32 s13, s10, 0
	;; [unrolled: 4-line block ×3, first 2 shown]
	s_cmp_ge_u32 s11, s33
	s_cselect_b32 s5, -1, 0
	s_cmp_eq_u32 s13, 0
	s_cselect_b32 s5, s5, -1
	s_cmp_lg_u32 s5, 0
	s_cselect_b32 s4, s4, s13
	s_cselect_b32 s5, s40, s11
	s_cmp_ge_u32 s12, s33
	s_cselect_b32 s11, -1, 0
	s_cmp_eq_u32 s10, 0
	s_cselect_b32 s11, s11, -1
	s_cmp_lg_u32 s11, 0
	s_cselect_b32 s11, s4, s10
	s_cselect_b32 s10, s5, s12
	s_mov_b64 s[4:5], 0
	s_branch .LBB138_404
.LBB138_402:                            ;   in Loop: Header=BB138_18 Depth=1
                                        ; implicit-def: $sgpr12_sgpr13
	s_branch .LBB138_388
.LBB138_403:                            ;   in Loop: Header=BB138_18 Depth=1
	s_mov_b64 s[4:5], -1
	v_readlane_b32 s41, v47, 53
                                        ; implicit-def: $sgpr10_sgpr11
.LBB138_404:                            ;   in Loop: Header=BB138_18 Depth=1
	s_andn2_b64 vcc, exec, s[4:5]
	v_readlane_b32 s70, v46, 5
	s_cbranch_vccnz .LBB138_406
; %bb.405:                              ;   in Loop: Header=BB138_18 Depth=1
	v_cvt_f32_u32_e32 v4, s33
	s_sub_i32 s4, 0, s33
	s_mov_b32 s12, s70
	v_rcp_iflag_f32_e32 v4, v4
	v_mul_f32_e32 v4, 0x4f7ffffe, v4
	v_cvt_u32_f32_e32 v4, v4
	v_readfirstlane_b32 s5, v4
	s_mul_i32 s4, s4, s5
	s_mul_hi_u32 s4, s5, s4
	s_add_i32 s5, s5, s4
	s_mul_hi_u32 s4, s41, s5
	s_mul_i32 s4, s4, s33
	s_sub_i32 s4, s41, s4
	s_sub_i32 s5, s4, s33
	s_cmp_ge_u32 s4, s33
	s_cselect_b32 s4, s5, s4
	s_sub_i32 s5, s4, s33
	s_cmp_ge_u32 s4, s33
	s_cselect_b32 s70, s5, s4
	s_mov_b64 s[10:11], s[70:71]
	s_mov_b32 s70, s12
.LBB138_406:                            ;   in Loop: Header=BB138_18 Depth=1
	v_readlane_b32 s4, v47, 55
	s_sub_u32 s40, s41, s10
	v_readlane_b32 s5, v47, 56
	s_subb_u32 s41, s5, s11
	v_cmp_gt_u64_e32 vcc, s[40:41], v[0:1]
                                        ; implicit-def: $vgpr33
	s_and_saveexec_b64 s[10:11], vcc
	s_cbranch_execz .LBB138_415
; %bb.407:                              ;   in Loop: Header=BB138_18 Depth=1
	v_mov_b32_e32 v5, v1
	s_mov_b64 s[42:43], 0
	v_mov_b32_e32 v4, v0
                                        ; implicit-def: $sgpr52_sgpr53
	s_branch .LBB138_410
.LBB138_408:                            ;   in Loop: Header=BB138_410 Depth=2
	s_or_b64 exec, exec, s[12:13]
	s_waitcnt lgkmcnt(0)
	s_barrier
	ds_read_u16 v8, v3 offset:3072
	s_mov_b64 s[4:5], -1
	s_waitcnt lgkmcnt(0)
	s_barrier
	v_cmp_eq_u32_sdwa s[12:13], v8, v3 src0_sel:BYTE_0 src1_sel:DWORD
	s_and_b64 vcc, exec, s[12:13]
	s_mov_b64 s[12:13], -1
	s_cbranch_vccnz .LBB138_413
.LBB138_409:                            ;   in Loop: Header=BB138_410 Depth=2
	s_and_b64 s[4:5], exec, s[4:5]
	s_or_b64 s[42:43], s[4:5], s[42:43]
	s_andn2_b64 s[4:5], s[52:53], exec
	s_and_b64 s[12:13], s[12:13], exec
	s_or_b64 s[52:53], s[4:5], s[12:13]
	s_andn2_b64 exec, exec, s[42:43]
	s_cbranch_execz .LBB138_414
.LBB138_410:                            ;   Parent Loop BB138_18 Depth=1
                                        ; =>  This Inner Loop Header: Depth=2
	v_cmp_gt_u64_e32 vcc, s[28:29], v[4:5]
	s_and_saveexec_b64 s[12:13], vcc
	s_cbranch_execz .LBB138_408
; %bb.411:                              ;   in Loop: Header=BB138_410 Depth=2
	v_mov_b32_e32 v8, s34
	v_mov_b32_e32 v9, s35
	v_mad_u64_u32 v[8:9], s[4:5], v4, s26, v[8:9]
	v_mul_lo_u32 v10, v4, s27
	v_mul_lo_u32 v11, v5, s26
	v_add3_u32 v9, v11, v9, v10
	global_load_ubyte v8, v[8:9], off
	s_waitcnt vmcnt(0)
	v_add_u32_sdwa v9, sext(v8), s82 dst_sel:DWORD dst_unused:UNUSED_PAD src0_sel:BYTE_0 src1_sel:DWORD
	v_and_b32_e32 v9, v9, v32
	v_cmp_eq_u32_e32 vcc, v9, v28
	s_and_b64 exec, exec, vcc
	s_cbranch_execz .LBB138_408
; %bb.412:                              ;   in Loop: Header=BB138_410 Depth=2
	v_lshlrev_b16_e32 v8, 8, v8
	v_or_b32_e32 v8, 1, v8
	ds_write_b16 v3, v8 offset:3072
	s_branch .LBB138_408
.LBB138_413:                            ;   in Loop: Header=BB138_410 Depth=2
	v_add_co_u32_e32 v4, vcc, s33, v4
	v_addc_co_u32_e32 v5, vcc, 0, v5, vcc
	v_cmp_le_u64_e32 vcc, s[40:41], v[4:5]
	s_mov_b64 s[12:13], 0
	s_orn2_b64 s[4:5], vcc, exec
	s_branch .LBB138_409
.LBB138_414:                            ;   in Loop: Header=BB138_18 Depth=1
	s_or_b64 exec, exec, s[42:43]
	s_andn2_b64 s[4:5], s[8:9], exec
	s_and_b64 s[8:9], s[52:53], exec
	v_lshrrev_b32_sdwa v33, v31, v8 dst_sel:DWORD dst_unused:UNUSED_PAD src0_sel:DWORD src1_sel:WORD_0
	s_or_b64 s[8:9], s[4:5], s[8:9]
.LBB138_415:                            ;   in Loop: Header=BB138_18 Depth=1
	s_or_b64 exec, exec, s[10:11]
	s_mov_b64 s[40:41], 0
	s_mov_b64 s[42:43], -1
.LBB138_416:                            ;   in Loop: Header=BB138_18 Depth=1
	s_orn2_b64 s[8:9], s[8:9], exec
.LBB138_417:                            ;   in Loop: Header=BB138_18 Depth=1
	s_or_b64 exec, exec, s[50:51]
	s_mov_b64 s[10:11], 0
	s_and_saveexec_b64 s[50:51], s[8:9]
	s_cbranch_execz .LBB138_477
; %bb.418:                              ;   in Loop: Header=BB138_18 Depth=1
	v_mov_b32_e32 v4, 1
	s_xor_b64 s[4:5], s[20:21], -1
	v_mov_b32_e32 v2, 1
	v_mov_b32_e32 v5, 0
	s_and_saveexec_b64 s[8:9], s[4:5]
	s_cbranch_execz .LBB138_427
; %bb.419:                              ;   in Loop: Header=BB138_18 Depth=1
	v_cmp_ge_u64_e32 vcc, s[48:49], v[6:7]
	s_and_saveexec_b64 s[4:5], vcc
	s_xor_b64 s[10:11], exec, s[4:5]
	s_cbranch_execz .LBB138_424
; %bb.420:                              ;   in Loop: Header=BB138_18 Depth=1
	ds_read_b64 v[4:5], v3 offset:5120
	v_and_b32_e32 v2, s73, v28
	v_lshl_or_b32 v28, 1, s81, v2
	v_or_b32_e32 v32, s72, v32
	s_waitcnt lgkmcnt(0)
	v_cmp_ne_u64_e32 vcc, 0, v[4:5]
	s_cbranch_vccnz .LBB138_424
; %bb.421:                              ;   in Loop: Header=BB138_18 Depth=1
	s_mov_b64 s[4:5], exec
	v_readlane_b32 s12, v47, 32
	v_readlane_b32 s13, v47, 33
	s_and_b64 s[12:13], s[4:5], s[12:13]
	s_mov_b64 exec, s[12:13]
; %bb.422:                              ;   in Loop: Header=BB138_18 Depth=1
	v_mov_b32_e32 v4, s48
	v_mov_b32_e32 v5, s49
	ds_write_b64 v3, v[4:5] offset:5128
; %bb.423:                              ;   in Loop: Header=BB138_18 Depth=1
	s_or_b64 exec, exec, s[4:5]
	s_waitcnt lgkmcnt(0)
	s_barrier
.LBB138_424:                            ;   in Loop: Header=BB138_18 Depth=1
	s_or_saveexec_b64 s[10:11], s[10:11]
	s_mov_b64 s[12:13], 0
	v_mov_b32_e32 v2, 5
	s_xor_b64 exec, exec, s[10:11]
; %bb.425:                              ;   in Loop: Header=BB138_18 Depth=1
	v_subrev_co_u32_e32 v6, vcc, s48, v6
	v_mov_b32_e32 v2, s49
	v_subb_co_u32_e32 v7, vcc, v7, v2, vcc
	v_mov_b32_e32 v2, 0
	s_mov_b64 s[12:13], exec
; %bb.426:                              ;   in Loop: Header=BB138_18 Depth=1
	s_or_b64 exec, exec, s[10:11]
	v_mov_b32_e32 v4, v6
	s_and_b64 s[10:11], s[12:13], exec
	v_mov_b32_e32 v5, v7
.LBB138_427:                            ;   in Loop: Header=BB138_18 Depth=1
	s_or_b64 exec, exec, s[8:9]
	s_mov_b64 s[8:9], -1
                                        ; implicit-def: $sgpr54_sgpr55
                                        ; implicit-def: $sgpr60_sgpr61
	s_and_saveexec_b64 s[20:21], s[10:11]
	s_cbranch_execz .LBB138_476
; %bb.428:                              ;   in Loop: Header=BB138_18 Depth=1
	s_cmp_eq_u64 s[22:23], 1
	v_cmp_eq_u64_e32 vcc, 1, v[4:5]
	s_cselect_b64 s[4:5], -1, 0
	s_and_b64 s[76:77], s[4:5], vcc
	s_mov_b64 s[10:11], -1
                                        ; implicit-def: $sgpr54_sgpr55
                                        ; implicit-def: $sgpr60_sgpr61
	s_and_saveexec_b64 s[8:9], s[76:77]
	s_cbranch_execz .LBB138_464
; %bb.429:                              ;   in Loop: Header=BB138_18 Depth=1
	ds_read_b64 v[6:7], v3 offset:5120
	v_writelane_b32 v46, s8, 6
	v_writelane_b32 v46, s9, 7
	s_waitcnt lgkmcnt(0)
	s_barrier
	v_readfirstlane_b32 s10, v6
	v_readfirstlane_b32 s11, v7
	s_mov_b64 s[4:5], exec
	v_readlane_b32 s8, v47, 48
	v_readlane_b32 s9, v47, 49
	s_and_b64 s[8:9], s[4:5], s[8:9]
	s_mov_b64 exec, s[8:9]
; %bb.430:                              ;   in Loop: Header=BB138_18 Depth=1
	ds_write_b8 v0, v3 offset:3072
; %bb.431:                              ;   in Loop: Header=BB138_18 Depth=1
	s_or_b64 exec, exec, s[4:5]
	v_and_b32_e32 v28, s73, v28
	v_or_b32_e32 v32, s72, v32
	s_mov_b64 s[60:61], -1
	s_mov_b64 s[54:55], 0
	s_cmp_eq_u64 s[10:11], 0
	s_mov_b64 s[8:9], 0
	s_mov_b64 s[52:53], -1
	s_waitcnt lgkmcnt(0)
	s_barrier
                                        ; implicit-def: $vgpr33
	s_cbranch_scc1 .LBB138_447
; %bb.432:                              ;   in Loop: Header=BB138_18 Depth=1
	v_readlane_b32 s4, v47, 52
	s_add_u32 s48, s10, s4
	v_readlane_b32 s4, v47, 54
	v_writelane_b32 v46, s76, 8
	s_addc_u32 s9, s11, s4
	s_mov_b32 s8, s71
	v_writelane_b32 v46, s77, 9
	s_mov_b32 s77, s70
	s_cmp_lg_u64 s[8:9], 0
	s_cbranch_scc0 .LBB138_434
; %bb.433:                              ;   in Loop: Header=BB138_18 Depth=1
	v_cvt_f32_u32_e32 v6, s33
	s_sub_u32 s8, 0, s33
	s_subb_u32 s12, 0, 0
	v_mac_f32_e32 v6, 0, v30
	v_rcp_f32_e32 v6, v6
	v_mul_f32_e32 v6, 0x5f7ffffc, v6
	v_mul_f32_e32 v7, 0x2f800000, v6
	v_trunc_f32_e32 v7, v7
	v_mac_f32_e32 v6, 0xcf800000, v7
	v_cvt_u32_f32_e32 v7, v7
	v_cvt_u32_f32_e32 v6, v6
	v_readfirstlane_b32 s13, v7
	v_readfirstlane_b32 s4, v6
	s_mul_i32 s5, s8, s13
	s_mul_hi_u32 s52, s8, s4
	s_mul_i32 s49, s12, s4
	s_add_i32 s5, s52, s5
	s_mul_i32 s53, s8, s4
	s_add_i32 s5, s5, s49
	s_mul_hi_u32 s52, s4, s53
	s_mul_i32 s70, s4, s5
	s_mul_hi_u32 s49, s4, s5
	s_add_u32 s52, s52, s70
	s_addc_u32 s49, 0, s49
	s_mul_hi_u32 s76, s13, s53
	s_mul_i32 s53, s13, s53
	s_add_u32 s52, s52, s53
	s_mul_hi_u32 s70, s13, s5
	s_addc_u32 s49, s49, s76
	s_addc_u32 s52, s70, 0
	s_mul_i32 s5, s13, s5
	s_add_u32 s5, s49, s5
	s_addc_u32 s49, 0, s52
	s_add_u32 s52, s4, s5
	s_cselect_b64 s[4:5], -1, 0
	s_cmp_lg_u64 s[4:5], 0
	s_addc_u32 s13, s13, s49
	s_mul_i32 s4, s8, s13
	s_mul_hi_u32 s5, s8, s52
	s_add_i32 s4, s5, s4
	s_mul_i32 s12, s12, s52
	s_add_i32 s4, s4, s12
	s_mul_i32 s8, s8, s52
	s_mul_hi_u32 s12, s13, s8
	s_mul_i32 s49, s13, s8
	s_mul_i32 s70, s52, s4
	s_mul_hi_u32 s8, s52, s8
	s_mul_hi_u32 s53, s52, s4
	s_add_u32 s8, s8, s70
	s_addc_u32 s53, 0, s53
	s_add_u32 s8, s8, s49
	s_mul_hi_u32 s5, s13, s4
	s_addc_u32 s8, s53, s12
	s_addc_u32 s5, s5, 0
	s_mul_i32 s4, s13, s4
	s_add_u32 s4, s8, s4
	s_addc_u32 s8, 0, s5
	s_add_u32 s12, s52, s4
	s_cselect_b64 s[4:5], -1, 0
	s_cmp_lg_u64 s[4:5], 0
	s_addc_u32 s4, s13, s8
	s_mul_i32 s8, s48, s4
	s_mul_hi_u32 s13, s48, s12
	s_mul_hi_u32 s5, s48, s4
	s_add_u32 s8, s13, s8
	s_addc_u32 s5, 0, s5
	s_mul_hi_u32 s49, s9, s12
	s_mul_i32 s12, s9, s12
	s_add_u32 s8, s8, s12
	s_mul_hi_u32 s13, s9, s4
	s_addc_u32 s5, s5, s49
	s_addc_u32 s8, s13, 0
	s_mul_i32 s4, s9, s4
	s_add_u32 s4, s5, s4
	s_addc_u32 s5, 0, s8
	s_mul_i32 s5, s33, s5
	s_mul_hi_u32 s8, s33, s4
	s_add_i32 s8, s8, s5
	s_mul_i32 s4, s33, s4
	s_sub_u32 s12, s48, s4
	s_cselect_b64 s[4:5], -1, 0
	s_cmp_lg_u64 s[4:5], 0
	s_subb_u32 s8, s9, s8
	s_sub_u32 s13, s12, s33
	s_cselect_b64 s[4:5], -1, 0
	s_cmp_lg_u64 s[4:5], 0
	s_subb_u32 s49, s8, 0
	;; [unrolled: 4-line block ×3, first 2 shown]
	s_cmp_ge_u32 s13, s33
	s_cselect_b32 s5, -1, 0
	s_cmp_eq_u32 s49, 0
	s_cselect_b32 s5, s5, -1
	s_cmp_lg_u32 s5, 0
	s_cselect_b32 s4, s4, s49
	s_cselect_b32 s5, s52, s13
	s_cmp_ge_u32 s12, s33
	s_cselect_b32 s13, -1, 0
	s_cmp_eq_u32 s8, 0
	s_cselect_b32 s13, s13, -1
	s_cmp_lg_u32 s13, 0
	s_cselect_b32 s13, s4, s8
	s_cselect_b32 s12, s5, s12
	s_mov_b64 s[4:5], 0
	s_branch .LBB138_435
.LBB138_434:                            ;   in Loop: Header=BB138_18 Depth=1
	s_mov_b64 s[4:5], -1
                                        ; implicit-def: $sgpr12_sgpr13
.LBB138_435:                            ;   in Loop: Header=BB138_18 Depth=1
	s_andn2_b64 vcc, exec, s[4:5]
	s_cbranch_vccnz .LBB138_437
; %bb.436:                              ;   in Loop: Header=BB138_18 Depth=1
	v_cvt_f32_u32_e32 v6, s33
	s_sub_i32 s4, 0, s33
	v_rcp_iflag_f32_e32 v6, v6
	v_mul_f32_e32 v6, 0x4f7ffffe, v6
	v_cvt_u32_f32_e32 v6, v6
	v_readfirstlane_b32 s5, v6
	s_mul_i32 s4, s4, s5
	s_mul_hi_u32 s4, s5, s4
	s_add_i32 s5, s5, s4
	s_mul_hi_u32 s4, s48, s5
	s_mul_i32 s4, s4, s33
	s_sub_i32 s4, s48, s4
	s_sub_i32 s5, s4, s33
	s_cmp_ge_u32 s4, s33
	s_cselect_b32 s4, s5, s4
	s_sub_i32 s5, s4, s33
	s_cmp_ge_u32 s4, s33
	s_cselect_b32 s70, s5, s4
	s_mov_b64 s[12:13], s[70:71]
.LBB138_437:                            ;   in Loop: Header=BB138_18 Depth=1
	s_sub_u32 s48, s48, s12
	s_subb_u32 s49, s9, s13
	v_cmp_gt_u64_e32 vcc, s[48:49], v[0:1]
	s_mov_b64 s[52:53], 0
	s_mov_b64 s[8:9], 0
                                        ; implicit-def: $vgpr33
	s_and_saveexec_b64 s[84:85], vcc
	s_mov_b32 s70, s77
	s_cbranch_execz .LBB138_446
; %bb.438:                              ;   in Loop: Header=BB138_18 Depth=1
	v_mov_b32_e32 v7, v1
	v_mov_b32_e32 v8, v0
	v_mov_b32_e32 v6, v0
                                        ; implicit-def: $sgpr76_sgpr77
	s_branch .LBB138_441
.LBB138_439:                            ;   in Loop: Header=BB138_441 Depth=2
	s_or_b64 exec, exec, s[12:13]
	s_waitcnt lgkmcnt(0)
	s_barrier
	ds_read_u16 v9, v3 offset:3072
	s_mov_b64 s[4:5], -1
	s_waitcnt lgkmcnt(0)
	s_barrier
	v_cmp_ne_u32_sdwa s[12:13], v9, v3 src0_sel:BYTE_0 src1_sel:DWORD
	s_and_b64 vcc, exec, s[12:13]
	s_mov_b64 s[12:13], -1
	s_cbranch_vccz .LBB138_444
.LBB138_440:                            ;   in Loop: Header=BB138_441 Depth=2
	s_and_b64 s[4:5], exec, s[4:5]
	s_or_b64 s[8:9], s[4:5], s[8:9]
	s_andn2_b64 s[4:5], s[76:77], exec
	s_and_b64 s[12:13], s[12:13], exec
	s_or_b64 s[76:77], s[4:5], s[12:13]
	s_andn2_b64 exec, exec, s[8:9]
	s_cbranch_execz .LBB138_445
.LBB138_441:                            ;   Parent Loop BB138_18 Depth=1
                                        ; =>  This Inner Loop Header: Depth=2
	v_cmp_gt_u64_e32 vcc, s[10:11], v[6:7]
	s_and_saveexec_b64 s[12:13], vcc
	s_cbranch_execz .LBB138_439
; %bb.442:                              ;   in Loop: Header=BB138_441 Depth=2
	ds_read_u8 v9, v8
	s_waitcnt lgkmcnt(0)
	v_add_u32_sdwa v10, sext(v9), s82 dst_sel:DWORD dst_unused:UNUSED_PAD src0_sel:BYTE_0 src1_sel:DWORD
	v_and_b32_e32 v10, v10, v32
	v_cmp_eq_u32_e32 vcc, v10, v28
	s_and_b64 exec, exec, vcc
	s_cbranch_execz .LBB138_439
; %bb.443:                              ;   in Loop: Header=BB138_441 Depth=2
	v_lshlrev_b16_e32 v9, 8, v9
	v_or_b32_e32 v9, 1, v9
	ds_write_b16 v3, v9 offset:3072
	s_branch .LBB138_439
.LBB138_444:                            ;   in Loop: Header=BB138_441 Depth=2
	v_add_co_u32_e32 v6, vcc, s33, v6
	v_addc_co_u32_e32 v7, vcc, 0, v7, vcc
	v_cmp_le_u64_e32 vcc, s[48:49], v[6:7]
	v_add_u32_e32 v8, s33, v8
	s_mov_b64 s[12:13], 0
	s_orn2_b64 s[4:5], vcc, exec
	s_branch .LBB138_440
.LBB138_445:                            ;   in Loop: Header=BB138_18 Depth=1
	s_or_b64 exec, exec, s[8:9]
	v_lshrrev_b32_sdwa v33, v31, v9 dst_sel:DWORD dst_unused:UNUSED_PAD src0_sel:DWORD src1_sel:WORD_0
	s_and_b64 s[8:9], s[76:77], exec
.LBB138_446:                            ;   in Loop: Header=BB138_18 Depth=1
	s_or_b64 exec, exec, s[84:85]
	v_readlane_b32 s76, v46, 8
	v_readlane_b32 s77, v46, 9
.LBB138_447:                            ;   in Loop: Header=BB138_18 Depth=1
	s_and_b64 vcc, exec, s[52:53]
	s_cbranch_vccz .LBB138_463
; %bb.448:                              ;   in Loop: Header=BB138_18 Depth=1
	v_readlane_b32 s54, v47, 55
	v_readlane_b32 s55, v47, 56
	s_mov_b32 s54, s71
	s_cmp_lg_u64 s[54:55], 0
	v_writelane_b32 v47, s54, 55
	v_writelane_b32 v47, s55, 56
	s_cbranch_scc0 .LBB138_450
; %bb.449:                              ;   in Loop: Header=BB138_18 Depth=1
	v_cvt_f32_u32_e32 v6, s33
	s_sub_u32 s10, 0, s33
	s_subb_u32 s11, 0, 0
	v_mac_f32_e32 v6, 0, v30
	v_rcp_f32_e32 v6, v6
	v_mul_f32_e32 v6, 0x5f7ffffc, v6
	v_mul_f32_e32 v7, 0x2f800000, v6
	v_trunc_f32_e32 v7, v7
	v_mac_f32_e32 v6, 0xcf800000, v7
	v_cvt_u32_f32_e32 v7, v7
	v_cvt_u32_f32_e32 v6, v6
	v_readfirstlane_b32 s12, v7
	v_readfirstlane_b32 s4, v6
	s_mul_i32 s5, s10, s12
	s_mul_hi_u32 s48, s10, s4
	s_mul_i32 s13, s11, s4
	s_add_i32 s5, s48, s5
	s_mul_i32 s49, s10, s4
	s_add_i32 s5, s5, s13
	s_mul_hi_u32 s48, s4, s49
	s_mul_i32 s52, s4, s5
	s_mul_hi_u32 s13, s4, s5
	s_add_u32 s48, s48, s52
	s_addc_u32 s13, 0, s13
	s_mul_hi_u32 s53, s12, s49
	s_mul_i32 s49, s12, s49
	s_add_u32 s48, s48, s49
	s_mul_hi_u32 s52, s12, s5
	s_addc_u32 s13, s13, s53
	s_addc_u32 s48, s52, 0
	s_mul_i32 s5, s12, s5
	s_add_u32 s5, s13, s5
	s_addc_u32 s13, 0, s48
	s_add_u32 s48, s4, s5
	s_cselect_b64 s[4:5], -1, 0
	s_cmp_lg_u64 s[4:5], 0
	s_addc_u32 s12, s12, s13
	s_mul_i32 s4, s10, s12
	s_mul_hi_u32 s5, s10, s48
	s_add_i32 s4, s5, s4
	s_mul_i32 s11, s11, s48
	s_add_i32 s4, s4, s11
	s_mul_i32 s10, s10, s48
	s_mul_hi_u32 s11, s12, s10
	s_mul_i32 s13, s12, s10
	s_mul_i32 s52, s48, s4
	s_mul_hi_u32 s10, s48, s10
	s_mul_hi_u32 s49, s48, s4
	s_add_u32 s10, s10, s52
	s_addc_u32 s49, 0, s49
	s_add_u32 s10, s10, s13
	s_mul_hi_u32 s5, s12, s4
	s_addc_u32 s10, s49, s11
	s_addc_u32 s5, s5, 0
	s_mul_i32 s4, s12, s4
	s_add_u32 s4, s10, s4
	s_addc_u32 s10, 0, s5
	s_add_u32 s11, s48, s4
	s_cselect_b64 s[4:5], -1, 0
	s_cmp_lg_u64 s[4:5], 0
	s_addc_u32 s4, s12, s10
	v_readlane_b32 s49, v47, 53
	s_mul_i32 s10, s49, s4
	s_mul_hi_u32 s12, s49, s11
	s_mul_hi_u32 s5, s49, s4
	s_add_u32 s10, s12, s10
	s_addc_u32 s5, 0, s5
	s_mul_hi_u32 s13, s55, s11
	s_mul_i32 s11, s55, s11
	s_add_u32 s10, s10, s11
	s_mul_hi_u32 s12, s55, s4
	s_addc_u32 s5, s5, s13
	s_addc_u32 s10, s12, 0
	s_mul_i32 s4, s55, s4
	s_add_u32 s4, s5, s4
	s_addc_u32 s5, 0, s10
	s_mul_i32 s5, s33, s5
	s_mul_hi_u32 s10, s33, s4
	s_add_i32 s10, s10, s5
	s_mul_i32 s4, s33, s4
	s_sub_u32 s12, s49, s4
	s_cselect_b64 s[4:5], -1, 0
	s_cmp_lg_u64 s[4:5], 0
	s_subb_u32 s10, s55, s10
	s_sub_u32 s11, s12, s33
	s_cselect_b64 s[4:5], -1, 0
	s_cmp_lg_u64 s[4:5], 0
	s_subb_u32 s13, s10, 0
	;; [unrolled: 4-line block ×3, first 2 shown]
	s_cmp_ge_u32 s11, s33
	s_cselect_b32 s5, -1, 0
	s_cmp_eq_u32 s13, 0
	s_cselect_b32 s5, s5, -1
	s_cmp_lg_u32 s5, 0
	s_cselect_b32 s4, s4, s13
	s_cselect_b32 s5, s48, s11
	s_cmp_ge_u32 s12, s33
	s_cselect_b32 s11, -1, 0
	s_cmp_eq_u32 s10, 0
	s_cselect_b32 s11, s11, -1
	s_cmp_lg_u32 s11, 0
	s_cselect_b32 s11, s4, s10
	s_cselect_b32 s10, s5, s12
	s_mov_b64 s[4:5], 0
	s_branch .LBB138_451
.LBB138_450:                            ;   in Loop: Header=BB138_18 Depth=1
	s_mov_b64 s[4:5], -1
	v_readlane_b32 s49, v47, 53
                                        ; implicit-def: $sgpr10_sgpr11
.LBB138_451:                            ;   in Loop: Header=BB138_18 Depth=1
	s_andn2_b64 vcc, exec, s[4:5]
	v_readlane_b32 s70, v46, 5
	s_cbranch_vccnz .LBB138_453
; %bb.452:                              ;   in Loop: Header=BB138_18 Depth=1
	v_cvt_f32_u32_e32 v6, s33
	s_sub_i32 s4, 0, s33
	s_mov_b32 s12, s70
	v_rcp_iflag_f32_e32 v6, v6
	v_mul_f32_e32 v6, 0x4f7ffffe, v6
	v_cvt_u32_f32_e32 v6, v6
	v_readfirstlane_b32 s5, v6
	s_mul_i32 s4, s4, s5
	s_mul_hi_u32 s4, s5, s4
	s_add_i32 s5, s5, s4
	s_mul_hi_u32 s4, s49, s5
	s_mul_i32 s4, s4, s33
	s_sub_i32 s4, s49, s4
	s_sub_i32 s5, s4, s33
	s_cmp_ge_u32 s4, s33
	s_cselect_b32 s4, s5, s4
	s_sub_i32 s5, s4, s33
	s_cmp_ge_u32 s4, s33
	s_cselect_b32 s70, s5, s4
	s_mov_b64 s[10:11], s[70:71]
	s_mov_b32 s70, s12
.LBB138_453:                            ;   in Loop: Header=BB138_18 Depth=1
	v_readlane_b32 s4, v47, 55
	s_sub_u32 s48, s49, s10
	v_readlane_b32 s5, v47, 56
	s_subb_u32 s49, s5, s11
	v_cmp_gt_u64_e32 vcc, s[48:49], v[0:1]
                                        ; implicit-def: $vgpr33
	s_and_saveexec_b64 s[10:11], vcc
	s_cbranch_execz .LBB138_462
; %bb.454:                              ;   in Loop: Header=BB138_18 Depth=1
	v_mov_b32_e32 v7, v1
	s_mov_b64 s[52:53], 0
	v_mov_b32_e32 v6, v0
                                        ; implicit-def: $sgpr60_sgpr61
	s_branch .LBB138_457
.LBB138_455:                            ;   in Loop: Header=BB138_457 Depth=2
	s_or_b64 exec, exec, s[12:13]
	s_waitcnt lgkmcnt(0)
	s_barrier
	ds_read_u16 v8, v3 offset:3072
	s_mov_b64 s[4:5], -1
	s_waitcnt lgkmcnt(0)
	s_barrier
	v_cmp_eq_u32_sdwa s[12:13], v8, v3 src0_sel:BYTE_0 src1_sel:DWORD
	s_and_b64 vcc, exec, s[12:13]
	s_mov_b64 s[12:13], -1
	s_cbranch_vccnz .LBB138_460
.LBB138_456:                            ;   in Loop: Header=BB138_457 Depth=2
	s_and_b64 s[4:5], exec, s[4:5]
	s_or_b64 s[52:53], s[4:5], s[52:53]
	s_andn2_b64 s[4:5], s[60:61], exec
	s_and_b64 s[12:13], s[12:13], exec
	s_or_b64 s[60:61], s[4:5], s[12:13]
	s_andn2_b64 exec, exec, s[52:53]
	s_cbranch_execz .LBB138_461
.LBB138_457:                            ;   Parent Loop BB138_18 Depth=1
                                        ; =>  This Inner Loop Header: Depth=2
	v_cmp_gt_u64_e32 vcc, s[28:29], v[6:7]
	s_and_saveexec_b64 s[12:13], vcc
	s_cbranch_execz .LBB138_455
; %bb.458:                              ;   in Loop: Header=BB138_457 Depth=2
	v_mov_b32_e32 v8, s34
	v_mov_b32_e32 v9, s35
	v_mad_u64_u32 v[8:9], s[4:5], v6, s26, v[8:9]
	v_mul_lo_u32 v10, v6, s27
	v_mul_lo_u32 v11, v7, s26
	v_add3_u32 v9, v11, v9, v10
	global_load_ubyte v8, v[8:9], off
	s_waitcnt vmcnt(0)
	v_add_u32_sdwa v9, sext(v8), s82 dst_sel:DWORD dst_unused:UNUSED_PAD src0_sel:BYTE_0 src1_sel:DWORD
	v_and_b32_e32 v9, v9, v32
	v_cmp_eq_u32_e32 vcc, v9, v28
	s_and_b64 exec, exec, vcc
	s_cbranch_execz .LBB138_455
; %bb.459:                              ;   in Loop: Header=BB138_457 Depth=2
	v_lshlrev_b16_e32 v8, 8, v8
	v_or_b32_e32 v8, 1, v8
	ds_write_b16 v3, v8 offset:3072
	s_branch .LBB138_455
.LBB138_460:                            ;   in Loop: Header=BB138_457 Depth=2
	v_add_co_u32_e32 v6, vcc, s33, v6
	v_addc_co_u32_e32 v7, vcc, 0, v7, vcc
	v_cmp_le_u64_e32 vcc, s[48:49], v[6:7]
	s_mov_b64 s[12:13], 0
	s_orn2_b64 s[4:5], vcc, exec
	s_branch .LBB138_456
.LBB138_461:                            ;   in Loop: Header=BB138_18 Depth=1
	s_or_b64 exec, exec, s[52:53]
	s_andn2_b64 s[4:5], s[8:9], exec
	s_and_b64 s[8:9], s[60:61], exec
	v_lshrrev_b32_sdwa v33, v31, v8 dst_sel:DWORD dst_unused:UNUSED_PAD src0_sel:DWORD src1_sel:WORD_0
	s_or_b64 s[8:9], s[4:5], s[8:9]
.LBB138_462:                            ;   in Loop: Header=BB138_18 Depth=1
	s_or_b64 exec, exec, s[10:11]
	s_mov_b64 s[60:61], 0
	s_mov_b64 s[54:55], -1
.LBB138_463:                            ;   in Loop: Header=BB138_18 Depth=1
	s_orn2_b64 s[10:11], s[8:9], exec
	v_readlane_b32 s8, v46, 6
	v_readlane_b32 s9, v46, 7
.LBB138_464:                            ;   in Loop: Header=BB138_18 Depth=1
	s_or_b64 exec, exec, s[8:9]
	s_mov_b64 s[12:13], 0
	s_and_saveexec_b64 s[8:9], s[10:11]
	s_cbranch_execz .LBB138_475
; %bb.465:                              ;   in Loop: Header=BB138_18 Depth=1
	v_mov_b32_e32 v6, 1
	s_xor_b64 s[4:5], s[76:77], -1
	v_mov_b32_e32 v7, 0
	v_mov_b32_e32 v2, 1
	s_and_saveexec_b64 s[10:11], s[4:5]
	s_cbranch_execz .LBB138_474
; %bb.466:                              ;   in Loop: Header=BB138_18 Depth=1
	v_cmp_ge_u64_e32 vcc, s[22:23], v[4:5]
	s_and_saveexec_b64 s[4:5], vcc
	s_xor_b64 s[12:13], exec, s[4:5]
	s_cbranch_execz .LBB138_471
; %bb.467:                              ;   in Loop: Header=BB138_18 Depth=1
	ds_read_b64 v[6:7], v3 offset:5120
	v_and_b32_e32 v28, s73, v28
	v_or_b32_e32 v32, s72, v32
	s_waitcnt lgkmcnt(0)
	v_cmp_ne_u64_e32 vcc, 0, v[6:7]
	s_cbranch_vccnz .LBB138_471
; %bb.468:                              ;   in Loop: Header=BB138_18 Depth=1
	s_mov_b64 s[4:5], exec
	v_readlane_b32 s48, v47, 32
	v_readlane_b32 s49, v47, 33
	s_and_b64 s[48:49], s[4:5], s[48:49]
	s_mov_b64 exec, s[48:49]
; %bb.469:                              ;   in Loop: Header=BB138_18 Depth=1
	v_mov_b32_e32 v6, s22
	v_mov_b32_e32 v7, s23
	ds_write_b64 v3, v[6:7] offset:5128
; %bb.470:                              ;   in Loop: Header=BB138_18 Depth=1
	s_or_b64 exec, exec, s[4:5]
	s_waitcnt lgkmcnt(0)
	s_barrier
.LBB138_471:                            ;   in Loop: Header=BB138_18 Depth=1
	s_andn2_saveexec_b64 s[12:13], s[12:13]
; %bb.472:                              ;   in Loop: Header=BB138_18 Depth=1
	v_mov_b32_e32 v2, s23
	v_subrev_co_u32_e32 v4, vcc, s22, v4
	v_subb_co_u32_e32 v5, vcc, v5, v2, vcc
; %bb.473:                              ;   in Loop: Header=BB138_18 Depth=1
	s_or_b64 exec, exec, s[12:13]
	v_mov_b32_e32 v7, v5
	v_mov_b32_e32 v2, 5
	;; [unrolled: 1-line block ×3, first 2 shown]
.LBB138_474:                            ;   in Loop: Header=BB138_18 Depth=1
	s_or_b64 exec, exec, s[10:11]
	v_mov_b32_e32 v4, v6
	s_mov_b64 s[12:13], exec
	v_mov_b32_e32 v5, v7
.LBB138_475:                            ;   in Loop: Header=BB138_18 Depth=1
	s_or_b64 exec, exec, s[8:9]
	s_orn2_b64 s[8:9], s[12:13], exec
.LBB138_476:                            ;   in Loop: Header=BB138_18 Depth=1
	s_or_b64 exec, exec, s[20:21]
	s_andn2_b64 s[4:5], s[42:43], exec
	s_and_b64 s[10:11], s[54:55], exec
	s_or_b64 s[42:43], s[4:5], s[10:11]
	s_andn2_b64 s[4:5], s[40:41], exec
	s_and_b64 s[10:11], s[60:61], exec
	v_mov_b32_e32 v7, v5
	s_or_b64 s[40:41], s[4:5], s[10:11]
	s_and_b64 s[10:11], s[8:9], exec
	v_mov_b32_e32 v6, v4
.LBB138_477:                            ;   in Loop: Header=BB138_18 Depth=1
	s_or_b64 exec, exec, s[50:51]
	s_orn2_b64 s[8:9], s[10:11], exec
.LBB138_478:                            ;   in Loop: Header=BB138_18 Depth=1
	s_or_b64 exec, exec, s[38:39]
	s_andn2_b64 s[4:5], s[16:17], exec
	s_and_b64 s[10:11], s[42:43], exec
	s_or_b64 s[16:17], s[4:5], s[10:11]
	s_andn2_b64 s[4:5], s[14:15], exec
	s_and_b64 s[10:11], s[40:41], exec
	v_mov_b32_e32 v4, v6
	s_or_b64 s[14:15], s[4:5], s[10:11]
	s_and_b64 s[10:11], s[8:9], exec
	v_mov_b32_e32 v5, v7
.LBB138_479:                            ;   in Loop: Header=BB138_18 Depth=1
	s_or_b64 exec, exec, s[36:37]
	s_orn2_b64 s[8:9], s[10:11], exec
.LBB138_480:                            ;   in Loop: Header=BB138_18 Depth=1
	s_or_b64 exec, exec, s[6:7]
	s_mov_b64 s[6:7], s[58:59]
	s_mov_b64 s[10:11], s[56:57]
	s_and_saveexec_b64 s[4:5], s[8:9]
; %bb.481:                              ;   in Loop: Header=BB138_18 Depth=1
	v_cmp_ne_u32_e64 s[6:7], 5, v2
	v_cmp_eq_u32_e32 vcc, 5, v2
	s_andn2_b64 s[8:9], s[56:57], exec
	s_and_b64 s[6:7], s[6:7], exec
	s_or_b64 s[10:11], s[8:9], s[6:7]
	s_andn2_b64 s[6:7], s[58:59], exec
	s_and_b64 s[8:9], vcc, exec
	s_or_b64 s[6:7], s[6:7], s[8:9]
; %bb.482:                              ;   in Loop: Header=BB138_18 Depth=1
	s_or_b64 exec, exec, s[4:5]
	s_andn2_b64 s[4:5], s[18:19], exec
	s_and_b64 s[8:9], s[16:17], exec
	s_or_b64 s[18:19], s[4:5], s[8:9]
	s_andn2_b64 s[4:5], s[24:25], exec
	s_and_b64 s[8:9], s[14:15], exec
	s_or_b64 s[24:25], s[4:5], s[8:9]
	;; [unrolled: 3-line block ×4, first 2 shown]
.LBB138_483:                            ;   in Loop: Header=BB138_18 Depth=1
	s_or_b64 exec, exec, s[2:3]
	s_mov_b64 s[14:15], 0
	s_mov_b64 s[2:3], 0
	s_and_saveexec_b64 s[4:5], s[58:59]
.LBB138_484:                            ;   in Loop: Header=BB138_18 Depth=1
	v_mov_b32_e32 v2, 0
	s_or_b64 s[56:57], s[56:57], exec
.LBB138_485:                            ;   in Loop: Header=BB138_18 Depth=1
	s_or_b64 exec, exec, s[4:5]
	s_andn2_b64 s[4:5], s[44:45], exec
	s_and_b64 s[8:9], s[18:19], exec
	s_or_b64 s[44:45], s[4:5], s[8:9]
	s_andn2_b64 s[4:5], s[68:69], exec
	s_and_b64 s[8:9], s[24:25], exec
	s_or_b64 s[68:69], s[4:5], s[8:9]
	;; [unrolled: 3-line block ×3, first 2 shown]
	s_andn2_b64 s[2:3], s[66:67], exec
	s_and_b64 s[4:5], s[14:15], exec
	v_mov_b32_e32 v20, v5
	s_mov_b64 s[6:7], -1
	s_andn2_b64 s[46:47], s[46:47], exec
	s_or_b64 s[66:67], s[2:3], s[4:5]
	v_mov_b32_e32 v19, v4
	s_and_saveexec_b64 s[2:3], s[56:57]
	s_xor_b64 s[2:3], exec, s[2:3]
	s_mov_b32 s15, 0xc0c0004
	s_cbranch_execz .LBB138_17
; %bb.486:                              ;   in Loop: Header=BB138_18 Depth=1
	v_cmp_eq_u32_e32 vcc, 0, v2
	s_mov_b64 s[8:9], -1
	s_and_saveexec_b64 s[4:5], vcc
	s_cbranch_execz .LBB138_16
; %bb.487:                              ;   in Loop: Header=BB138_18 Depth=1
	v_readlane_b32 s6, v46, 4
	s_xor_b32 s6, s6, 1
	s_add_i32 s10, s81, -2
	s_cmp_eq_u32 s81, 0
	v_writelane_b32 v46, s6, 4
	s_cselect_b64 s[6:7], -1, 0
	s_xor_b64 s[8:9], exec, -1
	s_orn2_b64 s[6:7], s[6:7], exec
	s_mov_b32 s81, s10
	s_branch .LBB138_16
.LBB138_488:
	s_or_b64 exec, exec, s[86:87]
	s_xor_b64 s[6:7], s[64:65], -1
	s_xor_b64 s[14:15], s[94:95], -1
	;; [unrolled: 1-line block ×5, first 2 shown]
	s_mov_b64 s[8:9], 0
	s_and_saveexec_b64 s[12:13], s[10:11]
	s_xor_b64 s[10:11], exec, s[12:13]
	s_cbranch_execnz .LBB138_493
; %bb.489:
	s_andn2_saveexec_b64 s[0:1], s[10:11]
	s_cbranch_execnz .LBB138_512
.LBB138_490:
	s_or_b64 exec, exec, s[0:1]
	s_and_saveexec_b64 s[0:1], s[8:9]
.LBB138_491:
	; divergent unreachable
.LBB138_492:
	s_endpgm
.LBB138_493:
	s_and_saveexec_b64 s[12:13], s[4:5]
	s_xor_b64 s[12:13], exec, s[12:13]
	s_cbranch_execz .LBB138_510
; %bb.494:
	s_and_saveexec_b64 s[4:5], s[14:15]
	s_xor_b64 s[14:15], exec, s[4:5]
	s_cbranch_execz .LBB138_508
; %bb.495:
	;; [unrolled: 4-line block ×3, first 2 shown]
	s_and_saveexec_b64 s[4:5], s[2:3]
	s_xor_b64 s[2:3], exec, s[4:5]
; %bb.497:
	v_xor_b32_e32 v33, 0xffffff80, v28
; %bb.498:
	s_or_b64 exec, exec, s[2:3]
	s_mov_b64 s[2:3], exec
	v_readlane_b32 s4, v47, 32
	v_readlane_b32 s5, v47, 33
	;; [unrolled: 1-line block ×3, first 2 shown]
	s_and_b64 s[4:5], s[2:3], s[4:5]
	v_readlane_b32 s22, v47, 34
	v_readlane_b32 s53, v47, 39
	v_readlane_b32 s23, v47, 35
	s_mov_b64 exec, s[4:5]
; %bb.499:
	v_mov_b32_e32 v2, 0
	v_mov_b32_e32 v3, v2
	ds_write_b64 v2, v[2:3] offset:5136
; %bb.500:
	s_or_b64 exec, exec, s[2:3]
	v_mov_b32_e32 v14, 0
	s_waitcnt lgkmcnt(0)
	s_barrier
	s_mov_b64 s[2:3], exec
	v_readlane_b32 s4, v47, 46
	v_readlane_b32 s5, v47, 47
	s_and_b64 s[4:5], s[2:3], s[4:5]
	s_mov_b64 exec, s[4:5]
	s_cbranch_execz .LBB138_502
; %bb.501:
	global_load_ubyte v14, v[12:13], off
.LBB138_502:
	s_or_b64 exec, exec, s[2:3]
	v_readlane_b32 s40, v47, 24
	s_add_u32 s2, s28, 63
	v_readlane_b32 s42, v47, 26
	v_readlane_b32 s43, v47, 27
	;; [unrolled: 1-line block ×3, first 2 shown]
	s_addc_u32 s9, s29, 0
	s_and_b32 s8, s2, 0xffffffc0
	s_mul_i32 s2, s44, s43
	s_mul_hi_u32 s3, s44, s42
	s_add_i32 s3, s3, s2
	s_mul_i32 s2, s44, s42
	v_readlane_b32 s6, v47, 10
	s_sub_u32 s2, s22, s2
	v_readlane_b32 s7, v47, 11
	s_subb_u32 s3, 0, s3
	s_mul_i32 s4, s2, s7
	s_mul_hi_u32 s5, s2, s6
	s_add_i32 s4, s5, s4
	s_mul_i32 s3, s3, s6
	s_add_i32 s3, s4, s3
	v_readlane_b32 s36, v47, 4
	v_readlane_b32 s4, v47, 0
	;; [unrolled: 1-line block ×4, first 2 shown]
	s_mov_b32 s42, s4
	s_mul_i32 s4, s4, s37
	s_mul_hi_u32 s5, s42, s36
	s_add_i32 s5, s5, s4
	s_mul_i32 s4, s42, s36
	v_readlane_b32 s24, v47, 2
	v_readlane_b32 s48, v47, 18
	;; [unrolled: 1-line block ×3, first 2 shown]
	s_sub_u32 s4, s24, s4
	v_readlane_b32 s50, v47, 20
	v_readlane_b32 s51, v47, 21
	s_mul_i32 s2, s2, s6
	s_subb_u32 s5, s25, s5
	s_mul_i32 s6, s4, s51
	s_mul_hi_u32 s7, s4, s50
	v_readlane_b32 s49, v47, 19
	s_add_i32 s6, s7, s6
	s_mul_i32 s5, s5, s50
	v_readlane_b32 s38, v47, 6
	v_readlane_b32 s39, v47, 7
	s_add_i32 s18, s6, s5
	s_mul_i32 s19, s4, s50
	s_mul_i32 s4, s42, s49
	s_mul_hi_u32 s5, s42, s48
	s_add_i32 s20, s5, s4
	s_mul_i32 s4, s24, s39
	s_mul_hi_u32 s5, s24, s38
	s_add_i32 s5, s5, s4
	s_mul_i32 s4, s24, s38
	v_readlane_b32 s24, v47, 16
	s_sub_u32 s4, s22, s4
	v_readlane_b32 s25, v47, 17
	s_subb_u32 s5, 0, s5
	s_mul_i32 s6, s4, s25
	s_mul_hi_u32 s7, s4, s24
	s_add_i32 s6, s7, s6
	s_mul_i32 s5, s5, s24
	s_add_i32 s22, s6, s5
	s_mul_i32 s23, s4, s24
	v_readlane_b32 s4, v47, 8
	v_readlane_b32 s41, v47, 25
	;; [unrolled: 1-line block ×3, first 2 shown]
	s_mov_b32 s24, s4
	s_mul_i32 s4, s4, s41
	s_mul_hi_u32 s5, s24, s40
	s_add_i32 s5, s5, s4
	s_mul_i32 s4, s24, s40
	v_readlane_b32 s36, v47, 12
	v_readlane_b32 s45, v47, 23
	s_sub_u32 s4, s44, s4
	v_readlane_b32 s38, v47, 14
	v_readlane_b32 s39, v47, 15
	s_subb_u32 s5, s45, s5
	s_mul_i32 s6, s4, s39
	s_mul_hi_u32 s7, s4, s38
	v_readlane_b32 s37, v47, 13
	s_add_i32 s6, s7, s6
	s_mul_i32 s5, s5, s38
	s_add_i32 s5, s6, s5
	s_mul_i32 s6, s24, s37
	s_mul_hi_u32 s7, s24, s36
	s_mul_i32 s21, s42, s48
	s_add_i32 s7, s7, s6
	s_mul_i32 s6, s24, s36
	v_readlane_b32 s24, v47, 30
	v_readlane_b32 s25, v47, 31
	s_add_u32 s21, s24, s21
	s_addc_u32 s20, s25, s20
	s_add_u32 s19, s21, s19
	s_addc_u32 s20, s20, s18
	;; [unrolled: 2-line block ×3, first 2 shown]
	s_lshl_b64 s[6:7], s[6:7], 3
	v_readlane_b32 s20, v47, 28
	s_mul_i32 s4, s4, s38
	v_readlane_b32 s21, v47, 29
	s_add_u32 s6, s20, s6
	s_addc_u32 s7, s21, s7
	s_lshl_b64 s[4:5], s[4:5], 3
	s_add_u32 s4, s6, s4
	s_addc_u32 s5, s7, s5
	s_lshl_b64 s[2:3], s[2:3], 3
	s_add_u32 s48, s4, s2
	s_addc_u32 s49, s5, s3
	v_readlane_b32 s2, v47, 36
	v_readlane_b32 s3, v47, 37
	s_load_dwordx2 s[20:21], s[2:3], 0x368
	s_load_dwordx2 s[22:23], s[2:3], 0x510
	v_cmp_gt_u64_e32 vcc, s[8:9], v[0:1]
	s_mov_b64 s[36:37], -1
	s_mov_b64 s[2:3], 0
	s_mov_b64 s[4:5], 0
	s_and_saveexec_b64 s[24:25], vcc
	s_cbranch_execnz .LBB138_513
; %bb.503:
	s_or_b64 exec, exec, s[24:25]
	s_and_saveexec_b64 s[6:7], s[36:37]
	s_cbranch_execnz .LBB138_528
.LBB138_504:
	s_or_b64 exec, exec, s[6:7]
	s_and_saveexec_b64 s[0:1], s[4:5]
	s_xor_b64 s[0:1], exec, s[0:1]
	s_cbranch_execnz .LBB138_551
.LBB138_505:
	s_or_b64 exec, exec, s[0:1]
	s_and_b64 s[8:9], s[2:3], exec
.LBB138_506:
	s_andn2_saveexec_b64 s[0:1], s[16:17]
	s_cbranch_execnz .LBB138_553
.LBB138_507:
	s_or_b64 exec, exec, s[0:1]
	s_and_b64 s[8:9], s[8:9], exec
.LBB138_508:
	s_andn2_saveexec_b64 s[0:1], s[14:15]
	s_cbranch_execnz .LBB138_552
.LBB138_509:
	s_or_b64 exec, exec, s[0:1]
	s_and_b64 s[8:9], s[8:9], exec
.LBB138_510:
	s_andn2_saveexec_b64 s[0:1], s[12:13]
	s_cbranch_execnz .LBB138_547
.LBB138_511:
	s_or_b64 exec, exec, s[0:1]
	s_and_b64 s[8:9], s[8:9], exec
	s_andn2_saveexec_b64 s[0:1], s[10:11]
	s_cbranch_execz .LBB138_490
.LBB138_512:
	s_or_b64 s[8:9], s[8:9], exec
	s_trap 2
	s_or_b64 exec, exec, s[0:1]
	s_and_saveexec_b64 s[0:1], s[8:9]
	s_cbranch_execnz .LBB138_491
	s_branch .LBB138_492
.LBB138_513:
	s_movk_i32 s50, 0x80
	v_mov_b32_e32 v9, v1
	v_add_u32_sdwa v15, sext(v33), s50 dst_sel:DWORD dst_unused:UNUSED_PAD src0_sel:BYTE_0 src1_sel:DWORD
	s_mov_b64 s[36:37], 0
	v_mov_b32_e32 v3, 0
	v_mov_b32_e32 v8, v0
                                        ; implicit-def: $sgpr38_sgpr39
                                        ; implicit-def: $vgpr6_vgpr7
	s_branch .LBB138_515
.LBB138_514:                            ;   in Loop: Header=BB138_515 Depth=1
	s_or_b64 exec, exec, s[42:43]
	s_xor_b64 s[4:5], s[40:41], -1
	s_and_b64 s[6:7], exec, s[6:7]
	s_or_b64 s[36:37], s[6:7], s[36:37]
	s_andn2_b64 s[6:7], s[38:39], exec
	s_and_b64 s[4:5], s[4:5], exec
	v_mov_b32_e32 v9, v5
	s_or_b64 s[38:39], s[6:7], s[4:5]
	v_mov_b32_e32 v14, v16
	v_mov_b32_e32 v8, v4
	s_andn2_b64 exec, exec, s[36:37]
	s_cbranch_execz .LBB138_527
.LBB138_515:                            ; =>This Inner Loop Header: Depth=1
	v_add_co_u32_e64 v4, s[4:5], s33, v8
	v_addc_co_u32_e64 v5, s[4:5], 0, v9, s[4:5]
	v_cmp_gt_u64_e64 s[4:5], s[28:29], v[4:5]
	v_mov_b32_e32 v16, 0
	s_and_saveexec_b64 s[6:7], s[4:5]
	s_cbranch_execz .LBB138_517
; %bb.516:                              ;   in Loop: Header=BB138_515 Depth=1
	v_mov_b32_e32 v10, s34
	v_mov_b32_e32 v11, s35
	v_mad_u64_u32 v[10:11], s[4:5], v4, s26, v[10:11]
	v_mul_lo_u32 v2, v4, s27
	v_mul_lo_u32 v16, v5, s26
	v_add3_u32 v11, v16, v11, v2
	global_load_ubyte v16, v[10:11], off
.LBB138_517:                            ;   in Loop: Header=BB138_515 Depth=1
	s_or_b64 exec, exec, s[6:7]
	s_waitcnt vmcnt(0)
	v_add_u32_sdwa v2, sext(v14), s50 dst_sel:DWORD dst_unused:UNUSED_PAD src0_sel:BYTE_0 src1_sel:DWORD
	v_cmp_gt_u32_e64 s[6:7], v2, v15
	v_cndmask_b32_e64 v10, 0, 1, s[6:7]
	v_cmp_lt_u32_e64 s[6:7], v2, v15
	v_cndmask_b32_e64 v2, 0, 1, s[6:7]
	v_cndmask_b32_e64 v2, v2, v10, s[52:53]
	v_cmp_gt_u64_e64 s[4:5], s[28:29], v[8:9]
	v_and_b32_e32 v2, 1, v2
	v_cmp_eq_u32_e64 s[6:7], 1, v2
	s_and_b64 s[40:41], s[4:5], s[6:7]
	v_cndmask_b32_e64 v2, 0, 1, s[40:41]
	v_cmp_ne_u32_e64 s[4:5], 0, v2
	s_cmp_lg_u64 s[4:5], 0
	s_cselect_b64 s[6:7], -1, 0
	s_and_b64 s[6:7], s[0:1], s[6:7]
	s_and_saveexec_b64 s[42:43], s[6:7]
	s_cbranch_execz .LBB138_521
; %bb.518:                              ;   in Loop: Header=BB138_515 Depth=1
	s_mov_b64 s[46:47], exec
	v_mbcnt_lo_u32_b32 v2, s46, 0
	v_mbcnt_hi_u32_b32 v10, s47, v2
	s_bcnt1_i32_b64 s51, s[4:5]
	v_cmp_eq_u32_e64 s[6:7], 0, v10
                                        ; implicit-def: $vgpr6_vgpr7
	s_and_saveexec_b64 s[44:45], s[6:7]
	s_cbranch_execz .LBB138_520
; %bb.519:                              ;   in Loop: Header=BB138_515 Depth=1
	s_bcnt1_i32_b64 s6, s[46:47]
	s_mul_i32 s6, s51, s6
	v_mov_b32_e32 v2, s6
	s_waitcnt lgkmcnt(0)
	ds_add_rtn_u64 v[6:7], v3, v[2:3] offset:5136
.LBB138_520:                            ;   in Loop: Header=BB138_515 Depth=1
	s_or_b64 exec, exec, s[44:45]
	s_waitcnt lgkmcnt(0)
	v_readfirstlane_b32 s6, v7
	v_readfirstlane_b32 s7, v6
	v_mov_b32_e32 v6, s7
	v_mov_b32_e32 v7, s6
	v_mad_u64_u32 v[6:7], s[6:7], s51, v10, v[6:7]
.LBB138_521:                            ;   in Loop: Header=BB138_515 Depth=1
	s_or_b64 exec, exec, s[42:43]
	s_waitcnt lgkmcnt(0)
	ds_bpermute_b32 v6, v23, v6
	ds_bpermute_b32 v7, v23, v7
	s_mov_b64 s[6:7], -1
	s_mov_b64 s[44:45], -1
	s_and_saveexec_b64 s[42:43], s[40:41]
	s_cbranch_execz .LBB138_525
; %bb.522:                              ;   in Loop: Header=BB138_515 Depth=1
	v_and_b32_e32 v10, s4, v25
	v_and_b32_e32 v2, s5, v24
	v_bcnt_u32_b32 v10, v10, 0
	v_bcnt_u32_b32 v2, v2, v10
	s_waitcnt lgkmcnt(0)
	v_add_co_u32_e64 v10, s[4:5], v6, v2
	v_addc_co_u32_e64 v11, s[4:5], 0, v7, s[4:5]
	v_cmp_gt_u64_e64 s[4:5], s[30:31], v[10:11]
	s_mov_b64 s[40:41], 0
	s_and_saveexec_b64 s[44:45], s[4:5]
; %bb.523:                              ;   in Loop: Header=BB138_515 Depth=1
	v_mov_b32_e32 v20, s19
	v_mul_lo_u32 v2, v11, s22
	v_mul_lo_u32 v21, v10, s23
	v_mad_u64_u32 v[17:18], s[4:5], v10, s22, 0
	v_mov_b32_e32 v19, s18
	v_mad_u64_u32 v[19:20], s[4:5], v10, s20, v[19:20]
	v_mul_lo_u32 v10, v10, s21
	v_mul_lo_u32 v11, v11, s20
	v_add3_u32 v18, v18, v21, v2
	v_mov_b32_e32 v2, s49
	s_mov_b64 s[40:41], exec
	v_add3_u32 v20, v11, v20, v10
	v_lshlrev_b64 v[10:11], 3, v[17:18]
	global_store_byte v[19:20], v14, off
	v_add_co_u32_e64 v10, s[4:5], s48, v10
	v_addc_co_u32_e64 v11, s[4:5], v2, v11, s[4:5]
	global_store_dwordx2 v[10:11], v[8:9], off
; %bb.524:                              ;   in Loop: Header=BB138_515 Depth=1
	s_or_b64 exec, exec, s[44:45]
	s_orn2_b64 s[44:45], s[40:41], exec
.LBB138_525:                            ;   in Loop: Header=BB138_515 Depth=1
	s_or_b64 exec, exec, s[42:43]
	s_mov_b64 s[40:41], -1
	s_and_saveexec_b64 s[42:43], s[44:45]
	s_cbranch_execz .LBB138_514
; %bb.526:                              ;   in Loop: Header=BB138_515 Depth=1
	v_cmp_le_u64_e64 s[4:5], s[8:9], v[4:5]
	s_xor_b64 s[40:41], exec, -1
	s_orn2_b64 s[6:7], s[4:5], exec
	s_branch .LBB138_514
.LBB138_527:
	s_or_b64 exec, exec, s[36:37]
	s_mov_b64 s[4:5], exec
	s_orn2_b64 s[36:37], s[38:39], exec
	s_or_b64 exec, exec, s[24:25]
	s_and_saveexec_b64 s[6:7], s[36:37]
	s_cbranch_execz .LBB138_504
.LBB138_528:
	v_mov_b32_e32 v2, 0
	s_waitcnt vmcnt(0) lgkmcnt(0)
	s_barrier
	s_mov_b64 s[2:3], exec
	v_readlane_b32 s24, v47, 46
	v_readlane_b32 s25, v47, 47
	s_and_b64 s[24:25], s[2:3], s[24:25]
	s_mov_b64 exec, s[24:25]
	s_cbranch_execz .LBB138_530
; %bb.529:
	global_load_ubyte v2, v[12:13], off
.LBB138_530:
	s_or_b64 exec, exec, s[2:3]
	s_mov_b64 s[2:3], 0
	s_and_saveexec_b64 s[24:25], vcc
	s_cbranch_execz .LBB138_550
; %bb.531:
	s_mov_b64 s[36:37], 0
	v_mov_b32_e32 v3, 0
                                        ; implicit-def: $sgpr38_sgpr39
                                        ; implicit-def: $vgpr6_vgpr7
	s_branch .LBB138_534
.LBB138_532:                            ;   in Loop: Header=BB138_534 Depth=1
	s_or_b64 exec, exec, s[42:43]
	s_orn2_b64 s[44:45], s[46:47], exec
	s_orn2_b64 s[42:43], s[40:41], exec
.LBB138_533:                            ;   in Loop: Header=BB138_534 Depth=1
	s_or_b64 exec, exec, s[2:3]
	s_xor_b64 s[2:3], s[44:45], -1
	s_and_b64 s[40:41], exec, s[42:43]
	s_or_b64 s[36:37], s[40:41], s[36:37]
	s_andn2_b64 s[38:39], s[38:39], exec
	s_and_b64 s[2:3], s[2:3], exec
	v_mov_b32_e32 v0, v4
	s_or_b64 s[38:39], s[38:39], s[2:3]
	v_mov_b32_e32 v1, v5
	v_mov_b32_e32 v2, v10
	s_andn2_b64 exec, exec, s[36:37]
	s_cbranch_execz .LBB138_548
.LBB138_534:                            ; =>This Inner Loop Header: Depth=1
	v_add_co_u32_e32 v4, vcc, s33, v0
	v_addc_co_u32_e32 v5, vcc, 0, v1, vcc
	v_cmp_gt_u64_e32 vcc, s[28:29], v[4:5]
	v_mov_b32_e32 v10, 0
	s_and_saveexec_b64 s[2:3], vcc
	s_cbranch_execz .LBB138_536
; %bb.535:                              ;   in Loop: Header=BB138_534 Depth=1
	v_mov_b32_e32 v8, s34
	v_mov_b32_e32 v9, s35
	v_mad_u64_u32 v[8:9], s[40:41], v4, s26, v[8:9]
	v_mul_lo_u32 v10, v4, s27
	v_mul_lo_u32 v11, v5, s26
	v_add3_u32 v9, v11, v9, v10
	global_load_ubyte v10, v[8:9], off
.LBB138_536:                            ;   in Loop: Header=BB138_534 Depth=1
	s_or_b64 exec, exec, s[2:3]
	v_cmp_gt_u64_e32 vcc, s[28:29], v[0:1]
	s_waitcnt vmcnt(0)
	v_cmp_eq_u16_sdwa s[2:3], v2, v33 src0_sel:BYTE_0 src1_sel:BYTE_0
	s_and_b64 s[40:41], vcc, s[2:3]
	v_cndmask_b32_e64 v2, 0, 1, s[40:41]
	v_cmp_ne_u32_e32 vcc, 0, v2
	s_cmp_lg_u64 vcc, 0
	s_cselect_b64 s[2:3], -1, 0
	s_and_b64 s[2:3], s[0:1], s[2:3]
	s_and_saveexec_b64 s[42:43], s[2:3]
	s_cbranch_execz .LBB138_540
; %bb.537:                              ;   in Loop: Header=BB138_534 Depth=1
	s_mov_b64 s[46:47], exec
	v_mbcnt_lo_u32_b32 v2, s46, 0
	v_mbcnt_hi_u32_b32 v8, s47, v2
	s_bcnt1_i32_b64 s50, vcc
	v_cmp_eq_u32_e64 s[2:3], 0, v8
                                        ; implicit-def: $vgpr6_vgpr7
	s_and_saveexec_b64 s[44:45], s[2:3]
; %bb.538:                              ;   in Loop: Header=BB138_534 Depth=1
	s_bcnt1_i32_b64 s2, s[46:47]
	s_mul_i32 s2, s50, s2
	v_mov_b32_e32 v2, s2
	ds_add_rtn_u64 v[6:7], v3, v[2:3] offset:5136
; %bb.539:                              ;   in Loop: Header=BB138_534 Depth=1
	s_or_b64 exec, exec, s[44:45]
	s_waitcnt lgkmcnt(0)
	v_readfirstlane_b32 s2, v7
	v_readfirstlane_b32 s3, v6
	v_mov_b32_e32 v6, s3
	v_mov_b32_e32 v7, s2
	v_mad_u64_u32 v[6:7], s[2:3], s50, v8, v[6:7]
.LBB138_540:                            ;   in Loop: Header=BB138_534 Depth=1
	s_or_b64 exec, exec, s[42:43]
	ds_bpermute_b32 v6, v23, v6
	ds_bpermute_b32 v7, v23, v7
	s_cmp_eq_u64 vcc, 0
	s_cselect_b64 s[44:45], -1, 0
	s_mov_b64 s[42:43], -1
	s_waitcnt lgkmcnt(0)
	v_cmp_gt_u64_e64 s[2:3], s[30:31], v[6:7]
	s_or_b64 s[46:47], s[44:45], s[2:3]
	s_mov_b64 s[44:45], -1
	s_and_saveexec_b64 s[2:3], s[46:47]
	s_cbranch_execz .LBB138_533
; %bb.541:                              ;   in Loop: Header=BB138_534 Depth=1
	v_and_b32_e32 v8, vcc_lo, v25
	v_and_b32_e32 v2, vcc_hi, v24
	v_bcnt_u32_b32 v8, v8, 0
	v_bcnt_u32_b32 v2, v2, v8
	v_mov_b32_e32 v9, s31
	v_sub_co_u32_e32 v8, vcc, s30, v6
	v_subb_co_u32_e32 v9, vcc, v9, v7, vcc
	v_cmp_gt_u64_e32 vcc, v[8:9], v[2:3]
	s_mov_b64 s[46:47], -1
	s_and_b64 s[50:51], s[40:41], vcc
	s_mov_b64 s[40:41], -1
	s_and_saveexec_b64 s[42:43], s[50:51]
	s_cbranch_execz .LBB138_545
; %bb.542:                              ;   in Loop: Header=BB138_534 Depth=1
	v_add_co_u32_e32 v8, vcc, v6, v2
	v_addc_co_u32_e32 v9, vcc, 0, v7, vcc
	v_cmp_gt_u64_e32 vcc, s[30:31], v[8:9]
	s_mov_b64 s[44:45], 0
	s_and_saveexec_b64 s[46:47], vcc
; %bb.543:                              ;   in Loop: Header=BB138_534 Depth=1
	v_mov_b32_e32 v13, s18
	v_mul_lo_u32 v2, v9, s22
	v_mul_lo_u32 v15, v8, s23
	v_mad_u64_u32 v[11:12], s[50:51], v8, s22, 0
	v_mov_b32_e32 v14, s19
	v_mad_u64_u32 v[13:14], s[50:51], v8, s20, v[13:14]
	v_mul_lo_u32 v8, v8, s21
	v_mul_lo_u32 v9, v9, s20
	v_add3_u32 v12, v12, v15, v2
	v_mov_b32_e32 v2, s49
	s_mov_b64 s[44:45], exec
	v_add3_u32 v14, v9, v14, v8
	v_lshlrev_b64 v[8:9], 3, v[11:12]
	global_store_byte v[13:14], v33, off
	v_add_co_u32_e32 v8, vcc, s48, v8
	v_addc_co_u32_e32 v9, vcc, v2, v9, vcc
	global_store_dwordx2 v[8:9], v[0:1], off
; %bb.544:                              ;   in Loop: Header=BB138_534 Depth=1
	s_or_b64 exec, exec, s[46:47]
	s_xor_b64 s[46:47], exec, -1
	s_orn2_b64 s[44:45], s[44:45], exec
.LBB138_545:                            ;   in Loop: Header=BB138_534 Depth=1
	s_or_b64 exec, exec, s[42:43]
	s_and_saveexec_b64 s[42:43], s[44:45]
	s_cbranch_execz .LBB138_532
; %bb.546:                              ;   in Loop: Header=BB138_534 Depth=1
	v_cmp_le_u64_e32 vcc, s[8:9], v[4:5]
	s_or_b64 s[46:47], s[46:47], exec
	s_orn2_b64 s[40:41], vcc, exec
	s_branch .LBB138_532
.LBB138_547:
	s_or_b64 s[8:9], s[8:9], exec
	s_trap 2
	s_branch .LBB138_511
.LBB138_548:
	s_or_b64 exec, exec, s[36:37]
	s_mov_b64 s[0:1], 0
	s_and_saveexec_b64 s[2:3], s[38:39]
	s_xor_b64 s[2:3], exec, s[2:3]
	s_cbranch_execnz .LBB138_554
.LBB138_549:
	s_or_b64 exec, exec, s[2:3]
	s_and_b64 s[2:3], s[0:1], exec
.LBB138_550:
	s_or_b64 exec, exec, s[24:25]
	s_and_b64 s[2:3], s[2:3], exec
	s_andn2_b64 s[4:5], s[4:5], exec
	s_or_b64 exec, exec, s[6:7]
	s_and_saveexec_b64 s[0:1], s[4:5]
	s_xor_b64 s[0:1], exec, s[0:1]
	s_cbranch_execz .LBB138_505
.LBB138_551:
	s_trap 2
	s_or_b64 s[2:3], s[2:3], exec
	s_branch .LBB138_505
.LBB138_552:
	s_or_b64 s[8:9], s[8:9], exec
	s_trap 2
	s_branch .LBB138_509
.LBB138_553:
	s_trap 2
	s_or_b64 s[8:9], s[8:9], exec
	s_branch .LBB138_507
.LBB138_554:
	s_mov_b64 s[0:1], exec
	s_trap 2
	s_branch .LBB138_549
	.section	.rodata,"a",@progbits
	.p2align	6, 0x0
	.amdhsa_kernel _ZN2at6native6sbtopk10gatherTopKIamLi3ELb0EEEvNS_4cuda6detail10TensorInfoIKT_T0_EES8_S8_bS8_S8_NS5_IS6_S8_EES8_NS5_IlS8_EES8_PS6_
		.amdhsa_group_segment_fixed_size 5152
		.amdhsa_private_segment_fixed_size 0
		.amdhsa_kernarg_size 1568
		.amdhsa_user_sgpr_count 6
		.amdhsa_user_sgpr_private_segment_buffer 1
		.amdhsa_user_sgpr_dispatch_ptr 0
		.amdhsa_user_sgpr_queue_ptr 0
		.amdhsa_user_sgpr_kernarg_segment_ptr 1
		.amdhsa_user_sgpr_dispatch_id 0
		.amdhsa_user_sgpr_flat_scratch_init 0
		.amdhsa_user_sgpr_private_segment_size 0
		.amdhsa_uses_dynamic_stack 0
		.amdhsa_system_sgpr_private_segment_wavefront_offset 0
		.amdhsa_system_sgpr_workgroup_id_x 1
		.amdhsa_system_sgpr_workgroup_id_y 1
		.amdhsa_system_sgpr_workgroup_id_z 1
		.amdhsa_system_sgpr_workgroup_info 0
		.amdhsa_system_vgpr_workitem_id 0
		.amdhsa_next_free_vgpr 48
		.amdhsa_next_free_sgpr 96
		.amdhsa_reserve_vcc 1
		.amdhsa_reserve_flat_scratch 0
		.amdhsa_float_round_mode_32 0
		.amdhsa_float_round_mode_16_64 0
		.amdhsa_float_denorm_mode_32 3
		.amdhsa_float_denorm_mode_16_64 3
		.amdhsa_dx10_clamp 1
		.amdhsa_ieee_mode 1
		.amdhsa_fp16_overflow 0
		.amdhsa_exception_fp_ieee_invalid_op 0
		.amdhsa_exception_fp_denorm_src 0
		.amdhsa_exception_fp_ieee_div_zero 0
		.amdhsa_exception_fp_ieee_overflow 0
		.amdhsa_exception_fp_ieee_underflow 0
		.amdhsa_exception_fp_ieee_inexact 0
		.amdhsa_exception_int_div_zero 0
	.end_amdhsa_kernel
	.section	.text._ZN2at6native6sbtopk10gatherTopKIamLi3ELb0EEEvNS_4cuda6detail10TensorInfoIKT_T0_EES8_S8_bS8_S8_NS5_IS6_S8_EES8_NS5_IlS8_EES8_PS6_,"axG",@progbits,_ZN2at6native6sbtopk10gatherTopKIamLi3ELb0EEEvNS_4cuda6detail10TensorInfoIKT_T0_EES8_S8_bS8_S8_NS5_IS6_S8_EES8_NS5_IlS8_EES8_PS6_,comdat
.Lfunc_end138:
	.size	_ZN2at6native6sbtopk10gatherTopKIamLi3ELb0EEEvNS_4cuda6detail10TensorInfoIKT_T0_EES8_S8_bS8_S8_NS5_IS6_S8_EES8_NS5_IlS8_EES8_PS6_, .Lfunc_end138-_ZN2at6native6sbtopk10gatherTopKIamLi3ELb0EEEvNS_4cuda6detail10TensorInfoIKT_T0_EES8_S8_bS8_S8_NS5_IS6_S8_EES8_NS5_IlS8_EES8_PS6_
                                        ; -- End function
	.set _ZN2at6native6sbtopk10gatherTopKIamLi3ELb0EEEvNS_4cuda6detail10TensorInfoIKT_T0_EES8_S8_bS8_S8_NS5_IS6_S8_EES8_NS5_IlS8_EES8_PS6_.num_vgpr, 48
	.set _ZN2at6native6sbtopk10gatherTopKIamLi3ELb0EEEvNS_4cuda6detail10TensorInfoIKT_T0_EES8_S8_bS8_S8_NS5_IS6_S8_EES8_NS5_IlS8_EES8_PS6_.num_agpr, 0
	.set _ZN2at6native6sbtopk10gatherTopKIamLi3ELb0EEEvNS_4cuda6detail10TensorInfoIKT_T0_EES8_S8_bS8_S8_NS5_IS6_S8_EES8_NS5_IlS8_EES8_PS6_.numbered_sgpr, 96
	.set _ZN2at6native6sbtopk10gatherTopKIamLi3ELb0EEEvNS_4cuda6detail10TensorInfoIKT_T0_EES8_S8_bS8_S8_NS5_IS6_S8_EES8_NS5_IlS8_EES8_PS6_.num_named_barrier, 0
	.set _ZN2at6native6sbtopk10gatherTopKIamLi3ELb0EEEvNS_4cuda6detail10TensorInfoIKT_T0_EES8_S8_bS8_S8_NS5_IS6_S8_EES8_NS5_IlS8_EES8_PS6_.private_seg_size, 0
	.set _ZN2at6native6sbtopk10gatherTopKIamLi3ELb0EEEvNS_4cuda6detail10TensorInfoIKT_T0_EES8_S8_bS8_S8_NS5_IS6_S8_EES8_NS5_IlS8_EES8_PS6_.uses_vcc, 1
	.set _ZN2at6native6sbtopk10gatherTopKIamLi3ELb0EEEvNS_4cuda6detail10TensorInfoIKT_T0_EES8_S8_bS8_S8_NS5_IS6_S8_EES8_NS5_IlS8_EES8_PS6_.uses_flat_scratch, 0
	.set _ZN2at6native6sbtopk10gatherTopKIamLi3ELb0EEEvNS_4cuda6detail10TensorInfoIKT_T0_EES8_S8_bS8_S8_NS5_IS6_S8_EES8_NS5_IlS8_EES8_PS6_.has_dyn_sized_stack, 0
	.set _ZN2at6native6sbtopk10gatherTopKIamLi3ELb0EEEvNS_4cuda6detail10TensorInfoIKT_T0_EES8_S8_bS8_S8_NS5_IS6_S8_EES8_NS5_IlS8_EES8_PS6_.has_recursion, 0
	.set _ZN2at6native6sbtopk10gatherTopKIamLi3ELb0EEEvNS_4cuda6detail10TensorInfoIKT_T0_EES8_S8_bS8_S8_NS5_IS6_S8_EES8_NS5_IlS8_EES8_PS6_.has_indirect_call, 0
	.section	.AMDGPU.csdata,"",@progbits
; Kernel info:
; codeLenInByte = 27504
; TotalNumSgprs: 100
; NumVgprs: 48
; ScratchSize: 0
; MemoryBound: 0
; FloatMode: 240
; IeeeMode: 1
; LDSByteSize: 5152 bytes/workgroup (compile time only)
; SGPRBlocks: 12
; VGPRBlocks: 11
; NumSGPRsForWavesPerEU: 100
; NumVGPRsForWavesPerEU: 48
; Occupancy: 5
; WaveLimiterHint : 1
; COMPUTE_PGM_RSRC2:SCRATCH_EN: 0
; COMPUTE_PGM_RSRC2:USER_SGPR: 6
; COMPUTE_PGM_RSRC2:TRAP_HANDLER: 0
; COMPUTE_PGM_RSRC2:TGID_X_EN: 1
; COMPUTE_PGM_RSRC2:TGID_Y_EN: 1
; COMPUTE_PGM_RSRC2:TGID_Z_EN: 1
; COMPUTE_PGM_RSRC2:TIDIG_COMP_CNT: 0
	.section	.text._ZN2at6native6mbtopk23computeBlockDigitCountsIamjLin1EEEvNS_4cuda6detail10TensorInfoIKT_T0_EEjPjjS8_iijT1_PSB_Ps,"axG",@progbits,_ZN2at6native6mbtopk23computeBlockDigitCountsIamjLin1EEEvNS_4cuda6detail10TensorInfoIKT_T0_EEjPjjS8_iijT1_PSB_Ps,comdat
	.protected	_ZN2at6native6mbtopk23computeBlockDigitCountsIamjLin1EEEvNS_4cuda6detail10TensorInfoIKT_T0_EEjPjjS8_iijT1_PSB_Ps ; -- Begin function _ZN2at6native6mbtopk23computeBlockDigitCountsIamjLin1EEEvNS_4cuda6detail10TensorInfoIKT_T0_EEjPjjS8_iijT1_PSB_Ps
	.globl	_ZN2at6native6mbtopk23computeBlockDigitCountsIamjLin1EEEvNS_4cuda6detail10TensorInfoIKT_T0_EEjPjjS8_iijT1_PSB_Ps
	.p2align	8
	.type	_ZN2at6native6mbtopk23computeBlockDigitCountsIamjLin1EEEvNS_4cuda6detail10TensorInfoIKT_T0_EEjPjjS8_iijT1_PSB_Ps,@function
_ZN2at6native6mbtopk23computeBlockDigitCountsIamjLin1EEEvNS_4cuda6detail10TensorInfoIKT_T0_EEjPjjS8_iijT1_PSB_Ps: ; @_ZN2at6native6mbtopk23computeBlockDigitCountsIamjLin1EEEvNS_4cuda6detail10TensorInfoIKT_T0_EEjPjjS8_iijT1_PSB_Ps
; %bb.0:
	s_load_dwordx4 s[0:3], s[4:5], 0x1c0
	s_load_dword s9, s[4:5], 0x1b0
	s_load_dwordx2 s[10:11], s[4:5], 0x1e0
	s_mov_b32 s13, 0
	s_waitcnt lgkmcnt(0)
	v_cvt_f32_u32_e32 v1, s2
	s_mul_i32 s8, s11, s8
	s_add_i32 s7, s8, s7
	v_rcp_iflag_f32_e32 v1, v1
	s_mul_i32 s24, s7, s10
	s_sub_i32 s11, 0, s2
	s_add_i32 s24, s24, s6
	v_mul_f32_e32 v1, 0x4f7ffffe, v1
	v_cvt_u32_f32_e32 v1, v1
	v_readfirstlane_b32 s6, v1
	s_mul_i32 s11, s11, s6
	s_mul_hi_u32 s7, s6, s11
	s_add_i32 s6, s6, s7
	s_mul_hi_u32 s6, s24, s6
	s_mul_i32 s7, s6, s2
	s_sub_i32 s7, s24, s7
	s_add_i32 s8, s6, 1
	s_sub_i32 s10, s7, s2
	s_cmp_ge_u32 s7, s2
	s_cselect_b32 s6, s8, s6
	s_cselect_b32 s7, s10, s7
	s_add_i32 s8, s6, 1
	s_cmp_ge_u32 s7, s2
	s_cselect_b32 s12, s8, s6
	s_cmp_ge_u32 s12, s9
	s_cbranch_scc1 .LBB139_28
; %bb.1:
	s_load_dwordx4 s[8:11], s[4:5], 0x1d0
	s_load_dword s14, s[4:5], 0x198
	s_lshl_b64 s[6:7], s[12:13], 2
	s_mov_b64 s[20:21], s[12:13]
	s_waitcnt lgkmcnt(0)
	s_add_u32 s8, s8, s6
	s_addc_u32 s9, s9, s7
	s_cmp_lt_i32 s14, 2
	s_mov_b64 s[6:7], 0
	s_cbranch_scc1 .LBB139_7
; %bb.2:
	s_add_i32 s16, s14, -1
	s_mov_b32 s17, 0
	s_add_i32 s13, s14, 1
	s_lshl_b64 s[6:7], s[16:17], 3
	s_add_u32 s6, s4, s6
	s_addc_u32 s7, s5, s7
	s_add_u32 s18, s6, 8
	s_addc_u32 s19, s7, 0
	s_mov_b64 s[6:7], 0
.LBB139_3:                              ; =>This Inner Loop Header: Depth=1
	s_load_dwordx2 s[22:23], s[18:19], 0x0
	s_mov_b64 s[14:15], 0
	s_waitcnt lgkmcnt(0)
	v_mov_b32_e32 v1, s22
	v_mov_b32_e32 v2, s23
	v_cmp_lt_u64_e32 vcc, s[20:21], v[1:2]
	s_cbranch_vccnz .LBB139_5
; %bb.4:                                ;   in Loop: Header=BB139_3 Depth=1
	v_cvt_f32_u32_e32 v1, s22
	s_sub_i32 s14, 0, s22
	v_rcp_iflag_f32_e32 v1, v1
	v_mul_f32_e32 v1, 0x4f7ffffe, v1
	v_cvt_u32_f32_e32 v1, v1
	v_readfirstlane_b32 s15, v1
	s_mul_i32 s14, s14, s15
	s_mul_hi_u32 s14, s15, s14
	s_add_i32 s15, s15, s14
	s_mul_hi_u32 s14, s20, s15
	s_mul_i32 s16, s14, s22
	s_sub_i32 s16, s20, s16
	s_add_i32 s15, s14, 1
	s_sub_i32 s25, s16, s22
	s_cmp_ge_u32 s16, s22
	s_cselect_b32 s14, s15, s14
	s_cselect_b32 s16, s25, s16
	s_add_i32 s15, s14, 1
	s_cmp_ge_u32 s16, s22
	s_cselect_b32 s16, s15, s14
	s_mov_b64 s[14:15], s[16:17]
.LBB139_5:                              ;   in Loop: Header=BB139_3 Depth=1
	s_load_dwordx2 s[26:27], s[18:19], 0xc8
	s_mul_i32 s16, s14, s23
	s_mul_hi_u32 s23, s14, s22
	s_add_i32 s23, s23, s16
	s_mul_i32 s16, s14, s22
	s_sub_u32 s16, s20, s16
	s_subb_u32 s20, s21, s23
	s_waitcnt lgkmcnt(0)
	s_mul_i32 s20, s26, s20
	s_mul_hi_u32 s21, s26, s16
	s_add_i32 s20, s21, s20
	s_mul_i32 s21, s27, s16
	s_add_i32 s20, s20, s21
	s_mul_i32 s16, s26, s16
	s_add_u32 s6, s16, s6
	s_addc_u32 s7, s20, s7
	s_add_i32 s13, s13, -1
	s_add_u32 s18, s18, -8
	s_addc_u32 s19, s19, -1
	s_cmp_gt_u32 s13, 2
	s_cbranch_scc0 .LBB139_8
; %bb.6:                                ;   in Loop: Header=BB139_3 Depth=1
	s_mov_b64 s[20:21], s[14:15]
	s_branch .LBB139_3
.LBB139_7:
	s_mov_b64 s[14:15], s[20:21]
.LBB139_8:
	s_load_dword s13, s[8:9], 0x0
	s_movk_i32 s8, 0x100
	v_cmp_gt_u32_e32 vcc, s8, v0
	v_lshlrev_b32_e32 v1, 2, v0
	s_and_saveexec_b64 s[8:9], vcc
; %bb.9:
	v_mov_b32_e32 v2, 0
	ds_write_b32 v1, v2
; %bb.10:
	s_or_b64 exec, exec, s[8:9]
	s_load_dword s15, s[4:5], 0x1a0
	s_mul_i32 s8, s12, s2
	s_sub_i32 s8, s24, s8
	s_add_i32 s12, s8, 1
	s_mul_i32 s8, s1, s8
	s_lshl_b32 s16, s8, 8
	s_waitcnt lgkmcnt(0)
	s_sub_i32 s8, s15, s16
	s_add_u32 s8, s8, 0xff
	s_addc_u32 s9, 0, 0
	s_lshr_b64 s[8:9], s[8:9], 8
	s_cmp_lt_u32 s12, s2
	s_cselect_b32 s12, s1, s8
	s_cmp_lt_i32 s12, 1
	s_mov_b32 s1, 0
	s_barrier
	s_cbranch_scc1 .LBB139_26
; %bb.11:
	s_load_dwordx2 s[18:19], s[4:5], 0xd0
	s_load_dwordx2 s[8:9], s[4:5], 0x1b8
	;; [unrolled: 1-line block ×3, first 2 shown]
	v_add_u32_e32 v2, s16, v0
	s_waitcnt lgkmcnt(0)
	s_mul_i32 s2, s19, s14
	s_mul_hi_u32 s4, s18, s14
	s_mul_i32 s5, s18, s14
	s_add_i32 s4, s4, s2
	s_add_u32 s2, s20, s5
	s_addc_u32 s5, s21, s4
	s_add_u32 s4, s2, s6
	s_addc_u32 s5, s5, s7
	s_and_b32 s2, s0, 0xff
	s_cmp_eq_u32 s12, 1
	s_cbranch_scc1 .LBB139_21
; %bb.12:
	s_and_b32 s14, s12, 0x7ffffffe
	s_mov_b32 s16, 0
	v_mov_b32_e32 v3, 1
	v_mov_b32_e32 v4, v2
	s_branch .LBB139_14
.LBB139_13:                             ;   in Loop: Header=BB139_14 Depth=1
	s_or_b64 exec, exec, s[6:7]
	s_add_i32 s16, s16, 2
	s_cmp_eq_u32 s14, s16
	v_add_u32_e32 v4, 0x200, v4
	s_cbranch_scc1 .LBB139_20
.LBB139_14:                             ; =>This Inner Loop Header: Depth=1
	v_cmp_gt_u32_e64 s[0:1], s15, v4
	s_and_saveexec_b64 s[6:7], s[0:1]
	s_cbranch_execz .LBB139_17
; %bb.15:                               ;   in Loop: Header=BB139_14 Depth=1
	v_mov_b32_e32 v6, s5
	v_mov_b32_e32 v5, s4
	v_mad_u64_u32 v[5:6], s[0:1], s8, v4, v[5:6]
	v_mad_u64_u32 v[6:7], s[0:1], s9, v4, v[6:7]
	global_load_sbyte v5, v[5:6], off
	s_waitcnt vmcnt(0)
	v_add_u32_e32 v5, 0x80, v5
	v_xor_b32_e32 v6, s13, v5
	v_and_b32_e32 v6, s3, v6
	v_cmp_eq_u32_e64 s[0:1], 0, v6
	s_and_b64 exec, exec, s[0:1]
; %bb.16:                               ;   in Loop: Header=BB139_14 Depth=1
	v_lshrrev_b32_e32 v5, s2, v5
	v_lshlrev_b32_e32 v5, 2, v5
	ds_add_u32 v5, v3
.LBB139_17:                             ;   in Loop: Header=BB139_14 Depth=1
	s_or_b64 exec, exec, s[6:7]
	v_add_u32_e32 v5, 0x100, v4
	v_cmp_gt_u32_e64 s[0:1], s15, v5
	s_and_saveexec_b64 s[6:7], s[0:1]
	s_cbranch_execz .LBB139_13
; %bb.18:                               ;   in Loop: Header=BB139_14 Depth=1
	v_mov_b32_e32 v7, s5
	v_mov_b32_e32 v6, s4
	v_mad_u64_u32 v[6:7], s[0:1], s8, v5, v[6:7]
	v_mad_u64_u32 v[7:8], s[0:1], s9, v5, v[7:8]
	global_load_sbyte v5, v[6:7], off
	s_waitcnt vmcnt(0)
	v_add_u32_e32 v5, 0x80, v5
	v_xor_b32_e32 v6, s13, v5
	v_and_b32_e32 v6, s3, v6
	v_cmp_eq_u32_e64 s[0:1], 0, v6
	s_and_b64 exec, exec, s[0:1]
	s_cbranch_execz .LBB139_13
; %bb.19:                               ;   in Loop: Header=BB139_14 Depth=1
	v_lshrrev_b32_e32 v5, s2, v5
	v_lshlrev_b32_e32 v5, 2, v5
	ds_add_u32 v5, v3
	s_branch .LBB139_13
.LBB139_20:
	s_lshl_b32 s1, s14, 8
.LBB139_21:
	s_bitcmp0_b32 s12, 0
	s_cbranch_scc1 .LBB139_26
; %bb.22:
	v_add_u32_e32 v2, s1, v2
	v_cmp_gt_u32_e64 s[0:1], s15, v2
	s_and_saveexec_b64 s[6:7], s[0:1]
	s_cbranch_execz .LBB139_25
; %bb.23:
	v_mov_b32_e32 v3, s4
	v_mov_b32_e32 v4, s5
	v_mad_u64_u32 v[3:4], s[0:1], s8, v2, v[3:4]
	v_mad_u64_u32 v[4:5], s[0:1], s9, v2, v[4:5]
	global_load_sbyte v2, v[3:4], off
	s_waitcnt vmcnt(0)
	v_add_u32_e32 v2, 0x80, v2
	v_xor_b32_e32 v3, s13, v2
	v_and_b32_e32 v3, s3, v3
	v_cmp_eq_u32_e64 s[0:1], 0, v3
	s_and_b64 exec, exec, s[0:1]
; %bb.24:
	v_lshrrev_b32_e32 v2, s2, v2
	v_lshlrev_b32_e32 v2, 2, v2
	v_mov_b32_e32 v3, 1
	ds_add_u32 v2, v3
.LBB139_25:
	s_or_b64 exec, exec, s[6:7]
.LBB139_26:
	s_waitcnt lgkmcnt(0)
	s_barrier
	s_and_saveexec_b64 s[0:1], vcc
	s_cbranch_execz .LBB139_28
; %bb.27:
	v_lshl_or_b32 v2, s24, 8, v0
	v_mov_b32_e32 v3, 0
	ds_read_b32 v5, v1
	v_lshlrev_b64 v[2:3], 1, v[2:3]
	v_mov_b32_e32 v4, s11
	v_add_co_u32_e32 v0, vcc, s10, v2
	v_addc_co_u32_e32 v1, vcc, v4, v3, vcc
	s_waitcnt lgkmcnt(0)
	global_store_short v[0:1], v5, off
.LBB139_28:
	s_endpgm
	.section	.rodata,"a",@progbits
	.p2align	6, 0x0
	.amdhsa_kernel _ZN2at6native6mbtopk23computeBlockDigitCountsIamjLin1EEEvNS_4cuda6detail10TensorInfoIKT_T0_EEjPjjS8_iijT1_PSB_Ps
		.amdhsa_group_segment_fixed_size 1024
		.amdhsa_private_segment_fixed_size 0
		.amdhsa_kernarg_size 736
		.amdhsa_user_sgpr_count 6
		.amdhsa_user_sgpr_private_segment_buffer 1
		.amdhsa_user_sgpr_dispatch_ptr 0
		.amdhsa_user_sgpr_queue_ptr 0
		.amdhsa_user_sgpr_kernarg_segment_ptr 1
		.amdhsa_user_sgpr_dispatch_id 0
		.amdhsa_user_sgpr_flat_scratch_init 0
		.amdhsa_user_sgpr_private_segment_size 0
		.amdhsa_uses_dynamic_stack 0
		.amdhsa_system_sgpr_private_segment_wavefront_offset 0
		.amdhsa_system_sgpr_workgroup_id_x 1
		.amdhsa_system_sgpr_workgroup_id_y 1
		.amdhsa_system_sgpr_workgroup_id_z 1
		.amdhsa_system_sgpr_workgroup_info 0
		.amdhsa_system_vgpr_workitem_id 0
		.amdhsa_next_free_vgpr 9
		.amdhsa_next_free_sgpr 28
		.amdhsa_reserve_vcc 1
		.amdhsa_reserve_flat_scratch 0
		.amdhsa_float_round_mode_32 0
		.amdhsa_float_round_mode_16_64 0
		.amdhsa_float_denorm_mode_32 3
		.amdhsa_float_denorm_mode_16_64 3
		.amdhsa_dx10_clamp 1
		.amdhsa_ieee_mode 1
		.amdhsa_fp16_overflow 0
		.amdhsa_exception_fp_ieee_invalid_op 0
		.amdhsa_exception_fp_denorm_src 0
		.amdhsa_exception_fp_ieee_div_zero 0
		.amdhsa_exception_fp_ieee_overflow 0
		.amdhsa_exception_fp_ieee_underflow 0
		.amdhsa_exception_fp_ieee_inexact 0
		.amdhsa_exception_int_div_zero 0
	.end_amdhsa_kernel
	.section	.text._ZN2at6native6mbtopk23computeBlockDigitCountsIamjLin1EEEvNS_4cuda6detail10TensorInfoIKT_T0_EEjPjjS8_iijT1_PSB_Ps,"axG",@progbits,_ZN2at6native6mbtopk23computeBlockDigitCountsIamjLin1EEEvNS_4cuda6detail10TensorInfoIKT_T0_EEjPjjS8_iijT1_PSB_Ps,comdat
.Lfunc_end139:
	.size	_ZN2at6native6mbtopk23computeBlockDigitCountsIamjLin1EEEvNS_4cuda6detail10TensorInfoIKT_T0_EEjPjjS8_iijT1_PSB_Ps, .Lfunc_end139-_ZN2at6native6mbtopk23computeBlockDigitCountsIamjLin1EEEvNS_4cuda6detail10TensorInfoIKT_T0_EEjPjjS8_iijT1_PSB_Ps
                                        ; -- End function
	.set _ZN2at6native6mbtopk23computeBlockDigitCountsIamjLin1EEEvNS_4cuda6detail10TensorInfoIKT_T0_EEjPjjS8_iijT1_PSB_Ps.num_vgpr, 9
	.set _ZN2at6native6mbtopk23computeBlockDigitCountsIamjLin1EEEvNS_4cuda6detail10TensorInfoIKT_T0_EEjPjjS8_iijT1_PSB_Ps.num_agpr, 0
	.set _ZN2at6native6mbtopk23computeBlockDigitCountsIamjLin1EEEvNS_4cuda6detail10TensorInfoIKT_T0_EEjPjjS8_iijT1_PSB_Ps.numbered_sgpr, 28
	.set _ZN2at6native6mbtopk23computeBlockDigitCountsIamjLin1EEEvNS_4cuda6detail10TensorInfoIKT_T0_EEjPjjS8_iijT1_PSB_Ps.num_named_barrier, 0
	.set _ZN2at6native6mbtopk23computeBlockDigitCountsIamjLin1EEEvNS_4cuda6detail10TensorInfoIKT_T0_EEjPjjS8_iijT1_PSB_Ps.private_seg_size, 0
	.set _ZN2at6native6mbtopk23computeBlockDigitCountsIamjLin1EEEvNS_4cuda6detail10TensorInfoIKT_T0_EEjPjjS8_iijT1_PSB_Ps.uses_vcc, 1
	.set _ZN2at6native6mbtopk23computeBlockDigitCountsIamjLin1EEEvNS_4cuda6detail10TensorInfoIKT_T0_EEjPjjS8_iijT1_PSB_Ps.uses_flat_scratch, 0
	.set _ZN2at6native6mbtopk23computeBlockDigitCountsIamjLin1EEEvNS_4cuda6detail10TensorInfoIKT_T0_EEjPjjS8_iijT1_PSB_Ps.has_dyn_sized_stack, 0
	.set _ZN2at6native6mbtopk23computeBlockDigitCountsIamjLin1EEEvNS_4cuda6detail10TensorInfoIKT_T0_EEjPjjS8_iijT1_PSB_Ps.has_recursion, 0
	.set _ZN2at6native6mbtopk23computeBlockDigitCountsIamjLin1EEEvNS_4cuda6detail10TensorInfoIKT_T0_EEjPjjS8_iijT1_PSB_Ps.has_indirect_call, 0
	.section	.AMDGPU.csdata,"",@progbits
; Kernel info:
; codeLenInByte = 1092
; TotalNumSgprs: 32
; NumVgprs: 9
; ScratchSize: 0
; MemoryBound: 0
; FloatMode: 240
; IeeeMode: 1
; LDSByteSize: 1024 bytes/workgroup (compile time only)
; SGPRBlocks: 3
; VGPRBlocks: 2
; NumSGPRsForWavesPerEU: 32
; NumVGPRsForWavesPerEU: 9
; Occupancy: 10
; WaveLimiterHint : 0
; COMPUTE_PGM_RSRC2:SCRATCH_EN: 0
; COMPUTE_PGM_RSRC2:USER_SGPR: 6
; COMPUTE_PGM_RSRC2:TRAP_HANDLER: 0
; COMPUTE_PGM_RSRC2:TGID_X_EN: 1
; COMPUTE_PGM_RSRC2:TGID_Y_EN: 1
; COMPUTE_PGM_RSRC2:TGID_Z_EN: 1
; COMPUTE_PGM_RSRC2:TIDIG_COMP_CNT: 0
	.section	.text._ZN2at6native6mbtopk10gatherTopKIamLin1EEEvNS_4cuda6detail10TensorInfoIKT_T0_EES8_S8_bjS8_NS5_IS6_S8_EES8_NS5_IlS8_EES8_jjPS6_PjSD_j,"axG",@progbits,_ZN2at6native6mbtopk10gatherTopKIamLin1EEEvNS_4cuda6detail10TensorInfoIKT_T0_EES8_S8_bjS8_NS5_IS6_S8_EES8_NS5_IlS8_EES8_jjPS6_PjSD_j,comdat
	.protected	_ZN2at6native6mbtopk10gatherTopKIamLin1EEEvNS_4cuda6detail10TensorInfoIKT_T0_EES8_S8_bjS8_NS5_IS6_S8_EES8_NS5_IlS8_EES8_jjPS6_PjSD_j ; -- Begin function _ZN2at6native6mbtopk10gatherTopKIamLin1EEEvNS_4cuda6detail10TensorInfoIKT_T0_EES8_S8_bjS8_NS5_IS6_S8_EES8_NS5_IlS8_EES8_jjPS6_PjSD_j
	.globl	_ZN2at6native6mbtopk10gatherTopKIamLin1EEEvNS_4cuda6detail10TensorInfoIKT_T0_EES8_S8_bjS8_NS5_IS6_S8_EES8_NS5_IlS8_EES8_jjPS6_PjSD_j
	.p2align	8
	.type	_ZN2at6native6mbtopk10gatherTopKIamLin1EEEvNS_4cuda6detail10TensorInfoIKT_T0_EES8_S8_bjS8_NS5_IS6_S8_EES8_NS5_IlS8_EES8_jjPS6_PjSD_j,@function
_ZN2at6native6mbtopk10gatherTopKIamLin1EEEvNS_4cuda6detail10TensorInfoIKT_T0_EES8_S8_bjS8_NS5_IS6_S8_EES8_NS5_IlS8_EES8_jjPS6_PjSD_j: ; @_ZN2at6native6mbtopk10gatherTopKIamLin1EEEvNS_4cuda6detail10TensorInfoIKT_T0_EES8_S8_bjS8_NS5_IS6_S8_EES8_NS5_IlS8_EES8_jjPS6_PjSD_j
; %bb.0:
	s_load_dwordx2 s[0:1], s[4:5], 0x538
	s_load_dword s3, s[4:5], 0x530
	s_waitcnt lgkmcnt(0)
	s_mul_i32 s1, s1, s8
	s_add_i32 s1, s1, s7
	s_mul_i32 s2, s1, s0
	s_add_i32 s2, s2, s6
	s_cmp_ge_u32 s2, s3
	s_cbranch_scc1 .LBB140_61
; %bb.1:
	s_load_dwordx2 s[20:21], s[4:5], 0x510
	s_load_dwordx4 s[8:11], s[4:5], 0x1a0
	s_mov_b32 s1, 0
	s_waitcnt lgkmcnt(0)
	v_cvt_f32_u32_e32 v1, s21
	s_sub_i32 s0, 0, s21
	s_lshl_b32 s3, s20, 8
	v_rcp_iflag_f32_e32 v1, v1
	v_mul_f32_e32 v1, 0x4f7ffffe, v1
	v_cvt_u32_f32_e32 v1, v1
	v_readfirstlane_b32 s6, v1
	s_mul_i32 s0, s0, s6
	s_mul_hi_u32 s0, s6, s0
	s_add_i32 s6, s6, s0
	s_mul_hi_u32 s0, s2, s6
	s_mul_i32 s6, s0, s21
	s_sub_i32 s6, s2, s6
	s_add_i32 s7, s0, 1
	s_sub_i32 s12, s6, s21
	s_cmp_ge_u32 s6, s21
	s_cselect_b32 s0, s7, s0
	s_cselect_b32 s6, s12, s6
	s_add_i32 s7, s0, 1
	s_cmp_ge_u32 s6, s21
	s_cselect_b32 s0, s7, s0
	s_mul_i32 s6, s0, s21
	s_sub_i32 s54, s2, s6
	s_add_i32 s2, s54, 1
	s_cmp_lt_u32 s2, s21
	s_mul_i32 s33, s54, s3
	s_cbranch_scc1 .LBB140_3
; %bb.2:
	s_sub_u32 s2, s8, s33
	s_subb_u32 s3, s9, 0
	s_add_u32 s2, s2, 0xff
	s_addc_u32 s3, s3, 0
	s_ashr_i32 s7, s3, 31
	s_lshr_b32 s7, s7, 24
	s_add_u32 s2, s2, s7
	s_addc_u32 s3, s3, 0
	s_lshr_b64 s[2:3], s[2:3], 8
	s_mov_b32 s20, s2
.LBB140_3:
	s_load_dword s2, s[4:5], 0x198
	s_mov_b64 s[22:23], 0
	s_mov_b64 s[24:25], s[0:1]
	s_waitcnt lgkmcnt(0)
	s_cmp_lt_i32 s2, 2
	s_cbranch_scc1 .LBB140_9
; %bb.4:
	s_add_i32 s7, s2, 1
	s_add_i32 s2, s2, -1
	s_mov_b32 s3, 0
	s_lshl_b64 s[12:13], s[2:3], 3
	s_add_u32 s2, s4, s12
	s_addc_u32 s13, s5, s13
	s_add_u32 s12, s2, 8
	s_addc_u32 s13, s13, 0
	s_mov_b64 s[14:15], s[0:1]
.LBB140_5:                              ; =>This Inner Loop Header: Depth=1
	s_load_dwordx2 s[16:17], s[12:13], 0x0
	s_mov_b64 s[24:25], 0
	s_waitcnt lgkmcnt(0)
	v_mov_b32_e32 v1, s16
	v_mov_b32_e32 v2, s17
	v_cmp_lt_u64_e32 vcc, s[14:15], v[1:2]
	s_cbranch_vccnz .LBB140_7
; %bb.6:                                ;   in Loop: Header=BB140_5 Depth=1
	v_cvt_f32_u32_e32 v1, s16
	s_sub_i32 s2, 0, s16
	v_rcp_iflag_f32_e32 v1, v1
	v_mul_f32_e32 v1, 0x4f7ffffe, v1
	v_cvt_u32_f32_e32 v1, v1
	v_readfirstlane_b32 s18, v1
	s_mul_i32 s2, s2, s18
	s_mul_hi_u32 s2, s18, s2
	s_add_i32 s18, s18, s2
	s_mul_hi_u32 s2, s14, s18
	s_mul_i32 s19, s2, s16
	s_sub_i32 s19, s14, s19
	s_add_i32 s18, s2, 1
	s_sub_i32 s24, s19, s16
	s_cmp_ge_u32 s19, s16
	s_cselect_b32 s2, s18, s2
	s_cselect_b32 s19, s24, s19
	s_add_i32 s18, s2, 1
	s_cmp_ge_u32 s19, s16
	s_cselect_b32 s2, s18, s2
	s_mov_b64 s[24:25], s[2:3]
.LBB140_7:                              ;   in Loop: Header=BB140_5 Depth=1
	s_load_dwordx2 s[18:19], s[12:13], 0xc8
	s_mul_i32 s2, s24, s17
	s_mul_hi_u32 s17, s24, s16
	s_add_i32 s17, s17, s2
	s_mul_i32 s2, s24, s16
	s_sub_u32 s2, s14, s2
	s_subb_u32 s14, s15, s17
	s_waitcnt lgkmcnt(0)
	s_mul_i32 s14, s18, s14
	s_mul_hi_u32 s15, s18, s2
	s_add_i32 s14, s15, s14
	s_mul_i32 s15, s19, s2
	s_add_i32 s14, s14, s15
	s_mul_i32 s2, s18, s2
	s_add_u32 s22, s2, s22
	s_addc_u32 s23, s14, s23
	s_add_i32 s7, s7, -1
	s_add_u32 s12, s12, -8
	s_addc_u32 s13, s13, -1
	s_cmp_gt_u32 s7, 2
	s_cbranch_scc0 .LBB140_9
; %bb.8:                                ;   in Loop: Header=BB140_5 Depth=1
	s_mov_b64 s[14:15], s[24:25]
	s_branch .LBB140_5
.LBB140_9:
	s_load_dword s12, s[4:5], 0x358
	s_load_dwordx2 s[26:27], s[4:5], 0xd0
	s_add_u32 s2, s4, 0x1c0
	s_addc_u32 s3, s5, 0
	s_mov_b64 s[28:29], 0
	s_waitcnt lgkmcnt(0)
	s_cmp_lt_i32 s12, 2
	s_mov_b64 s[30:31], s[0:1]
	s_cbranch_scc1 .LBB140_15
; %bb.10:
	s_add_i32 s7, s12, 1
	s_add_i32 s12, s12, -1
	s_mov_b32 s13, 0
	s_lshl_b64 s[14:15], s[12:13], 3
	s_add_u32 s12, s2, s14
	s_addc_u32 s15, s3, s15
	s_add_u32 s14, s12, 8
	s_addc_u32 s15, s15, 0
	s_mov_b64 s[16:17], s[0:1]
.LBB140_11:                             ; =>This Inner Loop Header: Depth=1
	s_load_dwordx2 s[18:19], s[14:15], 0x0
	s_mov_b64 s[30:31], 0
	s_waitcnt lgkmcnt(0)
	v_mov_b32_e32 v1, s18
	v_mov_b32_e32 v2, s19
	v_cmp_lt_u64_e32 vcc, s[16:17], v[1:2]
	s_cbranch_vccnz .LBB140_13
; %bb.12:                               ;   in Loop: Header=BB140_11 Depth=1
	v_cvt_f32_u32_e32 v1, s18
	s_sub_i32 s12, 0, s18
	v_rcp_iflag_f32_e32 v1, v1
	v_mul_f32_e32 v1, 0x4f7ffffe, v1
	v_cvt_u32_f32_e32 v1, v1
	v_readfirstlane_b32 s25, v1
	s_mul_i32 s12, s12, s25
	s_mul_hi_u32 s12, s25, s12
	s_add_i32 s25, s25, s12
	s_mul_hi_u32 s12, s16, s25
	s_mul_i32 s30, s12, s18
	s_sub_i32 s30, s16, s30
	s_add_i32 s25, s12, 1
	s_sub_i32 s31, s30, s18
	s_cmp_ge_u32 s30, s18
	s_cselect_b32 s12, s25, s12
	s_cselect_b32 s30, s31, s30
	s_add_i32 s25, s12, 1
	s_cmp_ge_u32 s30, s18
	s_cselect_b32 s12, s25, s12
	s_mov_b64 s[30:31], s[12:13]
.LBB140_13:                             ;   in Loop: Header=BB140_11 Depth=1
	s_load_dwordx2 s[34:35], s[14:15], 0xc8
	s_mul_i32 s12, s30, s19
	s_mul_hi_u32 s19, s30, s18
	s_add_i32 s19, s19, s12
	s_mul_i32 s12, s30, s18
	s_sub_u32 s12, s16, s12
	s_subb_u32 s16, s17, s19
	s_waitcnt lgkmcnt(0)
	s_mul_i32 s16, s34, s16
	s_mul_hi_u32 s17, s34, s12
	s_add_i32 s16, s17, s16
	s_mul_i32 s17, s35, s12
	s_add_i32 s16, s16, s17
	s_mul_i32 s12, s34, s12
	s_add_u32 s28, s12, s28
	s_addc_u32 s29, s16, s29
	s_add_i32 s7, s7, -1
	s_add_u32 s14, s14, -8
	s_addc_u32 s15, s15, -1
	s_cmp_gt_u32 s7, 2
	s_cbranch_scc0 .LBB140_15
; %bb.14:                               ;   in Loop: Header=BB140_11 Depth=1
	s_mov_b64 s[16:17], s[30:31]
	s_branch .LBB140_11
.LBB140_15:
	s_load_dword s14, s[4:5], 0x500
	s_load_dwordx2 s[36:37], s[2:3], 0xd0
	s_add_u32 s12, s4, 0x368
	s_addc_u32 s13, s5, 0
	s_mov_b64 s[34:35], 0
	s_waitcnt lgkmcnt(0)
	s_cmp_lt_i32 s14, 2
	s_cbranch_scc1 .LBB140_21
; %bb.16:
	s_add_i32 s2, s14, -1
	s_mov_b32 s3, 0
	s_add_i32 s7, s14, 1
	s_lshl_b64 s[14:15], s[2:3], 3
	s_add_u32 s2, s12, s14
	s_addc_u32 s13, s13, s15
	s_add_u32 s12, s2, 8
	s_addc_u32 s13, s13, 0
	s_mov_b64 s[14:15], s[0:1]
.LBB140_17:                             ; =>This Inner Loop Header: Depth=1
	s_load_dwordx2 s[16:17], s[12:13], 0x0
	s_mov_b64 s[38:39], 0
	s_waitcnt lgkmcnt(0)
	v_mov_b32_e32 v1, s16
	v_mov_b32_e32 v2, s17
	v_cmp_lt_u64_e32 vcc, s[14:15], v[1:2]
	s_cbranch_vccnz .LBB140_19
; %bb.18:                               ;   in Loop: Header=BB140_17 Depth=1
	v_cvt_f32_u32_e32 v1, s16
	s_sub_i32 s1, 0, s16
	v_rcp_iflag_f32_e32 v1, v1
	v_mul_f32_e32 v1, 0x4f7ffffe, v1
	v_cvt_u32_f32_e32 v1, v1
	v_readfirstlane_b32 s2, v1
	s_mul_i32 s1, s1, s2
	s_mul_hi_u32 s1, s2, s1
	s_add_i32 s2, s2, s1
	s_mul_hi_u32 s1, s14, s2
	s_mul_i32 s18, s1, s16
	s_sub_i32 s18, s14, s18
	s_add_i32 s2, s1, 1
	s_sub_i32 s19, s18, s16
	s_cmp_ge_u32 s18, s16
	s_cselect_b32 s1, s2, s1
	s_cselect_b32 s18, s19, s18
	s_add_i32 s2, s1, 1
	s_cmp_ge_u32 s18, s16
	s_cselect_b32 s2, s2, s1
	s_mov_b64 s[38:39], s[2:3]
.LBB140_19:                             ;   in Loop: Header=BB140_17 Depth=1
	s_load_dwordx2 s[18:19], s[12:13], 0xc8
	s_mul_i32 s1, s38, s17
	s_mul_hi_u32 s2, s38, s16
	s_add_i32 s2, s2, s1
	s_mul_i32 s1, s38, s16
	s_sub_u32 s1, s14, s1
	s_subb_u32 s2, s15, s2
	s_waitcnt lgkmcnt(0)
	s_mul_i32 s2, s18, s2
	s_mul_hi_u32 s14, s18, s1
	s_add_i32 s2, s14, s2
	s_mul_i32 s14, s19, s1
	s_add_i32 s2, s2, s14
	s_mul_i32 s1, s18, s1
	s_add_u32 s34, s1, s34
	s_addc_u32 s35, s2, s35
	s_add_i32 s7, s7, -1
	s_add_u32 s12, s12, -8
	s_addc_u32 s13, s13, -1
	s_cmp_gt_u32 s7, 2
	s_cbranch_scc0 .LBB140_22
; %bb.20:                               ;   in Loop: Header=BB140_17 Depth=1
	s_mov_b64 s[14:15], s[38:39]
	s_branch .LBB140_17
.LBB140_21:
	s_mov_b64 s[38:39], s[0:1]
.LBB140_22:
	s_load_dwordx4 s[12:15], s[4:5], 0x518
	v_mov_b32_e32 v1, 0
	s_mov_b32 s7, 0
	v_cmp_eq_u32_e64 s[2:3], 0, v0
	s_waitcnt lgkmcnt(0)
	s_add_u32 s0, s12, s0
	s_addc_u32 s1, s13, 0
	global_load_ubyte v8, v1, s[0:1]
	s_load_dwordx2 s[44:45], s[4:5], 0x438
	s_load_dwordx2 s[12:13], s[4:5], 0x0
	s_load_dwordx2 s[42:43], s[4:5], 0x1c0
	s_load_dwordx2 s[40:41], s[4:5], 0x368
	v_cmp_ne_u32_e64 s[0:1], 0, v0
	s_and_saveexec_b64 s[46:47], s[2:3]
	s_cbranch_execz .LBB140_38
; %bb.23:
	s_load_dwordx2 s[48:49], s[4:5], 0x528
	s_lshl_b64 s[50:51], s[6:7], 2
	s_add_u32 s16, s14, s50
	s_addc_u32 s17, s15, s51
	s_mov_b32 s6, 0
	s_waitcnt lgkmcnt(0)
	s_add_u32 s18, s48, s50
	s_addc_u32 s19, s49, s51
	s_mov_b32 s25, 0
	s_cmp_lt_u32 s21, 4
	s_cbranch_scc1 .LBB140_35
; %bb.24:
	s_mov_b32 s31, 0
.LBB140_25:                             ; =>This Inner Loop Header: Depth=1
	s_add_u32 s52, s14, s50
	s_addc_u32 s53, s15, s51
	s_load_dwordx4 s[16:19], s[52:53], 0x0
	s_add_u32 s52, s48, s50
	s_addc_u32 s53, s49, s51
	s_cmp_ge_u32 s31, s54
	s_cbranch_scc0 .LBB140_32
; %bb.26:                               ;   in Loop: Header=BB140_25 Depth=1
	s_add_i32 s39, s31, 1
	s_cmp_ge_u32 s39, s54
	s_cbranch_scc0 .LBB140_33
.LBB140_27:                             ;   in Loop: Header=BB140_25 Depth=1
	s_add_i32 s39, s39, 1
	s_cmp_ge_u32 s39, s54
	s_cbranch_scc0 .LBB140_34
.LBB140_28:                             ;   in Loop: Header=BB140_25 Depth=1
	s_add_i32 s39, s39, 1
	s_cmp_ge_u32 s39, s54
	s_cbranch_scc1 .LBB140_30
.LBB140_29:                             ;   in Loop: Header=BB140_25 Depth=1
	s_load_dword s52, s[52:53], 0xc
	s_waitcnt lgkmcnt(0)
	s_add_i32 s7, s7, s19
	s_add_i32 s6, s52, s6
.LBB140_30:                             ;   in Loop: Header=BB140_25 Depth=1
	s_waitcnt lgkmcnt(0)
	s_add_i32 s16, s16, s25
	s_add_i32 s16, s16, s17
	s_add_i32 s16, s16, s18
	s_add_i32 s25, s16, s19
	s_add_u32 s14, s14, 16
	s_addc_u32 s15, s15, 0
	s_add_u32 s48, s48, 16
	s_addc_u32 s49, s49, 0
	s_add_i32 s52, s39, 4
	s_add_u32 s18, s48, s50
	s_addc_u32 s19, s49, s51
	s_add_u32 s16, s14, s50
	s_addc_u32 s17, s15, s51
	s_add_i32 s39, s39, 1
	s_cmp_ge_u32 s52, s21
	s_cbranch_scc1 .LBB140_36
; %bb.31:                               ;   in Loop: Header=BB140_25 Depth=1
	s_mov_b32 s31, s39
	s_branch .LBB140_25
.LBB140_32:                             ;   in Loop: Header=BB140_25 Depth=1
	s_load_dword s39, s[52:53], 0x0
	s_waitcnt lgkmcnt(0)
	s_add_i32 s7, s16, s7
	s_add_i32 s6, s39, s6
	;; [unrolled: 1-line block ×3, first 2 shown]
	s_cmp_ge_u32 s39, s54
	s_cbranch_scc1 .LBB140_27
.LBB140_33:                             ;   in Loop: Header=BB140_25 Depth=1
	s_load_dword s55, s[52:53], 0x4
	s_waitcnt lgkmcnt(0)
	s_add_i32 s7, s7, s17
	s_add_i32 s6, s55, s6
	;; [unrolled: 1-line block ×3, first 2 shown]
	s_cmp_ge_u32 s39, s54
	s_cbranch_scc1 .LBB140_28
.LBB140_34:                             ;   in Loop: Header=BB140_25 Depth=1
	s_load_dword s55, s[52:53], 0x8
	s_waitcnt lgkmcnt(0)
	s_add_i32 s7, s7, s18
	s_add_i32 s6, s55, s6
	;; [unrolled: 1-line block ×3, first 2 shown]
	s_cmp_ge_u32 s39, s54
	s_cbranch_scc0 .LBB140_29
	s_branch .LBB140_30
.LBB140_35:
	s_mov_b32 s14, 0
	s_cmp_ge_u32 s14, s21
	s_cbranch_scc0 .LBB140_59
	s_branch .LBB140_37
.LBB140_36:
	s_add_i32 s14, s31, 4
	s_cmp_ge_u32 s14, s21
	s_cbranch_scc0 .LBB140_59
.LBB140_37:
	v_mov_b32_e32 v1, s6
	v_mov_b32_e32 v2, s25
	v_mov_b32_e32 v3, s7
	v_mov_b32_e32 v4, 0
	ds_write_b96 v4, v[1:3] offset:1056
.LBB140_38:
	s_or_b64 exec, exec, s[46:47]
	s_cmp_eq_u32 s20, 0
	s_waitcnt vmcnt(0) lgkmcnt(0)
	s_barrier
	s_cbranch_scc1 .LBB140_61
; %bb.39:
	s_mul_i32 s6, s37, s30
	s_mul_hi_u32 s7, s36, s30
	s_add_i32 s14, s7, s6
	s_mul_i32 s6, s27, s24
	s_mul_hi_u32 s7, s26, s24
	s_add_i32 s16, s7, s6
	s_mul_i32 s6, s45, s38
	s_mul_hi_u32 s7, s44, s38
	s_mul_i32 s17, s26, s24
	s_add_i32 s7, s7, s6
	s_add_u32 s12, s12, s17
	s_addc_u32 s13, s13, s16
	s_add_u32 s12, s12, s22
	s_mul_i32 s15, s36, s30
	s_addc_u32 s13, s13, s23
	v_mov_b32_e32 v5, 0
	s_add_u32 s15, s42, s15
	ds_read_b96 v[1:3], v5 offset:1056
	s_addc_u32 s16, s43, s14
	s_mul_i32 s6, s44, s38
	s_add_u32 s14, s15, s28
	s_addc_u32 s15, s16, s29
	s_lshl_b64 s[6:7], s[6:7], 3
	s_add_u32 s16, s40, s6
	s_addc_u32 s17, s41, s7
	s_lshl_b64 s[6:7], s[34:35], 3
	s_waitcnt lgkmcnt(0)
	v_add_u32_e32 v1, v1, v2
	v_lshrrev_b32_e32 v2, 3, v0
	s_add_u32 s21, s16, s6
	s_load_dword s6, s[4:5], 0x1b0
	v_and_b32_e32 v2, 28, v2
	s_addc_u32 s26, s17, s7
	s_load_dwordx2 s[16:17], s[4:5], 0x1b8
	s_load_dwordx2 s[18:19], s[4:5], 0x360
	;; [unrolled: 1-line block ×3, first 2 shown]
	v_lshl_add_u32 v10, v0, 2, v2
	v_lshrrev_b32_e32 v2, 1, v0
	v_and_b32_e32 v11, 0x7c, v2
	v_add_u32_e32 v2, -1, v0
	v_lshrrev_b32_e32 v4, 3, v2
	v_and_b32_e32 v4, 0x1ffffffc, v4
	s_movk_i32 s27, 0x80
	s_waitcnt lgkmcnt(0)
	s_bitcmp1_b32 s6, 0
	v_cmp_gt_u32_e64 s[6:7], 64, v0
	v_lshlrev_b32_e32 v12, 4, v0
	v_lshl_add_u32 v13, v2, 2, v4
	v_add_u32_e32 v4, s33, v0
	v_mbcnt_lo_u32_b32 v0, -1, 0
	v_add_u32_sdwa v9, sext(v8), s27 dst_sel:DWORD dst_unused:UNUSED_PAD src0_sel:BYTE_0 src1_sel:DWORD
	s_cselect_b64 s[4:5], -1, 0
	v_mbcnt_hi_u32_b32 v0, -1, v0
                                        ; implicit-def: $vgpr14
	s_branch .LBB140_42
.LBB140_40:                             ;   in Loop: Header=BB140_42 Depth=1
	s_or_b64 exec, exec, s[24:25]
	v_add_u32_e32 v1, v2, v1
.LBB140_41:                             ;   in Loop: Header=BB140_42 Depth=1
	s_add_i32 s20, s20, -1
	v_add_u32_e32 v3, v15, v3
	s_cmp_lg_u32 s20, 0
	v_add_u32_e32 v4, 0x100, v4
	s_cbranch_scc0 .LBB140_61
.LBB140_42:                             ; =>This Inner Loop Header: Depth=1
	v_cmp_gt_u64_e32 vcc, s[8:9], v[4:5]
	v_mov_b32_e32 v2, v5
	v_mov_b32_e32 v6, v5
	s_and_saveexec_b64 s[24:25], vcc
	s_cbranch_execz .LBB140_44
; %bb.43:                               ;   in Loop: Header=BB140_42 Depth=1
	v_mov_b32_e32 v6, s12
	v_mov_b32_e32 v7, s13
	v_mad_u64_u32 v[6:7], s[28:29], s16, v4, v[6:7]
	v_mov_b32_e32 v2, v7
	v_mad_u64_u32 v[14:15], s[28:29], s17, v4, v[2:3]
	v_mov_b32_e32 v7, v14
	global_load_ubyte v14, v[6:7], off
	s_waitcnt vmcnt(0)
	v_add_u32_sdwa v2, sext(v14), s27 dst_sel:DWORD dst_unused:UNUSED_PAD src0_sel:BYTE_0 src1_sel:DWORD
	v_cmp_gt_u32_e32 vcc, v2, v9
	v_cndmask_b32_e64 v6, 0, 1, vcc
	v_cmp_lt_u32_e32 vcc, v2, v9
	v_cndmask_b32_e64 v2, 0, 1, vcc
	v_cndmask_b32_e64 v2, v2, v6, s[4:5]
	v_cmp_eq_u16_sdwa s[28:29], v14, v8 src0_sel:DWORD src1_sel:BYTE_0
	v_and_b32_e32 v2, 1, v2
	v_cndmask_b32_e64 v6, 0, 1, s[28:29]
.LBB140_44:                             ;   in Loop: Header=BB140_42 Depth=1
	s_or_b64 exec, exec, s[24:25]
	ds_write_b32 v10, v2
	s_waitcnt vmcnt(0) lgkmcnt(0)
	s_barrier
	s_and_saveexec_b64 s[24:25], s[6:7]
	s_cbranch_execz .LBB140_46
; %bb.45:                               ;   in Loop: Header=BB140_42 Depth=1
	v_add_u32_e32 v7, v11, v12
	ds_read2_b32 v[15:16], v7 offset1:1
	ds_read2_b32 v[17:18], v7 offset0:2 offset1:3
	v_and_b32_e32 v19, 15, v0
	v_cmp_ne_u32_e32 vcc, 0, v19
	s_waitcnt lgkmcnt(1)
	v_add_u32_e32 v16, v16, v15
	s_waitcnt lgkmcnt(0)
	v_add3_u32 v16, v16, v17, v18
	v_bfe_i32 v18, v0, 4, 1
	; wave barrier
	s_nop 0
	v_mov_b32_dpp v17, v16 row_shr:1 row_mask:0xf bank_mask:0xf
	v_cndmask_b32_e32 v17, 0, v17, vcc
	v_add_u32_e32 v16, v17, v16
	v_cmp_lt_u32_e32 vcc, 1, v19
	s_nop 0
	v_mov_b32_dpp v17, v16 row_shr:2 row_mask:0xf bank_mask:0xf
	v_cndmask_b32_e32 v17, 0, v17, vcc
	v_add_u32_e32 v16, v16, v17
	v_cmp_lt_u32_e32 vcc, 3, v19
	;; [unrolled: 5-line block ×4, first 2 shown]
	s_nop 0
	v_mov_b32_dpp v17, v16 row_bcast:15 row_mask:0xf bank_mask:0xf
	v_and_b32_e32 v17, v18, v17
	v_add_u32_e32 v16, v16, v17
	v_and_b32_e32 v18, 64, v0
	s_nop 0
	v_mov_b32_dpp v17, v16 row_bcast:31 row_mask:0xf bank_mask:0xf
	v_cndmask_b32_e32 v17, 0, v17, vcc
	v_add_u32_e32 v16, v16, v17
	v_add_u32_e32 v17, -1, v0
	v_cmp_lt_i32_e32 vcc, v17, v18
	v_cndmask_b32_e32 v17, v17, v0, vcc
	v_lshlrev_b32_e32 v17, 2, v17
	ds_bpermute_b32 v16, v17, v16
	s_waitcnt lgkmcnt(0)
	v_add_u32_e32 v15, v16, v15
	v_cndmask_b32_e64 v17, v15, v2, s[2:3]
	ds_write_b32 v7, v17
	; wave barrier
	ds_read2_b32 v[15:16], v7 offset0:1 offset1:2
	ds_read_b32 v18, v7 offset:12
	s_waitcnt lgkmcnt(1)
	v_add_u32_e32 v15, v15, v17
	v_add_u32_e32 v16, v16, v15
	ds_write2_b32 v7, v15, v16 offset0:1 offset1:2
	s_waitcnt lgkmcnt(1)
	v_add_u32_e32 v15, v18, v16
	ds_write_b32 v7, v15 offset:12
.LBB140_46:                             ;   in Loop: Header=BB140_42 Depth=1
	s_or_b64 exec, exec, s[24:25]
	v_mov_b32_e32 v7, 0
	s_waitcnt lgkmcnt(0)
	s_barrier
	s_and_saveexec_b64 s[24:25], s[0:1]
; %bb.47:                               ;   in Loop: Header=BB140_42 Depth=1
	ds_read_b32 v7, v13
; %bb.48:                               ;   in Loop: Header=BB140_42 Depth=1
	s_or_b64 exec, exec, s[24:25]
	ds_read_b32 v15, v5 offset:1048
	v_cmp_ne_u32_e32 vcc, 0, v2
	s_waitcnt lgkmcnt(0)
	s_barrier
	s_and_saveexec_b64 s[24:25], vcc
	s_cbranch_execz .LBB140_50
; %bb.49:                               ;   in Loop: Header=BB140_42 Depth=1
	v_mov_b32_e32 v17, s15
	v_add_u32_e32 v7, v7, v3
	v_mov_b32_e32 v16, s14
	v_mad_u64_u32 v[16:17], s[28:29], s18, v7, v[16:17]
	v_mad_u64_u32 v[18:19], s[28:29], s22, v7, 0
	v_mov_b32_e32 v2, v17
	v_mad_u64_u32 v[20:21], s[28:29], s19, v7, v[2:3]
	v_mov_b32_e32 v2, v19
	;; [unrolled: 2-line block ×3, first 2 shown]
	global_store_byte v[16:17], v14, off
	v_mov_b32_e32 v19, v21
	v_lshlrev_b64 v[16:17], 3, v[18:19]
	v_mov_b32_e32 v2, s26
	v_add_co_u32_e32 v16, vcc, s21, v16
	v_addc_co_u32_e32 v17, vcc, v2, v17, vcc
	global_store_dwordx2 v[16:17], v[4:5], off
.LBB140_50:                             ;   in Loop: Header=BB140_42 Depth=1
	s_or_b64 exec, exec, s[24:25]
	v_mov_b32_e32 v2, v5
	v_cmp_le_u64_e32 vcc, s[10:11], v[1:2]
	s_cbranch_vccnz .LBB140_41
; %bb.51:                               ;   in Loop: Header=BB140_42 Depth=1
	ds_write_b32 v10, v6
	s_waitcnt vmcnt(0) lgkmcnt(0)
	s_barrier
	s_and_saveexec_b64 s[24:25], s[6:7]
	s_cbranch_execz .LBB140_53
; %bb.52:                               ;   in Loop: Header=BB140_42 Depth=1
	v_add_u32_e32 v2, v11, v12
	ds_read2_b32 v[16:17], v2 offset1:1
	ds_read2_b32 v[18:19], v2 offset0:2 offset1:3
	v_and_b32_e32 v7, 15, v0
	v_cmp_ne_u32_e32 vcc, 0, v7
	s_waitcnt lgkmcnt(1)
	v_add_u32_e32 v17, v17, v16
	s_waitcnt lgkmcnt(0)
	v_add3_u32 v17, v17, v18, v19
	; wave barrier
	s_nop 1
	v_mov_b32_dpp v18, v17 row_shr:1 row_mask:0xf bank_mask:0xf
	v_cndmask_b32_e32 v18, 0, v18, vcc
	v_add_u32_e32 v17, v18, v17
	v_cmp_lt_u32_e32 vcc, 1, v7
	s_nop 0
	v_mov_b32_dpp v18, v17 row_shr:2 row_mask:0xf bank_mask:0xf
	v_cndmask_b32_e32 v18, 0, v18, vcc
	v_add_u32_e32 v17, v17, v18
	v_cmp_lt_u32_e32 vcc, 3, v7
	;; [unrolled: 5-line block ×3, first 2 shown]
	s_nop 0
	v_mov_b32_dpp v18, v17 row_shr:8 row_mask:0xf bank_mask:0xf
	v_cndmask_b32_e32 v7, 0, v18, vcc
	v_add_u32_e32 v7, v17, v7
	v_bfe_i32 v18, v0, 4, 1
	v_cmp_lt_u32_e32 vcc, 31, v0
	v_mov_b32_dpp v17, v7 row_bcast:15 row_mask:0xf bank_mask:0xf
	v_and_b32_e32 v17, v18, v17
	v_add_u32_e32 v7, v7, v17
	v_and_b32_e32 v18, 64, v0
	s_nop 0
	v_mov_b32_dpp v17, v7 row_bcast:31 row_mask:0xf bank_mask:0xf
	v_cndmask_b32_e32 v17, 0, v17, vcc
	v_add_u32_e32 v7, v7, v17
	v_add_u32_e32 v17, -1, v0
	v_cmp_lt_i32_e32 vcc, v17, v18
	v_cndmask_b32_e32 v17, v17, v0, vcc
	v_lshlrev_b32_e32 v17, 2, v17
	ds_bpermute_b32 v7, v17, v7
	s_waitcnt lgkmcnt(0)
	v_add_u32_e32 v7, v7, v16
	v_cndmask_b32_e64 v7, v7, v6, s[2:3]
	ds_write_b32 v2, v7
	; wave barrier
	ds_read2_b32 v[16:17], v2 offset0:1 offset1:2
	ds_read_b32 v18, v2 offset:12
	s_waitcnt lgkmcnt(1)
	v_add_u32_e32 v7, v16, v7
	v_add_u32_e32 v16, v17, v7
	ds_write2_b32 v2, v7, v16 offset0:1 offset1:2
	s_waitcnt lgkmcnt(1)
	v_add_u32_e32 v7, v18, v16
	ds_write_b32 v2, v7 offset:12
.LBB140_53:                             ;   in Loop: Header=BB140_42 Depth=1
	s_or_b64 exec, exec, s[24:25]
	v_mov_b32_e32 v7, 0
	s_waitcnt lgkmcnt(0)
	s_barrier
	s_and_saveexec_b64 s[24:25], s[0:1]
; %bb.54:                               ;   in Loop: Header=BB140_42 Depth=1
	ds_read_b32 v7, v13
; %bb.55:                               ;   in Loop: Header=BB140_42 Depth=1
	s_or_b64 exec, exec, s[24:25]
	ds_read_b32 v2, v5 offset:1048
	v_cmp_ne_u32_e32 vcc, 0, v6
	s_waitcnt lgkmcnt(0)
	s_barrier
	s_and_saveexec_b64 s[24:25], vcc
	s_cbranch_execz .LBB140_40
; %bb.56:                               ;   in Loop: Header=BB140_42 Depth=1
	v_add_u32_e32 v6, v7, v1
	v_mov_b32_e32 v7, v5
	v_cmp_gt_u64_e32 vcc, s[10:11], v[6:7]
	s_and_b64 exec, exec, vcc
	s_cbranch_execz .LBB140_40
; %bb.57:                               ;   in Loop: Header=BB140_42 Depth=1
	v_mov_b32_e32 v17, s15
	v_mov_b32_e32 v16, s14
	v_mad_u64_u32 v[16:17], s[28:29], s18, v6, v[16:17]
	v_mad_u64_u32 v[18:19], s[28:29], s22, v6, 0
	v_mov_b32_e32 v7, v17
	v_mad_u64_u32 v[20:21], s[28:29], s19, v6, v[7:8]
	v_mov_b32_e32 v7, v19
	;; [unrolled: 2-line block ×3, first 2 shown]
	global_store_byte v[16:17], v14, off
	v_mov_b32_e32 v19, v6
	v_lshlrev_b64 v[6:7], 3, v[18:19]
	v_mov_b32_e32 v16, s26
	v_add_co_u32_e32 v6, vcc, s21, v6
	v_addc_co_u32_e32 v7, vcc, v16, v7, vcc
	global_store_dwordx2 v[6:7], v[4:5], off
	s_branch .LBB140_40
.LBB140_58:                             ;   in Loop: Header=BB140_59 Depth=1
	s_add_u32 s16, s16, 4
	s_addc_u32 s17, s17, 0
	s_waitcnt lgkmcnt(0)
	s_add_i32 s25, s15, s25
	s_add_u32 s18, s18, 4
	s_addc_u32 s19, s19, 0
	s_add_i32 s14, s14, 1
	s_cmp_lt_u32 s14, s21
	s_cbranch_scc0 .LBB140_37
.LBB140_59:                             ; =>This Inner Loop Header: Depth=1
	s_load_dword s15, s[16:17], 0x0
	s_cmp_ge_u32 s14, s54
	s_cbranch_scc1 .LBB140_58
; %bb.60:                               ;   in Loop: Header=BB140_59 Depth=1
	s_load_dword s31, s[18:19], 0x0
	s_waitcnt lgkmcnt(0)
	s_add_i32 s7, s15, s7
	s_add_i32 s6, s31, s6
	s_branch .LBB140_58
.LBB140_61:
	s_endpgm
	.section	.rodata,"a",@progbits
	.p2align	6, 0x0
	.amdhsa_kernel _ZN2at6native6mbtopk10gatherTopKIamLin1EEEvNS_4cuda6detail10TensorInfoIKT_T0_EES8_S8_bjS8_NS5_IS6_S8_EES8_NS5_IlS8_EES8_jjPS6_PjSD_j
		.amdhsa_group_segment_fixed_size 1068
		.amdhsa_private_segment_fixed_size 0
		.amdhsa_kernarg_size 1592
		.amdhsa_user_sgpr_count 6
		.amdhsa_user_sgpr_private_segment_buffer 1
		.amdhsa_user_sgpr_dispatch_ptr 0
		.amdhsa_user_sgpr_queue_ptr 0
		.amdhsa_user_sgpr_kernarg_segment_ptr 1
		.amdhsa_user_sgpr_dispatch_id 0
		.amdhsa_user_sgpr_flat_scratch_init 0
		.amdhsa_user_sgpr_private_segment_size 0
		.amdhsa_uses_dynamic_stack 0
		.amdhsa_system_sgpr_private_segment_wavefront_offset 0
		.amdhsa_system_sgpr_workgroup_id_x 1
		.amdhsa_system_sgpr_workgroup_id_y 1
		.amdhsa_system_sgpr_workgroup_id_z 1
		.amdhsa_system_sgpr_workgroup_info 0
		.amdhsa_system_vgpr_workitem_id 0
		.amdhsa_next_free_vgpr 23
		.amdhsa_next_free_sgpr 56
		.amdhsa_reserve_vcc 1
		.amdhsa_reserve_flat_scratch 0
		.amdhsa_float_round_mode_32 0
		.amdhsa_float_round_mode_16_64 0
		.amdhsa_float_denorm_mode_32 3
		.amdhsa_float_denorm_mode_16_64 3
		.amdhsa_dx10_clamp 1
		.amdhsa_ieee_mode 1
		.amdhsa_fp16_overflow 0
		.amdhsa_exception_fp_ieee_invalid_op 0
		.amdhsa_exception_fp_denorm_src 0
		.amdhsa_exception_fp_ieee_div_zero 0
		.amdhsa_exception_fp_ieee_overflow 0
		.amdhsa_exception_fp_ieee_underflow 0
		.amdhsa_exception_fp_ieee_inexact 0
		.amdhsa_exception_int_div_zero 0
	.end_amdhsa_kernel
	.section	.text._ZN2at6native6mbtopk10gatherTopKIamLin1EEEvNS_4cuda6detail10TensorInfoIKT_T0_EES8_S8_bjS8_NS5_IS6_S8_EES8_NS5_IlS8_EES8_jjPS6_PjSD_j,"axG",@progbits,_ZN2at6native6mbtopk10gatherTopKIamLin1EEEvNS_4cuda6detail10TensorInfoIKT_T0_EES8_S8_bjS8_NS5_IS6_S8_EES8_NS5_IlS8_EES8_jjPS6_PjSD_j,comdat
.Lfunc_end140:
	.size	_ZN2at6native6mbtopk10gatherTopKIamLin1EEEvNS_4cuda6detail10TensorInfoIKT_T0_EES8_S8_bjS8_NS5_IS6_S8_EES8_NS5_IlS8_EES8_jjPS6_PjSD_j, .Lfunc_end140-_ZN2at6native6mbtopk10gatherTopKIamLin1EEEvNS_4cuda6detail10TensorInfoIKT_T0_EES8_S8_bjS8_NS5_IS6_S8_EES8_NS5_IlS8_EES8_jjPS6_PjSD_j
                                        ; -- End function
	.set _ZN2at6native6mbtopk10gatherTopKIamLin1EEEvNS_4cuda6detail10TensorInfoIKT_T0_EES8_S8_bjS8_NS5_IS6_S8_EES8_NS5_IlS8_EES8_jjPS6_PjSD_j.num_vgpr, 23
	.set _ZN2at6native6mbtopk10gatherTopKIamLin1EEEvNS_4cuda6detail10TensorInfoIKT_T0_EES8_S8_bjS8_NS5_IS6_S8_EES8_NS5_IlS8_EES8_jjPS6_PjSD_j.num_agpr, 0
	.set _ZN2at6native6mbtopk10gatherTopKIamLin1EEEvNS_4cuda6detail10TensorInfoIKT_T0_EES8_S8_bjS8_NS5_IS6_S8_EES8_NS5_IlS8_EES8_jjPS6_PjSD_j.numbered_sgpr, 56
	.set _ZN2at6native6mbtopk10gatherTopKIamLin1EEEvNS_4cuda6detail10TensorInfoIKT_T0_EES8_S8_bjS8_NS5_IS6_S8_EES8_NS5_IlS8_EES8_jjPS6_PjSD_j.num_named_barrier, 0
	.set _ZN2at6native6mbtopk10gatherTopKIamLin1EEEvNS_4cuda6detail10TensorInfoIKT_T0_EES8_S8_bjS8_NS5_IS6_S8_EES8_NS5_IlS8_EES8_jjPS6_PjSD_j.private_seg_size, 0
	.set _ZN2at6native6mbtopk10gatherTopKIamLin1EEEvNS_4cuda6detail10TensorInfoIKT_T0_EES8_S8_bjS8_NS5_IS6_S8_EES8_NS5_IlS8_EES8_jjPS6_PjSD_j.uses_vcc, 1
	.set _ZN2at6native6mbtopk10gatherTopKIamLin1EEEvNS_4cuda6detail10TensorInfoIKT_T0_EES8_S8_bjS8_NS5_IS6_S8_EES8_NS5_IlS8_EES8_jjPS6_PjSD_j.uses_flat_scratch, 0
	.set _ZN2at6native6mbtopk10gatherTopKIamLin1EEEvNS_4cuda6detail10TensorInfoIKT_T0_EES8_S8_bjS8_NS5_IS6_S8_EES8_NS5_IlS8_EES8_jjPS6_PjSD_j.has_dyn_sized_stack, 0
	.set _ZN2at6native6mbtopk10gatherTopKIamLin1EEEvNS_4cuda6detail10TensorInfoIKT_T0_EES8_S8_bjS8_NS5_IS6_S8_EES8_NS5_IlS8_EES8_jjPS6_PjSD_j.has_recursion, 0
	.set _ZN2at6native6mbtopk10gatherTopKIamLin1EEEvNS_4cuda6detail10TensorInfoIKT_T0_EES8_S8_bjS8_NS5_IS6_S8_EES8_NS5_IlS8_EES8_jjPS6_PjSD_j.has_indirect_call, 0
	.section	.AMDGPU.csdata,"",@progbits
; Kernel info:
; codeLenInByte = 3076
; TotalNumSgprs: 60
; NumVgprs: 23
; ScratchSize: 0
; MemoryBound: 0
; FloatMode: 240
; IeeeMode: 1
; LDSByteSize: 1068 bytes/workgroup (compile time only)
; SGPRBlocks: 7
; VGPRBlocks: 5
; NumSGPRsForWavesPerEU: 60
; NumVGPRsForWavesPerEU: 23
; Occupancy: 10
; WaveLimiterHint : 1
; COMPUTE_PGM_RSRC2:SCRATCH_EN: 0
; COMPUTE_PGM_RSRC2:USER_SGPR: 6
; COMPUTE_PGM_RSRC2:TRAP_HANDLER: 0
; COMPUTE_PGM_RSRC2:TGID_X_EN: 1
; COMPUTE_PGM_RSRC2:TGID_Y_EN: 1
; COMPUTE_PGM_RSRC2:TGID_Z_EN: 1
; COMPUTE_PGM_RSRC2:TIDIG_COMP_CNT: 0
	.section	.text._ZN2at6native6sbtopk10gatherTopKIamLin1ELb0EEEvNS_4cuda6detail10TensorInfoIKT_T0_EES8_S8_bS8_S8_NS5_IS6_S8_EES8_NS5_IlS8_EES8_PS6_,"axG",@progbits,_ZN2at6native6sbtopk10gatherTopKIamLin1ELb0EEEvNS_4cuda6detail10TensorInfoIKT_T0_EES8_S8_bS8_S8_NS5_IS6_S8_EES8_NS5_IlS8_EES8_PS6_,comdat
	.protected	_ZN2at6native6sbtopk10gatherTopKIamLin1ELb0EEEvNS_4cuda6detail10TensorInfoIKT_T0_EES8_S8_bS8_S8_NS5_IS6_S8_EES8_NS5_IlS8_EES8_PS6_ ; -- Begin function _ZN2at6native6sbtopk10gatherTopKIamLin1ELb0EEEvNS_4cuda6detail10TensorInfoIKT_T0_EES8_S8_bS8_S8_NS5_IS6_S8_EES8_NS5_IlS8_EES8_PS6_
	.globl	_ZN2at6native6sbtopk10gatherTopKIamLin1ELb0EEEvNS_4cuda6detail10TensorInfoIKT_T0_EES8_S8_bS8_S8_NS5_IS6_S8_EES8_NS5_IlS8_EES8_PS6_
	.p2align	8
	.type	_ZN2at6native6sbtopk10gatherTopKIamLin1ELb0EEEvNS_4cuda6detail10TensorInfoIKT_T0_EES8_S8_bS8_S8_NS5_IS6_S8_EES8_NS5_IlS8_EES8_PS6_,@function
_ZN2at6native6sbtopk10gatherTopKIamLin1ELb0EEEvNS_4cuda6detail10TensorInfoIKT_T0_EES8_S8_bS8_S8_NS5_IS6_S8_EES8_NS5_IlS8_EES8_PS6_: ; @_ZN2at6native6sbtopk10gatherTopKIamLin1ELb0EEEvNS_4cuda6detail10TensorInfoIKT_T0_EES8_S8_bS8_S8_NS5_IS6_S8_EES8_NS5_IlS8_EES8_PS6_
; %bb.0:
	s_load_dwordx2 s[12:13], s[4:5], 0x520
	s_load_dwordx4 s[24:27], s[4:5], 0x1b8
	s_mov_b64 s[38:39], s[4:5]
	s_add_u32 s10, s38, 0x520
	s_addc_u32 s11, s39, 0
	s_waitcnt lgkmcnt(0)
	s_mul_i32 s0, s13, s8
	s_add_i32 s0, s0, s7
	s_mul_i32 s0, s0, s12
	s_mov_b32 s1, 0
	s_add_i32 s0, s0, s6
	v_mov_b32_e32 v2, s1
	v_mov_b32_e32 v1, s0
	v_cmp_le_u64_e32 vcc, s[24:25], v[1:2]
	s_cbranch_vccnz .LBB141_499
; %bb.1:
	s_load_dword s4, s[38:39], 0x198
	s_mov_b64 s[2:3], 0
	s_mov_b64 s[8:9], s[0:1]
	s_waitcnt lgkmcnt(0)
	s_cmp_lt_i32 s4, 2
	s_cbranch_scc1 .LBB141_9
; %bb.2:
	s_add_i32 s7, s4, 1
	s_add_i32 s2, s4, -1
	s_mov_b32 s4, 0
	s_mov_b32 s3, s4
	s_lshl_b64 s[2:3], s[2:3], 3
	s_add_u32 s2, s38, s2
	s_addc_u32 s3, s39, s3
	s_add_u32 s14, s2, 8
	s_addc_u32 s15, s3, 0
	s_mov_b64 s[2:3], 0
	s_mov_b64 s[16:17], s[0:1]
.LBB141_3:                              ; =>This Inner Loop Header: Depth=1
	s_load_dwordx2 s[18:19], s[14:15], 0x0
	s_waitcnt lgkmcnt(0)
	s_or_b64 s[8:9], s[16:17], s[18:19]
	s_mov_b32 s5, s9
	s_cmp_lg_u64 s[4:5], 0
	s_cbranch_scc0 .LBB141_8
; %bb.4:                                ;   in Loop: Header=BB141_3 Depth=1
	v_cvt_f32_u32_e32 v1, s18
	v_cvt_f32_u32_e32 v2, s19
	s_sub_u32 s5, 0, s18
	s_subb_u32 s13, 0, s19
	v_mac_f32_e32 v1, 0x4f800000, v2
	v_rcp_f32_e32 v1, v1
	v_mul_f32_e32 v1, 0x5f7ffffc, v1
	v_mul_f32_e32 v2, 0x2f800000, v1
	v_trunc_f32_e32 v2, v2
	v_mac_f32_e32 v1, 0xcf800000, v2
	v_cvt_u32_f32_e32 v2, v2
	v_cvt_u32_f32_e32 v1, v1
	v_readfirstlane_b32 s20, v2
	v_readfirstlane_b32 s8, v1
	s_mul_i32 s9, s5, s20
	s_mul_hi_u32 s22, s5, s8
	s_mul_i32 s21, s13, s8
	s_add_i32 s9, s22, s9
	s_mul_i32 s23, s5, s8
	s_add_i32 s9, s9, s21
	s_mul_i32 s22, s8, s9
	s_mul_hi_u32 s24, s8, s23
	s_mul_hi_u32 s21, s8, s9
	s_add_u32 s22, s24, s22
	s_addc_u32 s21, 0, s21
	s_mul_hi_u32 s25, s20, s23
	s_mul_i32 s23, s20, s23
	s_add_u32 s22, s22, s23
	s_mul_hi_u32 s24, s20, s9
	s_addc_u32 s21, s21, s25
	s_addc_u32 s22, s24, 0
	s_mul_i32 s9, s20, s9
	s_add_u32 s9, s21, s9
	s_addc_u32 s21, 0, s22
	s_add_u32 s22, s8, s9
	s_cselect_b64 s[8:9], -1, 0
	s_cmp_lg_u64 s[8:9], 0
	s_addc_u32 s20, s20, s21
	s_mul_i32 s8, s5, s20
	s_mul_hi_u32 s9, s5, s22
	s_add_i32 s8, s9, s8
	s_mul_i32 s13, s13, s22
	s_add_i32 s8, s8, s13
	s_mul_i32 s5, s5, s22
	s_mul_hi_u32 s13, s20, s5
	s_mul_i32 s21, s20, s5
	s_mul_i32 s24, s22, s8
	s_mul_hi_u32 s5, s22, s5
	s_mul_hi_u32 s23, s22, s8
	s_add_u32 s5, s5, s24
	s_addc_u32 s23, 0, s23
	s_add_u32 s5, s5, s21
	s_mul_hi_u32 s9, s20, s8
	s_addc_u32 s5, s23, s13
	s_addc_u32 s9, s9, 0
	s_mul_i32 s8, s20, s8
	s_add_u32 s5, s5, s8
	s_addc_u32 s13, 0, s9
	s_add_u32 s5, s22, s5
	s_cselect_b64 s[8:9], -1, 0
	s_cmp_lg_u64 s[8:9], 0
	s_addc_u32 s8, s20, s13
	s_mul_i32 s13, s16, s8
	s_mul_hi_u32 s20, s16, s5
	s_mul_hi_u32 s9, s16, s8
	s_add_u32 s13, s20, s13
	s_addc_u32 s9, 0, s9
	s_mul_hi_u32 s21, s17, s5
	s_mul_i32 s5, s17, s5
	s_add_u32 s5, s13, s5
	s_mul_hi_u32 s20, s17, s8
	s_addc_u32 s5, s9, s21
	s_addc_u32 s9, s20, 0
	s_mul_i32 s8, s17, s8
	s_add_u32 s5, s5, s8
	s_addc_u32 s13, 0, s9
	s_mul_i32 s8, s18, s13
	s_mul_hi_u32 s9, s18, s5
	s_add_i32 s8, s9, s8
	s_mul_i32 s9, s19, s5
	s_add_i32 s22, s8, s9
	s_sub_i32 s20, s17, s22
	s_mul_i32 s8, s18, s5
	s_sub_u32 s23, s16, s8
	s_cselect_b64 s[8:9], -1, 0
	s_cmp_lg_u64 s[8:9], 0
	s_subb_u32 s24, s20, s19
	s_sub_u32 s25, s23, s18
	s_cselect_b64 s[20:21], -1, 0
	s_cmp_lg_u64 s[20:21], 0
	s_subb_u32 s20, s24, 0
	s_cmp_ge_u32 s20, s19
	s_cselect_b32 s21, -1, 0
	s_cmp_ge_u32 s25, s18
	s_cselect_b32 s24, -1, 0
	s_cmp_eq_u32 s20, s19
	s_cselect_b32 s20, s24, s21
	s_add_u32 s21, s5, 1
	s_addc_u32 s24, s13, 0
	s_add_u32 s25, s5, 2
	s_addc_u32 s28, s13, 0
	s_cmp_lg_u32 s20, 0
	s_cselect_b32 s20, s25, s21
	s_cselect_b32 s21, s28, s24
	s_cmp_lg_u64 s[8:9], 0
	s_subb_u32 s8, s17, s22
	s_cmp_ge_u32 s8, s19
	s_cselect_b32 s9, -1, 0
	s_cmp_ge_u32 s23, s18
	s_cselect_b32 s22, -1, 0
	s_cmp_eq_u32 s8, s19
	s_cselect_b32 s8, s22, s9
	s_cmp_lg_u32 s8, 0
	s_cselect_b32 s9, s21, s13
	s_cselect_b32 s8, s20, s5
	s_cbranch_execnz .LBB141_6
.LBB141_5:                              ;   in Loop: Header=BB141_3 Depth=1
	v_cvt_f32_u32_e32 v1, s18
	s_sub_i32 s5, 0, s18
	v_rcp_iflag_f32_e32 v1, v1
	v_mul_f32_e32 v1, 0x4f7ffffe, v1
	v_cvt_u32_f32_e32 v1, v1
	v_readfirstlane_b32 s8, v1
	s_mul_i32 s5, s5, s8
	s_mul_hi_u32 s5, s8, s5
	s_add_i32 s8, s8, s5
	s_mul_hi_u32 s5, s16, s8
	s_mul_i32 s9, s5, s18
	s_sub_i32 s9, s16, s9
	s_add_i32 s8, s5, 1
	s_sub_i32 s13, s9, s18
	s_cmp_ge_u32 s9, s18
	s_cselect_b32 s5, s8, s5
	s_cselect_b32 s9, s13, s9
	s_add_i32 s8, s5, 1
	s_cmp_ge_u32 s9, s18
	s_cselect_b32 s8, s8, s5
	s_mov_b32 s9, s4
.LBB141_6:                              ;   in Loop: Header=BB141_3 Depth=1
	s_mul_i32 s5, s8, s19
	s_mul_hi_u32 s13, s8, s18
	s_load_dwordx2 s[20:21], s[14:15], 0xc8
	s_add_i32 s5, s13, s5
	s_mul_i32 s13, s9, s18
	s_add_i32 s5, s5, s13
	s_mul_i32 s13, s8, s18
	s_sub_u32 s13, s16, s13
	s_subb_u32 s5, s17, s5
	s_waitcnt lgkmcnt(0)
	s_mul_i32 s5, s20, s5
	s_mul_hi_u32 s16, s20, s13
	s_add_i32 s5, s16, s5
	s_mul_i32 s16, s21, s13
	s_add_i32 s5, s5, s16
	s_mul_i32 s13, s20, s13
	s_add_u32 s2, s13, s2
	s_addc_u32 s3, s5, s3
	s_add_i32 s7, s7, -1
	s_add_u32 s14, s14, -8
	s_addc_u32 s15, s15, -1
	s_cmp_gt_u32 s7, 2
	s_cbranch_scc0 .LBB141_9
; %bb.7:                                ;   in Loop: Header=BB141_3 Depth=1
	s_mov_b64 s[16:17], s[8:9]
	s_branch .LBB141_3
.LBB141_8:                              ;   in Loop: Header=BB141_3 Depth=1
                                        ; implicit-def: $sgpr8_sgpr9
	s_branch .LBB141_5
.LBB141_9:
	s_load_dword s13, s[38:39], 0x360
	s_load_dwordx2 s[14:15], s[38:39], 0xd0
	s_add_u32 s4, s38, 0x1c8
	s_addc_u32 s5, s39, 0
	s_mov_b64 s[34:35], 0
	s_waitcnt lgkmcnt(0)
	s_cmp_lt_i32 s13, 2
	s_mov_b64 s[36:37], s[0:1]
	s_cbranch_scc1 .LBB141_17
; %bb.10:
	s_mov_b32 s16, 0
	s_add_i32 s18, s13, -1
	s_mov_b32 s19, s16
	s_add_i32 s7, s13, 1
	s_lshl_b64 s[18:19], s[18:19], 3
	s_add_u32 s13, s4, s18
	s_addc_u32 s17, s5, s19
	s_add_u32 s18, s13, 8
	s_addc_u32 s19, s17, 0
	s_mov_b64 s[20:21], s[0:1]
.LBB141_11:                             ; =>This Inner Loop Header: Depth=1
	s_load_dwordx2 s[22:23], s[18:19], 0x0
	s_waitcnt lgkmcnt(0)
	s_or_b64 s[24:25], s[20:21], s[22:23]
	s_mov_b32 s17, s25
	s_cmp_lg_u64 s[16:17], 0
	s_cbranch_scc0 .LBB141_16
; %bb.12:                               ;   in Loop: Header=BB141_11 Depth=1
	v_cvt_f32_u32_e32 v1, s22
	v_cvt_f32_u32_e32 v2, s23
	s_sub_u32 s13, 0, s22
	s_subb_u32 s17, 0, s23
	v_mac_f32_e32 v1, 0x4f800000, v2
	v_rcp_f32_e32 v1, v1
	v_mul_f32_e32 v1, 0x5f7ffffc, v1
	v_mul_f32_e32 v2, 0x2f800000, v1
	v_trunc_f32_e32 v2, v2
	v_mac_f32_e32 v1, 0xcf800000, v2
	v_cvt_u32_f32_e32 v2, v2
	v_cvt_u32_f32_e32 v1, v1
	v_readfirstlane_b32 s28, v2
	v_readfirstlane_b32 s24, v1
	s_mul_i32 s25, s13, s28
	s_mul_hi_u32 s30, s13, s24
	s_mul_i32 s29, s17, s24
	s_add_i32 s25, s30, s25
	s_mul_i32 s31, s13, s24
	s_add_i32 s25, s25, s29
	s_mul_i32 s30, s24, s25
	s_mul_hi_u32 s33, s24, s31
	s_mul_hi_u32 s29, s24, s25
	s_add_u32 s30, s33, s30
	s_addc_u32 s29, 0, s29
	s_mul_hi_u32 s36, s28, s31
	s_mul_i32 s31, s28, s31
	s_add_u32 s30, s30, s31
	s_mul_hi_u32 s33, s28, s25
	s_addc_u32 s29, s29, s36
	s_addc_u32 s30, s33, 0
	s_mul_i32 s25, s28, s25
	s_add_u32 s25, s29, s25
	s_addc_u32 s29, 0, s30
	s_add_u32 s30, s24, s25
	s_cselect_b64 s[24:25], -1, 0
	s_cmp_lg_u64 s[24:25], 0
	s_addc_u32 s28, s28, s29
	s_mul_i32 s24, s13, s28
	s_mul_hi_u32 s25, s13, s30
	s_add_i32 s24, s25, s24
	s_mul_i32 s17, s17, s30
	s_add_i32 s24, s24, s17
	s_mul_i32 s13, s13, s30
	s_mul_hi_u32 s25, s28, s13
	s_mul_i32 s29, s28, s13
	s_mul_i32 s33, s30, s24
	s_mul_hi_u32 s13, s30, s13
	s_mul_hi_u32 s31, s30, s24
	s_add_u32 s13, s13, s33
	s_addc_u32 s31, 0, s31
	s_add_u32 s13, s13, s29
	s_mul_hi_u32 s17, s28, s24
	s_addc_u32 s13, s31, s25
	s_addc_u32 s17, s17, 0
	s_mul_i32 s24, s28, s24
	s_add_u32 s13, s13, s24
	s_addc_u32 s17, 0, s17
	s_add_u32 s13, s30, s13
	s_cselect_b64 s[24:25], -1, 0
	s_cmp_lg_u64 s[24:25], 0
	s_addc_u32 s17, s28, s17
	s_mul_i32 s25, s20, s17
	s_mul_hi_u32 s28, s20, s13
	s_mul_hi_u32 s24, s20, s17
	s_add_u32 s25, s28, s25
	s_addc_u32 s24, 0, s24
	s_mul_hi_u32 s29, s21, s13
	s_mul_i32 s13, s21, s13
	s_add_u32 s13, s25, s13
	s_mul_hi_u32 s28, s21, s17
	s_addc_u32 s13, s24, s29
	s_addc_u32 s24, s28, 0
	s_mul_i32 s17, s21, s17
	s_add_u32 s13, s13, s17
	s_addc_u32 s17, 0, s24
	s_mul_i32 s24, s22, s17
	s_mul_hi_u32 s25, s22, s13
	s_add_i32 s24, s25, s24
	s_mul_i32 s25, s23, s13
	s_add_i32 s30, s24, s25
	s_sub_i32 s28, s21, s30
	s_mul_i32 s24, s22, s13
	s_sub_u32 s31, s20, s24
	s_cselect_b64 s[24:25], -1, 0
	s_cmp_lg_u64 s[24:25], 0
	s_subb_u32 s33, s28, s23
	s_sub_u32 s36, s31, s22
	s_cselect_b64 s[28:29], -1, 0
	s_cmp_lg_u64 s[28:29], 0
	s_subb_u32 s28, s33, 0
	s_cmp_ge_u32 s28, s23
	s_cselect_b32 s29, -1, 0
	s_cmp_ge_u32 s36, s22
	s_cselect_b32 s33, -1, 0
	s_cmp_eq_u32 s28, s23
	s_cselect_b32 s28, s33, s29
	s_add_u32 s29, s13, 1
	s_addc_u32 s33, s17, 0
	s_add_u32 s36, s13, 2
	s_addc_u32 s37, s17, 0
	s_cmp_lg_u32 s28, 0
	s_cselect_b32 s28, s36, s29
	s_cselect_b32 s29, s37, s33
	s_cmp_lg_u64 s[24:25], 0
	s_subb_u32 s24, s21, s30
	s_cmp_ge_u32 s24, s23
	s_cselect_b32 s25, -1, 0
	s_cmp_ge_u32 s31, s22
	s_cselect_b32 s30, -1, 0
	s_cmp_eq_u32 s24, s23
	s_cselect_b32 s24, s30, s25
	s_cmp_lg_u32 s24, 0
	s_cselect_b32 s37, s29, s17
	s_cselect_b32 s36, s28, s13
	s_cbranch_execnz .LBB141_14
.LBB141_13:                             ;   in Loop: Header=BB141_11 Depth=1
	v_cvt_f32_u32_e32 v1, s22
	s_sub_i32 s13, 0, s22
	s_mov_b32 s37, s16
	v_rcp_iflag_f32_e32 v1, v1
	v_mul_f32_e32 v1, 0x4f7ffffe, v1
	v_cvt_u32_f32_e32 v1, v1
	v_readfirstlane_b32 s17, v1
	s_mul_i32 s13, s13, s17
	s_mul_hi_u32 s13, s17, s13
	s_add_i32 s17, s17, s13
	s_mul_hi_u32 s13, s20, s17
	s_mul_i32 s24, s13, s22
	s_sub_i32 s24, s20, s24
	s_add_i32 s17, s13, 1
	s_sub_i32 s25, s24, s22
	s_cmp_ge_u32 s24, s22
	s_cselect_b32 s13, s17, s13
	s_cselect_b32 s24, s25, s24
	s_add_i32 s17, s13, 1
	s_cmp_ge_u32 s24, s22
	s_cselect_b32 s36, s17, s13
.LBB141_14:                             ;   in Loop: Header=BB141_11 Depth=1
	s_mul_i32 s13, s36, s23
	s_mul_hi_u32 s17, s36, s22
	s_load_dwordx2 s[24:25], s[18:19], 0xc8
	s_add_i32 s13, s17, s13
	s_mul_i32 s17, s37, s22
	s_add_i32 s13, s13, s17
	s_mul_i32 s17, s36, s22
	s_sub_u32 s17, s20, s17
	s_subb_u32 s13, s21, s13
	s_waitcnt lgkmcnt(0)
	s_mul_i32 s13, s24, s13
	s_mul_hi_u32 s20, s24, s17
	s_add_i32 s13, s20, s13
	s_mul_i32 s20, s25, s17
	s_add_i32 s13, s13, s20
	s_mul_i32 s17, s24, s17
	s_add_u32 s34, s17, s34
	s_addc_u32 s35, s13, s35
	s_add_i32 s7, s7, -1
	s_add_u32 s18, s18, -8
	s_addc_u32 s19, s19, -1
	s_cmp_gt_u32 s7, 2
	s_cbranch_scc0 .LBB141_17
; %bb.15:                               ;   in Loop: Header=BB141_11 Depth=1
	s_mov_b64 s[20:21], s[36:37]
	s_branch .LBB141_11
.LBB141_16:                             ;   in Loop: Header=BB141_11 Depth=1
                                        ; implicit-def: $sgpr36_sgpr37
	s_branch .LBB141_13
.LBB141_17:
	s_load_dword s16, s[38:39], 0x508
	s_load_dwordx2 s[18:19], s[4:5], 0xd0
                                        ; kill: killed $sgpr4 killed $sgpr5
	s_add_u32 s5, s38, 0x370
                                        ; implicit-def: $vgpr57 : SGPR spill to VGPR lane
	s_addc_u32 s13, s39, 0
	s_mov_b64 s[42:43], 0
	s_waitcnt lgkmcnt(0)
	s_cmp_lt_i32 s16, 2
	v_writelane_b32 v57, s18, 0
	v_writelane_b32 v57, s19, 1
	s_cbranch_scc1 .LBB141_25
; %bb.18:
	s_mov_b32 s4, 0
	s_add_i32 s7, s16, 1
	s_add_i32 s16, s16, -1
	s_mov_b32 s17, s4
	s_lshl_b64 s[16:17], s[16:17], 3
	s_add_u32 s5, s5, s16
	s_addc_u32 s13, s13, s17
	s_add_u32 s16, s5, 8
	s_addc_u32 s17, s13, 0
.LBB141_19:                             ; =>This Inner Loop Header: Depth=1
	s_load_dwordx2 s[18:19], s[16:17], 0x0
	s_waitcnt lgkmcnt(0)
	s_or_b64 s[20:21], s[0:1], s[18:19]
	s_mov_b32 s5, s21
	s_cmp_lg_u64 s[4:5], 0
	s_cbranch_scc0 .LBB141_24
; %bb.20:                               ;   in Loop: Header=BB141_19 Depth=1
	v_cvt_f32_u32_e32 v1, s18
	v_cvt_f32_u32_e32 v2, s19
	s_sub_u32 s5, 0, s18
	s_subb_u32 s13, 0, s19
	v_mac_f32_e32 v1, 0x4f800000, v2
	v_rcp_f32_e32 v1, v1
	v_mul_f32_e32 v1, 0x5f7ffffc, v1
	v_mul_f32_e32 v2, 0x2f800000, v1
	v_trunc_f32_e32 v2, v2
	v_mac_f32_e32 v1, 0xcf800000, v2
	v_cvt_u32_f32_e32 v2, v2
	v_cvt_u32_f32_e32 v1, v1
	v_readfirstlane_b32 s22, v2
	v_readfirstlane_b32 s20, v1
	s_mul_i32 s21, s5, s22
	s_mul_hi_u32 s24, s5, s20
	s_mul_i32 s23, s13, s20
	s_add_i32 s21, s24, s21
	s_mul_i32 s25, s5, s20
	s_add_i32 s21, s21, s23
	s_mul_i32 s24, s20, s21
	s_mul_hi_u32 s28, s20, s25
	s_mul_hi_u32 s23, s20, s21
	s_add_u32 s24, s28, s24
	s_addc_u32 s23, 0, s23
	s_mul_hi_u32 s29, s22, s25
	s_mul_i32 s25, s22, s25
	s_add_u32 s24, s24, s25
	s_mul_hi_u32 s28, s22, s21
	s_addc_u32 s23, s23, s29
	s_addc_u32 s24, s28, 0
	s_mul_i32 s21, s22, s21
	s_add_u32 s21, s23, s21
	s_addc_u32 s23, 0, s24
	s_add_u32 s24, s20, s21
	s_cselect_b64 s[20:21], -1, 0
	s_cmp_lg_u64 s[20:21], 0
	s_addc_u32 s22, s22, s23
	s_mul_i32 s20, s5, s22
	s_mul_hi_u32 s21, s5, s24
	s_add_i32 s20, s21, s20
	s_mul_i32 s13, s13, s24
	s_add_i32 s20, s20, s13
	s_mul_i32 s5, s5, s24
	s_mul_hi_u32 s21, s22, s5
	s_mul_i32 s23, s22, s5
	s_mul_i32 s28, s24, s20
	s_mul_hi_u32 s5, s24, s5
	s_mul_hi_u32 s25, s24, s20
	s_add_u32 s5, s5, s28
	s_addc_u32 s25, 0, s25
	s_add_u32 s5, s5, s23
	s_mul_hi_u32 s13, s22, s20
	s_addc_u32 s5, s25, s21
	s_addc_u32 s13, s13, 0
	s_mul_i32 s20, s22, s20
	s_add_u32 s5, s5, s20
	s_addc_u32 s13, 0, s13
	s_add_u32 s5, s24, s5
	s_cselect_b64 s[20:21], -1, 0
	s_cmp_lg_u64 s[20:21], 0
	s_addc_u32 s13, s22, s13
	s_mul_i32 s21, s0, s13
	s_mul_hi_u32 s22, s0, s5
	s_mul_hi_u32 s20, s0, s13
	s_add_u32 s21, s22, s21
	s_addc_u32 s20, 0, s20
	s_mul_hi_u32 s23, s1, s5
	s_mul_i32 s5, s1, s5
	s_add_u32 s5, s21, s5
	s_mul_hi_u32 s22, s1, s13
	s_addc_u32 s5, s20, s23
	s_addc_u32 s20, s22, 0
	s_mul_i32 s13, s1, s13
	s_add_u32 s5, s5, s13
	s_addc_u32 s13, 0, s20
	s_mul_i32 s20, s18, s13
	s_mul_hi_u32 s21, s18, s5
	s_add_i32 s20, s21, s20
	s_mul_i32 s21, s19, s5
	s_add_i32 s24, s20, s21
	s_sub_i32 s22, s1, s24
	s_mul_i32 s20, s18, s5
	s_sub_u32 s25, s0, s20
	s_cselect_b64 s[20:21], -1, 0
	s_cmp_lg_u64 s[20:21], 0
	s_subb_u32 s28, s22, s19
	s_sub_u32 s29, s25, s18
	s_cselect_b64 s[22:23], -1, 0
	s_cmp_lg_u64 s[22:23], 0
	s_subb_u32 s22, s28, 0
	s_cmp_ge_u32 s22, s19
	s_cselect_b32 s23, -1, 0
	s_cmp_ge_u32 s29, s18
	s_cselect_b32 s28, -1, 0
	s_cmp_eq_u32 s22, s19
	s_cselect_b32 s22, s28, s23
	s_add_u32 s23, s5, 1
	s_addc_u32 s28, s13, 0
	s_add_u32 s29, s5, 2
	s_addc_u32 s30, s13, 0
	s_cmp_lg_u32 s22, 0
	s_cselect_b32 s22, s29, s23
	s_cselect_b32 s23, s30, s28
	s_cmp_lg_u64 s[20:21], 0
	s_subb_u32 s20, s1, s24
	s_cmp_ge_u32 s20, s19
	s_cselect_b32 s21, -1, 0
	s_cmp_ge_u32 s25, s18
	s_cselect_b32 s24, -1, 0
	s_cmp_eq_u32 s20, s19
	s_cselect_b32 s20, s24, s21
	s_cmp_lg_u32 s20, 0
	s_cselect_b32 s45, s23, s13
	s_cselect_b32 s44, s22, s5
	s_cbranch_execnz .LBB141_22
.LBB141_21:                             ;   in Loop: Header=BB141_19 Depth=1
	v_cvt_f32_u32_e32 v1, s18
	s_sub_i32 s5, 0, s18
	s_mov_b32 s45, s4
	v_rcp_iflag_f32_e32 v1, v1
	v_mul_f32_e32 v1, 0x4f7ffffe, v1
	v_cvt_u32_f32_e32 v1, v1
	v_readfirstlane_b32 s13, v1
	s_mul_i32 s5, s5, s13
	s_mul_hi_u32 s5, s13, s5
	s_add_i32 s13, s13, s5
	s_mul_hi_u32 s5, s0, s13
	s_mul_i32 s20, s5, s18
	s_sub_i32 s20, s0, s20
	s_add_i32 s13, s5, 1
	s_sub_i32 s21, s20, s18
	s_cmp_ge_u32 s20, s18
	s_cselect_b32 s5, s13, s5
	s_cselect_b32 s20, s21, s20
	s_add_i32 s13, s5, 1
	s_cmp_ge_u32 s20, s18
	s_cselect_b32 s44, s13, s5
.LBB141_22:                             ;   in Loop: Header=BB141_19 Depth=1
	s_mul_i32 s5, s44, s19
	s_mul_hi_u32 s13, s44, s18
	s_load_dwordx2 s[20:21], s[16:17], 0xc8
	s_add_i32 s5, s13, s5
	s_mul_i32 s13, s45, s18
	s_add_i32 s5, s5, s13
	s_mul_i32 s13, s44, s18
	s_sub_u32 s0, s0, s13
	s_subb_u32 s1, s1, s5
	s_waitcnt lgkmcnt(0)
	s_mul_i32 s1, s20, s1
	s_mul_hi_u32 s5, s20, s0
	s_add_i32 s1, s5, s1
	s_mul_i32 s5, s21, s0
	s_add_i32 s1, s1, s5
	s_mul_i32 s0, s20, s0
	s_add_u32 s42, s0, s42
	s_addc_u32 s43, s1, s43
	s_add_i32 s7, s7, -1
	s_add_u32 s16, s16, -8
	s_addc_u32 s17, s17, -1
	s_cmp_gt_u32 s7, 2
	s_cbranch_scc0 .LBB141_26
; %bb.23:                               ;   in Loop: Header=BB141_19 Depth=1
	s_mov_b64 s[0:1], s[44:45]
	s_branch .LBB141_19
.LBB141_24:                             ;   in Loop: Header=BB141_19 Depth=1
                                        ; implicit-def: $sgpr44_sgpr45
	s_branch .LBB141_21
.LBB141_25:
	s_mov_b64 s[44:45], s[0:1]
.LBB141_26:
	s_load_dwordx4 s[28:31], s[38:39], 0x1a0
	s_load_dwordx2 s[16:17], s[38:39], 0x0
	s_load_dwordx2 s[0:1], s[38:39], 0x440
	s_mov_b32 s53, 0
	v_cmp_eq_u32_e64 s[4:5], 0, v0
	s_waitcnt lgkmcnt(0)
	v_writelane_b32 v57, s0, 2
	v_writelane_b32 v57, s1, 3
	s_load_dwordx2 s[0:1], s[38:39], 0x1c8
	s_waitcnt lgkmcnt(0)
	v_writelane_b32 v57, s0, 4
	v_writelane_b32 v57, s1, 5
	s_load_dwordx2 s[0:1], s[38:39], 0x370
	s_waitcnt lgkmcnt(0)
	v_writelane_b32 v57, s0, 6
	v_writelane_b32 v57, s1, 7
	s_mov_b64 s[0:1], exec
	v_writelane_b32 v57, s4, 8
	v_writelane_b32 v57, s5, 9
	s_and_b64 s[4:5], s[0:1], s[4:5]
	s_mov_b64 exec, s[4:5]
	s_cbranch_execz .LBB141_28
; %bb.27:
	v_mov_b32_e32 v1, 0
	v_mov_b32_e32 v3, s28
	;; [unrolled: 1-line block ×4, first 2 shown]
	ds_write_b32 v1, v1 offset:5144
	ds_write_b128 v1, v[1:4] offset:5120
.LBB141_28:
	s_or_b64 exec, exec, s[0:1]
	s_mul_i32 s0, s14, s9
	s_mul_hi_u32 s1, s14, s8
	s_add_i32 s0, s1, s0
	s_mul_i32 s1, s15, s8
	s_add_i32 s7, s0, s1
	s_mul_i32 s8, s14, s8
	v_writelane_b32 v57, s38, 10
	s_load_dword s0, s[38:39], 0x1b0
	s_add_u32 s1, s16, s8
	s_addc_u32 s4, s17, s7
	s_add_u32 s54, s1, s2
	s_addc_u32 s55, s4, s3
	s_waitcnt lgkmcnt(0)
	s_bitcmp1_b32 s0, 0
	v_writelane_b32 v57, s39, 11
	s_cselect_b64 s[0:1], -1, 0
	v_writelane_b32 v57, s0, 12
	v_writelane_b32 v57, s1, 13
	s_xor_b64 s[0:1], s[0:1], -1
	v_writelane_b32 v57, s0, 14
	v_mbcnt_lo_u32_b32 v1, -1, 0
	v_writelane_b32 v57, s1, 15
	v_mbcnt_hi_u32_b32 v35, -1, v1
	v_mad_u64_u32 v[4:5], s[0:1], s26, v0, 0
	v_cmp_gt_u32_e32 vcc, 64, v0
	v_cmp_gt_i32_e64 s[0:1], 4, v35
	v_mov_b32_e32 v6, 0xc00
	s_and_b64 s[0:1], vcc, s[0:1]
	v_mov_b32_e32 v7, 0
	v_writelane_b32 v57, s0, 16
	v_writelane_b32 v57, s1, 17
	v_cmp_gt_u64_e64 s[0:1], s[28:29], v[6:7]
	v_writelane_b32 v57, s0, 18
	s_barrier
	v_writelane_b32 v57, s1, 19
	s_load_dword s0, s[10:11], 0xc
	v_mov_b32_e32 v1, v5
	v_mad_u64_u32 v[1:2], s[4:5], s27, v0, v[1:2]
	v_mov_b32_e32 v2, s55
	s_waitcnt lgkmcnt(0)
	s_and_b32 s33, s0, 0xffff
	s_bfe_u32 s0, s0, 0xa0006
	s_cmp_gt_u32 s33, 63
	s_cselect_b64 s[4:5], -1, 0
	v_writelane_b32 v57, s4, 20
	s_add_u32 s1, s33, -1
	v_writelane_b32 v57, s5, 21
	s_addc_u32 s4, 0, -1
	v_add_co_u32_e32 v12, vcc, s54, v4
	v_writelane_b32 v57, s1, 22
	s_add_u32 s1, s1, s28
	v_mov_b32_e32 v3, 0
	v_addc_co_u32_e32 v13, vcc, v2, v1, vcc
	v_writelane_b32 v57, s1, 23
	v_add_u32_e32 v2, 2, v0
	v_writelane_b32 v57, s4, 24
	s_addc_u32 s1, s4, s29
	v_cmp_gt_u64_e32 vcc, s[28:29], v[2:3]
	v_writelane_b32 v57, s0, 25
	s_cmp_lt_u32 s6, s12
	v_mov_b32_e32 v6, s29
	v_writelane_b32 v57, s1, 26
	s_cselect_b32 s1, 12, 18
	v_cndmask_b32_e32 v7, 0, v6, vcc
	v_mov_b32_e32 v6, s28
	s_add_u32 s4, s10, s1
	v_cndmask_b32_e32 v2, v2, v6, vcc
	v_not_b32_e32 v6, v0
	s_addc_u32 s5, s11, 0
	v_add_co_u32_e32 v6, vcc, v2, v6
	v_writelane_b32 v57, s4, 27
	v_addc_co_u32_e32 v7, vcc, -1, v7, vcc
	v_writelane_b32 v57, s5, 28
	v_cmp_lt_u64_e64 s[4:5], 3, v[6:7]
	v_and_b32_e32 v16, -4, v6
	v_writelane_b32 v57, s4, 29
	v_mov_b32_e32 v17, v7
	v_writelane_b32 v57, s5, 30
	v_cmp_ne_u64_e64 s[4:5], v[6:7], v[16:17]
	s_add_i32 s1, s0, -1
	v_writelane_b32 v57, s4, 31
	v_writelane_b32 v57, s5, 32
	s_bfe_u32 s4, s33, 0x30006
	s_and_b32 s1, s1, 0xffff
	s_cmp_gt_u32 s1, 6
	s_cselect_b64 s[10:11], -1, 0
	v_writelane_b32 v57, s10, 33
	s_and_b32 s62, s0, 0x3f8
	v_writelane_b32 v57, s11, 34
	s_cmp_lg_u32 s4, 0
	v_lshlrev_b32_e32 v14, 2, v0
	v_writelane_b32 v57, s4, 35
	s_cselect_b64 s[0:1], -1, 0
	v_writelane_b32 v57, s0, 36
	v_or_b32_e32 v6, 3, v14
	v_writelane_b32 v57, s1, 37
	s_add_u32 s2, s2, s8
	v_mad_u64_u32 v[18:19], s[0:1], s26, v6, 0
	s_addc_u32 s0, s3, s7
	v_writelane_b32 v57, s2, 38
	s_add_u32 s2, s16, s2
	v_writelane_b32 v57, s16, 39
	v_writelane_b32 v57, s17, 40
	v_or_b32_e32 v11, 2, v14
	v_writelane_b32 v57, s0, 41
	s_addc_u32 s3, s17, s0
	v_mov_b32_e32 v2, v19
	v_mad_u64_u32 v[19:20], s[0:1], s26, v11, 0
	v_mov_b32_e32 v9, s26
	v_mad_u64_u32 v[6:7], s[0:1], s27, v6, v[2:3]
	v_mov_b32_e32 v2, s3
	v_writelane_b32 v57, s2, 42
	v_add_co_u32_e32 v21, vcc, s2, v4
	v_mov_b32_e32 v10, s27
	v_mov_b32_e32 v5, v1
	v_addc_co_u32_e32 v22, vcc, v2, v1, vcc
	v_mov_b32_e32 v1, v20
	v_mad_u64_u32 v[23:24], s[0:1], s26, v14, v[9:10]
	v_mad_u64_u32 v[1:2], s[0:1], s27, v11, v[1:2]
	v_lshlrev_b64 v[7:8], v35, -1
	v_mov_b32_e32 v2, v24
	v_not_b32_e32 v32, v8
	v_mad_u64_u32 v[8:9], s[0:1], s27, v14, v[2:3]
	v_mov_b32_e32 v37, v1
	v_mov_b32_e32 v1, v3
	v_cmp_gt_u64_e64 s[0:1], s[28:29], v[0:1]
	v_writelane_b32 v57, s3, 43
	v_writelane_b32 v57, s0, 44
	;; [unrolled: 1-line block ×3, first 2 shown]
	v_cmp_gt_u32_e64 s[0:1], 2, v0
	v_writelane_b32 v57, s0, 46
	v_writelane_b32 v57, s1, 47
	s_lshl_b64 s[0:1], s[26:27], 2
	v_writelane_b32 v57, s0, 48
	v_writelane_b32 v57, s1, 49
	s_mul_i32 s0, s27, s33
	s_mul_hi_u32 s1, s26, s33
	s_add_i32 s59, s1, s0
	s_mov_b32 s1, 0
	v_writelane_b32 v57, s1, 50
	s_mov_b32 s16, s26
	v_writelane_b32 v57, s59, 51
	v_lshlrev_b32_e32 v2, 2, v35
	s_mov_b32 s17, s27
	v_writelane_b32 v57, s16, 52
	v_and_b32_e32 v34, 0x100, v2
	v_lshrrev_b32_e32 v2, 1, v0
	s_mov_b32 s22, s26
	v_writelane_b32 v57, s17, 53
	v_and_b32_e32 v2, 0x1e0, v2
	s_mov_b32 s23, s27
	v_writelane_b32 v57, s22, 54
	v_or_b32_e32 v39, 0xc00, v2
	s_mov_b32 s24, s26
	v_lshlrev_b64 v[24:25], 2, v[4:5]
	v_mov_b32_e32 v2, 0xc00
	v_mov_b32_e32 v26, s30
	v_writelane_b32 v57, s23, 55
	v_not_b32_e32 v33, v7
	v_mov_b32_e32 v36, v6
	v_mov_b32_e32 v38, v8
	v_cmp_eq_u32_e64 s[64:65], 0, v35
	v_mov_b32_e32 v15, v3
	s_mov_b32 s25, s27
	s_mov_b32 s63, 6
	v_lshl_or_b32 v40, v35, 3, v2
	s_mul_i32 s58, s26, s33
	s_mov_b64 s[74:75], 0
	s_movk_i32 s0, 0x80
	s_mov_b32 s52, 0xc0c0004
	v_mov_b32_e32 v42, 0x4f800000
	v_mov_b32_e32 v43, 8
	v_mov_b32_e32 v45, 0
	v_mov_b32_e32 v41, 0
	v_add_co_u32_e32 v20, vcc, v16, v0
	v_mov_b32_e32 v27, s31
	v_mov_b32_e32 v44, 0
	v_writelane_b32 v57, s24, 56
                                        ; implicit-def: $sgpr76_sgpr77
                                        ; implicit-def: $sgpr78_sgpr79
                                        ; implicit-def: $sgpr82_sgpr83
                                        ; implicit-def: $sgpr84_sgpr85
                                        ; implicit-def: $sgpr80_sgpr81
                                        ; implicit-def: $sgpr86_sgpr87
                                        ; implicit-def: $sgpr88_sgpr89
                                        ; implicit-def: $sgpr90_sgpr91
                                        ; implicit-def: $sgpr92_sgpr93
                                        ; implicit-def: $sgpr94_sgpr95
	v_writelane_b32 v57, s25, 57
	s_branch .LBB141_31
.LBB141_29:                             ;   in Loop: Header=BB141_31 Depth=1
	s_or_b64 exec, exec, s[8:9]
	s_andn2_b64 s[8:9], s[94:95], exec
	s_and_b64 s[6:7], s[6:7], exec
	v_mov_b32_e32 v27, v5
	s_or_b64 s[94:95], s[8:9], s[6:7]
	s_andn2_b64 s[92:93], s[92:93], exec
	s_andn2_b64 s[90:91], s[90:91], exec
	;; [unrolled: 1-line block ×4, first 2 shown]
	s_orn2_b64 s[4:5], s[4:5], exec
	v_mov_b32_e32 v26, v4
.LBB141_30:                             ;   in Loop: Header=BB141_31 Depth=1
	s_or_b64 exec, exec, s[2:3]
	s_and_b64 s[2:3], exec, s[4:5]
	s_or_b64 s[74:75], s[2:3], s[74:75]
	s_andn2_b64 s[2:3], s[80:81], exec
	s_and_b64 s[4:5], s[94:95], exec
	s_or_b64 s[80:81], s[2:3], s[4:5]
	s_andn2_b64 s[2:3], s[84:85], exec
	s_and_b64 s[4:5], s[92:93], exec
	;; [unrolled: 3-line block ×5, first 2 shown]
	s_or_b64 s[76:77], s[2:3], s[4:5]
	s_andn2_b64 exec, exec, s[74:75]
	s_cbranch_execz .LBB141_495
.LBB141_31:                             ; =>This Loop Header: Depth=1
                                        ;     Child Loop BB141_36 Depth 2
                                        ;     Child Loop BB141_50 Depth 2
	;; [unrolled: 1-line block ×25, first 2 shown]
	ds_read_b128 v[4:7], v3 offset:5120
	s_waitcnt lgkmcnt(0)
	v_readfirstlane_b32 s3, v5
	v_readfirstlane_b32 s2, v4
	s_cmp_lg_u64 s[2:3], 0
	s_cbranch_scc1 .LBB141_63
; %bb.32:                               ;   in Loop: Header=BB141_31 Depth=1
	v_readlane_b32 s2, v57, 18
	v_readlane_b32 s3, v57, 19
	s_and_b64 vcc, exec, s[2:3]
	s_cbranch_vccz .LBB141_44
; %bb.33:                               ;   in Loop: Header=BB141_31 Depth=1
	s_mov_b64 s[2:3], 0xc01
	v_cmp_gt_u64_e32 vcc, s[2:3], v[6:7]
	s_mov_b64 s[2:3], 0
	s_mov_b64 s[4:5], 0
	s_cbranch_vccz .LBB141_45
; %bb.34:                               ;   in Loop: Header=BB141_31 Depth=1
	v_readlane_b32 s4, v57, 27
	v_readlane_b32 s5, v57, 28
	global_load_ubyte v8, v[12:13], off
	s_mov_b64 s[6:7], 0
	s_nop 2
	global_load_ushort v6, v3, s[4:5]
	s_waitcnt vmcnt(0)
	v_and_b32_e32 v2, 0xffff, v6
	v_add_co_u32_e32 v7, vcc, v0, v2
	v_addc_co_u32_e64 v4, s[4:5], 0, 0, vcc
	v_readlane_b32 s4, v57, 42
	v_mul_lo_u32 v9, s26, v4
	v_readlane_b32 s5, v57, 43
	v_mov_b32_e32 v4, s4
	v_mov_b32_e32 v5, s5
	v_mul_lo_u32 v10, s27, v7
	v_mad_u64_u32 v[4:5], s[4:5], s26, v7, v[4:5]
	v_readfirstlane_b32 s1, v6
	s_and_b32 s4, 0xffff, s1
	s_mul_i32 s1, s27, s4
	s_mul_hi_u32 s5, s26, s4
	v_mov_b32_e32 v7, v1
	v_add3_u32 v5, v10, v5, v9
	s_add_i32 s1, s5, s1
	s_mul_i32 s12, s26, s4
	v_mov_b32_e32 v6, v0
	s_branch .LBB141_36
.LBB141_35:                             ;   in Loop: Header=BB141_36 Depth=2
	s_or_b64 exec, exec, s[4:5]
	v_mov_b32_e32 v8, s1
	v_add_co_u32_e32 v4, vcc, s12, v4
	v_addc_co_u32_e32 v5, vcc, v5, v8, vcc
	s_waitcnt vmcnt(0)
	v_mov_b32_e32 v8, v9
	s_andn2_b64 exec, exec, s[6:7]
	s_cbranch_execz .LBB141_118
.LBB141_36:                             ;   Parent Loop BB141_31 Depth=1
                                        ; =>  This Inner Loop Header: Depth=2
	v_add_co_u32_e32 v6, vcc, v6, v2
	v_addc_co_u32_e32 v7, vcc, 0, v7, vcc
	v_cmp_gt_u64_e64 s[18:19], s[28:29], v[6:7]
	v_cmp_le_u64_e32 vcc, s[28:29], v[6:7]
	s_waitcnt lgkmcnt(0)
	v_mov_b32_e32 v10, 0
	v_mov_b32_e32 v9, 0
	s_and_saveexec_b64 s[4:5], s[18:19]
	s_cbranch_execz .LBB141_38
; %bb.37:                               ;   in Loop: Header=BB141_36 Depth=2
	global_load_ubyte v9, v[4:5], off
.LBB141_38:                             ;   in Loop: Header=BB141_36 Depth=2
	s_or_b64 exec, exec, s[4:5]
	v_add_u32_sdwa v11, sext(v8), s0 dst_sel:DWORD dst_unused:UNUSED_PAD src0_sel:BYTE_0 src1_sel:DWORD
	v_and_b32_e32 v11, v11, v44
	v_cmp_eq_u32_e64 s[18:19], v11, v41
	s_cmp_lg_u64 s[18:19], 0
	s_cselect_b64 s[4:5], -1, 0
	s_and_b64 s[8:9], s[64:65], s[4:5]
	s_and_saveexec_b64 s[4:5], s[8:9]
	s_cbranch_execz .LBB141_42
; %bb.39:                               ;   in Loop: Header=BB141_36 Depth=2
	s_mov_b64 s[10:11], exec
	v_mbcnt_lo_u32_b32 v10, s10, 0
	v_mbcnt_hi_u32_b32 v10, s11, v10
	s_bcnt1_i32_b64 s13, s[18:19]
	v_cmp_eq_u32_e64 s[20:21], 0, v10
                                        ; implicit-def: $vgpr11
	s_and_saveexec_b64 s[8:9], s[20:21]
; %bb.40:                               ;   in Loop: Header=BB141_36 Depth=2
	s_bcnt1_i32_b64 s10, s[10:11]
	s_mul_i32 s10, s13, s10
	v_mov_b32_e32 v11, s10
	ds_add_rtn_u32 v11, v3, v11 offset:5144
; %bb.41:                               ;   in Loop: Header=BB141_36 Depth=2
	s_or_b64 exec, exec, s[8:9]
	s_waitcnt lgkmcnt(0)
	v_readfirstlane_b32 s8, v11
	v_mov_b32_e32 v11, s8
	v_mad_u32_u24 v10, s13, v10, v11
.LBB141_42:                             ;   in Loop: Header=BB141_36 Depth=2
	s_or_b64 exec, exec, s[4:5]
	ds_bpermute_b32 v10, v34, v10
	s_and_b64 s[4:5], exec, vcc
	s_or_b64 s[6:7], s[4:5], s[6:7]
	s_and_saveexec_b64 s[4:5], s[18:19]
	s_cbranch_execz .LBB141_35
; %bb.43:                               ;   in Loop: Header=BB141_36 Depth=2
	v_and_b32_e32 v28, s18, v33
	v_and_b32_e32 v11, s19, v32
	v_bcnt_u32_b32 v28, v28, 0
	v_bcnt_u32_b32 v11, v11, v28
	s_waitcnt lgkmcnt(0)
	v_add_u32_e32 v10, v10, v11
	ds_write_b8 v10, v8
	s_branch .LBB141_35
.LBB141_44:                             ;   in Loop: Header=BB141_31 Depth=1
	s_mov_b64 s[2:3], -1
	s_mov_b64 s[4:5], 0
.LBB141_45:                             ;   in Loop: Header=BB141_31 Depth=1
	s_and_b64 vcc, exec, s[2:3]
	s_cbranch_vccz .LBB141_61
.LBB141_46:                             ;   in Loop: Header=BB141_31 Depth=1
	s_mov_b64 s[2:3], exec
	v_readlane_b32 s4, v57, 44
	v_readlane_b32 s5, v57, 45
	s_and_b64 s[4:5], s[2:3], s[4:5]
	s_mov_b64 exec, s[4:5]
	s_cbranch_execz .LBB141_58
; %bb.47:                               ;   in Loop: Header=BB141_31 Depth=1
	v_readlane_b32 s4, v57, 27
	v_readlane_b32 s5, v57, 28
	s_nop 4
	global_load_ushort v2, v3, s[4:5]
	global_load_ubyte v30, v[12:13], off
	v_mov_b32_e32 v8, v0
	s_waitcnt vmcnt(1)
	v_readfirstlane_b32 s1, v2
	v_add_u32_sdwa v2, v2, v0 dst_sel:DWORD dst_unused:UNUSED_PAD src0_sel:WORD_0 src1_sel:DWORD
	v_cmp_gt_u64_e32 vcc, s[28:29], v[2:3]
	s_and_saveexec_b64 s[6:7], vcc
	s_cbranch_execz .LBB141_57
; %bb.48:                               ;   in Loop: Header=BB141_31 Depth=1
	s_and_b32 s1, s1, 0xffff
	s_cmp_eq_u32 s1, 1
	v_readlane_b32 s8, v57, 29
                                        ; implicit-def: $vgpr8_vgpr9
	s_cselect_b64 s[4:5], -1, 0
	v_readlane_b32 s9, v57, 30
	v_mov_b32_e32 v10, v1
	v_mov_b32_e32 v5, v3
	s_and_b64 s[10:11], s[8:9], s[4:5]
	s_mov_b64 s[4:5], -1
	v_mov_b32_e32 v9, v0
	v_mov_b32_e32 v4, v2
	s_and_saveexec_b64 s[8:9], s[10:11]
	s_cbranch_execz .LBB141_52
; %bb.49:                               ;   in Loop: Header=BB141_31 Depth=1
	v_add_co_u32_e32 v8, vcc, 3, v2
	v_addc_co_u32_e64 v9, s[4:5], 0, 0, vcc
	v_add_co_u32_e32 v6, vcc, 2, v2
	v_addc_co_u32_e64 v7, s[4:5], 0, 0, vcc
	;; [unrolled: 2-line block ×3, first 2 shown]
	v_mov_b32_e32 v29, v17
	v_mov_b32_e32 v11, v9
	s_waitcnt vmcnt(0)
	v_lshlrev_b32_e32 v46, 24, v30
	s_mov_b64 s[10:11], 0
	v_mov_b32_e32 v28, v16
	v_mov_b32_e32 v31, v0
	v_mov_b32_e32 v10, v8
	v_mov_b32_e32 v9, v7
	v_mov_b32_e32 v8, v6
	v_mov_b32_e32 v7, v5
	v_mov_b32_e32 v6, v4
	v_mov_b32_e32 v5, v3
	v_mov_b32_e32 v4, v2
.LBB141_50:                             ;   Parent Loop BB141_31 Depth=1
                                        ; =>  This Inner Loop Header: Depth=2
	v_mul_lo_u32 v30, v9, s22
	v_mul_lo_u32 v49, v8, s23
	v_mad_u64_u32 v[47:48], s[4:5], v8, s22, 0
	v_mul_lo_u32 v50, v7, s26
	v_mul_lo_u32 v51, v6, s27
	v_add3_u32 v30, v48, v49, v30
	v_mad_u64_u32 v[48:49], s[4:5], v6, s26, 0
	v_mul_lo_u32 v53, v4, s17
	v_mul_lo_u32 v55, v11, s24
	v_add3_u32 v52, v49, v51, v50
	v_mul_lo_u32 v51, v5, s16
	v_mad_u64_u32 v[49:50], s[4:5], v4, s16, 0
	v_add3_u32 v50, v50, v53, v51
	v_add_co_u32_e32 v49, vcc, s54, v49
	v_mov_b32_e32 v53, s55
	v_addc_co_u32_e32 v50, vcc, v53, v50, vcc
	v_add_co_u32_e32 v51, vcc, s54, v48
	v_addc_co_u32_e32 v52, vcc, v53, v52, vcc
	v_add_co_u32_e32 v47, vcc, s54, v47
	v_addc_co_u32_e32 v48, vcc, v53, v30, vcc
	v_mov_b32_e32 v53, s54
	v_mov_b32_e32 v54, s55
	v_mad_u64_u32 v[53:54], s[4:5], v10, s24, v[53:54]
	v_mul_lo_u32 v30, v10, s25
	v_add_co_u32_e32 v10, vcc, 4, v10
	v_addc_co_u32_e32 v11, vcc, 0, v11, vcc
	v_add3_u32 v54, v55, v54, v30
	global_load_ubyte v30, v[53:54], off
	s_nop 0
	global_load_ubyte v51, v[51:52], off
	s_nop 0
	global_load_ubyte v49, v[49:50], off
	v_add_co_u32_e32 v8, vcc, 4, v8
	global_load_ubyte v47, v[47:48], off
	v_addc_co_u32_e32 v9, vcc, 0, v9, vcc
	v_add_co_u32_e32 v6, vcc, 4, v6
	v_addc_co_u32_e32 v7, vcc, 0, v7, vcc
	v_add_co_u32_e32 v4, vcc, 4, v4
	v_addc_co_u32_e32 v5, vcc, 0, v5, vcc
	v_add_co_u32_e32 v28, vcc, -4, v28
	s_mov_b32 s4, 0xc0c0007
	v_addc_co_u32_e32 v29, vcc, -1, v29, vcc
	v_cmp_eq_u64_e32 vcc, 0, v[28:29]
	s_or_b64 s[10:11], vcc, s[10:11]
	s_waitcnt vmcnt(1)
	v_perm_b32 v50, v49, v51, s52
	v_perm_b32 v46, v46, v49, s4
	s_waitcnt vmcnt(0)
	v_perm_b32 v48, v47, v30, s52
	v_perm_b32 v47, v51, v47, s52
	v_lshl_or_b32 v48, v48, 16, v50
	v_lshl_or_b32 v46, v47, 16, v46
	ds_write_b32 v31, v46
	v_add_u32_e32 v31, 4, v31
	v_mov_b32_e32 v46, v48
	s_andn2_b64 exec, exec, s[10:11]
	s_cbranch_execnz .LBB141_50
; %bb.51:                               ;   in Loop: Header=BB141_31 Depth=1
	s_or_b64 exec, exec, s[10:11]
	v_readlane_b32 s4, v57, 31
	v_add_co_u32_e32 v4, vcc, v2, v16
	v_readlane_b32 s5, v57, 32
	v_addc_co_u32_e32 v5, vcc, 0, v17, vcc
	v_add_co_u32_e32 v8, vcc, -1, v4
	s_orn2_b64 s[4:5], s[4:5], exec
	v_mov_b32_e32 v9, v20
	v_mov_b32_e32 v10, v21
.LBB141_52:                             ;   in Loop: Header=BB141_31 Depth=1
	s_or_b64 exec, exec, s[8:9]
	s_and_saveexec_b64 s[8:9], s[4:5]
	s_cbranch_execz .LBB141_56
; %bb.53:                               ;   in Loop: Header=BB141_31 Depth=1
	v_readlane_b32 s4, v57, 42
	v_readlane_b32 s5, v57, 43
	v_mov_b32_e32 v7, s5
	v_mov_b32_e32 v6, s4
	v_mad_u64_u32 v[6:7], s[4:5], s26, v4, v[6:7]
	v_mul_lo_u32 v2, s26, v5
	v_mul_lo_u32 v8, s27, v4
	s_mul_i32 s11, s27, s1
	s_mul_hi_u32 s12, s26, s1
	s_mov_b64 s[4:5], 0
	s_sub_u32 s10, 0, s1
	v_add3_u32 v7, v8, v7, v2
	s_add_i32 s11, s12, s11
.LBB141_54:                             ;   Parent Loop BB141_31 Depth=1
                                        ; =>  This Inner Loop Header: Depth=2
	global_load_ubyte v2, v[6:7], off
	v_mov_b32_e32 v11, v5
	v_mov_b32_e32 v10, v4
	v_add_co_u32_e32 v4, vcc, s1, v10
	v_addc_co_u32_e32 v5, vcc, 0, v11, vcc
	s_mul_i32 s12, s26, s1
	v_add_co_u32_e32 v6, vcc, s12, v6
	v_mov_b32_e32 v8, s11
	v_addc_co_u32_e32 v7, vcc, v7, v8, vcc
	v_cmp_le_u64_e32 vcc, s[28:29], v[4:5]
	s_waitcnt vmcnt(1)
	ds_write_b8 v9, v30
	v_add_co_u32_e64 v8, s[18:19], s10, v4
	s_or_b64 s[4:5], vcc, s[4:5]
	v_mov_b32_e32 v9, v10
	v_mov_b32_e32 v10, v11
	s_waitcnt vmcnt(0)
	v_mov_b32_e32 v30, v2
	s_andn2_b64 exec, exec, s[4:5]
	s_cbranch_execnz .LBB141_54
; %bb.55:                               ;   in Loop: Header=BB141_31 Depth=1
	s_or_b64 exec, exec, s[4:5]
	v_mov_b32_e32 v30, v2
.LBB141_56:                             ;   in Loop: Header=BB141_31 Depth=1
	s_or_b64 exec, exec, s[8:9]
.LBB141_57:                             ;   in Loop: Header=BB141_31 Depth=1
	s_or_b64 exec, exec, s[6:7]
	s_waitcnt vmcnt(0)
	ds_write_b8 v8, v30
.LBB141_58:                             ;   in Loop: Header=BB141_31 Depth=1
	s_or_b64 exec, exec, s[2:3]
	s_waitcnt lgkmcnt(0)
	s_barrier
	s_mov_b64 s[2:3], exec
	v_readlane_b32 s4, v57, 8
	v_readlane_b32 s5, v57, 9
	s_and_b64 s[4:5], s[2:3], s[4:5]
	s_mov_b64 exec, s[4:5]
; %bb.59:                               ;   in Loop: Header=BB141_31 Depth=1
	v_mov_b32_e32 v4, s28
	v_mov_b32_e32 v5, s29
	ds_write_b64 v3, v[4:5] offset:5120
; %bb.60:                               ;   in Loop: Header=BB141_31 Depth=1
	s_or_b64 exec, exec, s[2:3]
	s_waitcnt lgkmcnt(0)
	s_barrier
	s_mov_b64 s[4:5], -1
.LBB141_61:                             ;   in Loop: Header=BB141_31 Depth=1
	s_mov_b64 s[2:3], 0
	s_and_b64 vcc, exec, s[4:5]
	s_cbranch_vccz .LBB141_63
; %bb.62:                               ;   in Loop: Header=BB141_31 Depth=1
	ds_read_b64 v[4:5], v3 offset:5120
	s_waitcnt lgkmcnt(0)
	v_readfirstlane_b32 s2, v4
.LBB141_63:                             ;   in Loop: Header=BB141_31 Depth=1
	s_cmp_lt_i32 s2, 1
	s_mov_b64 s[4:5], -1
                                        ; implicit-def: $vgpr10_vgpr11
                                        ; implicit-def: $vgpr6_vgpr7
	s_cbranch_scc0 .LBB141_78
; %bb.64:                               ;   in Loop: Header=BB141_31 Depth=1
	v_readlane_b32 s4, v57, 27
	v_readlane_b32 s5, v57, 28
	s_nop 4
	global_load_ushort v2, v3, s[4:5]
	s_mov_b32 s4, s53
	s_mov_b32 s5, s29
	s_waitcnt vmcnt(0)
	v_readfirstlane_b32 s1, v2
	s_and_b32 s1, 0xffff, s1
	s_lshl_b32 s1, s1, 2
	s_cmp_lg_u64 s[4:5], 0
	s_cbranch_scc0 .LBB141_96
; %bb.65:                               ;   in Loop: Header=BB141_31 Depth=1
	v_cvt_f32_u32_e32 v4, s1
	s_sub_u32 s3, 0, s1
	s_subb_u32 s6, 0, 0
	v_mac_f32_e32 v4, 0, v42
	v_rcp_f32_e32 v4, v4
	v_mul_f32_e32 v4, 0x5f7ffffc, v4
	v_mul_f32_e32 v5, 0x2f800000, v4
	v_trunc_f32_e32 v5, v5
	v_mac_f32_e32 v4, 0xcf800000, v5
	v_cvt_u32_f32_e32 v5, v5
	v_cvt_u32_f32_e32 v4, v4
	v_readfirstlane_b32 s7, v5
	v_readfirstlane_b32 s4, v4
	s_mul_i32 s5, s3, s7
	s_mul_hi_u32 s9, s3, s4
	s_mul_i32 s8, s6, s4
	s_add_i32 s5, s9, s5
	s_mul_i32 s10, s3, s4
	s_add_i32 s5, s5, s8
	s_mul_hi_u32 s9, s4, s10
	s_mul_i32 s11, s4, s5
	s_mul_hi_u32 s8, s4, s5
	s_add_u32 s9, s9, s11
	s_addc_u32 s8, 0, s8
	s_mul_hi_u32 s12, s7, s10
	s_mul_i32 s10, s7, s10
	s_add_u32 s9, s9, s10
	s_mul_hi_u32 s11, s7, s5
	s_addc_u32 s8, s8, s12
	s_addc_u32 s9, s11, 0
	s_mul_i32 s5, s7, s5
	s_add_u32 s5, s8, s5
	s_addc_u32 s8, 0, s9
	s_add_u32 s9, s4, s5
	s_cselect_b64 s[4:5], -1, 0
	s_cmp_lg_u64 s[4:5], 0
	s_addc_u32 s7, s7, s8
	s_mul_i32 s4, s3, s7
	s_mul_hi_u32 s5, s3, s9
	s_add_i32 s4, s5, s4
	s_mul_i32 s6, s6, s9
	s_add_i32 s4, s4, s6
	s_mul_i32 s3, s3, s9
	s_mul_hi_u32 s6, s7, s3
	s_mul_i32 s8, s7, s3
	s_mul_i32 s11, s9, s4
	s_mul_hi_u32 s3, s9, s3
	s_mul_hi_u32 s10, s9, s4
	s_add_u32 s3, s3, s11
	s_addc_u32 s10, 0, s10
	s_add_u32 s3, s3, s8
	s_mul_hi_u32 s5, s7, s4
	s_addc_u32 s3, s10, s6
	s_addc_u32 s5, s5, 0
	s_mul_i32 s4, s7, s4
	s_add_u32 s3, s3, s4
	s_addc_u32 s6, 0, s5
	s_add_u32 s3, s9, s3
	s_cselect_b64 s[4:5], -1, 0
	s_cmp_lg_u64 s[4:5], 0
	s_addc_u32 s4, s7, s6
	s_mul_i32 s6, s28, s4
	s_mul_hi_u32 s7, s28, s3
	s_mul_hi_u32 s5, s28, s4
	s_add_u32 s6, s7, s6
	s_addc_u32 s5, 0, s5
	s_mul_hi_u32 s8, s29, s3
	s_mul_i32 s3, s29, s3
	s_add_u32 s3, s6, s3
	s_mul_hi_u32 s7, s29, s4
	s_addc_u32 s3, s5, s8
	s_addc_u32 s5, s7, 0
	s_mul_i32 s4, s29, s4
	s_add_u32 s3, s3, s4
	s_addc_u32 s4, 0, s5
	s_mul_i32 s4, s1, s4
	s_mul_hi_u32 s5, s1, s3
	s_add_i32 s6, s5, s4
	s_mul_i32 s3, s1, s3
	s_sub_u32 s3, s28, s3
	s_cselect_b64 s[4:5], -1, 0
	s_cmp_lg_u64 s[4:5], 0
	s_subb_u32 s6, s29, s6
	s_sub_u32 s7, s3, s1
	s_cselect_b64 s[4:5], -1, 0
	s_cmp_lg_u64 s[4:5], 0
	s_subb_u32 s8, s6, 0
	;; [unrolled: 4-line block ×3, first 2 shown]
	s_cmp_ge_u32 s7, s1
	s_cselect_b32 s5, -1, 0
	s_cmp_eq_u32 s8, 0
	s_cselect_b32 s5, s5, -1
	s_cmp_lg_u32 s5, 0
	s_cselect_b32 s4, s4, s8
	s_cselect_b32 s7, s9, s7
	s_cmp_ge_u32 s3, s1
	s_cselect_b32 s5, -1, 0
	s_cmp_eq_u32 s6, 0
	s_cselect_b32 s5, s5, -1
	s_cmp_lg_u32 s5, 0
	s_cselect_b32 s5, s4, s6
	s_cselect_b32 s4, s7, s3
	s_cbranch_execnz .LBB141_67
.LBB141_66:                             ;   in Loop: Header=BB141_31 Depth=1
	v_cvt_f32_u32_e32 v4, s1
	s_sub_i32 s3, 0, s1
	v_rcp_iflag_f32_e32 v4, v4
	v_mul_f32_e32 v4, 0x4f7ffffe, v4
	v_cvt_u32_f32_e32 v4, v4
	v_readfirstlane_b32 s4, v4
	s_mul_i32 s3, s3, s4
	s_mul_hi_u32 s3, s4, s3
	s_add_i32 s4, s4, s3
	s_mul_hi_u32 s3, s28, s4
	s_mul_i32 s3, s3, s1
	s_sub_i32 s3, s28, s3
	s_sub_i32 s4, s3, s1
	s_cmp_ge_u32 s3, s1
	s_cselect_b32 s3, s4, s3
	s_sub_i32 s4, s3, s1
	s_cmp_ge_u32 s3, s1
	s_cselect_b32 s52, s4, s3
	s_mov_b64 s[4:5], s[52:53]
	s_mov_b32 s52, 0xc0c0004
.LBB141_67:                             ;   in Loop: Header=BB141_31 Depth=1
	s_sub_u32 s6, s28, s4
	s_subb_u32 s7, s29, s5
	v_cmp_gt_u64_e32 vcc, s[6:7], v[14:15]
	v_mov_b32_e32 v4, 0
	v_mov_b32_e32 v6, 0
	;; [unrolled: 1-line block ×4, first 2 shown]
	v_and_b32_e32 v2, 0xffff, v2
	v_mov_b32_e32 v5, 0
	v_mov_b32_e32 v7, 0
	;; [unrolled: 1-line block ×4, first 2 shown]
	s_and_saveexec_b64 s[8:9], vcc
	s_cbranch_execz .LBB141_71
; %bb.68:                               ;   in Loop: Header=BB141_31 Depth=1
	v_readlane_b32 s4, v57, 48
	v_readlane_b32 s5, v57, 49
	v_mul_lo_u32 v4, s5, v2
	v_mul_hi_u32 v5, s4, v2
	v_mul_lo_u32 v46, s4, v2
	v_mov_b32_e32 v28, s54
	v_mov_b32_e32 v31, v15
	s_mov_b64 s[12:13], 0
	v_add_u32_e32 v47, v5, v4
	v_mov_b32_e32 v29, s55
	s_mov_b64 s[14:15], 0
	s_mov_b64 s[38:39], 0
	;; [unrolled: 1-line block ×4, first 2 shown]
	v_mov_b32_e32 v30, v14
.LBB141_69:                             ;   Parent Loop BB141_31 Depth=1
                                        ; =>  This Inner Loop Header: Depth=2
	v_add_co_u32_e32 v4, vcc, v28, v24
	v_addc_co_u32_e32 v5, vcc, v29, v25, vcc
	global_load_sbyte v6, v[4:5], off
	v_add_co_u32_e32 v4, vcc, v28, v23
	v_addc_co_u32_e32 v5, vcc, v29, v38, vcc
	global_load_sbyte v7, v[4:5], off
	v_add_co_u32_e32 v4, vcc, v28, v19
	v_addc_co_u32_e32 v5, vcc, v29, v37, vcc
	global_load_sbyte v8, v[4:5], off
	v_add_co_u32_e32 v4, vcc, v28, v18
	v_addc_co_u32_e32 v5, vcc, v29, v36, vcc
	global_load_sbyte v4, v[4:5], off
	s_waitcnt vmcnt(3)
	v_add_u32_e32 v5, 0x80, v6
	s_waitcnt vmcnt(2)
	v_add_u32_e32 v6, 0x80, v7
	;; [unrolled: 2-line block ×3, first 2 shown]
	v_and_b32_e32 v8, v5, v44
	v_bfe_u32 v5, v5, s63, 2
	v_cmp_eq_u32_e32 vcc, v8, v41
	v_and_b32_e32 v8, v6, v44
	v_bfe_u32 v6, v6, s63, 2
	v_cmp_eq_u32_e64 s[24:25], 0, v5
	s_waitcnt vmcnt(0)
	v_add_u32_e32 v4, 0x80, v4
	v_cmp_eq_u32_e64 s[18:19], v8, v41
	v_and_b32_e32 v8, v7, v44
	v_bfe_u32 v7, v7, s63, 2
	s_and_b64 s[4:5], vcc, s[24:25]
	v_cmp_eq_u32_e64 s[24:25], 0, v6
	v_cmp_eq_u32_e64 s[20:21], v8, v41
	v_and_b32_e32 v8, v4, v44
	v_bfe_u32 v4, v4, s63, 2
	s_and_b64 s[10:11], s[18:19], s[24:25]
	v_cmp_eq_u32_e64 s[24:25], 0, v7
	v_cmp_eq_u32_e64 s[22:23], v8, v41
	s_and_b64 s[16:17], s[20:21], s[24:25]
	v_cmp_eq_u32_e64 s[24:25], 0, v4
	v_cndmask_b32_e64 v8, 0, 1, s[4:5]
	s_and_b64 s[48:49], s[22:23], s[24:25]
	v_cmp_ne_u32_e64 s[24:25], 0, v8
	v_cndmask_b32_e64 v8, 0, 1, s[10:11]
	s_bcnt1_i32_b64 s3, s[24:25]
	v_cmp_ne_u32_e64 s[24:25], 0, v8
	v_cndmask_b32_e64 v8, 0, 1, s[16:17]
	s_bcnt1_i32_b64 s4, s[24:25]
	;; [unrolled: 3-line block ×3, first 2 shown]
	v_cmp_ne_u32_e64 s[24:25], 0, v8
	s_bcnt1_i32_b64 s10, s[24:25]
	s_add_u32 s3, s3, s46
	s_addc_u32 s11, 0, s47
	s_add_u32 s3, s3, s4
	s_addc_u32 s4, s11, 0
	s_add_u32 s3, s3, s5
	s_addc_u32 s4, s4, 0
	s_add_u32 s46, s3, s10
	v_cmp_eq_u32_e64 s[24:25], 1, v5
	s_addc_u32 s47, s4, 0
	s_and_b64 s[4:5], vcc, s[24:25]
	v_cmp_eq_u32_e64 s[24:25], 1, v6
	s_and_b64 s[10:11], s[18:19], s[24:25]
	v_cmp_eq_u32_e64 s[24:25], 1, v7
	s_and_b64 s[16:17], s[20:21], s[24:25]
	v_cmp_eq_u32_e64 s[24:25], 1, v4
	v_cndmask_b32_e64 v8, 0, 1, s[4:5]
	s_and_b64 s[48:49], s[22:23], s[24:25]
	v_cmp_ne_u32_e64 s[24:25], 0, v8
	v_cndmask_b32_e64 v8, 0, 1, s[10:11]
	s_bcnt1_i32_b64 s3, s[24:25]
	v_cmp_ne_u32_e64 s[24:25], 0, v8
	v_cndmask_b32_e64 v8, 0, 1, s[16:17]
	s_bcnt1_i32_b64 s4, s[24:25]
	;; [unrolled: 3-line block ×3, first 2 shown]
	v_cmp_ne_u32_e64 s[24:25], 0, v8
	s_bcnt1_i32_b64 s10, s[24:25]
	s_add_u32 s3, s3, s40
	s_addc_u32 s11, 0, s41
	s_add_u32 s3, s3, s4
	s_addc_u32 s4, s11, 0
	s_add_u32 s3, s3, s5
	s_addc_u32 s4, s4, 0
	s_add_u32 s40, s3, s10
	v_cmp_eq_u32_e64 s[24:25], 2, v5
	s_addc_u32 s41, s4, 0
	s_and_b64 s[4:5], vcc, s[24:25]
	v_cmp_eq_u32_e64 s[24:25], 2, v6
	s_and_b64 s[10:11], s[18:19], s[24:25]
	v_cmp_eq_u32_e64 s[24:25], 2, v7
	s_and_b64 s[16:17], s[20:21], s[24:25]
	v_cmp_eq_u32_e64 s[24:25], 2, v4
	v_cndmask_b32_e64 v8, 0, 1, s[4:5]
	s_and_b64 s[48:49], s[22:23], s[24:25]
	v_cmp_ne_u32_e64 s[24:25], 0, v8
	v_cndmask_b32_e64 v8, 0, 1, s[10:11]
	s_bcnt1_i32_b64 s3, s[24:25]
	v_cmp_ne_u32_e64 s[24:25], 0, v8
	v_cndmask_b32_e64 v8, 0, 1, s[16:17]
	s_bcnt1_i32_b64 s4, s[24:25]
	v_cmp_ne_u32_e64 s[24:25], 0, v8
	v_cndmask_b32_e64 v8, 0, 1, s[48:49]
	s_bcnt1_i32_b64 s5, s[24:25]
	v_cmp_ne_u32_e64 s[24:25], 0, v8
	s_bcnt1_i32_b64 s10, s[24:25]
	s_add_u32 s3, s3, s38
	s_addc_u32 s11, 0, s39
	s_add_u32 s3, s3, s4
	s_addc_u32 s4, s11, 0
	;; [unrolled: 2-line block ×3, first 2 shown]
	s_add_u32 s38, s3, s10
	v_cmp_eq_u32_e64 s[24:25], 3, v5
	s_addc_u32 s39, s4, 0
	s_and_b64 s[4:5], vcc, s[24:25]
	v_cmp_eq_u32_e32 vcc, 3, v6
	s_and_b64 s[10:11], s[18:19], vcc
	v_cmp_eq_u32_e32 vcc, 3, v7
	s_and_b64 s[16:17], s[20:21], vcc
	v_cmp_eq_u32_e32 vcc, 3, v4
	v_cndmask_b32_e64 v4, 0, 1, s[4:5]
	s_and_b64 s[18:19], s[22:23], vcc
	v_cmp_ne_u32_e32 vcc, 0, v4
	v_cndmask_b32_e64 v4, 0, 1, s[10:11]
	s_bcnt1_i32_b64 s3, vcc
	v_cmp_ne_u32_e32 vcc, 0, v4
	v_cndmask_b32_e64 v4, 0, 1, s[16:17]
	s_bcnt1_i32_b64 s4, vcc
	;; [unrolled: 3-line block ×3, first 2 shown]
	v_cmp_ne_u32_e32 vcc, 0, v4
	s_bcnt1_i32_b64 s10, vcc
	s_add_u32 s3, s3, s14
	s_addc_u32 s11, 0, s15
	s_add_u32 s3, s3, s4
	v_add_co_u32_e32 v30, vcc, s1, v30
	s_addc_u32 s4, s11, 0
	v_addc_co_u32_e32 v31, vcc, 0, v31, vcc
	s_add_u32 s3, s3, s5
	v_add_co_u32_e32 v28, vcc, v28, v46
	s_addc_u32 s4, s4, 0
	v_addc_co_u32_e32 v29, vcc, v29, v47, vcc
	s_add_u32 s14, s3, s10
	v_cmp_le_u64_e32 vcc, s[6:7], v[30:31]
	s_addc_u32 s15, s4, 0
	v_mov_b32_e32 v4, s46
	v_mov_b32_e32 v6, s40
	;; [unrolled: 1-line block ×4, first 2 shown]
	s_or_b64 s[12:13], vcc, s[12:13]
	v_mov_b32_e32 v5, s47
	v_mov_b32_e32 v7, s41
	;; [unrolled: 1-line block ×4, first 2 shown]
	s_andn2_b64 exec, exec, s[12:13]
	s_cbranch_execnz .LBB141_69
; %bb.70:                               ;   in Loop: Header=BB141_31 Depth=1
	s_or_b64 exec, exec, s[12:13]
.LBB141_71:                             ;   in Loop: Header=BB141_31 Depth=1
	s_or_b64 exec, exec, s[8:9]
	v_mov_b32_e32 v29, s7
	v_add_co_u32_e32 v28, vcc, s6, v0
	v_addc_co_u32_e32 v29, vcc, 0, v29, vcc
	v_cmp_gt_u64_e32 vcc, s[28:29], v[28:29]
	s_and_saveexec_b64 s[6:7], vcc
	s_cbranch_execz .LBB141_77
; %bb.72:                               ;   in Loop: Header=BB141_31 Depth=1
	v_mov_b32_e32 v30, s54
	v_mov_b32_e32 v31, s55
	v_mad_u64_u32 v[30:31], s[4:5], v28, s26, v[30:31]
	v_mul_lo_u32 v46, v28, s27
	v_mul_lo_u32 v47, v29, s26
	s_mov_b64 s[4:5], 0
	v_add3_u32 v31, v47, v31, v46
	global_load_ubyte v31, v[30:31], off
	s_branch .LBB141_74
.LBB141_73:                             ;   in Loop: Header=BB141_74 Depth=2
	s_or_b64 exec, exec, s[8:9]
	s_waitcnt vmcnt(0)
	v_add_u32_sdwa v31, sext(v31), s0 dst_sel:DWORD dst_unused:UNUSED_PAD src0_sel:BYTE_0 src1_sel:DWORD
	s_and_b64 s[8:9], exec, vcc
	v_and_b32_e32 v46, v31, v44
	v_bfe_u32 v31, v31, s63, 2
	s_or_b64 s[4:5], s[8:9], s[4:5]
	v_cmp_eq_u32_e32 vcc, v46, v41
	v_cmp_eq_u32_e64 s[18:19], 0, v31
	s_and_b64 s[8:9], vcc, s[18:19]
	v_cndmask_b32_e64 v46, 0, 1, s[8:9]
	v_cmp_ne_u32_e64 s[18:19], 0, v46
	s_bcnt1_i32_b64 s1, s[18:19]
	v_add_co_u32_e64 v4, s[18:19], s1, v4
	v_addc_co_u32_e64 v5, s[18:19], 0, v5, s[18:19]
	v_cmp_eq_u32_e64 s[18:19], 1, v31
	s_and_b64 s[8:9], vcc, s[18:19]
	v_cndmask_b32_e64 v46, 0, 1, s[8:9]
	v_cmp_ne_u32_e64 s[18:19], 0, v46
	s_bcnt1_i32_b64 s1, s[18:19]
	v_add_co_u32_e64 v6, s[18:19], s1, v6
	v_addc_co_u32_e64 v7, s[18:19], 0, v7, s[18:19]
	;; [unrolled: 7-line block ×3, first 2 shown]
	v_cmp_eq_u32_e64 s[18:19], 3, v31
	s_and_b64 s[8:9], vcc, s[18:19]
	v_cndmask_b32_e64 v31, 0, 1, s[8:9]
	v_cmp_ne_u32_e32 vcc, 0, v31
	s_bcnt1_i32_b64 s1, vcc
	v_add_co_u32_e32 v10, vcc, s1, v10
	v_addc_co_u32_e32 v11, vcc, 0, v11, vcc
	v_mov_b32_e32 v31, v30
	s_andn2_b64 exec, exec, s[4:5]
	s_cbranch_execz .LBB141_76
.LBB141_74:                             ;   Parent Loop BB141_31 Depth=1
                                        ; =>  This Inner Loop Header: Depth=2
	v_add_co_u32_e32 v28, vcc, v28, v2
	v_addc_co_u32_e32 v29, vcc, 0, v29, vcc
	v_cmp_gt_u64_e64 s[18:19], s[28:29], v[28:29]
	v_cmp_le_u64_e32 vcc, s[28:29], v[28:29]
	v_mov_b32_e32 v30, 0
	s_and_saveexec_b64 s[8:9], s[18:19]
	s_cbranch_execz .LBB141_73
; %bb.75:                               ;   in Loop: Header=BB141_74 Depth=2
	v_mov_b32_e32 v46, s54
	v_mov_b32_e32 v47, s55
	v_mad_u64_u32 v[46:47], s[10:11], v28, s26, v[46:47]
	v_mul_lo_u32 v30, v28, s27
	v_mul_lo_u32 v48, v29, s26
	v_add3_u32 v47, v48, v47, v30
	global_load_ubyte v30, v[46:47], off
	s_branch .LBB141_73
.LBB141_76:                             ;   in Loop: Header=BB141_31 Depth=1
	s_or_b64 exec, exec, s[4:5]
.LBB141_77:                             ;   in Loop: Header=BB141_31 Depth=1
	s_or_b64 exec, exec, s[6:7]
	s_mov_b64 s[4:5], 0
.LBB141_78:                             ;   in Loop: Header=BB141_31 Depth=1
	s_and_b64 vcc, exec, s[4:5]
	s_cbranch_vccz .LBB141_88
; %bb.79:                               ;   in Loop: Header=BB141_31 Depth=1
	v_readlane_b32 s4, v57, 27
	v_readlane_b32 s5, v57, 28
	v_mov_b32_e32 v8, 0
	v_mov_b32_e32 v9, 0
	s_nop 2
	global_load_ushort v2, v3, s[4:5]
	s_waitcnt vmcnt(0)
	v_readfirstlane_b32 s1, v2
	s_and_b32 s1, 0xffff, s1
	s_lshl_b32 s3, s1, 2
	v_cvt_f32_u32_e32 v4, s3
	s_sub_i32 s4, 0, s3
	v_rcp_iflag_f32_e32 v6, v4
	v_mov_b32_e32 v4, 0
	v_mov_b32_e32 v5, 0
	v_mul_f32_e32 v6, 0x4f7ffffe, v6
	v_cvt_u32_f32_e32 v10, v6
	v_mov_b32_e32 v6, 0
	v_mov_b32_e32 v7, 0
	v_readfirstlane_b32 s5, v10
	s_mul_i32 s4, s4, s5
	s_mul_hi_u32 s4, s5, s4
	s_add_i32 s5, s5, s4
	s_mul_hi_u32 s4, s2, s5
	s_mul_i32 s5, s4, s3
	s_sub_i32 s5, s2, s5
	s_add_i32 s6, s4, 1
	s_sub_i32 s7, s5, s3
	s_cmp_ge_u32 s5, s3
	s_cselect_b32 s4, s6, s4
	s_cselect_b32 s5, s7, s5
	s_add_i32 s6, s4, 1
	s_cmp_ge_u32 s5, s3
	s_cselect_b32 s4, s6, s4
	s_mul_hi_u32 s7, s1, s4
	s_mul_i32 s6, s1, s4
	s_lshl_b64 s[8:9], s[6:7], 2
	v_cmp_gt_u64_e32 vcc, s[8:9], v[14:15]
	v_mov_b32_e32 v10, 0
	v_mov_b32_e32 v11, 0
	s_and_saveexec_b64 s[12:13], vcc
	s_cbranch_execz .LBB141_83
; %bb.80:                               ;   in Loop: Header=BB141_31 Depth=1
	v_mov_b32_e32 v29, v15
	s_mov_b64 s[14:15], 0
	v_mov_b32_e32 v30, v14
	s_mov_b64 s[38:39], 0
	s_mov_b64 s[40:41], 0
	;; [unrolled: 1-line block ×4, first 2 shown]
	v_mov_b32_e32 v28, v14
.LBB141_81:                             ;   Parent Loop BB141_31 Depth=1
                                        ; =>  This Inner Loop Header: Depth=2
	ds_read_b32 v4, v30
	v_add_u32_e32 v30, s3, v30
	s_waitcnt lgkmcnt(0)
	v_add_u32_sdwa v5, sext(v4), s0 dst_sel:DWORD dst_unused:UNUSED_PAD src0_sel:BYTE_0 src1_sel:DWORD
	v_add_u32_sdwa v6, sext(v4), s0 dst_sel:DWORD dst_unused:UNUSED_PAD src0_sel:BYTE_1 src1_sel:DWORD
	v_and_b32_e32 v8, v5, v44
	v_bfe_u32 v5, v5, s63, 2
	v_add_u32_sdwa v7, sext(v4), s0 dst_sel:DWORD dst_unused:UNUSED_PAD src0_sel:BYTE_2 src1_sel:DWORD
	v_cmp_eq_u32_e32 vcc, v8, v41
	v_and_b32_e32 v8, v6, v44
	v_bfe_u32 v6, v6, s63, 2
	v_cmp_eq_u32_e64 s[24:25], 0, v5
	v_add_u32_sdwa v4, sext(v4), s0 dst_sel:DWORD dst_unused:UNUSED_PAD src0_sel:BYTE_3 src1_sel:DWORD
	v_cmp_eq_u32_e64 s[18:19], v8, v41
	v_and_b32_e32 v8, v7, v44
	v_bfe_u32 v7, v7, s63, 2
	s_and_b64 s[4:5], vcc, s[24:25]
	v_cmp_eq_u32_e64 s[24:25], 0, v6
	v_cmp_eq_u32_e64 s[20:21], v8, v41
	v_and_b32_e32 v8, v4, v44
	v_bfe_u32 v4, v4, s63, 2
	s_and_b64 s[10:11], s[18:19], s[24:25]
	v_cmp_eq_u32_e64 s[24:25], 0, v7
	v_cmp_eq_u32_e64 s[22:23], v8, v41
	s_and_b64 s[16:17], s[20:21], s[24:25]
	v_cmp_eq_u32_e64 s[24:25], 0, v4
	v_cndmask_b32_e64 v8, 0, 1, s[4:5]
	s_and_b64 s[50:51], s[22:23], s[24:25]
	v_cmp_ne_u32_e64 s[24:25], 0, v8
	v_cndmask_b32_e64 v8, 0, 1, s[10:11]
	s_bcnt1_i32_b64 s4, s[24:25]
	v_cmp_ne_u32_e64 s[24:25], 0, v8
	v_cndmask_b32_e64 v8, 0, 1, s[16:17]
	s_bcnt1_i32_b64 s5, s[24:25]
	;; [unrolled: 3-line block ×3, first 2 shown]
	v_cmp_ne_u32_e64 s[24:25], 0, v8
	s_bcnt1_i32_b64 s10, s[24:25]
	s_add_u32 s4, s4, s48
	s_addc_u32 s11, 0, s49
	s_add_u32 s4, s4, s5
	s_addc_u32 s5, s11, 0
	;; [unrolled: 2-line block ×3, first 2 shown]
	s_add_u32 s48, s4, s10
	v_cmp_eq_u32_e64 s[24:25], 1, v5
	s_addc_u32 s49, s5, 0
	s_and_b64 s[4:5], vcc, s[24:25]
	v_cmp_eq_u32_e64 s[24:25], 1, v6
	s_and_b64 s[10:11], s[18:19], s[24:25]
	v_cmp_eq_u32_e64 s[24:25], 1, v7
	s_and_b64 s[16:17], s[20:21], s[24:25]
	v_cmp_eq_u32_e64 s[24:25], 1, v4
	v_cndmask_b32_e64 v8, 0, 1, s[4:5]
	s_and_b64 s[50:51], s[22:23], s[24:25]
	v_cmp_ne_u32_e64 s[24:25], 0, v8
	v_cndmask_b32_e64 v8, 0, 1, s[10:11]
	s_bcnt1_i32_b64 s4, s[24:25]
	v_cmp_ne_u32_e64 s[24:25], 0, v8
	v_cndmask_b32_e64 v8, 0, 1, s[16:17]
	s_bcnt1_i32_b64 s5, s[24:25]
	;; [unrolled: 3-line block ×3, first 2 shown]
	v_cmp_ne_u32_e64 s[24:25], 0, v8
	s_bcnt1_i32_b64 s10, s[24:25]
	s_add_u32 s4, s4, s46
	s_addc_u32 s11, 0, s47
	s_add_u32 s4, s4, s5
	s_addc_u32 s5, s11, 0
	;; [unrolled: 2-line block ×3, first 2 shown]
	s_add_u32 s46, s4, s10
	v_cmp_eq_u32_e64 s[24:25], 2, v5
	s_addc_u32 s47, s5, 0
	s_and_b64 s[4:5], vcc, s[24:25]
	v_cmp_eq_u32_e64 s[24:25], 2, v6
	s_and_b64 s[10:11], s[18:19], s[24:25]
	v_cmp_eq_u32_e64 s[24:25], 2, v7
	s_and_b64 s[16:17], s[20:21], s[24:25]
	v_cmp_eq_u32_e64 s[24:25], 2, v4
	v_cndmask_b32_e64 v8, 0, 1, s[4:5]
	s_and_b64 s[50:51], s[22:23], s[24:25]
	v_cmp_ne_u32_e64 s[24:25], 0, v8
	v_cndmask_b32_e64 v8, 0, 1, s[10:11]
	s_bcnt1_i32_b64 s4, s[24:25]
	v_cmp_ne_u32_e64 s[24:25], 0, v8
	v_cndmask_b32_e64 v8, 0, 1, s[16:17]
	s_bcnt1_i32_b64 s5, s[24:25]
	;; [unrolled: 3-line block ×3, first 2 shown]
	v_cmp_ne_u32_e64 s[24:25], 0, v8
	s_bcnt1_i32_b64 s10, s[24:25]
	s_add_u32 s4, s4, s40
	s_addc_u32 s11, 0, s41
	s_add_u32 s4, s4, s5
	s_addc_u32 s5, s11, 0
	;; [unrolled: 2-line block ×3, first 2 shown]
	s_add_u32 s40, s4, s10
	v_cmp_eq_u32_e64 s[24:25], 3, v5
	s_addc_u32 s41, s5, 0
	s_and_b64 s[4:5], vcc, s[24:25]
	v_cmp_eq_u32_e32 vcc, 3, v6
	s_and_b64 s[10:11], s[18:19], vcc
	v_cmp_eq_u32_e32 vcc, 3, v7
	s_and_b64 s[16:17], s[20:21], vcc
	v_cmp_eq_u32_e32 vcc, 3, v4
	v_cndmask_b32_e64 v4, 0, 1, s[4:5]
	s_and_b64 s[18:19], s[22:23], vcc
	v_cmp_ne_u32_e32 vcc, 0, v4
	v_cndmask_b32_e64 v4, 0, 1, s[10:11]
	s_bcnt1_i32_b64 s4, vcc
	v_cmp_ne_u32_e32 vcc, 0, v4
	v_cndmask_b32_e64 v4, 0, 1, s[16:17]
	s_bcnt1_i32_b64 s5, vcc
	;; [unrolled: 3-line block ×3, first 2 shown]
	v_cmp_ne_u32_e32 vcc, 0, v4
	s_bcnt1_i32_b64 s10, vcc
	s_add_u32 s4, s4, s38
	s_addc_u32 s11, 0, s39
	s_add_u32 s4, s4, s5
	s_addc_u32 s5, s11, 0
	s_add_u32 s4, s4, s7
	v_add_co_u32_e32 v28, vcc, s3, v28
	s_addc_u32 s5, s5, 0
	v_addc_co_u32_e32 v29, vcc, 0, v29, vcc
	s_add_u32 s38, s4, s10
	v_cmp_le_u64_e32 vcc, s[8:9], v[28:29]
	s_addc_u32 s39, s5, 0
	v_mov_b32_e32 v4, s48
	v_mov_b32_e32 v6, s46
	;; [unrolled: 1-line block ×4, first 2 shown]
	s_or_b64 s[14:15], vcc, s[14:15]
	v_mov_b32_e32 v5, s49
	v_mov_b32_e32 v7, s47
	;; [unrolled: 1-line block ×4, first 2 shown]
	s_andn2_b64 exec, exec, s[14:15]
	s_cbranch_execnz .LBB141_81
; %bb.82:                               ;   in Loop: Header=BB141_31 Depth=1
	s_or_b64 exec, exec, s[14:15]
.LBB141_83:                             ;   in Loop: Header=BB141_31 Depth=1
	s_or_b64 exec, exec, s[12:13]
	v_mov_b32_e32 v29, s9
	v_add_co_u32_e32 v28, vcc, s8, v0
	s_and_b32 s52, s2, 0x7fffffff
	v_addc_co_u32_e32 v29, vcc, 0, v29, vcc
	v_cmp_gt_u64_e32 vcc, s[52:53], v[28:29]
	s_and_saveexec_b64 s[2:3], vcc
	s_cbranch_execz .LBB141_87
; %bb.84:                               ;   in Loop: Header=BB141_31 Depth=1
	v_lshl_add_u32 v30, s6, 2, v0
	s_mov_b64 s[6:7], 0
.LBB141_85:                             ;   Parent Loop BB141_31 Depth=1
                                        ; =>  This Inner Loop Header: Depth=2
	ds_read_i8 v31, v30
	v_add_u32_e32 v30, s1, v30
	s_waitcnt lgkmcnt(0)
	v_add_u32_e32 v31, 0x80, v31
	v_and_b32_e32 v46, v31, v44
	v_bfe_u32 v31, v31, s63, 2
	v_cmp_eq_u32_e32 vcc, v46, v41
	v_cmp_eq_u32_e64 s[18:19], 0, v31
	s_and_b64 s[4:5], vcc, s[18:19]
	v_cndmask_b32_e64 v46, 0, 1, s[4:5]
	v_cmp_ne_u32_e64 s[18:19], 0, v46
	s_bcnt1_i32_b64 s4, s[18:19]
	v_add_co_u32_e64 v4, s[18:19], s4, v4
	v_addc_co_u32_e64 v5, s[18:19], 0, v5, s[18:19]
	v_cmp_eq_u32_e64 s[18:19], 1, v31
	s_and_b64 s[4:5], vcc, s[18:19]
	v_cndmask_b32_e64 v46, 0, 1, s[4:5]
	v_cmp_ne_u32_e64 s[18:19], 0, v46
	s_bcnt1_i32_b64 s4, s[18:19]
	v_add_co_u32_e64 v6, s[18:19], s4, v6
	v_addc_co_u32_e64 v7, s[18:19], 0, v7, s[18:19]
	v_cmp_eq_u32_e64 s[18:19], 2, v31
	s_and_b64 s[4:5], vcc, s[18:19]
	v_cndmask_b32_e64 v46, 0, 1, s[4:5]
	v_cmp_ne_u32_e64 s[18:19], 0, v46
	s_bcnt1_i32_b64 s4, s[18:19]
	v_add_co_u32_e64 v8, s[18:19], s4, v8
	v_addc_co_u32_e64 v9, s[18:19], 0, v9, s[18:19]
	v_cmp_eq_u32_e64 s[18:19], 3, v31
	s_and_b64 s[4:5], vcc, s[18:19]
	v_cndmask_b32_e64 v31, 0, 1, s[4:5]
	v_cmp_ne_u32_e32 vcc, 0, v31
	s_bcnt1_i32_b64 s4, vcc
	v_add_co_u32_e32 v10, vcc, s4, v10
	v_addc_co_u32_e32 v11, vcc, 0, v11, vcc
	v_add_co_u32_sdwa v28, vcc, v28, v2 dst_sel:DWORD dst_unused:UNUSED_PAD src0_sel:DWORD src1_sel:WORD_0
	v_addc_co_u32_e32 v29, vcc, 0, v29, vcc
	v_cmp_le_u64_e32 vcc, s[52:53], v[28:29]
	s_or_b64 s[6:7], vcc, s[6:7]
	s_andn2_b64 exec, exec, s[6:7]
	s_cbranch_execnz .LBB141_85
; %bb.86:                               ;   in Loop: Header=BB141_31 Depth=1
	s_or_b64 exec, exec, s[6:7]
.LBB141_87:                             ;   in Loop: Header=BB141_31 Depth=1
	s_or_b64 exec, exec, s[2:3]
	s_mov_b32 s52, 0xc0c0004
.LBB141_88:                             ;   in Loop: Header=BB141_31 Depth=1
	v_readlane_b32 s1, v57, 50
	s_lshl_b32 s1, s1, 6
	s_and_saveexec_b64 s[2:3], s[64:65]
	s_cbranch_execz .LBB141_90
; %bb.89:                               ;   in Loop: Header=BB141_31 Depth=1
	v_lshl_add_u32 v2, s1, 3, v39
	ds_write_b128 v2, v[4:7]
	ds_write_b128 v2, v[8:11] offset:16
.LBB141_90:                             ;   in Loop: Header=BB141_31 Depth=1
	s_or_b64 exec, exec, s[2:3]
	s_waitcnt lgkmcnt(0)
	s_barrier
	s_mov_b64 s[2:3], exec
	v_readlane_b32 s4, v57, 16
	v_readlane_b32 s5, v57, 17
	s_and_b64 s[4:5], s[2:3], s[4:5]
	s_mov_b64 exec, s[4:5]
	s_cbranch_execz .LBB141_102
; %bb.91:                               ;   in Loop: Header=BB141_31 Depth=1
	v_readlane_b32 s4, v57, 20
	v_mov_b32_e32 v4, 0
	v_readlane_b32 s5, v57, 21
	v_mov_b32_e32 v5, 0
	s_andn2_b64 vcc, exec, s[4:5]
	s_cbranch_vccnz .LBB141_101
; %bb.92:                               ;   in Loop: Header=BB141_31 Depth=1
	v_readlane_b32 s4, v57, 33
	v_readlane_b32 s5, v57, 34
	s_andn2_b64 vcc, exec, s[4:5]
	s_cbranch_vccnz .LBB141_97
; %bb.93:                               ;   in Loop: Header=BB141_31 Depth=1
	v_readlane_b32 s4, v57, 50
	v_mov_b32_e32 v4, 0
	v_lshl_add_u32 v2, s4, 9, v40
	v_mov_b32_e32 v5, 0
	s_mov_b32 s4, 0
.LBB141_94:                             ;   Parent Loop BB141_31 Depth=1
                                        ; =>  This Inner Loop Header: Depth=2
	ds_read2_b64 v[6:9], v2 offset1:4
	s_add_i32 s4, s4, 8
	s_cmp_eq_u32 s62, s4
	s_waitcnt lgkmcnt(0)
	v_add_co_u32_e32 v4, vcc, v6, v4
	v_addc_co_u32_e32 v5, vcc, v7, v5, vcc
	v_add_co_u32_e32 v8, vcc, v8, v4
	v_addc_co_u32_e32 v9, vcc, v9, v5, vcc
	ds_read2_b64 v[4:7], v2 offset0:8 offset1:12
	s_waitcnt lgkmcnt(0)
	v_add_co_u32_e32 v4, vcc, v4, v8
	v_addc_co_u32_e32 v5, vcc, v5, v9, vcc
	v_add_co_u32_e32 v8, vcc, v6, v4
	v_addc_co_u32_e32 v9, vcc, v7, v5, vcc
	ds_read2_b64 v[4:7], v2 offset0:16 offset1:20
	;; [unrolled: 6-line block ×3, first 2 shown]
	v_add_u32_e32 v2, 0x100, v2
	s_waitcnt lgkmcnt(0)
	v_add_co_u32_e32 v4, vcc, v4, v8
	v_addc_co_u32_e32 v5, vcc, v5, v9, vcc
	v_add_co_u32_e32 v4, vcc, v6, v4
	v_addc_co_u32_e32 v5, vcc, v7, v5, vcc
	s_cbranch_scc0 .LBB141_94
; %bb.95:                               ;   in Loop: Header=BB141_31 Depth=1
	s_mov_b32 s4, s62
	s_branch .LBB141_98
.LBB141_96:                             ;   in Loop: Header=BB141_31 Depth=1
                                        ; implicit-def: $sgpr4_sgpr5
	s_branch .LBB141_66
.LBB141_97:                             ;   in Loop: Header=BB141_31 Depth=1
	v_mov_b32_e32 v4, 0
	v_mov_b32_e32 v5, 0
	s_mov_b32 s4, 0
.LBB141_98:                             ;   in Loop: Header=BB141_31 Depth=1
	v_readlane_b32 s6, v57, 36
	v_readlane_b32 s7, v57, 37
	s_andn2_b64 vcc, exec, s[6:7]
	s_cbranch_vccnz .LBB141_101
; %bb.99:                               ;   in Loop: Header=BB141_31 Depth=1
	v_readlane_b32 s5, v57, 50
	s_lshl_b32 s5, s5, 9
	s_lshl_b32 s4, s4, 5
	s_add_i32 s5, s5, s4
	v_add_u32_e32 v2, s5, v40
	v_readlane_b32 s4, v57, 35
.LBB141_100:                            ;   Parent Loop BB141_31 Depth=1
                                        ; =>  This Inner Loop Header: Depth=2
	ds_read_b64 v[6:7], v2
	s_add_i32 s4, s4, -1
	v_add_u32_e32 v2, 32, v2
	s_cmp_lg_u32 s4, 0
	s_waitcnt lgkmcnt(0)
	v_add_co_u32_e32 v4, vcc, v6, v4
	v_addc_co_u32_e32 v5, vcc, v7, v5, vcc
	s_cbranch_scc1 .LBB141_100
.LBB141_101:                            ;   in Loop: Header=BB141_31 Depth=1
	v_add_lshl_u32 v2, s1, v35, 3
	ds_write_b64 v2, v[4:5] offset:3072
.LBB141_102:                            ;   in Loop: Header=BB141_31 Depth=1
	s_or_b64 exec, exec, s[2:3]
	s_lshl_b32 s1, s1, 3
	v_mov_b32_e32 v2, s1
	s_waitcnt lgkmcnt(0)
	s_barrier
	ds_read_b128 v[4:7], v2 offset:3072
	ds_read_b128 v[8:11], v2 offset:3088
	s_lshl_b32 s1, 3, s63
	s_not_b32 s2, s1
	v_writelane_b32 v57, s2, 58
	v_readlane_b32 s4, v57, 14
	v_cmp_eq_u64_e64 s[18:19], 1, v[26:27]
	v_readlane_b32 s5, v57, 15
	s_waitcnt lgkmcnt(1)
	v_readfirstlane_b32 s23, v5
	v_readfirstlane_b32 s22, v4
	v_readfirstlane_b32 s47, v7
	v_readfirstlane_b32 s46, v6
	s_waitcnt lgkmcnt(0)
	v_readfirstlane_b32 s49, v9
	v_readfirstlane_b32 s48, v8
	;; [unrolled: 1-line block ×4, first 2 shown]
	s_mov_b64 s[2:3], -1
	s_mov_b64 s[24:25], 0
	s_andn2_b64 vcc, exec, s[4:5]
	s_mov_b64 s[40:41], 0
	s_mov_b64 s[20:21], 0
                                        ; implicit-def: $sgpr14_sgpr15
                                        ; implicit-def: $sgpr12_sgpr13
                                        ; implicit-def: $vgpr4_vgpr5
                                        ; implicit-def: $vgpr2
                                        ; implicit-def: $vgpr11
                                        ; implicit-def: $vgpr10
                                        ; implicit-def: $vgpr8
	s_cbranch_vccnz .LBB141_298
; %bb.103:                              ;   in Loop: Header=BB141_31 Depth=1
	s_cmp_eq_u64 s[22:23], 1
	s_cselect_b64 s[2:3], -1, 0
	s_and_b64 s[6:7], s[2:3], s[18:19]
	s_mov_b64 s[4:5], -1
	v_mov_b32_e32 v11, v41
	v_mov_b32_e32 v10, v44
	;; [unrolled: 1-line block ×3, first 2 shown]
                                        ; implicit-def: $sgpr12_sgpr13
                                        ; implicit-def: $sgpr14_sgpr15
	s_and_saveexec_b64 s[2:3], s[6:7]
	s_cbranch_execz .LBB141_138
; %bb.104:                              ;   in Loop: Header=BB141_31 Depth=1
	ds_read_b64 v[4:5], v3 offset:5120
	s_waitcnt lgkmcnt(0)
	s_barrier
	v_readfirstlane_b32 s10, v4
	v_readfirstlane_b32 s11, v5
	s_mov_b64 s[4:5], exec
	v_readlane_b32 s8, v57, 46
	v_readlane_b32 s9, v57, 47
	s_and_b64 s[8:9], s[4:5], s[8:9]
	s_mov_b64 exec, s[8:9]
; %bb.105:                              ;   in Loop: Header=BB141_31 Depth=1
	ds_write_b8 v0, v3 offset:3072
; %bb.106:                              ;   in Loop: Header=BB141_31 Depth=1
	s_or_b64 exec, exec, s[4:5]
	v_readlane_b32 s4, v57, 58
	v_and_b32_e32 v11, s4, v41
	v_or_b32_e32 v10, s1, v44
	s_mov_b64 s[14:15], -1
	s_mov_b64 s[12:13], 0
	s_cmp_eq_u64 s[10:11], 0
	s_mov_b64 s[8:9], 0
	s_mov_b64 s[4:5], -1
	s_waitcnt lgkmcnt(0)
	s_barrier
                                        ; implicit-def: $vgpr8
	s_cbranch_scc1 .LBB141_123
; %bb.107:                              ;   in Loop: Header=BB141_31 Depth=1
	v_readlane_b32 s4, v57, 22
	s_add_u32 s20, s10, s4
	v_readlane_b32 s4, v57, 24
	s_addc_u32 s9, s11, s4
	s_mov_b32 s8, s53
	s_cmp_lg_u64 s[8:9], 0
	s_cbranch_scc0 .LBB141_164
; %bb.108:                              ;   in Loop: Header=BB141_31 Depth=1
	v_cvt_f32_u32_e32 v2, s33
	s_sub_u32 s8, 0, s33
	s_subb_u32 s16, 0, 0
	v_mac_f32_e32 v2, 0, v42
	v_rcp_f32_e32 v2, v2
	v_mul_f32_e32 v2, 0x5f7ffffc, v2
	v_mul_f32_e32 v4, 0x2f800000, v2
	v_trunc_f32_e32 v4, v4
	v_mac_f32_e32 v2, 0xcf800000, v4
	v_cvt_u32_f32_e32 v4, v4
	v_cvt_u32_f32_e32 v2, v2
	v_readfirstlane_b32 s17, v4
	v_readfirstlane_b32 s4, v2
	s_mul_i32 s5, s8, s17
	s_mul_hi_u32 s38, s8, s4
	s_mul_i32 s21, s16, s4
	s_add_i32 s5, s38, s5
	s_mul_i32 s39, s8, s4
	s_add_i32 s5, s5, s21
	s_mul_hi_u32 s38, s4, s39
	s_mul_i32 s40, s4, s5
	s_mul_hi_u32 s21, s4, s5
	s_add_u32 s38, s38, s40
	s_addc_u32 s21, 0, s21
	s_mul_hi_u32 s41, s17, s39
	s_mul_i32 s39, s17, s39
	s_add_u32 s38, s38, s39
	s_mul_hi_u32 s40, s17, s5
	s_addc_u32 s21, s21, s41
	s_addc_u32 s38, s40, 0
	s_mul_i32 s5, s17, s5
	s_add_u32 s5, s21, s5
	s_addc_u32 s21, 0, s38
	s_add_u32 s38, s4, s5
	s_cselect_b64 s[4:5], -1, 0
	s_cmp_lg_u64 s[4:5], 0
	s_addc_u32 s17, s17, s21
	s_mul_i32 s4, s8, s17
	s_mul_hi_u32 s5, s8, s38
	s_add_i32 s4, s5, s4
	s_mul_i32 s16, s16, s38
	s_add_i32 s4, s4, s16
	s_mul_i32 s8, s8, s38
	s_mul_hi_u32 s16, s17, s8
	s_mul_i32 s21, s17, s8
	s_mul_i32 s40, s38, s4
	s_mul_hi_u32 s8, s38, s8
	s_mul_hi_u32 s39, s38, s4
	s_add_u32 s8, s8, s40
	s_addc_u32 s39, 0, s39
	s_add_u32 s8, s8, s21
	s_mul_hi_u32 s5, s17, s4
	s_addc_u32 s8, s39, s16
	s_addc_u32 s5, s5, 0
	s_mul_i32 s4, s17, s4
	s_add_u32 s4, s8, s4
	s_addc_u32 s8, 0, s5
	s_add_u32 s16, s38, s4
	s_cselect_b64 s[4:5], -1, 0
	s_cmp_lg_u64 s[4:5], 0
	s_addc_u32 s4, s17, s8
	s_mul_i32 s8, s20, s4
	s_mul_hi_u32 s17, s20, s16
	s_mul_hi_u32 s5, s20, s4
	s_add_u32 s8, s17, s8
	s_addc_u32 s5, 0, s5
	s_mul_hi_u32 s21, s9, s16
	s_mul_i32 s16, s9, s16
	s_add_u32 s8, s8, s16
	s_mul_hi_u32 s17, s9, s4
	s_addc_u32 s5, s5, s21
	s_addc_u32 s8, s17, 0
	s_mul_i32 s4, s9, s4
	s_add_u32 s4, s5, s4
	s_addc_u32 s5, 0, s8
	s_mul_i32 s5, s33, s5
	s_mul_hi_u32 s8, s33, s4
	s_add_i32 s8, s8, s5
	s_mul_i32 s4, s33, s4
	s_sub_u32 s16, s20, s4
	s_cselect_b64 s[4:5], -1, 0
	s_cmp_lg_u64 s[4:5], 0
	s_subb_u32 s8, s9, s8
	s_sub_u32 s17, s16, s33
	s_cselect_b64 s[4:5], -1, 0
	s_cmp_lg_u64 s[4:5], 0
	s_subb_u32 s21, s8, 0
	;; [unrolled: 4-line block ×3, first 2 shown]
	s_cmp_ge_u32 s17, s33
	s_cselect_b32 s5, -1, 0
	s_cmp_eq_u32 s21, 0
	s_cselect_b32 s5, s5, -1
	s_cmp_lg_u32 s5, 0
	s_cselect_b32 s4, s4, s21
	s_cselect_b32 s17, s38, s17
	s_cmp_ge_u32 s16, s33
	s_cselect_b32 s5, -1, 0
	s_cmp_eq_u32 s8, 0
	s_cselect_b32 s5, s5, -1
	s_cmp_lg_u32 s5, 0
	s_cselect_b32 s5, s4, s8
	s_cselect_b32 s4, s17, s16
	s_cbranch_execnz .LBB141_110
.LBB141_109:                            ;   in Loop: Header=BB141_31 Depth=1
	v_cvt_f32_u32_e32 v2, s33
	s_sub_i32 s4, 0, s33
	v_rcp_iflag_f32_e32 v2, v2
	v_mul_f32_e32 v2, 0x4f7ffffe, v2
	v_cvt_u32_f32_e32 v2, v2
	v_readfirstlane_b32 s5, v2
	s_mul_i32 s4, s4, s5
	s_mul_hi_u32 s4, s5, s4
	s_add_i32 s5, s5, s4
	s_mul_hi_u32 s4, s20, s5
	s_mul_i32 s4, s4, s33
	s_sub_i32 s4, s20, s4
	s_sub_i32 s5, s4, s33
	s_cmp_ge_u32 s4, s33
	s_cselect_b32 s4, s5, s4
	s_sub_i32 s5, s4, s33
	s_cmp_ge_u32 s4, s33
	s_cselect_b32 s52, s5, s4
	s_mov_b64 s[4:5], s[52:53]
	s_mov_b32 s52, 0xc0c0004
.LBB141_110:                            ;   in Loop: Header=BB141_31 Depth=1
	s_sub_u32 s20, s20, s4
	s_subb_u32 s21, s9, s5
	v_cmp_gt_u64_e32 vcc, s[20:21], v[0:1]
	s_mov_b64 s[4:5], 0
	s_mov_b64 s[8:9], 0
                                        ; implicit-def: $vgpr8
	s_and_saveexec_b64 s[16:17], vcc
	s_cbranch_execz .LBB141_122
; %bb.111:                              ;   in Loop: Header=BB141_31 Depth=1
	v_mov_b32_e32 v5, v1
	v_mov_b32_e32 v2, v0
	;; [unrolled: 1-line block ×3, first 2 shown]
                                        ; implicit-def: $sgpr38_sgpr39
	s_branch .LBB141_114
.LBB141_112:                            ;   in Loop: Header=BB141_114 Depth=2
	s_or_b64 exec, exec, s[40:41]
	s_waitcnt lgkmcnt(0)
	s_barrier
	ds_read_u16 v6, v3 offset:3072
	s_mov_b64 s[40:41], -1
	s_waitcnt lgkmcnt(0)
	s_barrier
	v_cmp_ne_u32_sdwa s[56:57], v6, v3 src0_sel:BYTE_0 src1_sel:DWORD
	s_and_b64 vcc, exec, s[56:57]
	s_mov_b64 s[56:57], -1
	s_cbranch_vccz .LBB141_117
.LBB141_113:                            ;   in Loop: Header=BB141_114 Depth=2
	s_and_b64 s[40:41], exec, s[40:41]
	s_or_b64 s[8:9], s[40:41], s[8:9]
	s_andn2_b64 s[38:39], s[38:39], exec
	s_and_b64 s[40:41], s[56:57], exec
	s_or_b64 s[38:39], s[38:39], s[40:41]
	s_andn2_b64 exec, exec, s[8:9]
	s_cbranch_execz .LBB141_121
.LBB141_114:                            ;   Parent Loop BB141_31 Depth=1
                                        ; =>  This Inner Loop Header: Depth=2
	v_cmp_gt_u64_e32 vcc, s[10:11], v[4:5]
	s_and_saveexec_b64 s[40:41], vcc
	s_cbranch_execz .LBB141_112
; %bb.115:                              ;   in Loop: Header=BB141_114 Depth=2
	ds_read_u8 v6, v2
	s_waitcnt lgkmcnt(0)
	v_add_u32_sdwa v7, sext(v6), s0 dst_sel:DWORD dst_unused:UNUSED_PAD src0_sel:BYTE_0 src1_sel:DWORD
	v_and_b32_e32 v7, v7, v10
	v_cmp_eq_u32_e32 vcc, v7, v11
	s_and_b64 exec, exec, vcc
	s_cbranch_execz .LBB141_112
; %bb.116:                              ;   in Loop: Header=BB141_114 Depth=2
	v_lshlrev_b16_e32 v6, 8, v6
	v_or_b32_e32 v6, 1, v6
	ds_write_b16 v3, v6 offset:3072
	s_branch .LBB141_112
.LBB141_117:                            ;   in Loop: Header=BB141_114 Depth=2
	v_add_co_u32_e32 v4, vcc, s33, v4
	v_addc_co_u32_e32 v5, vcc, 0, v5, vcc
	v_cmp_le_u64_e32 vcc, s[20:21], v[4:5]
	v_add_u32_e32 v2, s33, v2
	s_mov_b64 s[56:57], 0
	s_orn2_b64 s[40:41], vcc, exec
	s_branch .LBB141_113
.LBB141_118:                            ;   in Loop: Header=BB141_31 Depth=1
	s_or_b64 exec, exec, s[6:7]
	s_waitcnt lgkmcnt(0)
	s_barrier
	s_mov_b64 s[4:5], exec
	v_readlane_b32 s6, v57, 8
	v_readlane_b32 s7, v57, 9
	s_and_b64 s[6:7], s[4:5], s[6:7]
	s_mov_b64 exec, s[6:7]
	s_cbranch_execz .LBB141_120
; %bb.119:                              ;   in Loop: Header=BB141_31 Depth=1
	ds_read_b32 v4, v3 offset:5144
	s_waitcnt lgkmcnt(0)
	v_ashrrev_i32_e32 v5, 31, v4
	ds_write_b64 v3, v[4:5] offset:5120
.LBB141_120:                            ;   in Loop: Header=BB141_31 Depth=1
	s_or_b64 exec, exec, s[4:5]
	s_waitcnt lgkmcnt(0)
	s_barrier
	s_mov_b64 s[4:5], -1
	s_and_b64 vcc, exec, s[2:3]
	s_cbranch_vccnz .LBB141_46
	s_branch .LBB141_61
.LBB141_121:                            ;   in Loop: Header=BB141_31 Depth=1
	s_or_b64 exec, exec, s[8:9]
	v_lshrrev_b32_sdwa v8, v43, v6 dst_sel:DWORD dst_unused:UNUSED_PAD src0_sel:DWORD src1_sel:WORD_0
	s_and_b64 s[8:9], s[38:39], exec
.LBB141_122:                            ;   in Loop: Header=BB141_31 Depth=1
	s_or_b64 exec, exec, s[16:17]
.LBB141_123:                            ;   in Loop: Header=BB141_31 Depth=1
	s_and_b64 vcc, exec, s[4:5]
	s_cbranch_vccz .LBB141_137
; %bb.124:                              ;   in Loop: Header=BB141_31 Depth=1
	v_readlane_b32 s20, v57, 25
	v_readlane_b32 s21, v57, 26
	s_mov_b32 s20, s53
	s_cmp_lg_u64 s[20:21], 0
	v_writelane_b32 v57, s20, 25
	v_writelane_b32 v57, s21, 26
	s_cbranch_scc0 .LBB141_165
; %bb.125:                              ;   in Loop: Header=BB141_31 Depth=1
	v_cvt_f32_u32_e32 v2, s33
	s_sub_u32 s10, 0, s33
	s_subb_u32 s11, 0, 0
	v_mac_f32_e32 v2, 0, v42
	v_rcp_f32_e32 v2, v2
	v_mul_f32_e32 v2, 0x5f7ffffc, v2
	v_mul_f32_e32 v4, 0x2f800000, v2
	v_trunc_f32_e32 v4, v4
	v_mac_f32_e32 v2, 0xcf800000, v4
	v_cvt_u32_f32_e32 v4, v4
	v_cvt_u32_f32_e32 v2, v2
	v_readfirstlane_b32 s12, v4
	v_readfirstlane_b32 s4, v2
	s_mul_i32 s5, s10, s12
	s_mul_hi_u32 s14, s10, s4
	s_mul_i32 s13, s11, s4
	s_add_i32 s5, s14, s5
	s_mul_i32 s15, s10, s4
	s_add_i32 s5, s5, s13
	s_mul_hi_u32 s14, s4, s15
	s_mul_i32 s16, s4, s5
	s_mul_hi_u32 s13, s4, s5
	s_add_u32 s14, s14, s16
	s_addc_u32 s13, 0, s13
	s_mul_hi_u32 s17, s12, s15
	s_mul_i32 s15, s12, s15
	s_add_u32 s14, s14, s15
	s_mul_hi_u32 s16, s12, s5
	s_addc_u32 s13, s13, s17
	s_addc_u32 s14, s16, 0
	s_mul_i32 s5, s12, s5
	s_add_u32 s5, s13, s5
	s_addc_u32 s13, 0, s14
	s_add_u32 s14, s4, s5
	s_cselect_b64 s[4:5], -1, 0
	s_cmp_lg_u64 s[4:5], 0
	s_addc_u32 s12, s12, s13
	s_mul_i32 s4, s10, s12
	s_mul_hi_u32 s5, s10, s14
	s_add_i32 s4, s5, s4
	s_mul_i32 s11, s11, s14
	s_add_i32 s4, s4, s11
	s_mul_i32 s10, s10, s14
	s_mul_hi_u32 s11, s12, s10
	s_mul_i32 s13, s12, s10
	s_mul_i32 s16, s14, s4
	s_mul_hi_u32 s10, s14, s10
	s_mul_hi_u32 s15, s14, s4
	s_add_u32 s10, s10, s16
	s_addc_u32 s15, 0, s15
	s_add_u32 s10, s10, s13
	s_mul_hi_u32 s5, s12, s4
	s_addc_u32 s10, s15, s11
	s_addc_u32 s5, s5, 0
	s_mul_i32 s4, s12, s4
	s_add_u32 s4, s10, s4
	s_addc_u32 s10, 0, s5
	s_add_u32 s11, s14, s4
	s_cselect_b64 s[4:5], -1, 0
	s_cmp_lg_u64 s[4:5], 0
	s_addc_u32 s4, s12, s10
	v_readlane_b32 s14, v57, 23
	s_mul_i32 s10, s14, s4
	s_mul_hi_u32 s12, s14, s11
	s_mul_hi_u32 s5, s14, s4
	s_add_u32 s10, s12, s10
	s_addc_u32 s5, 0, s5
	s_mul_hi_u32 s13, s21, s11
	s_mul_i32 s11, s21, s11
	s_add_u32 s10, s10, s11
	s_mul_hi_u32 s12, s21, s4
	s_addc_u32 s5, s5, s13
	s_addc_u32 s10, s12, 0
	s_mul_i32 s4, s21, s4
	s_add_u32 s4, s5, s4
	s_addc_u32 s5, 0, s10
	s_mul_i32 s5, s33, s5
	s_mul_hi_u32 s10, s33, s4
	s_add_i32 s10, s10, s5
	s_mul_i32 s4, s33, s4
	s_sub_u32 s11, s14, s4
	s_cselect_b64 s[4:5], -1, 0
	s_cmp_lg_u64 s[4:5], 0
	s_subb_u32 s10, s21, s10
	s_sub_u32 s12, s11, s33
	s_cselect_b64 s[4:5], -1, 0
	s_cmp_lg_u64 s[4:5], 0
	s_subb_u32 s13, s10, 0
	s_sub_u32 s14, s12, s33
	s_cselect_b64 s[4:5], -1, 0
	s_cmp_lg_u64 s[4:5], 0
	s_subb_u32 s4, s13, 0
	s_cmp_ge_u32 s12, s33
	s_cselect_b32 s5, -1, 0
	s_cmp_eq_u32 s13, 0
	s_cselect_b32 s5, s5, -1
	s_cmp_lg_u32 s5, 0
	s_cselect_b32 s4, s4, s13
	s_cselect_b32 s12, s14, s12
	s_cmp_ge_u32 s11, s33
	s_cselect_b32 s5, -1, 0
	s_cmp_eq_u32 s10, 0
	s_cselect_b32 s5, s5, -1
	s_cmp_lg_u32 s5, 0
	s_cselect_b32 s5, s4, s10
	s_cselect_b32 s4, s12, s11
	s_cbranch_execnz .LBB141_127
.LBB141_126:                            ;   in Loop: Header=BB141_31 Depth=1
	v_cvt_f32_u32_e32 v2, s33
	s_sub_i32 s4, 0, s33
	v_readlane_b32 s10, v57, 23
	v_rcp_iflag_f32_e32 v2, v2
	v_mul_f32_e32 v2, 0x4f7ffffe, v2
	v_cvt_u32_f32_e32 v2, v2
	v_readfirstlane_b32 s5, v2
	s_mul_i32 s4, s4, s5
	s_mul_hi_u32 s4, s5, s4
	s_add_i32 s5, s5, s4
	s_mul_hi_u32 s4, s10, s5
	s_mul_i32 s4, s4, s33
	s_sub_i32 s4, s10, s4
	s_sub_i32 s5, s4, s33
	s_cmp_ge_u32 s4, s33
	s_cselect_b32 s4, s5, s4
	s_sub_i32 s5, s4, s33
	s_cmp_ge_u32 s4, s33
	s_cselect_b32 s52, s5, s4
	s_mov_b64 s[4:5], s[52:53]
	s_mov_b32 s52, 0xc0c0004
.LBB141_127:                            ;   in Loop: Header=BB141_31 Depth=1
	v_readlane_b32 s10, v57, 23
	v_readlane_b32 s12, v57, 25
	s_sub_u32 s10, s10, s4
	v_readlane_b32 s13, v57, 26
	s_subb_u32 s11, s13, s5
	v_cmp_gt_u64_e32 vcc, s[10:11], v[0:1]
                                        ; implicit-def: $vgpr8
	s_and_saveexec_b64 s[4:5], vcc
	s_cbranch_execz .LBB141_136
; %bb.128:                              ;   in Loop: Header=BB141_31 Depth=1
	v_mov_b32_e32 v4, v21
	v_mov_b32_e32 v7, v1
	s_mov_b64 s[12:13], 0
	v_mov_b32_e32 v5, v22
	v_mov_b32_e32 v6, v0
                                        ; implicit-def: $sgpr14_sgpr15
	s_branch .LBB141_131
.LBB141_129:                            ;   in Loop: Header=BB141_131 Depth=2
	s_or_b64 exec, exec, s[16:17]
	s_waitcnt lgkmcnt(0)
	s_barrier
	ds_read_u16 v2, v3 offset:3072
	s_mov_b64 s[16:17], -1
	s_waitcnt lgkmcnt(0)
	s_barrier
	v_cmp_ne_u32_sdwa s[20:21], v2, v3 src0_sel:BYTE_0 src1_sel:DWORD
	s_and_b64 vcc, exec, s[20:21]
	s_mov_b64 s[20:21], -1
	s_cbranch_vccz .LBB141_134
.LBB141_130:                            ;   in Loop: Header=BB141_131 Depth=2
	s_and_b64 s[16:17], exec, s[16:17]
	s_or_b64 s[12:13], s[16:17], s[12:13]
	s_andn2_b64 s[14:15], s[14:15], exec
	s_and_b64 s[16:17], s[20:21], exec
	s_or_b64 s[14:15], s[14:15], s[16:17]
	s_andn2_b64 exec, exec, s[12:13]
	s_cbranch_execz .LBB141_135
.LBB141_131:                            ;   Parent Loop BB141_31 Depth=1
                                        ; =>  This Inner Loop Header: Depth=2
	v_cmp_gt_u64_e32 vcc, s[28:29], v[6:7]
	s_and_saveexec_b64 s[16:17], vcc
	s_cbranch_execz .LBB141_129
; %bb.132:                              ;   in Loop: Header=BB141_131 Depth=2
	global_load_ubyte v2, v[4:5], off
	s_waitcnt vmcnt(0)
	v_add_u32_sdwa v8, sext(v2), s0 dst_sel:DWORD dst_unused:UNUSED_PAD src0_sel:BYTE_0 src1_sel:DWORD
	v_and_b32_e32 v8, v8, v10
	v_cmp_eq_u32_e32 vcc, v8, v11
	s_and_b64 exec, exec, vcc
	s_cbranch_execz .LBB141_129
; %bb.133:                              ;   in Loop: Header=BB141_131 Depth=2
	v_lshlrev_b16_e32 v2, 8, v2
	v_or_b32_e32 v2, 1, v2
	ds_write_b16 v3, v2 offset:3072
	s_branch .LBB141_129
.LBB141_134:                            ;   in Loop: Header=BB141_131 Depth=2
	v_add_co_u32_e32 v6, vcc, s33, v6
	v_addc_co_u32_e32 v7, vcc, 0, v7, vcc
	v_mov_b32_e32 v8, s59
	v_add_co_u32_e32 v4, vcc, s58, v4
	v_addc_co_u32_e32 v5, vcc, v5, v8, vcc
	v_cmp_le_u64_e32 vcc, s[10:11], v[6:7]
	s_mov_b64 s[20:21], 0
	s_orn2_b64 s[16:17], vcc, exec
	s_branch .LBB141_130
.LBB141_135:                            ;   in Loop: Header=BB141_31 Depth=1
	s_or_b64 exec, exec, s[12:13]
	s_andn2_b64 s[8:9], s[8:9], exec
	s_and_b64 s[10:11], s[14:15], exec
	v_lshrrev_b32_sdwa v8, v43, v2 dst_sel:DWORD dst_unused:UNUSED_PAD src0_sel:DWORD src1_sel:WORD_0
	s_or_b64 s[8:9], s[8:9], s[10:11]
.LBB141_136:                            ;   in Loop: Header=BB141_31 Depth=1
	s_or_b64 exec, exec, s[4:5]
	s_mov_b64 s[14:15], 0
	s_mov_b64 s[12:13], -1
.LBB141_137:                            ;   in Loop: Header=BB141_31 Depth=1
	s_orn2_b64 s[4:5], s[8:9], exec
.LBB141_138:                            ;   in Loop: Header=BB141_31 Depth=1
	s_or_b64 exec, exec, s[2:3]
	s_mov_b64 s[2:3], 0
	s_mov_b64 s[40:41], 0
	;; [unrolled: 1-line block ×3, first 2 shown]
                                        ; implicit-def: $vgpr4_vgpr5
                                        ; implicit-def: $vgpr2
	s_and_saveexec_b64 s[38:39], s[4:5]
	s_cbranch_execz .LBB141_297
; %bb.139:                              ;   in Loop: Header=BB141_31 Depth=1
	v_mov_b32_e32 v4, 1
	s_xor_b64 s[4:5], s[6:7], -1
	v_mov_b32_e32 v2, 1
	v_mov_b32_e32 v5, 0
	s_mov_b64 s[8:9], 0
	s_and_saveexec_b64 s[6:7], s[4:5]
	s_cbranch_execz .LBB141_148
; %bb.140:                              ;   in Loop: Header=BB141_31 Depth=1
	v_cmp_ge_u64_e32 vcc, s[22:23], v[26:27]
	s_and_saveexec_b64 s[4:5], vcc
	s_xor_b64 s[4:5], exec, s[4:5]
	s_cbranch_execz .LBB141_145
; %bb.141:                              ;   in Loop: Header=BB141_31 Depth=1
	ds_read_b64 v[4:5], v3 offset:5120
	v_readlane_b32 s8, v57, 58
	v_and_b32_e32 v11, s8, v11
	v_or_b32_e32 v10, s1, v10
	s_waitcnt lgkmcnt(0)
	v_cmp_ne_u64_e32 vcc, 0, v[4:5]
	s_cbranch_vccnz .LBB141_145
; %bb.142:                              ;   in Loop: Header=BB141_31 Depth=1
	s_mov_b64 s[8:9], exec
	v_readlane_b32 s10, v57, 8
	v_readlane_b32 s11, v57, 9
	s_and_b64 s[10:11], s[8:9], s[10:11]
	s_mov_b64 exec, s[10:11]
; %bb.143:                              ;   in Loop: Header=BB141_31 Depth=1
	v_mov_b32_e32 v4, s22
	v_mov_b32_e32 v5, s23
	ds_write_b64 v3, v[4:5] offset:5128
; %bb.144:                              ;   in Loop: Header=BB141_31 Depth=1
	s_or_b64 exec, exec, s[8:9]
	s_waitcnt lgkmcnt(0)
	s_barrier
.LBB141_145:                            ;   in Loop: Header=BB141_31 Depth=1
	s_or_saveexec_b64 s[4:5], s[4:5]
	v_mov_b32_e32 v4, v26
	s_mov_b64 s[8:9], 0
	v_mov_b32_e32 v2, 8
	v_mov_b32_e32 v5, v27
	s_xor_b64 exec, exec, s[4:5]
; %bb.146:                              ;   in Loop: Header=BB141_31 Depth=1
	v_subrev_co_u32_e32 v4, vcc, s22, v26
	v_mov_b32_e32 v2, s23
	v_subb_co_u32_e32 v5, vcc, v27, v2, vcc
	v_mov_b32_e32 v2, 0
	s_mov_b64 s[8:9], exec
; %bb.147:                              ;   in Loop: Header=BB141_31 Depth=1
	s_or_b64 exec, exec, s[4:5]
	s_and_b64 s[8:9], s[8:9], exec
.LBB141_148:                            ;   in Loop: Header=BB141_31 Depth=1
	s_or_b64 exec, exec, s[6:7]
	s_mov_b64 s[4:5], -1
                                        ; implicit-def: $sgpr40_sgpr41
                                        ; implicit-def: $sgpr6_sgpr7
	s_and_saveexec_b64 s[10:11], s[8:9]
	s_xor_b64 s[20:21], exec, s[10:11]
	s_cbranch_execz .LBB141_294
; %bb.149:                              ;   in Loop: Header=BB141_31 Depth=1
	s_cmp_eq_u64 s[46:47], 1
	v_cmp_eq_u64_e32 vcc, 1, v[4:5]
	s_cselect_b64 s[4:5], -1, 0
	s_and_b64 s[8:9], s[4:5], vcc
	s_mov_b64 s[4:5], -1
                                        ; implicit-def: $sgpr6_sgpr7
                                        ; implicit-def: $sgpr40_sgpr41
	s_and_saveexec_b64 s[10:11], s[8:9]
	s_cbranch_execz .LBB141_183
; %bb.150:                              ;   in Loop: Header=BB141_31 Depth=1
	ds_read_b64 v[6:7], v3 offset:5120
	s_waitcnt lgkmcnt(0)
	s_barrier
	v_readfirstlane_b32 s16, v6
	v_readfirstlane_b32 s17, v7
	s_mov_b64 s[4:5], exec
	v_readlane_b32 s6, v57, 46
	v_readlane_b32 s7, v57, 47
	s_and_b64 s[6:7], s[4:5], s[6:7]
	s_mov_b64 exec, s[6:7]
; %bb.151:                              ;   in Loop: Header=BB141_31 Depth=1
	ds_write_b8 v0, v3 offset:3072
; %bb.152:                              ;   in Loop: Header=BB141_31 Depth=1
	s_or_b64 exec, exec, s[4:5]
	v_readlane_b32 s4, v57, 58
	v_and_b32_e32 v6, s4, v11
	v_lshl_or_b32 v11, 1, s63, v6
	v_or_b32_e32 v10, s1, v10
	s_mov_b64 s[40:41], -1
	s_mov_b64 s[6:7], 0
	s_cmp_eq_u64 s[16:17], 0
	s_mov_b64 s[60:61], 0
	s_mov_b64 s[66:67], -1
	s_waitcnt lgkmcnt(0)
	s_barrier
                                        ; implicit-def: $vgpr8
	s_cbranch_scc1 .LBB141_168
; %bb.153:                              ;   in Loop: Header=BB141_31 Depth=1
	v_readlane_b32 s4, v57, 22
	s_add_u32 s58, s16, s4
	v_readlane_b32 s4, v57, 24
	s_addc_u32 s61, s17, s4
	s_mov_b32 s60, s53
	s_mov_b64 s[70:71], s[64:65]
	s_cmp_lg_u64 s[60:61], 0
	s_cbranch_scc0 .LBB141_209
; %bb.154:                              ;   in Loop: Header=BB141_31 Depth=1
	v_cvt_f32_u32_e32 v6, s33
	s_sub_u32 s52, 0, s33
	s_subb_u32 s56, 0, 0
	v_mac_f32_e32 v6, 0, v42
	v_rcp_f32_e32 v6, v6
	v_mul_f32_e32 v6, 0x5f7ffffc, v6
	v_mul_f32_e32 v7, 0x2f800000, v6
	v_trunc_f32_e32 v7, v7
	v_mac_f32_e32 v6, 0xcf800000, v7
	v_cvt_u32_f32_e32 v7, v7
	v_cvt_u32_f32_e32 v6, v6
	v_readfirstlane_b32 s57, v7
	v_readfirstlane_b32 s4, v6
	s_mul_i32 s5, s52, s57
	s_mul_hi_u32 s60, s52, s4
	s_mul_i32 s59, s56, s4
	s_add_i32 s5, s60, s5
	s_mul_i32 s64, s52, s4
	s_add_i32 s5, s5, s59
	s_mul_hi_u32 s60, s4, s64
	s_mul_i32 s65, s4, s5
	s_mul_hi_u32 s59, s4, s5
	s_add_u32 s60, s60, s65
	s_addc_u32 s59, 0, s59
	s_mul_hi_u32 s66, s57, s64
	s_mul_i32 s64, s57, s64
	s_add_u32 s60, s60, s64
	s_mul_hi_u32 s65, s57, s5
	s_addc_u32 s59, s59, s66
	s_addc_u32 s60, s65, 0
	s_mul_i32 s5, s57, s5
	s_add_u32 s5, s59, s5
	s_addc_u32 s59, 0, s60
	s_add_u32 s60, s4, s5
	s_cselect_b64 s[4:5], -1, 0
	s_cmp_lg_u64 s[4:5], 0
	s_addc_u32 s57, s57, s59
	s_mul_i32 s4, s52, s57
	s_mul_hi_u32 s5, s52, s60
	s_add_i32 s4, s5, s4
	s_mul_i32 s56, s56, s60
	s_add_i32 s4, s4, s56
	s_mul_i32 s52, s52, s60
	s_mul_hi_u32 s56, s57, s52
	s_mul_i32 s59, s57, s52
	s_mul_i32 s65, s60, s4
	s_mul_hi_u32 s52, s60, s52
	s_mul_hi_u32 s64, s60, s4
	s_add_u32 s52, s52, s65
	s_addc_u32 s64, 0, s64
	s_add_u32 s52, s52, s59
	s_mul_hi_u32 s5, s57, s4
	s_addc_u32 s52, s64, s56
	s_addc_u32 s5, s5, 0
	s_mul_i32 s4, s57, s4
	s_add_u32 s4, s52, s4
	s_addc_u32 s52, 0, s5
	s_add_u32 s56, s60, s4
	s_cselect_b64 s[4:5], -1, 0
	s_cmp_lg_u64 s[4:5], 0
	s_addc_u32 s4, s57, s52
	s_mul_i32 s52, s58, s4
	s_mul_hi_u32 s57, s58, s56
	s_mul_hi_u32 s5, s58, s4
	s_add_u32 s52, s57, s52
	s_addc_u32 s5, 0, s5
	s_mul_hi_u32 s59, s61, s56
	s_mul_i32 s56, s61, s56
	s_add_u32 s52, s52, s56
	s_mul_hi_u32 s57, s61, s4
	s_addc_u32 s5, s5, s59
	s_addc_u32 s52, s57, 0
	s_mul_i32 s4, s61, s4
	s_add_u32 s4, s5, s4
	s_addc_u32 s5, 0, s52
	s_mul_i32 s5, s33, s5
	s_mul_hi_u32 s52, s33, s4
	s_add_i32 s52, s52, s5
	s_mul_i32 s4, s33, s4
	s_sub_u32 s56, s58, s4
	s_cselect_b64 s[4:5], -1, 0
	s_cmp_lg_u64 s[4:5], 0
	s_subb_u32 s52, s61, s52
	s_sub_u32 s57, s56, s33
	s_cselect_b64 s[4:5], -1, 0
	s_cmp_lg_u64 s[4:5], 0
	s_subb_u32 s59, s52, 0
	;; [unrolled: 4-line block ×3, first 2 shown]
	s_cmp_ge_u32 s57, s33
	s_cselect_b32 s5, -1, 0
	s_cmp_eq_u32 s59, 0
	s_cselect_b32 s5, s5, -1
	s_cmp_lg_u32 s5, 0
	s_cselect_b32 s4, s4, s59
	s_cselect_b32 s57, s60, s57
	s_cmp_ge_u32 s56, s33
	s_cselect_b32 s5, -1, 0
	s_cmp_eq_u32 s52, 0
	s_cselect_b32 s5, s5, -1
	s_cmp_lg_u32 s5, 0
	s_cselect_b32 s5, s4, s52
	s_cselect_b32 s4, s57, s56
	s_cbranch_execnz .LBB141_156
.LBB141_155:                            ;   in Loop: Header=BB141_31 Depth=1
	v_cvt_f32_u32_e32 v6, s33
	s_sub_i32 s4, 0, s33
	v_rcp_iflag_f32_e32 v6, v6
	v_mul_f32_e32 v6, 0x4f7ffffe, v6
	v_cvt_u32_f32_e32 v6, v6
	v_readfirstlane_b32 s5, v6
	s_mul_i32 s4, s4, s5
	s_mul_hi_u32 s4, s5, s4
	s_add_i32 s5, s5, s4
	s_mul_hi_u32 s4, s58, s5
	s_mul_i32 s4, s4, s33
	s_sub_i32 s4, s58, s4
	s_sub_i32 s5, s4, s33
	s_cmp_ge_u32 s4, s33
	s_cselect_b32 s4, s5, s4
	s_sub_i32 s5, s4, s33
	s_cmp_ge_u32 s4, s33
	s_cselect_b32 s52, s5, s4
	s_mov_b64 s[4:5], s[52:53]
.LBB141_156:                            ;   in Loop: Header=BB141_31 Depth=1
	s_sub_u32 s68, s58, s4
	s_subb_u32 s69, s61, s5
	v_cmp_gt_u64_e32 vcc, s[68:69], v[0:1]
	s_mov_b64 s[66:67], 0
	s_mov_b64 s[60:61], 0
                                        ; implicit-def: $vgpr8
	s_and_saveexec_b64 s[4:5], vcc
	s_mov_b64 s[64:65], s[70:71]
	s_mov_b32 s52, 0xc0c0004
	s_cbranch_execz .LBB141_167
; %bb.157:                              ;   in Loop: Header=BB141_31 Depth=1
	v_mov_b32_e32 v7, v1
	v_mov_b32_e32 v8, v0
	;; [unrolled: 1-line block ×3, first 2 shown]
                                        ; implicit-def: $sgpr70_sgpr71
	s_branch .LBB141_160
.LBB141_158:                            ;   in Loop: Header=BB141_160 Depth=2
	s_or_b64 exec, exec, s[56:57]
	s_waitcnt lgkmcnt(0)
	s_barrier
	ds_read_u16 v9, v3 offset:3072
	s_mov_b64 s[56:57], -1
	s_waitcnt lgkmcnt(0)
	s_barrier
	v_cmp_ne_u32_sdwa s[58:59], v9, v3 src0_sel:BYTE_0 src1_sel:DWORD
	s_and_b64 vcc, exec, s[58:59]
	s_mov_b64 s[58:59], -1
	s_cbranch_vccz .LBB141_163
.LBB141_159:                            ;   in Loop: Header=BB141_160 Depth=2
	s_and_b64 s[56:57], exec, s[56:57]
	s_or_b64 s[60:61], s[56:57], s[60:61]
	s_andn2_b64 s[56:57], s[70:71], exec
	s_and_b64 s[58:59], s[58:59], exec
	s_or_b64 s[70:71], s[56:57], s[58:59]
	s_andn2_b64 exec, exec, s[60:61]
	s_cbranch_execz .LBB141_166
.LBB141_160:                            ;   Parent Loop BB141_31 Depth=1
                                        ; =>  This Inner Loop Header: Depth=2
	v_cmp_gt_u64_e32 vcc, s[16:17], v[6:7]
	s_and_saveexec_b64 s[56:57], vcc
	s_cbranch_execz .LBB141_158
; %bb.161:                              ;   in Loop: Header=BB141_160 Depth=2
	ds_read_u8 v9, v8
	s_waitcnt lgkmcnt(0)
	v_add_u32_sdwa v28, sext(v9), s0 dst_sel:DWORD dst_unused:UNUSED_PAD src0_sel:BYTE_0 src1_sel:DWORD
	v_and_b32_e32 v28, v28, v10
	v_cmp_eq_u32_e32 vcc, v28, v11
	s_and_b64 exec, exec, vcc
	s_cbranch_execz .LBB141_158
; %bb.162:                              ;   in Loop: Header=BB141_160 Depth=2
	v_lshlrev_b16_e32 v9, 8, v9
	v_or_b32_e32 v9, 1, v9
	ds_write_b16 v3, v9 offset:3072
	s_branch .LBB141_158
.LBB141_163:                            ;   in Loop: Header=BB141_160 Depth=2
	v_add_co_u32_e32 v6, vcc, s33, v6
	v_addc_co_u32_e32 v7, vcc, 0, v7, vcc
	v_cmp_le_u64_e32 vcc, s[68:69], v[6:7]
	v_add_u32_e32 v8, s33, v8
	s_mov_b64 s[58:59], 0
	s_orn2_b64 s[56:57], vcc, exec
	s_branch .LBB141_159
.LBB141_164:                            ;   in Loop: Header=BB141_31 Depth=1
                                        ; implicit-def: $sgpr4_sgpr5
	s_branch .LBB141_109
.LBB141_165:                            ;   in Loop: Header=BB141_31 Depth=1
                                        ; implicit-def: $sgpr4_sgpr5
	s_branch .LBB141_126
.LBB141_166:                            ;   in Loop: Header=BB141_31 Depth=1
	s_or_b64 exec, exec, s[60:61]
	v_lshrrev_b32_sdwa v8, v43, v9 dst_sel:DWORD dst_unused:UNUSED_PAD src0_sel:DWORD src1_sel:WORD_0
	s_and_b64 s[60:61], s[70:71], exec
.LBB141_167:                            ;   in Loop: Header=BB141_31 Depth=1
	s_or_b64 exec, exec, s[4:5]
	v_readlane_b32 s59, v57, 51
	s_mul_i32 s58, s26, s33
.LBB141_168:                            ;   in Loop: Header=BB141_31 Depth=1
	s_and_b64 vcc, exec, s[66:67]
	s_cbranch_vccz .LBB141_182
; %bb.169:                              ;   in Loop: Header=BB141_31 Depth=1
	v_readlane_b32 s56, v57, 25
	v_readlane_b32 s57, v57, 26
	s_mov_b32 s56, s53
	s_cmp_lg_u64 s[56:57], 0
	v_writelane_b32 v57, s56, 25
	v_writelane_b32 v57, s57, 26
	s_cbranch_scc0 .LBB141_210
; %bb.170:                              ;   in Loop: Header=BB141_31 Depth=1
	v_cvt_f32_u32_e32 v6, s33
	s_sub_u32 s6, 0, s33
	s_subb_u32 s7, 0, 0
	v_mac_f32_e32 v6, 0, v42
	v_rcp_f32_e32 v6, v6
	v_mul_f32_e32 v6, 0x5f7ffffc, v6
	v_mul_f32_e32 v7, 0x2f800000, v6
	v_trunc_f32_e32 v7, v7
	v_mac_f32_e32 v6, 0xcf800000, v7
	v_cvt_u32_f32_e32 v7, v7
	v_cvt_u32_f32_e32 v6, v6
	v_readfirstlane_b32 s16, v7
	v_readfirstlane_b32 s4, v6
	s_mul_i32 s5, s6, s16
	s_mul_hi_u32 s40, s6, s4
	s_mul_i32 s17, s7, s4
	s_add_i32 s5, s40, s5
	s_mul_i32 s41, s6, s4
	s_add_i32 s5, s5, s17
	s_mul_hi_u32 s40, s4, s41
	s_mul_i32 s52, s4, s5
	s_mul_hi_u32 s17, s4, s5
	s_add_u32 s40, s40, s52
	s_addc_u32 s17, 0, s17
	s_mul_hi_u32 s56, s16, s41
	s_mul_i32 s41, s16, s41
	s_add_u32 s40, s40, s41
	s_mul_hi_u32 s52, s16, s5
	s_addc_u32 s17, s17, s56
	s_addc_u32 s40, s52, 0
	s_mul_i32 s5, s16, s5
	s_add_u32 s5, s17, s5
	s_addc_u32 s17, 0, s40
	s_add_u32 s40, s4, s5
	s_cselect_b64 s[4:5], -1, 0
	s_cmp_lg_u64 s[4:5], 0
	s_addc_u32 s16, s16, s17
	s_mul_i32 s4, s6, s16
	s_mul_hi_u32 s5, s6, s40
	s_add_i32 s4, s5, s4
	s_mul_i32 s7, s7, s40
	s_add_i32 s4, s4, s7
	s_mul_i32 s6, s6, s40
	s_mul_hi_u32 s7, s16, s6
	s_mul_i32 s17, s16, s6
	s_mul_i32 s52, s40, s4
	s_mul_hi_u32 s6, s40, s6
	s_mul_hi_u32 s41, s40, s4
	s_add_u32 s6, s6, s52
	s_addc_u32 s41, 0, s41
	s_add_u32 s6, s6, s17
	s_mul_hi_u32 s5, s16, s4
	s_addc_u32 s6, s41, s7
	s_addc_u32 s5, s5, 0
	s_mul_i32 s4, s16, s4
	s_add_u32 s4, s6, s4
	s_addc_u32 s6, 0, s5
	s_add_u32 s7, s40, s4
	s_cselect_b64 s[4:5], -1, 0
	s_cmp_lg_u64 s[4:5], 0
	s_addc_u32 s4, s16, s6
	v_readlane_b32 s40, v57, 23
	s_mul_i32 s6, s40, s4
	s_mul_hi_u32 s16, s40, s7
	s_mul_hi_u32 s5, s40, s4
	s_add_u32 s6, s16, s6
	s_addc_u32 s5, 0, s5
	s_mul_hi_u32 s17, s57, s7
	s_mul_i32 s7, s57, s7
	s_add_u32 s6, s6, s7
	s_mul_hi_u32 s16, s57, s4
	s_addc_u32 s5, s5, s17
	s_addc_u32 s6, s16, 0
	s_mul_i32 s4, s57, s4
	s_add_u32 s4, s5, s4
	s_addc_u32 s5, 0, s6
	s_mul_i32 s5, s33, s5
	s_mul_hi_u32 s6, s33, s4
	s_add_i32 s6, s6, s5
	s_mul_i32 s4, s33, s4
	s_sub_u32 s7, s40, s4
	s_cselect_b64 s[4:5], -1, 0
	s_cmp_lg_u64 s[4:5], 0
	s_subb_u32 s6, s57, s6
	s_sub_u32 s16, s7, s33
	s_cselect_b64 s[4:5], -1, 0
	s_cmp_lg_u64 s[4:5], 0
	s_subb_u32 s17, s6, 0
	;; [unrolled: 4-line block ×3, first 2 shown]
	s_cmp_ge_u32 s16, s33
	s_cselect_b32 s5, -1, 0
	s_cmp_eq_u32 s17, 0
	s_cselect_b32 s5, s5, -1
	s_cmp_lg_u32 s5, 0
	s_cselect_b32 s4, s4, s17
	s_cselect_b32 s16, s40, s16
	s_cmp_ge_u32 s7, s33
	s_cselect_b32 s5, -1, 0
	s_cmp_eq_u32 s6, 0
	s_cselect_b32 s5, s5, -1
	s_cmp_lg_u32 s5, 0
	s_cselect_b32 s5, s4, s6
	s_cselect_b32 s4, s16, s7
	s_cbranch_execnz .LBB141_172
.LBB141_171:                            ;   in Loop: Header=BB141_31 Depth=1
	v_cvt_f32_u32_e32 v6, s33
	s_sub_i32 s4, 0, s33
	v_readlane_b32 s6, v57, 23
	v_rcp_iflag_f32_e32 v6, v6
	v_mul_f32_e32 v6, 0x4f7ffffe, v6
	v_cvt_u32_f32_e32 v6, v6
	v_readfirstlane_b32 s5, v6
	s_mul_i32 s4, s4, s5
	s_mul_hi_u32 s4, s5, s4
	s_add_i32 s5, s5, s4
	s_mul_hi_u32 s4, s6, s5
	s_mul_i32 s4, s4, s33
	s_sub_i32 s4, s6, s4
	s_sub_i32 s5, s4, s33
	s_cmp_ge_u32 s4, s33
	s_cselect_b32 s4, s5, s4
	s_sub_i32 s5, s4, s33
	s_cmp_ge_u32 s4, s33
	s_cselect_b32 s52, s5, s4
	s_mov_b64 s[4:5], s[52:53]
.LBB141_172:                            ;   in Loop: Header=BB141_31 Depth=1
	v_readlane_b32 s6, v57, 23
	v_readlane_b32 s16, v57, 25
	s_sub_u32 s6, s6, s4
	v_readlane_b32 s17, v57, 26
	s_subb_u32 s7, s17, s5
	v_cmp_gt_u64_e32 vcc, s[6:7], v[0:1]
                                        ; implicit-def: $vgpr8
	s_and_saveexec_b64 s[4:5], vcc
	s_mov_b32 s52, 0xc0c0004
	s_cbranch_execz .LBB141_181
; %bb.173:                              ;   in Loop: Header=BB141_31 Depth=1
	v_mov_b32_e32 v6, v21
	v_mov_b32_e32 v9, v1
	s_mov_b64 s[16:17], 0
	v_mov_b32_e32 v7, v22
	v_mov_b32_e32 v8, v0
                                        ; implicit-def: $sgpr40_sgpr41
	s_branch .LBB141_176
.LBB141_174:                            ;   in Loop: Header=BB141_176 Depth=2
	s_or_b64 exec, exec, s[56:57]
	s_waitcnt lgkmcnt(0)
	s_barrier
	ds_read_u16 v28, v3 offset:3072
	s_mov_b64 s[56:57], -1
	s_waitcnt lgkmcnt(0)
	s_barrier
	v_cmp_eq_u32_sdwa s[58:59], v28, v3 src0_sel:BYTE_0 src1_sel:DWORD
	s_and_b64 vcc, exec, s[58:59]
	s_mov_b64 s[58:59], -1
	s_cbranch_vccnz .LBB141_179
.LBB141_175:                            ;   in Loop: Header=BB141_176 Depth=2
	s_and_b64 s[56:57], exec, s[56:57]
	s_or_b64 s[16:17], s[56:57], s[16:17]
	s_andn2_b64 s[40:41], s[40:41], exec
	s_and_b64 s[56:57], s[58:59], exec
	s_or_b64 s[40:41], s[40:41], s[56:57]
	s_andn2_b64 exec, exec, s[16:17]
	s_cbranch_execz .LBB141_180
.LBB141_176:                            ;   Parent Loop BB141_31 Depth=1
                                        ; =>  This Inner Loop Header: Depth=2
	v_cmp_gt_u64_e32 vcc, s[28:29], v[8:9]
	s_and_saveexec_b64 s[56:57], vcc
	s_cbranch_execz .LBB141_174
; %bb.177:                              ;   in Loop: Header=BB141_176 Depth=2
	global_load_ubyte v28, v[6:7], off
	s_waitcnt vmcnt(0)
	v_add_u32_sdwa v29, sext(v28), s0 dst_sel:DWORD dst_unused:UNUSED_PAD src0_sel:BYTE_0 src1_sel:DWORD
	v_and_b32_e32 v29, v29, v10
	v_cmp_eq_u32_e32 vcc, v29, v11
	s_and_b64 exec, exec, vcc
	s_cbranch_execz .LBB141_174
; %bb.178:                              ;   in Loop: Header=BB141_176 Depth=2
	v_lshlrev_b16_e32 v28, 8, v28
	v_or_b32_e32 v28, 1, v28
	ds_write_b16 v3, v28 offset:3072
	s_branch .LBB141_174
.LBB141_179:                            ;   in Loop: Header=BB141_176 Depth=2
	v_add_co_u32_e32 v8, vcc, s33, v8
	v_readlane_b32 s52, v57, 51
	v_addc_co_u32_e32 v9, vcc, 0, v9, vcc
	v_mov_b32_e32 v29, s52
	s_mul_i32 s52, s26, s33
	v_add_co_u32_e32 v6, vcc, s52, v6
	v_addc_co_u32_e32 v7, vcc, v7, v29, vcc
	v_cmp_le_u64_e32 vcc, s[6:7], v[8:9]
	s_mov_b32 s52, 0xc0c0004
	s_mov_b64 s[58:59], 0
	s_orn2_b64 s[56:57], vcc, exec
	s_branch .LBB141_175
.LBB141_180:                            ;   in Loop: Header=BB141_31 Depth=1
	s_or_b64 exec, exec, s[16:17]
	s_andn2_b64 s[6:7], s[60:61], exec
	s_and_b64 s[16:17], s[40:41], exec
	v_lshrrev_b32_sdwa v8, v43, v28 dst_sel:DWORD dst_unused:UNUSED_PAD src0_sel:DWORD src1_sel:WORD_0
	s_or_b64 s[60:61], s[6:7], s[16:17]
	v_readlane_b32 s59, v57, 51
	s_mul_i32 s58, s26, s33
.LBB141_181:                            ;   in Loop: Header=BB141_31 Depth=1
	s_or_b64 exec, exec, s[4:5]
	s_mov_b64 s[40:41], 0
	s_mov_b64 s[6:7], -1
.LBB141_182:                            ;   in Loop: Header=BB141_31 Depth=1
	s_orn2_b64 s[4:5], s[60:61], exec
.LBB141_183:                            ;   in Loop: Header=BB141_31 Depth=1
	s_or_b64 exec, exec, s[10:11]
	s_mov_b64 s[10:11], 0
	s_and_saveexec_b64 s[70:71], s[4:5]
	s_cbranch_execz .LBB141_293
; %bb.184:                              ;   in Loop: Header=BB141_31 Depth=1
	v_mov_b32_e32 v6, 1
	s_xor_b64 s[4:5], s[8:9], -1
	v_mov_b32_e32 v2, 1
	v_mov_b32_e32 v7, 0
	s_and_saveexec_b64 s[8:9], s[4:5]
	s_cbranch_execz .LBB141_193
; %bb.185:                              ;   in Loop: Header=BB141_31 Depth=1
	v_cmp_ge_u64_e32 vcc, s[46:47], v[4:5]
	s_and_saveexec_b64 s[4:5], vcc
	s_xor_b64 s[4:5], exec, s[4:5]
	s_cbranch_execz .LBB141_190
; %bb.186:                              ;   in Loop: Header=BB141_31 Depth=1
	ds_read_b64 v[6:7], v3 offset:5120
	v_readlane_b32 s10, v57, 58
	v_and_b32_e32 v2, s10, v11
	v_lshl_or_b32 v11, 1, s63, v2
	v_or_b32_e32 v10, s1, v10
	s_waitcnt lgkmcnt(0)
	v_cmp_ne_u64_e32 vcc, 0, v[6:7]
	s_cbranch_vccnz .LBB141_190
; %bb.187:                              ;   in Loop: Header=BB141_31 Depth=1
	s_mov_b64 s[10:11], exec
	v_readlane_b32 s16, v57, 8
	v_readlane_b32 s17, v57, 9
	s_and_b64 s[16:17], s[10:11], s[16:17]
	s_mov_b64 exec, s[16:17]
; %bb.188:                              ;   in Loop: Header=BB141_31 Depth=1
	v_mov_b32_e32 v6, s46
	v_mov_b32_e32 v7, s47
	ds_write_b64 v3, v[6:7] offset:5128
; %bb.189:                              ;   in Loop: Header=BB141_31 Depth=1
	s_or_b64 exec, exec, s[10:11]
	s_waitcnt lgkmcnt(0)
	s_barrier
.LBB141_190:                            ;   in Loop: Header=BB141_31 Depth=1
	s_or_saveexec_b64 s[4:5], s[4:5]
	s_mov_b64 s[10:11], 0
	v_mov_b32_e32 v2, 8
	s_xor_b64 exec, exec, s[4:5]
; %bb.191:                              ;   in Loop: Header=BB141_31 Depth=1
	v_subrev_co_u32_e32 v4, vcc, s46, v4
	v_mov_b32_e32 v2, s47
	v_subb_co_u32_e32 v5, vcc, v5, v2, vcc
	v_mov_b32_e32 v2, 0
	s_mov_b64 s[10:11], exec
; %bb.192:                              ;   in Loop: Header=BB141_31 Depth=1
	s_or_b64 exec, exec, s[4:5]
	v_mov_b32_e32 v7, v5
	s_and_b64 s[10:11], s[10:11], exec
	v_mov_b32_e32 v6, v4
.LBB141_193:                            ;   in Loop: Header=BB141_31 Depth=1
	s_or_b64 exec, exec, s[8:9]
	s_mov_b64 s[4:5], -1
                                        ; implicit-def: $sgpr66_sgpr67
                                        ; implicit-def: $sgpr8_sgpr9
                                        ; kill: killed $sgpr8_sgpr9
	s_and_saveexec_b64 s[56:57], s[10:11]
	s_cbranch_execz .LBB141_292
; %bb.194:                              ;   in Loop: Header=BB141_31 Depth=1
	s_cmp_eq_u64 s[48:49], 1
	v_cmp_eq_u64_e32 vcc, 1, v[6:7]
	s_cselect_b64 s[4:5], -1, 0
	v_writelane_b32 v57, s56, 61
	s_and_b64 s[60:61], s[4:5], vcc
	s_mov_b64 s[4:5], -1
	v_writelane_b32 v57, s57, 62
                                        ; implicit-def: $sgpr8_sgpr9
                                        ; kill: killed $sgpr8_sgpr9
                                        ; implicit-def: $sgpr66_sgpr67
	s_and_saveexec_b64 s[10:11], s[60:61]
                                        ; implicit-def: $vgpr56 : SGPR spill to VGPR lane
	s_cbranch_execz .LBB141_228
; %bb.195:                              ;   in Loop: Header=BB141_31 Depth=1
	ds_read_b64 v[4:5], v3 offset:5120
	s_waitcnt lgkmcnt(0)
	s_barrier
	v_readfirstlane_b32 s72, v4
	v_readfirstlane_b32 s73, v5
	s_mov_b64 s[4:5], exec
	v_readlane_b32 s8, v57, 46
	v_readlane_b32 s9, v57, 47
	s_and_b64 s[8:9], s[4:5], s[8:9]
	s_mov_b64 exec, s[8:9]
; %bb.196:                              ;   in Loop: Header=BB141_31 Depth=1
	ds_write_b8 v0, v3 offset:3072
; %bb.197:                              ;   in Loop: Header=BB141_31 Depth=1
	s_or_b64 exec, exec, s[4:5]
	v_readlane_b32 s4, v57, 58
	v_and_b32_e32 v4, s4, v11
	s_mov_b64 s[4:5], 0
	v_writelane_b32 v57, s4, 59
	v_lshl_or_b32 v11, 2, s63, v4
	v_or_b32_e32 v10, s1, v10
	s_mov_b64 s[66:67], -1
	v_writelane_b32 v57, s5, 60
	s_cmp_eq_u64 s[72:73], 0
	s_mov_b64 s[16:17], 0
	s_mov_b64 s[4:5], -1
	s_waitcnt lgkmcnt(0)
	s_barrier
                                        ; implicit-def: $vgpr8
	s_cbranch_scc1 .LBB141_213
; %bb.198:                              ;   in Loop: Header=BB141_31 Depth=1
	v_writelane_b32 v57, s64, 63
	v_readlane_b32 s4, v57, 22
	s_add_u32 s56, s72, s4
	v_readlane_b32 s4, v57, 24
	s_addc_u32 s17, s73, s4
	s_mov_b32 s16, s53
	s_cmp_lg_u64 s[16:17], 0
	v_writelane_b32 v56, s65, 0
	s_cbranch_scc0 .LBB141_245
; %bb.199:                              ;   in Loop: Header=BB141_31 Depth=1
	v_cvt_f32_u32_e32 v4, s33
	s_sub_u32 s8, 0, s33
	s_subb_u32 s9, 0, 0
	v_mac_f32_e32 v4, 0, v42
	v_rcp_f32_e32 v4, v4
	v_mul_f32_e32 v4, 0x5f7ffffc, v4
	v_mul_f32_e32 v5, 0x2f800000, v4
	v_trunc_f32_e32 v5, v5
	v_mac_f32_e32 v4, 0xcf800000, v5
	v_cvt_u32_f32_e32 v5, v5
	v_cvt_u32_f32_e32 v4, v4
	v_readfirstlane_b32 s16, v5
	v_readfirstlane_b32 s4, v4
	s_mul_i32 s5, s8, s16
	s_mul_hi_u32 s57, s8, s4
	s_mul_i32 s52, s9, s4
	s_add_i32 s5, s57, s5
	s_mul_i32 s58, s8, s4
	s_add_i32 s5, s5, s52
	s_mul_hi_u32 s57, s4, s58
	s_mul_i32 s59, s4, s5
	s_mul_hi_u32 s52, s4, s5
	s_add_u32 s57, s57, s59
	s_addc_u32 s52, 0, s52
	s_mul_hi_u32 s64, s16, s58
	s_mul_i32 s58, s16, s58
	s_add_u32 s57, s57, s58
	s_mul_hi_u32 s59, s16, s5
	s_addc_u32 s52, s52, s64
	s_addc_u32 s57, s59, 0
	s_mul_i32 s5, s16, s5
	s_add_u32 s5, s52, s5
	s_addc_u32 s52, 0, s57
	s_add_u32 s57, s4, s5
	s_cselect_b64 s[4:5], -1, 0
	s_cmp_lg_u64 s[4:5], 0
	s_addc_u32 s16, s16, s52
	s_mul_i32 s4, s8, s16
	s_mul_hi_u32 s5, s8, s57
	s_add_i32 s4, s5, s4
	s_mul_i32 s9, s9, s57
	s_add_i32 s4, s4, s9
	s_mul_i32 s8, s8, s57
	s_mul_hi_u32 s9, s16, s8
	s_mul_i32 s52, s16, s8
	s_mul_i32 s59, s57, s4
	s_mul_hi_u32 s8, s57, s8
	s_mul_hi_u32 s58, s57, s4
	s_add_u32 s8, s8, s59
	s_addc_u32 s58, 0, s58
	s_add_u32 s8, s8, s52
	s_mul_hi_u32 s5, s16, s4
	s_addc_u32 s8, s58, s9
	s_addc_u32 s5, s5, 0
	s_mul_i32 s4, s16, s4
	s_add_u32 s4, s8, s4
	s_addc_u32 s8, 0, s5
	s_add_u32 s9, s57, s4
	s_cselect_b64 s[4:5], -1, 0
	s_cmp_lg_u64 s[4:5], 0
	s_addc_u32 s4, s16, s8
	s_mul_i32 s8, s56, s4
	s_mul_hi_u32 s16, s56, s9
	s_mul_hi_u32 s5, s56, s4
	s_add_u32 s8, s16, s8
	s_addc_u32 s5, 0, s5
	s_mul_hi_u32 s52, s17, s9
	s_mul_i32 s9, s17, s9
	s_add_u32 s8, s8, s9
	s_mul_hi_u32 s16, s17, s4
	s_addc_u32 s5, s5, s52
	s_addc_u32 s8, s16, 0
	s_mul_i32 s4, s17, s4
	s_add_u32 s4, s5, s4
	s_addc_u32 s5, 0, s8
	s_mul_i32 s5, s33, s5
	s_mul_hi_u32 s8, s33, s4
	s_add_i32 s8, s8, s5
	s_mul_i32 s4, s33, s4
	s_sub_u32 s9, s56, s4
	s_cselect_b64 s[4:5], -1, 0
	s_cmp_lg_u64 s[4:5], 0
	s_subb_u32 s8, s17, s8
	s_sub_u32 s16, s9, s33
	s_cselect_b64 s[4:5], -1, 0
	s_cmp_lg_u64 s[4:5], 0
	s_subb_u32 s52, s8, 0
	;; [unrolled: 4-line block ×3, first 2 shown]
	s_cmp_ge_u32 s16, s33
	s_cselect_b32 s5, -1, 0
	s_cmp_eq_u32 s52, 0
	s_cselect_b32 s5, s5, -1
	s_cmp_lg_u32 s5, 0
	s_cselect_b32 s4, s4, s52
	s_cselect_b32 s16, s57, s16
	s_cmp_ge_u32 s9, s33
	s_cselect_b32 s5, -1, 0
	s_cmp_eq_u32 s8, 0
	s_cselect_b32 s5, s5, -1
	s_cmp_lg_u32 s5, 0
	s_cselect_b32 s5, s4, s8
	s_cselect_b32 s4, s16, s9
	s_cbranch_execnz .LBB141_201
.LBB141_200:                            ;   in Loop: Header=BB141_31 Depth=1
	v_cvt_f32_u32_e32 v4, s33
	s_sub_i32 s4, 0, s33
	v_rcp_iflag_f32_e32 v4, v4
	v_mul_f32_e32 v4, 0x4f7ffffe, v4
	v_cvt_u32_f32_e32 v4, v4
	v_readfirstlane_b32 s5, v4
	s_mul_i32 s4, s4, s5
	s_mul_hi_u32 s4, s5, s4
	s_add_i32 s5, s5, s4
	s_mul_hi_u32 s4, s56, s5
	s_mul_i32 s4, s4, s33
	s_sub_i32 s4, s56, s4
	s_sub_i32 s5, s4, s33
	s_cmp_ge_u32 s4, s33
	s_cselect_b32 s4, s5, s4
	s_sub_i32 s5, s4, s33
	s_cmp_ge_u32 s4, s33
	s_cselect_b32 s52, s5, s4
	s_mov_b64 s[4:5], s[52:53]
.LBB141_201:                            ;   in Loop: Header=BB141_31 Depth=1
	s_sub_u32 s8, s56, s4
	s_subb_u32 s9, s17, s5
	v_cmp_gt_u64_e32 vcc, s[8:9], v[0:1]
	s_mov_b64 s[4:5], 0
	s_mov_b64 s[16:17], 0
                                        ; implicit-def: $vgpr8
	s_and_saveexec_b64 s[68:69], vcc
	s_mov_b32 s52, 0xc0c0004
	s_cbranch_execz .LBB141_212
; %bb.202:                              ;   in Loop: Header=BB141_31 Depth=1
	v_mov_b32_e32 v5, v1
	v_mov_b32_e32 v8, v0
	;; [unrolled: 1-line block ×3, first 2 shown]
                                        ; implicit-def: $sgpr56_sgpr57
	s_branch .LBB141_205
.LBB141_203:                            ;   in Loop: Header=BB141_205 Depth=2
	s_or_b64 exec, exec, s[58:59]
	s_waitcnt lgkmcnt(0)
	s_barrier
	ds_read_u16 v9, v3 offset:3072
	s_mov_b64 s[58:59], -1
	s_waitcnt lgkmcnt(0)
	s_barrier
	v_cmp_ne_u32_sdwa s[64:65], v9, v3 src0_sel:BYTE_0 src1_sel:DWORD
	s_and_b64 vcc, exec, s[64:65]
	s_mov_b64 s[64:65], -1
	s_cbranch_vccz .LBB141_208
.LBB141_204:                            ;   in Loop: Header=BB141_205 Depth=2
	s_and_b64 s[58:59], exec, s[58:59]
	s_or_b64 s[16:17], s[58:59], s[16:17]
	s_andn2_b64 s[56:57], s[56:57], exec
	s_and_b64 s[58:59], s[64:65], exec
	s_or_b64 s[56:57], s[56:57], s[58:59]
	s_andn2_b64 exec, exec, s[16:17]
	s_cbranch_execz .LBB141_211
.LBB141_205:                            ;   Parent Loop BB141_31 Depth=1
                                        ; =>  This Inner Loop Header: Depth=2
	v_cmp_gt_u64_e32 vcc, s[72:73], v[4:5]
	s_and_saveexec_b64 s[58:59], vcc
	s_cbranch_execz .LBB141_203
; %bb.206:                              ;   in Loop: Header=BB141_205 Depth=2
	ds_read_u8 v9, v8
	s_waitcnt lgkmcnt(0)
	v_add_u32_sdwa v28, sext(v9), s0 dst_sel:DWORD dst_unused:UNUSED_PAD src0_sel:BYTE_0 src1_sel:DWORD
	v_and_b32_e32 v28, v28, v10
	v_cmp_eq_u32_e32 vcc, v28, v11
	s_and_b64 exec, exec, vcc
	s_cbranch_execz .LBB141_203
; %bb.207:                              ;   in Loop: Header=BB141_205 Depth=2
	v_lshlrev_b16_e32 v9, 8, v9
	v_or_b32_e32 v9, 1, v9
	ds_write_b16 v3, v9 offset:3072
	s_branch .LBB141_203
.LBB141_208:                            ;   in Loop: Header=BB141_205 Depth=2
	v_add_co_u32_e32 v4, vcc, s33, v4
	v_addc_co_u32_e32 v5, vcc, 0, v5, vcc
	v_cmp_le_u64_e32 vcc, s[8:9], v[4:5]
	v_add_u32_e32 v8, s33, v8
	s_mov_b64 s[64:65], 0
	s_orn2_b64 s[58:59], vcc, exec
	s_branch .LBB141_204
.LBB141_209:                            ;   in Loop: Header=BB141_31 Depth=1
                                        ; implicit-def: $sgpr4_sgpr5
	s_branch .LBB141_155
.LBB141_210:                            ;   in Loop: Header=BB141_31 Depth=1
                                        ; implicit-def: $sgpr4_sgpr5
	s_branch .LBB141_171
.LBB141_211:                            ;   in Loop: Header=BB141_31 Depth=1
	s_or_b64 exec, exec, s[16:17]
	v_lshrrev_b32_sdwa v8, v43, v9 dst_sel:DWORD dst_unused:UNUSED_PAD src0_sel:DWORD src1_sel:WORD_0
	s_and_b64 s[16:17], s[56:57], exec
.LBB141_212:                            ;   in Loop: Header=BB141_31 Depth=1
	s_or_b64 exec, exec, s[68:69]
	v_readlane_b32 s64, v57, 63
	v_readlane_b32 s65, v56, 0
	;; [unrolled: 1-line block ×3, first 2 shown]
	s_mul_i32 s58, s26, s33
.LBB141_213:                            ;   in Loop: Header=BB141_31 Depth=1
	s_and_b64 vcc, exec, s[4:5]
	s_cbranch_vccz .LBB141_227
; %bb.214:                              ;   in Loop: Header=BB141_31 Depth=1
	v_readlane_b32 s72, v57, 25
	v_readlane_b32 s73, v57, 26
	s_mov_b32 s72, s53
	s_cmp_lg_u64 s[72:73], 0
	v_writelane_b32 v57, s72, 25
	v_writelane_b32 v57, s73, 26
	s_cbranch_scc0 .LBB141_246
; %bb.215:                              ;   in Loop: Header=BB141_31 Depth=1
	v_cvt_f32_u32_e32 v4, s33
	s_sub_u32 s8, 0, s33
	s_subb_u32 s9, 0, 0
	s_mov_b64 s[68:69], s[64:65]
	v_mac_f32_e32 v4, 0, v42
	v_rcp_f32_e32 v4, v4
	v_mul_f32_e32 v4, 0x5f7ffffc, v4
	v_mul_f32_e32 v5, 0x2f800000, v4
	v_trunc_f32_e32 v5, v5
	v_mac_f32_e32 v4, 0xcf800000, v5
	v_cvt_u32_f32_e32 v5, v5
	v_cvt_u32_f32_e32 v4, v4
	v_readfirstlane_b32 s52, v5
	v_readfirstlane_b32 s4, v4
	s_mul_i32 s5, s8, s52
	s_mul_hi_u32 s57, s8, s4
	s_mul_i32 s56, s9, s4
	s_add_i32 s5, s57, s5
	s_mul_i32 s58, s8, s4
	s_add_i32 s5, s5, s56
	s_mul_hi_u32 s57, s4, s58
	s_mul_i32 s59, s4, s5
	s_mul_hi_u32 s56, s4, s5
	s_add_u32 s57, s57, s59
	s_addc_u32 s56, 0, s56
	s_mul_hi_u32 s64, s52, s58
	s_mul_i32 s58, s52, s58
	s_add_u32 s57, s57, s58
	s_mul_hi_u32 s59, s52, s5
	s_addc_u32 s56, s56, s64
	s_addc_u32 s57, s59, 0
	s_mul_i32 s5, s52, s5
	s_add_u32 s5, s56, s5
	s_addc_u32 s56, 0, s57
	s_add_u32 s57, s4, s5
	s_cselect_b64 s[4:5], -1, 0
	s_cmp_lg_u64 s[4:5], 0
	s_addc_u32 s52, s52, s56
	s_mul_i32 s4, s8, s52
	s_mul_hi_u32 s5, s8, s57
	s_add_i32 s4, s5, s4
	s_mul_i32 s9, s9, s57
	s_add_i32 s4, s4, s9
	s_mul_i32 s8, s8, s57
	s_mul_hi_u32 s9, s52, s8
	s_mul_i32 s56, s52, s8
	s_mul_i32 s59, s57, s4
	s_mul_hi_u32 s8, s57, s8
	s_mul_hi_u32 s58, s57, s4
	s_add_u32 s8, s8, s59
	s_addc_u32 s58, 0, s58
	s_add_u32 s8, s8, s56
	s_mul_hi_u32 s5, s52, s4
	s_addc_u32 s8, s58, s9
	s_addc_u32 s5, s5, 0
	s_mul_i32 s4, s52, s4
	s_add_u32 s4, s8, s4
	s_addc_u32 s8, 0, s5
	s_add_u32 s9, s57, s4
	s_cselect_b64 s[4:5], -1, 0
	s_cmp_lg_u64 s[4:5], 0
	s_addc_u32 s4, s52, s8
	v_readlane_b32 s57, v57, 23
	s_mul_i32 s8, s57, s4
	s_mul_hi_u32 s52, s57, s9
	s_mul_hi_u32 s5, s57, s4
	s_add_u32 s8, s52, s8
	s_addc_u32 s5, 0, s5
	s_mul_hi_u32 s56, s73, s9
	s_mul_i32 s9, s73, s9
	s_add_u32 s8, s8, s9
	s_mul_hi_u32 s52, s73, s4
	s_addc_u32 s5, s5, s56
	s_addc_u32 s8, s52, 0
	s_mul_i32 s4, s73, s4
	s_add_u32 s4, s5, s4
	s_addc_u32 s5, 0, s8
	s_mul_i32 s5, s33, s5
	s_mul_hi_u32 s8, s33, s4
	s_add_i32 s8, s8, s5
	s_mul_i32 s4, s33, s4
	s_sub_u32 s9, s57, s4
	s_cselect_b64 s[4:5], -1, 0
	s_cmp_lg_u64 s[4:5], 0
	s_subb_u32 s8, s73, s8
	s_sub_u32 s52, s9, s33
	s_cselect_b64 s[4:5], -1, 0
	s_cmp_lg_u64 s[4:5], 0
	s_subb_u32 s56, s8, 0
	;; [unrolled: 4-line block ×3, first 2 shown]
	s_cmp_ge_u32 s52, s33
	s_cselect_b32 s5, -1, 0
	s_cmp_eq_u32 s56, 0
	s_cselect_b32 s5, s5, -1
	s_cmp_lg_u32 s5, 0
	s_cselect_b32 s4, s4, s56
	s_cselect_b32 s52, s57, s52
	s_cmp_ge_u32 s9, s33
	s_cselect_b32 s5, -1, 0
	s_cmp_eq_u32 s8, 0
	s_cselect_b32 s5, s5, -1
	s_cmp_lg_u32 s5, 0
	s_mov_b64 s[64:65], s[68:69]
	v_readlane_b32 s59, v57, 51
	s_mul_i32 s58, s26, s33
	s_cselect_b32 s5, s4, s8
	s_cselect_b32 s4, s52, s9
	s_cbranch_execnz .LBB141_217
.LBB141_216:                            ;   in Loop: Header=BB141_31 Depth=1
	v_cvt_f32_u32_e32 v4, s33
	s_sub_i32 s4, 0, s33
	v_readlane_b32 s8, v57, 23
	v_rcp_iflag_f32_e32 v4, v4
	v_mul_f32_e32 v4, 0x4f7ffffe, v4
	v_cvt_u32_f32_e32 v4, v4
	v_readfirstlane_b32 s5, v4
	s_mul_i32 s4, s4, s5
	s_mul_hi_u32 s4, s5, s4
	s_add_i32 s5, s5, s4
	s_mul_hi_u32 s4, s8, s5
	s_mul_i32 s4, s4, s33
	s_sub_i32 s4, s8, s4
	s_sub_i32 s5, s4, s33
	s_cmp_ge_u32 s4, s33
	s_cselect_b32 s4, s5, s4
	s_sub_i32 s5, s4, s33
	s_cmp_ge_u32 s4, s33
	s_cselect_b32 s52, s5, s4
	s_mov_b64 s[4:5], s[52:53]
.LBB141_217:                            ;   in Loop: Header=BB141_31 Depth=1
	v_readlane_b32 s8, v57, 23
	v_readlane_b32 s56, v57, 25
	s_sub_u32 s8, s8, s4
	v_readlane_b32 s57, v57, 26
	s_subb_u32 s9, s57, s5
	v_cmp_gt_u64_e32 vcc, s[8:9], v[0:1]
                                        ; implicit-def: $vgpr8
	s_and_saveexec_b64 s[4:5], vcc
	s_mov_b32 s52, 0xc0c0004
	s_cbranch_execz .LBB141_226
; %bb.218:                              ;   in Loop: Header=BB141_31 Depth=1
	v_mov_b32_e32 v4, v21
	v_mov_b32_e32 v9, v1
	s_mov_b64 s[68:69], 0
	v_mov_b32_e32 v5, v22
	v_mov_b32_e32 v8, v0
                                        ; implicit-def: $sgpr72_sgpr73
	s_branch .LBB141_221
.LBB141_219:                            ;   in Loop: Header=BB141_221 Depth=2
	s_or_b64 exec, exec, s[56:57]
	s_waitcnt lgkmcnt(0)
	s_barrier
	ds_read_u16 v28, v3 offset:3072
	s_mov_b64 s[56:57], -1
	s_waitcnt lgkmcnt(0)
	s_barrier
	v_cmp_eq_u32_sdwa s[58:59], v28, v3 src0_sel:BYTE_0 src1_sel:DWORD
	s_and_b64 vcc, exec, s[58:59]
	s_mov_b64 s[58:59], -1
	s_cbranch_vccnz .LBB141_224
.LBB141_220:                            ;   in Loop: Header=BB141_221 Depth=2
	s_and_b64 s[56:57], exec, s[56:57]
	s_or_b64 s[68:69], s[56:57], s[68:69]
	s_andn2_b64 s[56:57], s[72:73], exec
	s_and_b64 s[58:59], s[58:59], exec
	s_or_b64 s[72:73], s[56:57], s[58:59]
	s_andn2_b64 exec, exec, s[68:69]
	s_cbranch_execz .LBB141_225
.LBB141_221:                            ;   Parent Loop BB141_31 Depth=1
                                        ; =>  This Inner Loop Header: Depth=2
	v_cmp_gt_u64_e32 vcc, s[28:29], v[8:9]
	s_and_saveexec_b64 s[56:57], vcc
	s_cbranch_execz .LBB141_219
; %bb.222:                              ;   in Loop: Header=BB141_221 Depth=2
	global_load_ubyte v28, v[4:5], off
	s_waitcnt vmcnt(0)
	v_add_u32_sdwa v29, sext(v28), s0 dst_sel:DWORD dst_unused:UNUSED_PAD src0_sel:BYTE_0 src1_sel:DWORD
	v_and_b32_e32 v29, v29, v10
	v_cmp_eq_u32_e32 vcc, v29, v11
	s_and_b64 exec, exec, vcc
	s_cbranch_execz .LBB141_219
; %bb.223:                              ;   in Loop: Header=BB141_221 Depth=2
	v_lshlrev_b16_e32 v28, 8, v28
	v_or_b32_e32 v28, 1, v28
	ds_write_b16 v3, v28 offset:3072
	s_branch .LBB141_219
.LBB141_224:                            ;   in Loop: Header=BB141_221 Depth=2
	v_add_co_u32_e32 v8, vcc, s33, v8
	v_readlane_b32 s52, v57, 51
	v_addc_co_u32_e32 v9, vcc, 0, v9, vcc
	v_mov_b32_e32 v29, s52
	s_mul_i32 s52, s26, s33
	v_add_co_u32_e32 v4, vcc, s52, v4
	v_addc_co_u32_e32 v5, vcc, v5, v29, vcc
	v_cmp_le_u64_e32 vcc, s[8:9], v[8:9]
	s_mov_b32 s52, 0xc0c0004
	s_mov_b64 s[58:59], 0
	s_orn2_b64 s[56:57], vcc, exec
	s_branch .LBB141_220
.LBB141_225:                            ;   in Loop: Header=BB141_31 Depth=1
	s_or_b64 exec, exec, s[68:69]
	s_andn2_b64 s[8:9], s[16:17], exec
	s_and_b64 s[16:17], s[72:73], exec
	v_lshrrev_b32_sdwa v8, v43, v28 dst_sel:DWORD dst_unused:UNUSED_PAD src0_sel:DWORD src1_sel:WORD_0
	s_or_b64 s[16:17], s[8:9], s[16:17]
	v_readlane_b32 s59, v57, 51
	s_mul_i32 s58, s26, s33
.LBB141_226:                            ;   in Loop: Header=BB141_31 Depth=1
	s_or_b64 exec, exec, s[4:5]
	s_mov_b64 s[4:5], -1
	s_mov_b64 s[66:67], 0
	v_writelane_b32 v57, s4, 59
	v_writelane_b32 v57, s5, 60
.LBB141_227:                            ;   in Loop: Header=BB141_31 Depth=1
	s_orn2_b64 s[4:5], s[16:17], exec
.LBB141_228:                            ;   in Loop: Header=BB141_31 Depth=1
	s_or_b64 exec, exec, s[10:11]
	s_mov_b64 s[8:9], 0
	s_and_saveexec_b64 s[10:11], s[4:5]
	v_readlane_b32 s56, v57, 61
	v_readlane_b32 s57, v57, 62
	s_cbranch_execz .LBB141_291
; %bb.229:                              ;   in Loop: Header=BB141_31 Depth=1
	v_mov_b32_e32 v4, 1
	v_writelane_b32 v56, s66, 1
	s_xor_b64 s[4:5], s[60:61], -1
	v_mov_b32_e32 v2, 1
	v_mov_b32_e32 v5, 0
	v_writelane_b32 v56, s67, 2
	s_and_saveexec_b64 s[16:17], s[4:5]
	s_cbranch_execz .LBB141_238
; %bb.230:                              ;   in Loop: Header=BB141_31 Depth=1
	v_cmp_ge_u64_e32 vcc, s[48:49], v[6:7]
	s_and_saveexec_b64 s[4:5], vcc
	s_xor_b64 s[4:5], exec, s[4:5]
	s_cbranch_execz .LBB141_235
; %bb.231:                              ;   in Loop: Header=BB141_31 Depth=1
	ds_read_b64 v[4:5], v3 offset:5120
	v_readlane_b32 s8, v57, 58
	v_and_b32_e32 v2, s8, v11
	v_lshl_or_b32 v11, 2, s63, v2
	v_or_b32_e32 v10, s1, v10
	s_waitcnt lgkmcnt(0)
	v_cmp_ne_u64_e32 vcc, 0, v[4:5]
	s_cbranch_vccnz .LBB141_235
; %bb.232:                              ;   in Loop: Header=BB141_31 Depth=1
	s_mov_b64 s[8:9], exec
	v_readlane_b32 s56, v57, 8
	v_readlane_b32 s57, v57, 9
	s_and_b64 s[56:57], s[8:9], s[56:57]
	s_mov_b64 exec, s[56:57]
; %bb.233:                              ;   in Loop: Header=BB141_31 Depth=1
	v_mov_b32_e32 v4, s48
	v_mov_b32_e32 v5, s49
	ds_write_b64 v3, v[4:5] offset:5128
; %bb.234:                              ;   in Loop: Header=BB141_31 Depth=1
	s_or_b64 exec, exec, s[8:9]
	s_waitcnt lgkmcnt(0)
	s_barrier
.LBB141_235:                            ;   in Loop: Header=BB141_31 Depth=1
	s_or_saveexec_b64 s[4:5], s[4:5]
	s_mov_b64 s[8:9], 0
	v_mov_b32_e32 v2, 8
	s_xor_b64 exec, exec, s[4:5]
; %bb.236:                              ;   in Loop: Header=BB141_31 Depth=1
	v_subrev_co_u32_e32 v6, vcc, s48, v6
	v_mov_b32_e32 v2, s49
	v_subb_co_u32_e32 v7, vcc, v7, v2, vcc
	v_mov_b32_e32 v2, 0
	s_mov_b64 s[8:9], exec
; %bb.237:                              ;   in Loop: Header=BB141_31 Depth=1
	s_or_b64 exec, exec, s[4:5]
	v_mov_b32_e32 v4, v6
	v_readlane_b32 s56, v57, 61
	s_and_b64 s[8:9], s[8:9], exec
	v_mov_b32_e32 v5, v7
	v_readlane_b32 s57, v57, 62
.LBB141_238:                            ;   in Loop: Header=BB141_31 Depth=1
	s_or_b64 exec, exec, s[16:17]
	s_mov_b64 s[4:5], -1
                                        ; implicit-def: $sgpr72_sgpr73
                                        ; implicit-def: $sgpr68_sgpr69
	s_and_saveexec_b64 s[60:61], s[8:9]
	s_cbranch_execz .LBB141_290
; %bb.239:                              ;   in Loop: Header=BB141_31 Depth=1
	s_cmp_eq_u64 s[50:51], 1
	v_cmp_eq_u64_e32 vcc, 1, v[4:5]
	s_cselect_b64 s[4:5], -1, 0
	s_and_b64 s[66:67], s[4:5], vcc
	s_mov_b64 s[8:9], -1
                                        ; implicit-def: $sgpr72_sgpr73
                                        ; implicit-def: $sgpr68_sgpr69
	s_mov_b64 s[4:5], exec
	v_writelane_b32 v56, s4, 3
	v_writelane_b32 v56, s5, 4
	s_and_b64 s[4:5], s[4:5], s[66:67]
	s_mov_b64 exec, s[4:5]
	s_cbranch_execz .LBB141_278
; %bb.240:                              ;   in Loop: Header=BB141_31 Depth=1
	ds_read_b64 v[6:7], v3 offset:5120
	s_waitcnt lgkmcnt(0)
	s_barrier
	v_readfirstlane_b32 s72, v6
	v_readfirstlane_b32 s73, v7
	s_mov_b64 s[4:5], exec
	v_readlane_b32 s8, v57, 46
	v_readlane_b32 s9, v57, 47
	s_and_b64 s[8:9], s[4:5], s[8:9]
	s_mov_b64 exec, s[8:9]
; %bb.241:                              ;   in Loop: Header=BB141_31 Depth=1
	ds_write_b8 v0, v3 offset:3072
; %bb.242:                              ;   in Loop: Header=BB141_31 Depth=1
	s_or_b64 exec, exec, s[4:5]
	v_or_b32_e32 v11, s1, v11
	v_or_b32_e32 v10, s1, v10
	s_cmp_eq_u64 s[72:73], 0
	s_mov_b64 s[16:17], 0
	s_mov_b64 s[4:5], -1
	s_waitcnt lgkmcnt(0)
	s_barrier
                                        ; implicit-def: $vgpr8
	s_cbranch_scc1 .LBB141_260
; %bb.243:                              ;   in Loop: Header=BB141_31 Depth=1
	v_writelane_b32 v57, s64, 63
	v_readlane_b32 s4, v57, 22
	s_add_u32 s56, s72, s4
	v_readlane_b32 s4, v57, 24
	s_addc_u32 s17, s73, s4
	s_mov_b32 s16, s53
	s_cmp_lg_u64 s[16:17], 0
	v_writelane_b32 v56, s65, 0
	s_cbranch_scc0 .LBB141_247
; %bb.244:                              ;   in Loop: Header=BB141_31 Depth=1
	v_cvt_f32_u32_e32 v6, s33
	s_sub_u32 s8, 0, s33
	s_subb_u32 s9, 0, 0
	v_mac_f32_e32 v6, 0, v42
	v_rcp_f32_e32 v6, v6
	v_mul_f32_e32 v6, 0x5f7ffffc, v6
	v_mul_f32_e32 v7, 0x2f800000, v6
	v_trunc_f32_e32 v7, v7
	v_mac_f32_e32 v6, 0xcf800000, v7
	v_cvt_u32_f32_e32 v7, v7
	v_cvt_u32_f32_e32 v6, v6
	v_readfirstlane_b32 s16, v7
	v_readfirstlane_b32 s4, v6
	s_mul_i32 s5, s8, s16
	s_mul_hi_u32 s57, s8, s4
	s_mul_i32 s52, s9, s4
	s_add_i32 s5, s57, s5
	s_mul_i32 s58, s8, s4
	s_add_i32 s5, s5, s52
	s_mul_hi_u32 s57, s4, s58
	s_mul_i32 s59, s4, s5
	s_mul_hi_u32 s52, s4, s5
	s_add_u32 s57, s57, s59
	s_addc_u32 s52, 0, s52
	s_mul_hi_u32 s64, s16, s58
	s_mul_i32 s58, s16, s58
	s_add_u32 s57, s57, s58
	s_mul_hi_u32 s59, s16, s5
	s_addc_u32 s52, s52, s64
	s_addc_u32 s57, s59, 0
	s_mul_i32 s5, s16, s5
	s_add_u32 s5, s52, s5
	s_addc_u32 s52, 0, s57
	s_add_u32 s57, s4, s5
	s_cselect_b64 s[4:5], -1, 0
	s_cmp_lg_u64 s[4:5], 0
	s_addc_u32 s16, s16, s52
	s_mul_i32 s4, s8, s16
	s_mul_hi_u32 s5, s8, s57
	s_add_i32 s4, s5, s4
	s_mul_i32 s9, s9, s57
	s_add_i32 s4, s4, s9
	s_mul_i32 s8, s8, s57
	s_mul_hi_u32 s9, s16, s8
	s_mul_i32 s52, s16, s8
	s_mul_i32 s59, s57, s4
	s_mul_hi_u32 s8, s57, s8
	s_mul_hi_u32 s58, s57, s4
	s_add_u32 s8, s8, s59
	s_addc_u32 s58, 0, s58
	s_add_u32 s8, s8, s52
	s_mul_hi_u32 s5, s16, s4
	s_addc_u32 s8, s58, s9
	s_addc_u32 s5, s5, 0
	s_mul_i32 s4, s16, s4
	s_add_u32 s4, s8, s4
	s_addc_u32 s8, 0, s5
	s_add_u32 s9, s57, s4
	s_cselect_b64 s[4:5], -1, 0
	s_cmp_lg_u64 s[4:5], 0
	s_addc_u32 s4, s16, s8
	s_mul_i32 s8, s56, s4
	s_mul_hi_u32 s16, s56, s9
	s_mul_hi_u32 s5, s56, s4
	s_add_u32 s8, s16, s8
	s_addc_u32 s5, 0, s5
	s_mul_hi_u32 s52, s17, s9
	s_mul_i32 s9, s17, s9
	s_add_u32 s8, s8, s9
	s_mul_hi_u32 s16, s17, s4
	s_addc_u32 s5, s5, s52
	s_addc_u32 s8, s16, 0
	s_mul_i32 s4, s17, s4
	s_add_u32 s4, s5, s4
	s_addc_u32 s5, 0, s8
	s_mul_i32 s5, s33, s5
	s_mul_hi_u32 s8, s33, s4
	s_add_i32 s8, s8, s5
	s_mul_i32 s4, s33, s4
	s_sub_u32 s9, s56, s4
	s_cselect_b64 s[4:5], -1, 0
	s_cmp_lg_u64 s[4:5], 0
	s_subb_u32 s8, s17, s8
	s_sub_u32 s16, s9, s33
	s_cselect_b64 s[4:5], -1, 0
	s_cmp_lg_u64 s[4:5], 0
	s_subb_u32 s52, s8, 0
	;; [unrolled: 4-line block ×3, first 2 shown]
	s_cmp_ge_u32 s16, s33
	s_cselect_b32 s5, -1, 0
	s_cmp_eq_u32 s52, 0
	s_cselect_b32 s5, s5, -1
	s_cmp_lg_u32 s5, 0
	s_cselect_b32 s4, s4, s52
	s_cselect_b32 s16, s57, s16
	s_cmp_ge_u32 s9, s33
	s_cselect_b32 s5, -1, 0
	s_cmp_eq_u32 s8, 0
	s_cselect_b32 s5, s5, -1
	s_cmp_lg_u32 s5, 0
	s_mov_b32 s52, 0xc0c0004
	s_cselect_b32 s5, s4, s8
	s_cselect_b32 s4, s16, s9
	s_mov_b64 s[8:9], 0
	s_branch .LBB141_248
.LBB141_245:                            ;   in Loop: Header=BB141_31 Depth=1
                                        ; implicit-def: $sgpr4_sgpr5
	s_branch .LBB141_200
.LBB141_246:                            ;   in Loop: Header=BB141_31 Depth=1
                                        ; implicit-def: $sgpr4_sgpr5
	s_branch .LBB141_216
.LBB141_247:                            ;   in Loop: Header=BB141_31 Depth=1
	s_mov_b64 s[8:9], -1
                                        ; implicit-def: $sgpr4_sgpr5
.LBB141_248:                            ;   in Loop: Header=BB141_31 Depth=1
	s_andn2_b64 vcc, exec, s[8:9]
	s_cbranch_vccnz .LBB141_250
; %bb.249:                              ;   in Loop: Header=BB141_31 Depth=1
	v_cvt_f32_u32_e32 v6, s33
	s_sub_i32 s4, 0, s33
	v_rcp_iflag_f32_e32 v6, v6
	v_mul_f32_e32 v6, 0x4f7ffffe, v6
	v_cvt_u32_f32_e32 v6, v6
	v_readfirstlane_b32 s5, v6
	s_mul_i32 s4, s4, s5
	s_mul_hi_u32 s4, s5, s4
	s_add_i32 s5, s5, s4
	s_mul_hi_u32 s4, s56, s5
	s_mul_i32 s4, s4, s33
	s_sub_i32 s4, s56, s4
	s_sub_i32 s5, s4, s33
	s_cmp_ge_u32 s4, s33
	s_cselect_b32 s4, s5, s4
	s_sub_i32 s5, s4, s33
	s_cmp_ge_u32 s4, s33
	s_cselect_b32 s52, s5, s4
	s_mov_b64 s[4:5], s[52:53]
	s_mov_b32 s52, 0xc0c0004
.LBB141_250:                            ;   in Loop: Header=BB141_31 Depth=1
	s_sub_u32 s8, s56, s4
	s_subb_u32 s9, s17, s5
	v_cmp_gt_u64_e32 vcc, s[8:9], v[0:1]
	s_mov_b64 s[4:5], 0
	s_mov_b64 s[16:17], 0
                                        ; implicit-def: $vgpr8
	s_and_saveexec_b64 s[68:69], vcc
	s_cbranch_execz .LBB141_259
; %bb.251:                              ;   in Loop: Header=BB141_31 Depth=1
	v_mov_b32_e32 v7, v1
	v_mov_b32_e32 v8, v0
	v_mov_b32_e32 v6, v0
                                        ; implicit-def: $sgpr56_sgpr57
	s_branch .LBB141_254
.LBB141_252:                            ;   in Loop: Header=BB141_254 Depth=2
	s_or_b64 exec, exec, s[58:59]
	s_waitcnt lgkmcnt(0)
	s_barrier
	ds_read_u16 v9, v3 offset:3072
	s_mov_b64 s[58:59], -1
	s_waitcnt lgkmcnt(0)
	s_barrier
	v_cmp_ne_u32_sdwa s[64:65], v9, v3 src0_sel:BYTE_0 src1_sel:DWORD
	s_and_b64 vcc, exec, s[64:65]
	s_mov_b64 s[64:65], -1
	s_cbranch_vccz .LBB141_257
.LBB141_253:                            ;   in Loop: Header=BB141_254 Depth=2
	s_and_b64 s[58:59], exec, s[58:59]
	s_or_b64 s[16:17], s[58:59], s[16:17]
	s_andn2_b64 s[56:57], s[56:57], exec
	s_and_b64 s[58:59], s[64:65], exec
	s_or_b64 s[56:57], s[56:57], s[58:59]
	s_andn2_b64 exec, exec, s[16:17]
	s_cbranch_execz .LBB141_258
.LBB141_254:                            ;   Parent Loop BB141_31 Depth=1
                                        ; =>  This Inner Loop Header: Depth=2
	v_cmp_gt_u64_e32 vcc, s[72:73], v[6:7]
	s_and_saveexec_b64 s[58:59], vcc
	s_cbranch_execz .LBB141_252
; %bb.255:                              ;   in Loop: Header=BB141_254 Depth=2
	ds_read_u8 v9, v8
	s_waitcnt lgkmcnt(0)
	v_add_u32_sdwa v28, sext(v9), s0 dst_sel:DWORD dst_unused:UNUSED_PAD src0_sel:BYTE_0 src1_sel:DWORD
	v_and_b32_e32 v28, v28, v10
	v_cmp_eq_u32_e32 vcc, v28, v11
	s_and_b64 exec, exec, vcc
	s_cbranch_execz .LBB141_252
; %bb.256:                              ;   in Loop: Header=BB141_254 Depth=2
	v_lshlrev_b16_e32 v9, 8, v9
	v_or_b32_e32 v9, 1, v9
	ds_write_b16 v3, v9 offset:3072
	s_branch .LBB141_252
.LBB141_257:                            ;   in Loop: Header=BB141_254 Depth=2
	v_add_co_u32_e32 v6, vcc, s33, v6
	v_addc_co_u32_e32 v7, vcc, 0, v7, vcc
	v_cmp_le_u64_e32 vcc, s[8:9], v[6:7]
	v_add_u32_e32 v8, s33, v8
	s_mov_b64 s[64:65], 0
	s_orn2_b64 s[58:59], vcc, exec
	s_branch .LBB141_253
.LBB141_258:                            ;   in Loop: Header=BB141_31 Depth=1
	s_or_b64 exec, exec, s[16:17]
	v_lshrrev_b32_sdwa v8, v43, v9 dst_sel:DWORD dst_unused:UNUSED_PAD src0_sel:DWORD src1_sel:WORD_0
	s_and_b64 s[16:17], s[56:57], exec
.LBB141_259:                            ;   in Loop: Header=BB141_31 Depth=1
	s_or_b64 exec, exec, s[68:69]
	v_readlane_b32 s64, v57, 63
	v_readlane_b32 s65, v56, 0
	v_readlane_b32 s59, v57, 51
	s_mul_i32 s58, s26, s33
.LBB141_260:                            ;   in Loop: Header=BB141_31 Depth=1
	s_and_b64 vcc, exec, s[4:5]
	s_cbranch_vccz .LBB141_263
; %bb.261:                              ;   in Loop: Header=BB141_31 Depth=1
	v_readlane_b32 s72, v57, 25
	v_readlane_b32 s73, v57, 26
	s_mov_b32 s72, s53
	s_cmp_lg_u64 s[72:73], 0
	v_writelane_b32 v57, s72, 25
	v_writelane_b32 v57, s73, 26
	s_cbranch_scc0 .LBB141_264
; %bb.262:                              ;   in Loop: Header=BB141_31 Depth=1
	v_cvt_f32_u32_e32 v6, s33
	s_sub_u32 s8, 0, s33
	s_subb_u32 s9, 0, 0
	s_mov_b64 s[68:69], s[64:65]
	v_mac_f32_e32 v6, 0, v42
	v_rcp_f32_e32 v6, v6
	v_mul_f32_e32 v6, 0x5f7ffffc, v6
	v_mul_f32_e32 v7, 0x2f800000, v6
	v_trunc_f32_e32 v7, v7
	v_mac_f32_e32 v6, 0xcf800000, v7
	v_cvt_u32_f32_e32 v7, v7
	v_cvt_u32_f32_e32 v6, v6
	v_readfirstlane_b32 s52, v7
	v_readfirstlane_b32 s4, v6
	s_mul_i32 s5, s8, s52
	s_mul_hi_u32 s57, s8, s4
	s_mul_i32 s56, s9, s4
	s_add_i32 s5, s57, s5
	s_mul_i32 s58, s8, s4
	s_add_i32 s5, s5, s56
	s_mul_hi_u32 s57, s4, s58
	s_mul_i32 s59, s4, s5
	s_mul_hi_u32 s56, s4, s5
	s_add_u32 s57, s57, s59
	s_addc_u32 s56, 0, s56
	s_mul_hi_u32 s64, s52, s58
	s_mul_i32 s58, s52, s58
	s_add_u32 s57, s57, s58
	s_mul_hi_u32 s59, s52, s5
	s_addc_u32 s56, s56, s64
	s_addc_u32 s57, s59, 0
	s_mul_i32 s5, s52, s5
	s_add_u32 s5, s56, s5
	s_addc_u32 s56, 0, s57
	s_add_u32 s57, s4, s5
	s_cselect_b64 s[4:5], -1, 0
	s_cmp_lg_u64 s[4:5], 0
	s_addc_u32 s52, s52, s56
	s_mul_i32 s4, s8, s52
	s_mul_hi_u32 s5, s8, s57
	s_add_i32 s4, s5, s4
	s_mul_i32 s9, s9, s57
	s_add_i32 s4, s4, s9
	s_mul_i32 s8, s8, s57
	s_mul_hi_u32 s9, s52, s8
	s_mul_i32 s56, s52, s8
	s_mul_i32 s59, s57, s4
	s_mul_hi_u32 s8, s57, s8
	s_mul_hi_u32 s58, s57, s4
	s_add_u32 s8, s8, s59
	s_addc_u32 s58, 0, s58
	s_add_u32 s8, s8, s56
	s_mul_hi_u32 s5, s52, s4
	s_addc_u32 s8, s58, s9
	s_addc_u32 s5, s5, 0
	s_mul_i32 s4, s52, s4
	s_add_u32 s4, s8, s4
	s_addc_u32 s8, 0, s5
	s_add_u32 s9, s57, s4
	s_cselect_b64 s[4:5], -1, 0
	s_cmp_lg_u64 s[4:5], 0
	s_addc_u32 s4, s52, s8
	v_readlane_b32 s57, v57, 23
	s_mul_i32 s8, s57, s4
	s_mul_hi_u32 s52, s57, s9
	s_mul_hi_u32 s5, s57, s4
	s_add_u32 s8, s52, s8
	s_addc_u32 s5, 0, s5
	s_mul_hi_u32 s56, s73, s9
	s_mul_i32 s9, s73, s9
	s_add_u32 s8, s8, s9
	s_mul_hi_u32 s52, s73, s4
	s_addc_u32 s5, s5, s56
	s_addc_u32 s8, s52, 0
	s_mul_i32 s4, s73, s4
	s_add_u32 s4, s5, s4
	s_addc_u32 s5, 0, s8
	s_mul_i32 s5, s33, s5
	s_mul_hi_u32 s8, s33, s4
	s_add_i32 s8, s8, s5
	s_mul_i32 s4, s33, s4
	s_sub_u32 s9, s57, s4
	s_cselect_b64 s[4:5], -1, 0
	s_cmp_lg_u64 s[4:5], 0
	s_subb_u32 s8, s73, s8
	s_sub_u32 s52, s9, s33
	s_cselect_b64 s[4:5], -1, 0
	s_cmp_lg_u64 s[4:5], 0
	s_subb_u32 s56, s8, 0
	;; [unrolled: 4-line block ×3, first 2 shown]
	s_cmp_ge_u32 s52, s33
	s_cselect_b32 s5, -1, 0
	s_cmp_eq_u32 s56, 0
	s_cselect_b32 s5, s5, -1
	s_cmp_lg_u32 s5, 0
	s_cselect_b32 s4, s4, s56
	s_cselect_b32 s52, s57, s52
	s_cmp_ge_u32 s9, s33
	s_cselect_b32 s5, -1, 0
	s_cmp_eq_u32 s8, 0
	s_cselect_b32 s5, s5, -1
	s_cmp_lg_u32 s5, 0
	s_mov_b64 s[64:65], s[68:69]
	v_readlane_b32 s59, v57, 51
	s_mul_i32 s58, s26, s33
	s_cselect_b32 s5, s4, s8
	s_cselect_b32 s4, s52, s9
	s_mov_b64 s[8:9], 0
	s_branch .LBB141_265
.LBB141_263:                            ;   in Loop: Header=BB141_31 Depth=1
	s_mov_b64 s[68:69], -1
	s_mov_b64 s[72:73], 0
	s_branch .LBB141_277
.LBB141_264:                            ;   in Loop: Header=BB141_31 Depth=1
	s_mov_b64 s[8:9], -1
                                        ; implicit-def: $sgpr4_sgpr5
.LBB141_265:                            ;   in Loop: Header=BB141_31 Depth=1
	s_andn2_b64 vcc, exec, s[8:9]
	s_cbranch_vccnz .LBB141_267
; %bb.266:                              ;   in Loop: Header=BB141_31 Depth=1
	v_cvt_f32_u32_e32 v6, s33
	s_sub_i32 s4, 0, s33
	v_readlane_b32 s8, v57, 23
	v_rcp_iflag_f32_e32 v6, v6
	v_mul_f32_e32 v6, 0x4f7ffffe, v6
	v_cvt_u32_f32_e32 v6, v6
	v_readfirstlane_b32 s5, v6
	s_mul_i32 s4, s4, s5
	s_mul_hi_u32 s4, s5, s4
	s_add_i32 s5, s5, s4
	s_mul_hi_u32 s4, s8, s5
	s_mul_i32 s4, s4, s33
	s_sub_i32 s4, s8, s4
	s_sub_i32 s5, s4, s33
	s_cmp_ge_u32 s4, s33
	s_cselect_b32 s4, s5, s4
	s_sub_i32 s5, s4, s33
	s_cmp_ge_u32 s4, s33
	s_cselect_b32 s52, s5, s4
	s_mov_b64 s[4:5], s[52:53]
.LBB141_267:                            ;   in Loop: Header=BB141_31 Depth=1
	v_readlane_b32 s8, v57, 23
	s_sub_u32 s72, s8, s4
	v_readlane_b32 s8, v57, 25
	v_readlane_b32 s9, v57, 26
	s_subb_u32 s73, s9, s5
	v_cmp_gt_u64_e32 vcc, s[72:73], v[0:1]
                                        ; implicit-def: $vgpr8
	s_and_saveexec_b64 s[4:5], vcc
	s_mov_b32 s52, 0xc0c0004
	s_cbranch_execz .LBB141_276
; %bb.268:                              ;   in Loop: Header=BB141_31 Depth=1
	v_mov_b32_e32 v6, v21
	v_mov_b32_e32 v9, v1
	s_mov_b64 s[8:9], 0
	v_mov_b32_e32 v7, v22
	v_mov_b32_e32 v8, v0
                                        ; implicit-def: $sgpr68_sgpr69
	s_branch .LBB141_271
.LBB141_269:                            ;   in Loop: Header=BB141_271 Depth=2
	s_or_b64 exec, exec, s[56:57]
	s_waitcnt lgkmcnt(0)
	s_barrier
	ds_read_u16 v28, v3 offset:3072
	s_mov_b64 s[56:57], -1
	s_waitcnt lgkmcnt(0)
	s_barrier
	v_cmp_eq_u32_sdwa s[58:59], v28, v3 src0_sel:BYTE_0 src1_sel:DWORD
	s_and_b64 vcc, exec, s[58:59]
	s_mov_b64 s[58:59], -1
	s_cbranch_vccnz .LBB141_274
.LBB141_270:                            ;   in Loop: Header=BB141_271 Depth=2
	s_and_b64 s[56:57], exec, s[56:57]
	s_or_b64 s[8:9], s[56:57], s[8:9]
	s_andn2_b64 s[56:57], s[68:69], exec
	s_and_b64 s[58:59], s[58:59], exec
	s_or_b64 s[68:69], s[56:57], s[58:59]
	s_andn2_b64 exec, exec, s[8:9]
	s_cbranch_execz .LBB141_275
.LBB141_271:                            ;   Parent Loop BB141_31 Depth=1
                                        ; =>  This Inner Loop Header: Depth=2
	v_cmp_gt_u64_e32 vcc, s[28:29], v[8:9]
	s_and_saveexec_b64 s[56:57], vcc
	s_cbranch_execz .LBB141_269
; %bb.272:                              ;   in Loop: Header=BB141_271 Depth=2
	global_load_ubyte v28, v[6:7], off
	s_waitcnt vmcnt(0)
	v_add_u32_sdwa v29, sext(v28), s0 dst_sel:DWORD dst_unused:UNUSED_PAD src0_sel:BYTE_0 src1_sel:DWORD
	v_and_b32_e32 v29, v29, v10
	v_cmp_eq_u32_e32 vcc, v29, v11
	s_and_b64 exec, exec, vcc
	s_cbranch_execz .LBB141_269
; %bb.273:                              ;   in Loop: Header=BB141_271 Depth=2
	v_lshlrev_b16_e32 v28, 8, v28
	v_or_b32_e32 v28, 1, v28
	ds_write_b16 v3, v28 offset:3072
	s_branch .LBB141_269
.LBB141_274:                            ;   in Loop: Header=BB141_271 Depth=2
	v_add_co_u32_e32 v8, vcc, s33, v8
	v_readlane_b32 s52, v57, 51
	v_addc_co_u32_e32 v9, vcc, 0, v9, vcc
	v_mov_b32_e32 v29, s52
	s_mul_i32 s52, s26, s33
	v_add_co_u32_e32 v6, vcc, s52, v6
	v_addc_co_u32_e32 v7, vcc, v7, v29, vcc
	v_cmp_le_u64_e32 vcc, s[72:73], v[8:9]
	s_mov_b32 s52, 0xc0c0004
	s_mov_b64 s[58:59], 0
	s_orn2_b64 s[56:57], vcc, exec
	s_branch .LBB141_270
.LBB141_275:                            ;   in Loop: Header=BB141_31 Depth=1
	s_or_b64 exec, exec, s[8:9]
	s_andn2_b64 s[8:9], s[16:17], exec
	s_and_b64 s[16:17], s[68:69], exec
	v_lshrrev_b32_sdwa v8, v43, v28 dst_sel:DWORD dst_unused:UNUSED_PAD src0_sel:DWORD src1_sel:WORD_0
	s_or_b64 s[16:17], s[8:9], s[16:17]
	v_readlane_b32 s59, v57, 51
	s_mul_i32 s58, s26, s33
.LBB141_276:                            ;   in Loop: Header=BB141_31 Depth=1
	s_or_b64 exec, exec, s[4:5]
	s_mov_b64 s[68:69], 0
	s_mov_b64 s[72:73], -1
.LBB141_277:                            ;   in Loop: Header=BB141_31 Depth=1
	s_orn2_b64 s[8:9], s[16:17], exec
.LBB141_278:                            ;   in Loop: Header=BB141_31 Depth=1
	v_readlane_b32 s4, v56, 3
	v_readlane_b32 s5, v56, 4
	s_or_b64 exec, exec, s[4:5]
	s_mov_b64 s[16:17], 0
	s_and_saveexec_b64 s[4:5], s[8:9]
	v_readlane_b32 s56, v57, 61
	v_readlane_b32 s57, v57, 62
	s_cbranch_execz .LBB141_289
; %bb.279:                              ;   in Loop: Header=BB141_31 Depth=1
	v_mov_b32_e32 v6, 1
	s_xor_b64 s[16:17], s[66:67], -1
	v_mov_b32_e32 v7, 0
	v_mov_b32_e32 v2, 1
	s_and_saveexec_b64 s[8:9], s[16:17]
	s_cbranch_execz .LBB141_288
; %bb.280:                              ;   in Loop: Header=BB141_31 Depth=1
	v_cmp_ge_u64_e32 vcc, s[50:51], v[4:5]
	s_and_saveexec_b64 s[16:17], vcc
	s_xor_b64 s[16:17], exec, s[16:17]
	s_cbranch_execz .LBB141_285
; %bb.281:                              ;   in Loop: Header=BB141_31 Depth=1
	ds_read_b64 v[6:7], v3 offset:5120
	v_or_b32_e32 v11, s1, v11
	v_or_b32_e32 v10, s1, v10
	s_waitcnt lgkmcnt(0)
	v_cmp_ne_u64_e32 vcc, 0, v[6:7]
	s_cbranch_vccnz .LBB141_285
; %bb.282:                              ;   in Loop: Header=BB141_31 Depth=1
	s_mov_b64 s[56:57], exec
	v_readlane_b32 s58, v57, 8
	v_readlane_b32 s59, v57, 9
	s_and_b64 s[58:59], s[56:57], s[58:59]
	s_mov_b64 exec, s[58:59]
; %bb.283:                              ;   in Loop: Header=BB141_31 Depth=1
	v_mov_b32_e32 v6, s50
	v_mov_b32_e32 v7, s51
	ds_write_b64 v3, v[6:7] offset:5128
; %bb.284:                              ;   in Loop: Header=BB141_31 Depth=1
	s_or_b64 exec, exec, s[56:57]
	v_readlane_b32 s59, v57, 51
	s_mul_i32 s58, s26, s33
	s_waitcnt lgkmcnt(0)
	s_barrier
.LBB141_285:                            ;   in Loop: Header=BB141_31 Depth=1
	s_andn2_saveexec_b64 s[16:17], s[16:17]
; %bb.286:                              ;   in Loop: Header=BB141_31 Depth=1
	v_mov_b32_e32 v2, s51
	v_subrev_co_u32_e32 v4, vcc, s50, v4
	v_subb_co_u32_e32 v5, vcc, v5, v2, vcc
; %bb.287:                              ;   in Loop: Header=BB141_31 Depth=1
	s_or_b64 exec, exec, s[16:17]
	v_mov_b32_e32 v7, v5
	v_readlane_b32 s56, v57, 61
	v_mov_b32_e32 v2, 8
	v_mov_b32_e32 v6, v4
	v_readlane_b32 s57, v57, 62
.LBB141_288:                            ;   in Loop: Header=BB141_31 Depth=1
	s_or_b64 exec, exec, s[8:9]
	v_mov_b32_e32 v4, v6
	s_mov_b64 s[16:17], exec
	v_mov_b32_e32 v5, v7
.LBB141_289:                            ;   in Loop: Header=BB141_31 Depth=1
	s_or_b64 exec, exec, s[4:5]
	s_orn2_b64 s[4:5], s[16:17], exec
.LBB141_290:                            ;   in Loop: Header=BB141_31 Depth=1
	s_or_b64 exec, exec, s[60:61]
	v_readlane_b32 s8, v57, 59
	v_readlane_b32 s9, v57, 60
	s_andn2_b64 s[8:9], s[8:9], exec
	s_and_b64 s[16:17], s[72:73], exec
	s_or_b64 s[8:9], s[8:9], s[16:17]
	v_writelane_b32 v57, s8, 59
	v_writelane_b32 v57, s9, 60
	v_readlane_b32 s8, v56, 1
	v_readlane_b32 s9, v56, 2
	s_andn2_b64 s[8:9], s[8:9], exec
	s_and_b64 s[16:17], s[68:69], exec
	v_mov_b32_e32 v7, v5
	s_or_b64 s[66:67], s[8:9], s[16:17]
	s_and_b64 s[8:9], s[4:5], exec
	v_mov_b32_e32 v6, v4
.LBB141_291:                            ;   in Loop: Header=BB141_31 Depth=1
	s_or_b64 exec, exec, s[10:11]
	s_orn2_b64 s[4:5], s[8:9], exec
.LBB141_292:                            ;   in Loop: Header=BB141_31 Depth=1
	s_or_b64 exec, exec, s[56:57]
	v_readlane_b32 s8, v57, 59
	v_readlane_b32 s9, v57, 60
	s_andn2_b64 s[6:7], s[6:7], exec
	s_and_b64 s[8:9], s[8:9], exec
	s_or_b64 s[6:7], s[6:7], s[8:9]
	s_andn2_b64 s[8:9], s[40:41], exec
	s_and_b64 s[10:11], s[66:67], exec
	v_mov_b32_e32 v4, v6
	s_or_b64 s[40:41], s[8:9], s[10:11]
	s_and_b64 s[10:11], s[4:5], exec
	v_mov_b32_e32 v5, v7
.LBB141_293:                            ;   in Loop: Header=BB141_31 Depth=1
	s_or_b64 exec, exec, s[70:71]
	s_orn2_b64 s[4:5], s[10:11], exec
.LBB141_294:                            ;   in Loop: Header=BB141_31 Depth=1
	s_or_b64 exec, exec, s[20:21]
	s_mov_b64 s[8:9], 0
	s_mov_b64 s[10:11], 0
	s_and_saveexec_b64 s[16:17], s[4:5]
	s_xor_b64 s[4:5], exec, s[16:17]
; %bb.295:                              ;   in Loop: Header=BB141_31 Depth=1
	v_cmp_eq_u32_e32 vcc, 8, v2
	v_cmp_ne_u32_e64 s[20:21], 8, v2
	s_and_b64 s[10:11], s[20:21], exec
	s_and_b64 s[8:9], vcc, exec
; %bb.296:                              ;   in Loop: Header=BB141_31 Depth=1
	s_or_b64 exec, exec, s[4:5]
	s_andn2_b64 s[4:5], s[12:13], exec
	s_and_b64 s[6:7], s[6:7], exec
	s_or_b64 s[12:13], s[4:5], s[6:7]
	s_andn2_b64 s[4:5], s[14:15], exec
	s_and_b64 s[6:7], s[40:41], exec
	s_or_b64 s[14:15], s[4:5], s[6:7]
	s_and_b64 s[20:21], s[10:11], exec
	s_and_b64 s[40:41], s[8:9], exec
.LBB141_297:                            ;   in Loop: Header=BB141_31 Depth=1
	s_or_b64 exec, exec, s[38:39]
.LBB141_298:                            ;   in Loop: Header=BB141_31 Depth=1
	s_and_b64 vcc, exec, s[2:3]
	s_cbranch_vccz .LBB141_314
; %bb.299:                              ;   in Loop: Header=BB141_31 Depth=1
	s_cmp_eq_u64 s[50:51], 1
	s_cselect_b64 s[2:3], -1, 0
	s_and_b64 s[6:7], s[2:3], s[18:19]
	s_mov_b64 s[4:5], -1
                                        ; implicit-def: $sgpr2_sgpr3
                                        ; implicit-def: $sgpr24_sgpr25
	s_and_saveexec_b64 s[8:9], s[6:7]
	s_cbranch_execz .LBB141_332
; %bb.300:                              ;   in Loop: Header=BB141_31 Depth=1
	ds_read_b64 v[4:5], v3 offset:5120
	s_waitcnt lgkmcnt(0)
	s_barrier
	v_readfirstlane_b32 s12, v4
	v_readfirstlane_b32 s13, v5
	s_mov_b64 s[2:3], exec
	v_readlane_b32 s4, v57, 46
	v_readlane_b32 s5, v57, 47
	s_and_b64 s[4:5], s[2:3], s[4:5]
	s_mov_b64 exec, s[4:5]
; %bb.301:                              ;   in Loop: Header=BB141_31 Depth=1
	ds_write_b8 v0, v3 offset:3072
; %bb.302:                              ;   in Loop: Header=BB141_31 Depth=1
	s_or_b64 exec, exec, s[2:3]
	v_or_b32_e32 v41, s1, v41
	v_or_b32_e32 v44, s1, v44
	s_mov_b64 s[24:25], -1
	s_mov_b64 s[2:3], 0
	s_cmp_eq_u64 s[12:13], 0
	s_mov_b64 s[10:11], 0
	s_mov_b64 s[14:15], -1
	s_waitcnt lgkmcnt(0)
	s_barrier
                                        ; implicit-def: $vgpr45
	s_cbranch_scc1 .LBB141_317
; %bb.303:                              ;   in Loop: Header=BB141_31 Depth=1
	v_readlane_b32 s4, v57, 22
	s_add_u32 s16, s12, s4
	v_readlane_b32 s4, v57, 24
	s_addc_u32 s11, s13, s4
	s_mov_b32 s10, s53
	s_cmp_lg_u64 s[10:11], 0
	s_cbranch_scc0 .LBB141_358
; %bb.304:                              ;   in Loop: Header=BB141_31 Depth=1
	v_cvt_f32_u32_e32 v2, s33
	s_sub_u32 s10, 0, s33
	s_subb_u32 s14, 0, 0
	v_mac_f32_e32 v2, 0, v42
	v_rcp_f32_e32 v2, v2
	v_mul_f32_e32 v2, 0x5f7ffffc, v2
	v_mul_f32_e32 v4, 0x2f800000, v2
	v_trunc_f32_e32 v4, v4
	v_mac_f32_e32 v2, 0xcf800000, v4
	v_cvt_u32_f32_e32 v4, v4
	v_cvt_u32_f32_e32 v2, v2
	v_readfirstlane_b32 s15, v4
	v_readfirstlane_b32 s4, v2
	s_mul_i32 s5, s10, s15
	s_mul_hi_u32 s18, s10, s4
	s_mul_i32 s17, s14, s4
	s_add_i32 s5, s18, s5
	s_mul_i32 s19, s10, s4
	s_add_i32 s5, s5, s17
	s_mul_hi_u32 s18, s4, s19
	s_mul_i32 s38, s4, s5
	s_mul_hi_u32 s17, s4, s5
	s_add_u32 s18, s18, s38
	s_addc_u32 s17, 0, s17
	s_mul_hi_u32 s39, s15, s19
	s_mul_i32 s19, s15, s19
	s_add_u32 s18, s18, s19
	s_mul_hi_u32 s38, s15, s5
	s_addc_u32 s17, s17, s39
	s_addc_u32 s18, s38, 0
	s_mul_i32 s5, s15, s5
	s_add_u32 s5, s17, s5
	s_addc_u32 s17, 0, s18
	s_add_u32 s18, s4, s5
	s_cselect_b64 s[4:5], -1, 0
	s_cmp_lg_u64 s[4:5], 0
	s_addc_u32 s15, s15, s17
	s_mul_i32 s4, s10, s15
	s_mul_hi_u32 s5, s10, s18
	s_add_i32 s4, s5, s4
	s_mul_i32 s14, s14, s18
	s_add_i32 s4, s4, s14
	s_mul_i32 s10, s10, s18
	s_mul_hi_u32 s14, s15, s10
	s_mul_i32 s17, s15, s10
	s_mul_i32 s38, s18, s4
	s_mul_hi_u32 s10, s18, s10
	s_mul_hi_u32 s19, s18, s4
	s_add_u32 s10, s10, s38
	s_addc_u32 s19, 0, s19
	s_add_u32 s10, s10, s17
	s_mul_hi_u32 s5, s15, s4
	s_addc_u32 s10, s19, s14
	s_addc_u32 s5, s5, 0
	s_mul_i32 s4, s15, s4
	s_add_u32 s4, s10, s4
	s_addc_u32 s10, 0, s5
	s_add_u32 s14, s18, s4
	s_cselect_b64 s[4:5], -1, 0
	s_cmp_lg_u64 s[4:5], 0
	s_addc_u32 s4, s15, s10
	s_mul_i32 s10, s16, s4
	s_mul_hi_u32 s15, s16, s14
	s_mul_hi_u32 s5, s16, s4
	s_add_u32 s10, s15, s10
	s_addc_u32 s5, 0, s5
	s_mul_hi_u32 s17, s11, s14
	s_mul_i32 s14, s11, s14
	s_add_u32 s10, s10, s14
	s_mul_hi_u32 s15, s11, s4
	s_addc_u32 s5, s5, s17
	s_addc_u32 s10, s15, 0
	s_mul_i32 s4, s11, s4
	s_add_u32 s4, s5, s4
	s_addc_u32 s5, 0, s10
	s_mul_i32 s5, s33, s5
	s_mul_hi_u32 s10, s33, s4
	s_add_i32 s10, s10, s5
	s_mul_i32 s4, s33, s4
	s_sub_u32 s14, s16, s4
	s_cselect_b64 s[4:5], -1, 0
	s_cmp_lg_u64 s[4:5], 0
	s_subb_u32 s10, s11, s10
	s_sub_u32 s15, s14, s33
	s_cselect_b64 s[4:5], -1, 0
	s_cmp_lg_u64 s[4:5], 0
	s_subb_u32 s17, s10, 0
	;; [unrolled: 4-line block ×3, first 2 shown]
	s_cmp_ge_u32 s15, s33
	s_cselect_b32 s5, -1, 0
	s_cmp_eq_u32 s17, 0
	s_cselect_b32 s5, s5, -1
	s_cmp_lg_u32 s5, 0
	s_cselect_b32 s4, s4, s17
	s_cselect_b32 s15, s18, s15
	s_cmp_ge_u32 s14, s33
	s_cselect_b32 s5, -1, 0
	s_cmp_eq_u32 s10, 0
	s_cselect_b32 s5, s5, -1
	s_cmp_lg_u32 s5, 0
	s_cselect_b32 s5, s4, s10
	s_cselect_b32 s4, s15, s14
	s_cbranch_execnz .LBB141_306
.LBB141_305:                            ;   in Loop: Header=BB141_31 Depth=1
	v_cvt_f32_u32_e32 v2, s33
	s_sub_i32 s4, 0, s33
	v_rcp_iflag_f32_e32 v2, v2
	v_mul_f32_e32 v2, 0x4f7ffffe, v2
	v_cvt_u32_f32_e32 v2, v2
	v_readfirstlane_b32 s5, v2
	s_mul_i32 s4, s4, s5
	s_mul_hi_u32 s4, s5, s4
	s_add_i32 s5, s5, s4
	s_mul_hi_u32 s4, s16, s5
	s_mul_i32 s4, s4, s33
	s_sub_i32 s4, s16, s4
	s_sub_i32 s5, s4, s33
	s_cmp_ge_u32 s4, s33
	s_cselect_b32 s4, s5, s4
	s_sub_i32 s5, s4, s33
	s_cmp_ge_u32 s4, s33
	s_cselect_b32 s52, s5, s4
	s_mov_b64 s[4:5], s[52:53]
	s_mov_b32 s52, 0xc0c0004
.LBB141_306:                            ;   in Loop: Header=BB141_31 Depth=1
	s_sub_u32 s16, s16, s4
	s_subb_u32 s17, s11, s5
	v_cmp_gt_u64_e32 vcc, s[16:17], v[0:1]
	s_mov_b64 s[14:15], 0
	s_mov_b64 s[10:11], 0
                                        ; implicit-def: $vgpr45
	s_and_saveexec_b64 s[4:5], vcc
	s_cbranch_execz .LBB141_316
; %bb.307:                              ;   in Loop: Header=BB141_31 Depth=1
	v_mov_b32_e32 v5, v1
	v_mov_b32_e32 v2, v0
	;; [unrolled: 1-line block ×3, first 2 shown]
                                        ; implicit-def: $sgpr18_sgpr19
	s_branch .LBB141_310
.LBB141_308:                            ;   in Loop: Header=BB141_310 Depth=2
	s_or_b64 exec, exec, s[38:39]
	s_waitcnt lgkmcnt(0)
	s_barrier
	ds_read_u16 v6, v3 offset:3072
	s_mov_b64 s[38:39], -1
	s_waitcnt lgkmcnt(0)
	s_barrier
	v_cmp_ne_u32_sdwa s[56:57], v6, v3 src0_sel:BYTE_0 src1_sel:DWORD
	s_and_b64 vcc, exec, s[56:57]
	s_mov_b64 s[56:57], -1
	s_cbranch_vccz .LBB141_313
.LBB141_309:                            ;   in Loop: Header=BB141_310 Depth=2
	s_and_b64 s[38:39], exec, s[38:39]
	s_or_b64 s[10:11], s[38:39], s[10:11]
	s_andn2_b64 s[18:19], s[18:19], exec
	s_and_b64 s[38:39], s[56:57], exec
	s_or_b64 s[18:19], s[18:19], s[38:39]
	s_andn2_b64 exec, exec, s[10:11]
	s_cbranch_execz .LBB141_315
.LBB141_310:                            ;   Parent Loop BB141_31 Depth=1
                                        ; =>  This Inner Loop Header: Depth=2
	v_cmp_gt_u64_e32 vcc, s[12:13], v[4:5]
	s_and_saveexec_b64 s[38:39], vcc
	s_cbranch_execz .LBB141_308
; %bb.311:                              ;   in Loop: Header=BB141_310 Depth=2
	ds_read_u8 v6, v2
	s_waitcnt lgkmcnt(0)
	v_add_u32_sdwa v7, sext(v6), s0 dst_sel:DWORD dst_unused:UNUSED_PAD src0_sel:BYTE_0 src1_sel:DWORD
	v_and_b32_e32 v7, v7, v44
	v_cmp_eq_u32_e32 vcc, v7, v41
	s_and_b64 exec, exec, vcc
	s_cbranch_execz .LBB141_308
; %bb.312:                              ;   in Loop: Header=BB141_310 Depth=2
	v_lshlrev_b16_e32 v6, 8, v6
	v_or_b32_e32 v6, 1, v6
	ds_write_b16 v3, v6 offset:3072
	s_branch .LBB141_308
.LBB141_313:                            ;   in Loop: Header=BB141_310 Depth=2
	v_add_co_u32_e32 v4, vcc, s33, v4
	v_addc_co_u32_e32 v5, vcc, 0, v5, vcc
	v_cmp_le_u64_e32 vcc, s[16:17], v[4:5]
	v_add_u32_e32 v2, s33, v2
	s_mov_b64 s[56:57], 0
	s_orn2_b64 s[38:39], vcc, exec
	s_branch .LBB141_309
.LBB141_314:                            ;   in Loop: Header=BB141_31 Depth=1
	s_mov_b64 s[2:3], 0
	v_mov_b32_e32 v41, v11
	v_mov_b32_e32 v44, v10
	;; [unrolled: 1-line block ×3, first 2 shown]
	s_and_saveexec_b64 s[4:5], s[40:41]
	s_cbranch_execnz .LBB141_491
	s_branch .LBB141_492
.LBB141_315:                            ;   in Loop: Header=BB141_31 Depth=1
	s_or_b64 exec, exec, s[10:11]
	v_lshrrev_b32_sdwa v45, v43, v6 dst_sel:DWORD dst_unused:UNUSED_PAD src0_sel:DWORD src1_sel:WORD_0
	s_and_b64 s[10:11], s[18:19], exec
.LBB141_316:                            ;   in Loop: Header=BB141_31 Depth=1
	s_or_b64 exec, exec, s[4:5]
.LBB141_317:                            ;   in Loop: Header=BB141_31 Depth=1
	s_and_b64 vcc, exec, s[14:15]
	s_cbranch_vccz .LBB141_331
; %bb.318:                              ;   in Loop: Header=BB141_31 Depth=1
	v_readlane_b32 s18, v57, 25
	v_readlane_b32 s19, v57, 26
	s_mov_b32 s18, s53
	s_cmp_lg_u64 s[18:19], 0
	v_writelane_b32 v57, s18, 25
	v_writelane_b32 v57, s19, 26
	s_cbranch_scc0 .LBB141_359
; %bb.319:                              ;   in Loop: Header=BB141_31 Depth=1
	v_cvt_f32_u32_e32 v2, s33
	s_sub_u32 s4, 0, s33
	s_subb_u32 s5, 0, 0
	v_mac_f32_e32 v2, 0, v42
	v_rcp_f32_e32 v2, v2
	v_mul_f32_e32 v2, 0x5f7ffffc, v2
	v_mul_f32_e32 v4, 0x2f800000, v2
	v_trunc_f32_e32 v4, v4
	v_mac_f32_e32 v2, 0xcf800000, v4
	v_cvt_u32_f32_e32 v4, v4
	v_cvt_u32_f32_e32 v2, v2
	v_readfirstlane_b32 s12, v4
	v_readfirstlane_b32 s2, v2
	s_mul_i32 s3, s4, s12
	s_mul_hi_u32 s14, s4, s2
	s_mul_i32 s13, s5, s2
	s_add_i32 s3, s14, s3
	s_mul_i32 s15, s4, s2
	s_add_i32 s3, s3, s13
	s_mul_hi_u32 s14, s2, s15
	s_mul_i32 s16, s2, s3
	s_mul_hi_u32 s13, s2, s3
	s_add_u32 s14, s14, s16
	s_addc_u32 s13, 0, s13
	s_mul_hi_u32 s17, s12, s15
	s_mul_i32 s15, s12, s15
	s_add_u32 s14, s14, s15
	s_mul_hi_u32 s16, s12, s3
	s_addc_u32 s13, s13, s17
	s_addc_u32 s14, s16, 0
	s_mul_i32 s3, s12, s3
	s_add_u32 s3, s13, s3
	s_addc_u32 s13, 0, s14
	s_add_u32 s14, s2, s3
	s_cselect_b64 s[2:3], -1, 0
	s_cmp_lg_u64 s[2:3], 0
	s_addc_u32 s12, s12, s13
	s_mul_i32 s2, s4, s12
	s_mul_hi_u32 s3, s4, s14
	s_add_i32 s2, s3, s2
	s_mul_i32 s5, s5, s14
	s_add_i32 s2, s2, s5
	s_mul_i32 s4, s4, s14
	s_mul_hi_u32 s5, s12, s4
	s_mul_i32 s13, s12, s4
	s_mul_i32 s16, s14, s2
	s_mul_hi_u32 s4, s14, s4
	s_mul_hi_u32 s15, s14, s2
	s_add_u32 s4, s4, s16
	s_addc_u32 s15, 0, s15
	s_add_u32 s4, s4, s13
	s_mul_hi_u32 s3, s12, s2
	s_addc_u32 s4, s15, s5
	s_addc_u32 s3, s3, 0
	s_mul_i32 s2, s12, s2
	s_add_u32 s2, s4, s2
	s_addc_u32 s4, 0, s3
	s_add_u32 s5, s14, s2
	s_cselect_b64 s[2:3], -1, 0
	s_cmp_lg_u64 s[2:3], 0
	s_addc_u32 s2, s12, s4
	v_readlane_b32 s14, v57, 23
	s_mul_i32 s4, s14, s2
	s_mul_hi_u32 s12, s14, s5
	s_mul_hi_u32 s3, s14, s2
	s_add_u32 s4, s12, s4
	s_addc_u32 s3, 0, s3
	s_mul_hi_u32 s13, s19, s5
	s_mul_i32 s5, s19, s5
	s_add_u32 s4, s4, s5
	s_mul_hi_u32 s12, s19, s2
	s_addc_u32 s3, s3, s13
	s_addc_u32 s4, s12, 0
	s_mul_i32 s2, s19, s2
	s_add_u32 s2, s3, s2
	s_addc_u32 s3, 0, s4
	s_mul_i32 s3, s33, s3
	s_mul_hi_u32 s4, s33, s2
	s_add_i32 s4, s4, s3
	s_mul_i32 s2, s33, s2
	s_sub_u32 s5, s14, s2
	s_cselect_b64 s[2:3], -1, 0
	s_cmp_lg_u64 s[2:3], 0
	s_subb_u32 s4, s19, s4
	s_sub_u32 s12, s5, s33
	s_cselect_b64 s[2:3], -1, 0
	s_cmp_lg_u64 s[2:3], 0
	s_subb_u32 s13, s4, 0
	;; [unrolled: 4-line block ×3, first 2 shown]
	s_cmp_ge_u32 s12, s33
	s_cselect_b32 s3, -1, 0
	s_cmp_eq_u32 s13, 0
	s_cselect_b32 s3, s3, -1
	s_cmp_lg_u32 s3, 0
	s_cselect_b32 s2, s2, s13
	s_cselect_b32 s12, s14, s12
	s_cmp_ge_u32 s5, s33
	s_cselect_b32 s3, -1, 0
	s_cmp_eq_u32 s4, 0
	s_cselect_b32 s3, s3, -1
	s_cmp_lg_u32 s3, 0
	s_cselect_b32 s3, s2, s4
	s_cselect_b32 s2, s12, s5
	s_cbranch_execnz .LBB141_321
.LBB141_320:                            ;   in Loop: Header=BB141_31 Depth=1
	v_cvt_f32_u32_e32 v2, s33
	s_sub_i32 s2, 0, s33
	v_readlane_b32 s4, v57, 23
	v_rcp_iflag_f32_e32 v2, v2
	v_mul_f32_e32 v2, 0x4f7ffffe, v2
	v_cvt_u32_f32_e32 v2, v2
	v_readfirstlane_b32 s3, v2
	s_mul_i32 s2, s2, s3
	s_mul_hi_u32 s2, s3, s2
	s_add_i32 s3, s3, s2
	s_mul_hi_u32 s2, s4, s3
	s_mul_i32 s2, s2, s33
	s_sub_i32 s2, s4, s2
	s_sub_i32 s3, s2, s33
	s_cmp_ge_u32 s2, s33
	s_cselect_b32 s2, s3, s2
	s_sub_i32 s3, s2, s33
	s_cmp_ge_u32 s2, s33
	s_cselect_b32 s52, s3, s2
	s_mov_b64 s[2:3], s[52:53]
	s_mov_b32 s52, 0xc0c0004
.LBB141_321:                            ;   in Loop: Header=BB141_31 Depth=1
	v_readlane_b32 s4, v57, 23
	v_readlane_b32 s12, v57, 25
	s_sub_u32 s4, s4, s2
	v_readlane_b32 s13, v57, 26
	s_subb_u32 s5, s13, s3
	v_cmp_gt_u64_e32 vcc, s[4:5], v[0:1]
                                        ; implicit-def: $vgpr45
	s_and_saveexec_b64 s[2:3], vcc
	s_cbranch_execz .LBB141_330
; %bb.322:                              ;   in Loop: Header=BB141_31 Depth=1
	v_mov_b32_e32 v4, v21
	v_mov_b32_e32 v7, v1
	s_mov_b64 s[12:13], 0
	v_mov_b32_e32 v5, v22
	v_mov_b32_e32 v6, v0
                                        ; implicit-def: $sgpr14_sgpr15
	s_branch .LBB141_325
.LBB141_323:                            ;   in Loop: Header=BB141_325 Depth=2
	s_or_b64 exec, exec, s[16:17]
	s_waitcnt lgkmcnt(0)
	s_barrier
	ds_read_u16 v2, v3 offset:3072
	s_mov_b64 s[16:17], -1
	s_waitcnt lgkmcnt(0)
	s_barrier
	v_cmp_ne_u32_sdwa s[18:19], v2, v3 src0_sel:BYTE_0 src1_sel:DWORD
	s_and_b64 vcc, exec, s[18:19]
	s_mov_b64 s[18:19], -1
	s_cbranch_vccz .LBB141_328
.LBB141_324:                            ;   in Loop: Header=BB141_325 Depth=2
	s_and_b64 s[16:17], exec, s[16:17]
	s_or_b64 s[12:13], s[16:17], s[12:13]
	s_andn2_b64 s[14:15], s[14:15], exec
	s_and_b64 s[16:17], s[18:19], exec
	s_or_b64 s[14:15], s[14:15], s[16:17]
	s_andn2_b64 exec, exec, s[12:13]
	s_cbranch_execz .LBB141_329
.LBB141_325:                            ;   Parent Loop BB141_31 Depth=1
                                        ; =>  This Inner Loop Header: Depth=2
	v_cmp_gt_u64_e32 vcc, s[28:29], v[6:7]
	s_and_saveexec_b64 s[16:17], vcc
	s_cbranch_execz .LBB141_323
; %bb.326:                              ;   in Loop: Header=BB141_325 Depth=2
	global_load_ubyte v2, v[4:5], off
	s_waitcnt vmcnt(0)
	v_add_u32_sdwa v8, sext(v2), s0 dst_sel:DWORD dst_unused:UNUSED_PAD src0_sel:BYTE_0 src1_sel:DWORD
	v_and_b32_e32 v8, v8, v44
	v_cmp_eq_u32_e32 vcc, v8, v41
	s_and_b64 exec, exec, vcc
	s_cbranch_execz .LBB141_323
; %bb.327:                              ;   in Loop: Header=BB141_325 Depth=2
	v_lshlrev_b16_e32 v2, 8, v2
	v_or_b32_e32 v2, 1, v2
	ds_write_b16 v3, v2 offset:3072
	s_branch .LBB141_323
.LBB141_328:                            ;   in Loop: Header=BB141_325 Depth=2
	v_add_co_u32_e32 v6, vcc, s33, v6
	v_addc_co_u32_e32 v7, vcc, 0, v7, vcc
	v_mov_b32_e32 v8, s59
	v_add_co_u32_e32 v4, vcc, s58, v4
	v_addc_co_u32_e32 v5, vcc, v5, v8, vcc
	v_cmp_le_u64_e32 vcc, s[4:5], v[6:7]
	s_mov_b64 s[18:19], 0
	s_orn2_b64 s[16:17], vcc, exec
	s_branch .LBB141_324
.LBB141_329:                            ;   in Loop: Header=BB141_31 Depth=1
	s_or_b64 exec, exec, s[12:13]
	s_andn2_b64 s[4:5], s[10:11], exec
	s_and_b64 s[10:11], s[14:15], exec
	v_lshrrev_b32_sdwa v45, v43, v2 dst_sel:DWORD dst_unused:UNUSED_PAD src0_sel:DWORD src1_sel:WORD_0
	s_or_b64 s[10:11], s[4:5], s[10:11]
.LBB141_330:                            ;   in Loop: Header=BB141_31 Depth=1
	s_or_b64 exec, exec, s[2:3]
	s_mov_b64 s[24:25], 0
	s_mov_b64 s[2:3], -1
.LBB141_331:                            ;   in Loop: Header=BB141_31 Depth=1
	s_orn2_b64 s[4:5], s[10:11], exec
.LBB141_332:                            ;   in Loop: Header=BB141_31 Depth=1
	s_or_b64 exec, exec, s[8:9]
                                        ; implicit-def: $vgpr4_vgpr5
                                        ; implicit-def: $vgpr2
	s_and_saveexec_b64 s[12:13], s[4:5]
	s_cbranch_execz .LBB141_490
; %bb.333:                              ;   in Loop: Header=BB141_31 Depth=1
	v_mov_b32_e32 v4, 1
	s_xor_b64 s[4:5], s[6:7], -1
	v_mov_b32_e32 v2, 1
	v_mov_b32_e32 v5, 0
	s_mov_b64 s[8:9], 0
	s_and_saveexec_b64 s[6:7], s[4:5]
	s_cbranch_execz .LBB141_342
; %bb.334:                              ;   in Loop: Header=BB141_31 Depth=1
	v_cmp_ge_u64_e32 vcc, s[50:51], v[26:27]
	s_and_saveexec_b64 s[4:5], vcc
	s_xor_b64 s[4:5], exec, s[4:5]
	s_cbranch_execz .LBB141_339
; %bb.335:                              ;   in Loop: Header=BB141_31 Depth=1
	ds_read_b64 v[4:5], v3 offset:5120
	v_or_b32_e32 v41, s1, v41
	v_or_b32_e32 v44, s1, v44
	s_waitcnt lgkmcnt(0)
	v_cmp_ne_u64_e32 vcc, 0, v[4:5]
	s_cbranch_vccnz .LBB141_339
; %bb.336:                              ;   in Loop: Header=BB141_31 Depth=1
	s_mov_b64 s[8:9], exec
	v_readlane_b32 s10, v57, 8
	v_readlane_b32 s11, v57, 9
	s_and_b64 s[10:11], s[8:9], s[10:11]
	s_mov_b64 exec, s[10:11]
; %bb.337:                              ;   in Loop: Header=BB141_31 Depth=1
	v_mov_b32_e32 v4, s50
	v_mov_b32_e32 v5, s51
	ds_write_b64 v3, v[4:5] offset:5128
; %bb.338:                              ;   in Loop: Header=BB141_31 Depth=1
	s_or_b64 exec, exec, s[8:9]
	s_waitcnt lgkmcnt(0)
	s_barrier
.LBB141_339:                            ;   in Loop: Header=BB141_31 Depth=1
	s_or_saveexec_b64 s[4:5], s[4:5]
	s_mov_b64 s[8:9], 0
	v_mov_b32_e32 v2, 5
	s_xor_b64 exec, exec, s[4:5]
; %bb.340:                              ;   in Loop: Header=BB141_31 Depth=1
	v_subrev_co_u32_e32 v26, vcc, s50, v26
	v_mov_b32_e32 v2, s51
	v_subb_co_u32_e32 v27, vcc, v27, v2, vcc
	v_mov_b32_e32 v2, 0
	s_mov_b64 s[8:9], exec
; %bb.341:                              ;   in Loop: Header=BB141_31 Depth=1
	s_or_b64 exec, exec, s[4:5]
	v_mov_b32_e32 v4, v26
	s_and_b64 s[8:9], s[8:9], exec
	v_mov_b32_e32 v5, v27
.LBB141_342:                            ;   in Loop: Header=BB141_31 Depth=1
	s_or_b64 exec, exec, s[6:7]
	s_mov_b64 s[4:5], -1
                                        ; implicit-def: $sgpr38_sgpr39
                                        ; implicit-def: $sgpr50_sgpr51
	s_and_saveexec_b64 s[6:7], s[8:9]
	s_xor_b64 s[14:15], exec, s[6:7]
	s_cbranch_execz .LBB141_487
; %bb.343:                              ;   in Loop: Header=BB141_31 Depth=1
	s_cmp_eq_u64 s[48:49], 1
	v_cmp_eq_u64_e32 vcc, 1, v[4:5]
	s_cselect_b64 s[4:5], -1, 0
	s_and_b64 s[8:9], s[4:5], vcc
	s_mov_b64 s[4:5], -1
                                        ; implicit-def: $sgpr50_sgpr51
                                        ; implicit-def: $sgpr38_sgpr39
	s_and_saveexec_b64 s[6:7], s[8:9]
	s_cbranch_execz .LBB141_377
; %bb.344:                              ;   in Loop: Header=BB141_31 Depth=1
	ds_read_b64 v[6:7], v3 offset:5120
	s_waitcnt lgkmcnt(0)
	s_barrier
	v_readfirstlane_b32 s16, v6
	v_readfirstlane_b32 s17, v7
	s_mov_b64 s[4:5], exec
	v_readlane_b32 s10, v57, 46
	v_readlane_b32 s11, v57, 47
	s_and_b64 s[10:11], s[4:5], s[10:11]
	s_mov_b64 exec, s[10:11]
; %bb.345:                              ;   in Loop: Header=BB141_31 Depth=1
	ds_write_b8 v0, v3 offset:3072
; %bb.346:                              ;   in Loop: Header=BB141_31 Depth=1
	s_or_b64 exec, exec, s[4:5]
	v_readlane_b32 s4, v57, 58
	v_and_b32_e32 v6, s4, v41
	v_lshl_or_b32 v41, 2, s63, v6
	v_or_b32_e32 v44, s1, v44
	s_mov_b64 s[38:39], -1
	s_mov_b64 s[50:51], 0
	s_cmp_eq_u64 s[16:17], 0
	s_mov_b64 s[10:11], 0
	s_mov_b64 s[18:19], -1
	s_waitcnt lgkmcnt(0)
	s_barrier
                                        ; implicit-def: $vgpr45
	s_cbranch_scc1 .LBB141_362
; %bb.347:                              ;   in Loop: Header=BB141_31 Depth=1
	v_readlane_b32 s4, v57, 22
	s_add_u32 s56, s16, s4
	v_readlane_b32 s4, v57, 24
	s_addc_u32 s11, s17, s4
	s_mov_b32 s10, s53
	s_cmp_lg_u64 s[10:11], 0
	s_cbranch_scc0 .LBB141_403
; %bb.348:                              ;   in Loop: Header=BB141_31 Depth=1
	v_cvt_f32_u32_e32 v6, s33
	s_sub_u32 s10, 0, s33
	s_subb_u32 s18, 0, 0
	v_mac_f32_e32 v6, 0, v42
	v_rcp_f32_e32 v6, v6
	v_mul_f32_e32 v6, 0x5f7ffffc, v6
	v_mul_f32_e32 v7, 0x2f800000, v6
	v_trunc_f32_e32 v7, v7
	v_mac_f32_e32 v6, 0xcf800000, v7
	v_cvt_u32_f32_e32 v7, v7
	v_cvt_u32_f32_e32 v6, v6
	v_readfirstlane_b32 s19, v7
	v_readfirstlane_b32 s4, v6
	s_mul_i32 s5, s10, s19
	s_mul_hi_u32 s57, s10, s4
	s_mul_i32 s52, s18, s4
	s_add_i32 s5, s57, s5
	s_mul_i32 s58, s10, s4
	s_add_i32 s5, s5, s52
	s_mul_hi_u32 s57, s4, s58
	s_mul_i32 s59, s4, s5
	s_mul_hi_u32 s52, s4, s5
	s_add_u32 s57, s57, s59
	s_addc_u32 s52, 0, s52
	s_mul_hi_u32 s60, s19, s58
	s_mul_i32 s58, s19, s58
	s_add_u32 s57, s57, s58
	s_mul_hi_u32 s59, s19, s5
	s_addc_u32 s52, s52, s60
	s_addc_u32 s57, s59, 0
	s_mul_i32 s5, s19, s5
	s_add_u32 s5, s52, s5
	s_addc_u32 s52, 0, s57
	s_add_u32 s57, s4, s5
	s_cselect_b64 s[4:5], -1, 0
	s_cmp_lg_u64 s[4:5], 0
	s_addc_u32 s19, s19, s52
	s_mul_i32 s4, s10, s19
	s_mul_hi_u32 s5, s10, s57
	s_add_i32 s4, s5, s4
	s_mul_i32 s18, s18, s57
	s_add_i32 s4, s4, s18
	s_mul_i32 s10, s10, s57
	s_mul_hi_u32 s18, s19, s10
	s_mul_i32 s52, s19, s10
	s_mul_i32 s59, s57, s4
	s_mul_hi_u32 s10, s57, s10
	s_mul_hi_u32 s58, s57, s4
	s_add_u32 s10, s10, s59
	s_addc_u32 s58, 0, s58
	s_add_u32 s10, s10, s52
	s_mul_hi_u32 s5, s19, s4
	s_addc_u32 s10, s58, s18
	s_addc_u32 s5, s5, 0
	s_mul_i32 s4, s19, s4
	s_add_u32 s4, s10, s4
	s_addc_u32 s10, 0, s5
	s_add_u32 s18, s57, s4
	s_cselect_b64 s[4:5], -1, 0
	s_cmp_lg_u64 s[4:5], 0
	s_addc_u32 s4, s19, s10
	s_mul_i32 s10, s56, s4
	s_mul_hi_u32 s19, s56, s18
	s_mul_hi_u32 s5, s56, s4
	s_add_u32 s10, s19, s10
	s_addc_u32 s5, 0, s5
	s_mul_hi_u32 s52, s11, s18
	s_mul_i32 s18, s11, s18
	s_add_u32 s10, s10, s18
	s_mul_hi_u32 s19, s11, s4
	s_addc_u32 s5, s5, s52
	s_addc_u32 s10, s19, 0
	s_mul_i32 s4, s11, s4
	s_add_u32 s4, s5, s4
	s_addc_u32 s5, 0, s10
	s_mul_i32 s5, s33, s5
	s_mul_hi_u32 s10, s33, s4
	s_add_i32 s10, s10, s5
	s_mul_i32 s4, s33, s4
	s_sub_u32 s18, s56, s4
	s_cselect_b64 s[4:5], -1, 0
	s_cmp_lg_u64 s[4:5], 0
	s_subb_u32 s10, s11, s10
	s_sub_u32 s19, s18, s33
	s_cselect_b64 s[4:5], -1, 0
	s_cmp_lg_u64 s[4:5], 0
	s_subb_u32 s52, s10, 0
	;; [unrolled: 4-line block ×3, first 2 shown]
	s_cmp_ge_u32 s19, s33
	s_cselect_b32 s5, -1, 0
	s_cmp_eq_u32 s52, 0
	s_cselect_b32 s5, s5, -1
	s_cmp_lg_u32 s5, 0
	s_cselect_b32 s4, s4, s52
	s_cselect_b32 s19, s57, s19
	s_cmp_ge_u32 s18, s33
	s_cselect_b32 s5, -1, 0
	s_cmp_eq_u32 s10, 0
	s_cselect_b32 s5, s5, -1
	s_cmp_lg_u32 s5, 0
	s_cselect_b32 s5, s4, s10
	s_cselect_b32 s4, s19, s18
	s_cbranch_execnz .LBB141_350
.LBB141_349:                            ;   in Loop: Header=BB141_31 Depth=1
	v_cvt_f32_u32_e32 v6, s33
	s_sub_i32 s4, 0, s33
	v_rcp_iflag_f32_e32 v6, v6
	v_mul_f32_e32 v6, 0x4f7ffffe, v6
	v_cvt_u32_f32_e32 v6, v6
	v_readfirstlane_b32 s5, v6
	s_mul_i32 s4, s4, s5
	s_mul_hi_u32 s4, s5, s4
	s_add_i32 s5, s5, s4
	s_mul_hi_u32 s4, s56, s5
	s_mul_i32 s4, s4, s33
	s_sub_i32 s4, s56, s4
	s_sub_i32 s5, s4, s33
	s_cmp_ge_u32 s4, s33
	s_cselect_b32 s4, s5, s4
	s_sub_i32 s5, s4, s33
	s_cmp_ge_u32 s4, s33
	s_cselect_b32 s52, s5, s4
	s_mov_b64 s[4:5], s[52:53]
.LBB141_350:                            ;   in Loop: Header=BB141_31 Depth=1
	s_sub_u32 s60, s56, s4
	s_subb_u32 s61, s11, s5
	v_cmp_gt_u64_e32 vcc, s[60:61], v[0:1]
	s_mov_b64 s[18:19], 0
	s_mov_b64 s[10:11], 0
                                        ; implicit-def: $vgpr45
	s_and_saveexec_b64 s[4:5], vcc
	s_mov_b32 s52, 0xc0c0004
	s_cbranch_execz .LBB141_361
; %bb.351:                              ;   in Loop: Header=BB141_31 Depth=1
	v_mov_b32_e32 v7, v1
	v_mov_b32_e32 v8, v0
	;; [unrolled: 1-line block ×3, first 2 shown]
                                        ; implicit-def: $sgpr66_sgpr67
	s_branch .LBB141_354
.LBB141_352:                            ;   in Loop: Header=BB141_354 Depth=2
	s_or_b64 exec, exec, s[56:57]
	s_waitcnt lgkmcnt(0)
	s_barrier
	ds_read_u16 v9, v3 offset:3072
	s_mov_b64 s[56:57], -1
	s_waitcnt lgkmcnt(0)
	s_barrier
	v_cmp_ne_u32_sdwa s[58:59], v9, v3 src0_sel:BYTE_0 src1_sel:DWORD
	s_and_b64 vcc, exec, s[58:59]
	s_mov_b64 s[58:59], -1
	s_cbranch_vccz .LBB141_357
.LBB141_353:                            ;   in Loop: Header=BB141_354 Depth=2
	s_and_b64 s[56:57], exec, s[56:57]
	s_or_b64 s[10:11], s[56:57], s[10:11]
	s_andn2_b64 s[56:57], s[66:67], exec
	s_and_b64 s[58:59], s[58:59], exec
	s_or_b64 s[66:67], s[56:57], s[58:59]
	s_andn2_b64 exec, exec, s[10:11]
	s_cbranch_execz .LBB141_360
.LBB141_354:                            ;   Parent Loop BB141_31 Depth=1
                                        ; =>  This Inner Loop Header: Depth=2
	v_cmp_gt_u64_e32 vcc, s[16:17], v[6:7]
	s_and_saveexec_b64 s[56:57], vcc
	s_cbranch_execz .LBB141_352
; %bb.355:                              ;   in Loop: Header=BB141_354 Depth=2
	ds_read_u8 v9, v8
	s_waitcnt lgkmcnt(0)
	v_add_u32_sdwa v10, sext(v9), s0 dst_sel:DWORD dst_unused:UNUSED_PAD src0_sel:BYTE_0 src1_sel:DWORD
	v_and_b32_e32 v10, v10, v44
	v_cmp_eq_u32_e32 vcc, v10, v41
	s_and_b64 exec, exec, vcc
	s_cbranch_execz .LBB141_352
; %bb.356:                              ;   in Loop: Header=BB141_354 Depth=2
	v_lshlrev_b16_e32 v9, 8, v9
	v_or_b32_e32 v9, 1, v9
	ds_write_b16 v3, v9 offset:3072
	s_branch .LBB141_352
.LBB141_357:                            ;   in Loop: Header=BB141_354 Depth=2
	v_add_co_u32_e32 v6, vcc, s33, v6
	v_addc_co_u32_e32 v7, vcc, 0, v7, vcc
	v_cmp_le_u64_e32 vcc, s[60:61], v[6:7]
	v_add_u32_e32 v8, s33, v8
	s_mov_b64 s[58:59], 0
	s_orn2_b64 s[56:57], vcc, exec
	s_branch .LBB141_353
.LBB141_358:                            ;   in Loop: Header=BB141_31 Depth=1
                                        ; implicit-def: $sgpr4_sgpr5
	s_andn2_b64 vcc, exec, s[14:15]
	s_cbranch_vccz .LBB141_305
	s_branch .LBB141_306
.LBB141_359:                            ;   in Loop: Header=BB141_31 Depth=1
                                        ; implicit-def: $sgpr2_sgpr3
	s_branch .LBB141_320
.LBB141_360:                            ;   in Loop: Header=BB141_31 Depth=1
	s_or_b64 exec, exec, s[10:11]
	v_lshrrev_b32_sdwa v45, v43, v9 dst_sel:DWORD dst_unused:UNUSED_PAD src0_sel:DWORD src1_sel:WORD_0
	s_and_b64 s[10:11], s[66:67], exec
.LBB141_361:                            ;   in Loop: Header=BB141_31 Depth=1
	s_or_b64 exec, exec, s[4:5]
	v_readlane_b32 s59, v57, 51
	s_mul_i32 s58, s26, s33
.LBB141_362:                            ;   in Loop: Header=BB141_31 Depth=1
	s_and_b64 vcc, exec, s[18:19]
	s_cbranch_vccz .LBB141_376
; %bb.363:                              ;   in Loop: Header=BB141_31 Depth=1
	v_readlane_b32 s56, v57, 25
	v_readlane_b32 s57, v57, 26
	s_mov_b32 s56, s53
	s_cmp_lg_u64 s[56:57], 0
	v_writelane_b32 v57, s56, 25
	v_writelane_b32 v57, s57, 26
	s_cbranch_scc0 .LBB141_404
; %bb.364:                              ;   in Loop: Header=BB141_31 Depth=1
	v_cvt_f32_u32_e32 v6, s33
	s_sub_u32 s16, 0, s33
	s_subb_u32 s17, 0, 0
	v_mac_f32_e32 v6, 0, v42
	v_rcp_f32_e32 v6, v6
	v_mul_f32_e32 v6, 0x5f7ffffc, v6
	v_mul_f32_e32 v7, 0x2f800000, v6
	v_trunc_f32_e32 v7, v7
	v_mac_f32_e32 v6, 0xcf800000, v7
	v_cvt_u32_f32_e32 v7, v7
	v_cvt_u32_f32_e32 v6, v6
	v_readfirstlane_b32 s18, v7
	v_readfirstlane_b32 s4, v6
	s_mul_i32 s5, s16, s18
	s_mul_hi_u32 s38, s16, s4
	s_mul_i32 s19, s17, s4
	s_add_i32 s5, s38, s5
	s_mul_i32 s39, s16, s4
	s_add_i32 s5, s5, s19
	s_mul_hi_u32 s38, s4, s39
	s_mul_i32 s50, s4, s5
	s_mul_hi_u32 s19, s4, s5
	s_add_u32 s38, s38, s50
	s_addc_u32 s19, 0, s19
	s_mul_hi_u32 s51, s18, s39
	s_mul_i32 s39, s18, s39
	s_add_u32 s38, s38, s39
	s_mul_hi_u32 s50, s18, s5
	s_addc_u32 s19, s19, s51
	s_addc_u32 s38, s50, 0
	s_mul_i32 s5, s18, s5
	s_add_u32 s5, s19, s5
	s_addc_u32 s19, 0, s38
	s_add_u32 s38, s4, s5
	s_cselect_b64 s[4:5], -1, 0
	s_cmp_lg_u64 s[4:5], 0
	s_addc_u32 s18, s18, s19
	s_mul_i32 s4, s16, s18
	s_mul_hi_u32 s5, s16, s38
	s_add_i32 s4, s5, s4
	s_mul_i32 s17, s17, s38
	s_add_i32 s4, s4, s17
	s_mul_i32 s16, s16, s38
	s_mul_hi_u32 s17, s18, s16
	s_mul_i32 s19, s18, s16
	s_mul_i32 s50, s38, s4
	s_mul_hi_u32 s16, s38, s16
	s_mul_hi_u32 s39, s38, s4
	s_add_u32 s16, s16, s50
	s_addc_u32 s39, 0, s39
	s_add_u32 s16, s16, s19
	s_mul_hi_u32 s5, s18, s4
	s_addc_u32 s16, s39, s17
	s_addc_u32 s5, s5, 0
	s_mul_i32 s4, s18, s4
	s_add_u32 s4, s16, s4
	s_addc_u32 s16, 0, s5
	s_add_u32 s17, s38, s4
	s_cselect_b64 s[4:5], -1, 0
	s_cmp_lg_u64 s[4:5], 0
	s_addc_u32 s4, s18, s16
	v_readlane_b32 s38, v57, 23
	s_mul_i32 s16, s38, s4
	s_mul_hi_u32 s18, s38, s17
	s_mul_hi_u32 s5, s38, s4
	s_add_u32 s16, s18, s16
	s_addc_u32 s5, 0, s5
	s_mul_hi_u32 s19, s57, s17
	s_mul_i32 s17, s57, s17
	s_add_u32 s16, s16, s17
	s_mul_hi_u32 s18, s57, s4
	s_addc_u32 s5, s5, s19
	s_addc_u32 s16, s18, 0
	s_mul_i32 s4, s57, s4
	s_add_u32 s4, s5, s4
	s_addc_u32 s5, 0, s16
	s_mul_i32 s5, s33, s5
	s_mul_hi_u32 s16, s33, s4
	s_add_i32 s16, s16, s5
	s_mul_i32 s4, s33, s4
	s_sub_u32 s17, s38, s4
	s_cselect_b64 s[4:5], -1, 0
	s_cmp_lg_u64 s[4:5], 0
	s_subb_u32 s16, s57, s16
	s_sub_u32 s18, s17, s33
	s_cselect_b64 s[4:5], -1, 0
	s_cmp_lg_u64 s[4:5], 0
	s_subb_u32 s19, s16, 0
	;; [unrolled: 4-line block ×3, first 2 shown]
	s_cmp_ge_u32 s18, s33
	s_cselect_b32 s5, -1, 0
	s_cmp_eq_u32 s19, 0
	s_cselect_b32 s5, s5, -1
	s_cmp_lg_u32 s5, 0
	s_cselect_b32 s4, s4, s19
	s_cselect_b32 s18, s38, s18
	s_cmp_ge_u32 s17, s33
	s_cselect_b32 s5, -1, 0
	s_cmp_eq_u32 s16, 0
	s_cselect_b32 s5, s5, -1
	s_cmp_lg_u32 s5, 0
	s_cselect_b32 s5, s4, s16
	s_cselect_b32 s4, s18, s17
	s_cbranch_execnz .LBB141_366
.LBB141_365:                            ;   in Loop: Header=BB141_31 Depth=1
	v_cvt_f32_u32_e32 v6, s33
	s_sub_i32 s4, 0, s33
	v_readlane_b32 s16, v57, 23
	v_rcp_iflag_f32_e32 v6, v6
	v_mul_f32_e32 v6, 0x4f7ffffe, v6
	v_cvt_u32_f32_e32 v6, v6
	v_readfirstlane_b32 s5, v6
	s_mul_i32 s4, s4, s5
	s_mul_hi_u32 s4, s5, s4
	s_add_i32 s5, s5, s4
	s_mul_hi_u32 s4, s16, s5
	s_mul_i32 s4, s4, s33
	s_sub_i32 s4, s16, s4
	s_sub_i32 s5, s4, s33
	s_cmp_ge_u32 s4, s33
	s_cselect_b32 s4, s5, s4
	s_sub_i32 s5, s4, s33
	s_cmp_ge_u32 s4, s33
	s_cselect_b32 s52, s5, s4
	s_mov_b64 s[4:5], s[52:53]
	s_mov_b32 s52, 0xc0c0004
.LBB141_366:                            ;   in Loop: Header=BB141_31 Depth=1
	v_readlane_b32 s16, v57, 23
	v_readlane_b32 s18, v57, 25
	s_sub_u32 s16, s16, s4
	v_readlane_b32 s19, v57, 26
	s_subb_u32 s17, s19, s5
	v_cmp_gt_u64_e32 vcc, s[16:17], v[0:1]
                                        ; implicit-def: $vgpr45
	s_and_saveexec_b64 s[4:5], vcc
	s_cbranch_execz .LBB141_375
; %bb.367:                              ;   in Loop: Header=BB141_31 Depth=1
	v_mov_b32_e32 v6, v21
	v_mov_b32_e32 v9, v1
	s_mov_b64 s[18:19], 0
	v_mov_b32_e32 v7, v22
	v_mov_b32_e32 v8, v0
                                        ; implicit-def: $sgpr38_sgpr39
	s_branch .LBB141_370
.LBB141_368:                            ;   in Loop: Header=BB141_370 Depth=2
	s_or_b64 exec, exec, s[50:51]
	s_waitcnt lgkmcnt(0)
	s_barrier
	ds_read_u16 v10, v3 offset:3072
	s_mov_b64 s[50:51], -1
	s_waitcnt lgkmcnt(0)
	s_barrier
	v_cmp_eq_u32_sdwa s[56:57], v10, v3 src0_sel:BYTE_0 src1_sel:DWORD
	s_and_b64 vcc, exec, s[56:57]
	s_mov_b64 s[56:57], -1
	s_cbranch_vccnz .LBB141_373
.LBB141_369:                            ;   in Loop: Header=BB141_370 Depth=2
	s_and_b64 s[50:51], exec, s[50:51]
	s_or_b64 s[18:19], s[50:51], s[18:19]
	s_andn2_b64 s[38:39], s[38:39], exec
	s_and_b64 s[50:51], s[56:57], exec
	s_or_b64 s[38:39], s[38:39], s[50:51]
	s_andn2_b64 exec, exec, s[18:19]
	s_cbranch_execz .LBB141_374
.LBB141_370:                            ;   Parent Loop BB141_31 Depth=1
                                        ; =>  This Inner Loop Header: Depth=2
	v_cmp_gt_u64_e32 vcc, s[28:29], v[8:9]
	s_and_saveexec_b64 s[50:51], vcc
	s_cbranch_execz .LBB141_368
; %bb.371:                              ;   in Loop: Header=BB141_370 Depth=2
	global_load_ubyte v10, v[6:7], off
	s_waitcnt vmcnt(0)
	v_add_u32_sdwa v11, sext(v10), s0 dst_sel:DWORD dst_unused:UNUSED_PAD src0_sel:BYTE_0 src1_sel:DWORD
	v_and_b32_e32 v11, v11, v44
	v_cmp_eq_u32_e32 vcc, v11, v41
	s_and_b64 exec, exec, vcc
	s_cbranch_execz .LBB141_368
; %bb.372:                              ;   in Loop: Header=BB141_370 Depth=2
	v_lshlrev_b16_e32 v10, 8, v10
	v_or_b32_e32 v10, 1, v10
	ds_write_b16 v3, v10 offset:3072
	s_branch .LBB141_368
.LBB141_373:                            ;   in Loop: Header=BB141_370 Depth=2
	v_add_co_u32_e32 v8, vcc, s33, v8
	v_addc_co_u32_e32 v9, vcc, 0, v9, vcc
	v_mov_b32_e32 v11, s59
	v_add_co_u32_e32 v6, vcc, s58, v6
	v_addc_co_u32_e32 v7, vcc, v7, v11, vcc
	v_cmp_le_u64_e32 vcc, s[16:17], v[8:9]
	s_mov_b64 s[56:57], 0
	s_orn2_b64 s[50:51], vcc, exec
	s_branch .LBB141_369
.LBB141_374:                            ;   in Loop: Header=BB141_31 Depth=1
	s_or_b64 exec, exec, s[18:19]
	s_andn2_b64 s[10:11], s[10:11], exec
	s_and_b64 s[16:17], s[38:39], exec
	v_lshrrev_b32_sdwa v45, v43, v10 dst_sel:DWORD dst_unused:UNUSED_PAD src0_sel:DWORD src1_sel:WORD_0
	s_or_b64 s[10:11], s[10:11], s[16:17]
.LBB141_375:                            ;   in Loop: Header=BB141_31 Depth=1
	s_or_b64 exec, exec, s[4:5]
	s_mov_b64 s[38:39], 0
	s_mov_b64 s[50:51], -1
.LBB141_376:                            ;   in Loop: Header=BB141_31 Depth=1
	s_orn2_b64 s[4:5], s[10:11], exec
.LBB141_377:                            ;   in Loop: Header=BB141_31 Depth=1
	s_or_b64 exec, exec, s[6:7]
	s_mov_b64 s[10:11], 0
	s_and_saveexec_b64 s[6:7], s[4:5]
	s_cbranch_execz .LBB141_486
; %bb.378:                              ;   in Loop: Header=BB141_31 Depth=1
	v_mov_b32_e32 v6, 1
	s_xor_b64 s[4:5], s[8:9], -1
	v_mov_b32_e32 v2, 1
	v_mov_b32_e32 v7, 0
	s_and_saveexec_b64 s[8:9], s[4:5]
	s_cbranch_execz .LBB141_387
; %bb.379:                              ;   in Loop: Header=BB141_31 Depth=1
	v_cmp_ge_u64_e32 vcc, s[48:49], v[4:5]
	s_and_saveexec_b64 s[4:5], vcc
	s_xor_b64 s[4:5], exec, s[4:5]
	s_cbranch_execz .LBB141_384
; %bb.380:                              ;   in Loop: Header=BB141_31 Depth=1
	ds_read_b64 v[6:7], v3 offset:5120
	v_readlane_b32 s10, v57, 58
	v_and_b32_e32 v2, s10, v41
	v_lshl_or_b32 v41, 2, s63, v2
	v_or_b32_e32 v44, s1, v44
	s_waitcnt lgkmcnt(0)
	v_cmp_ne_u64_e32 vcc, 0, v[6:7]
	s_cbranch_vccnz .LBB141_384
; %bb.381:                              ;   in Loop: Header=BB141_31 Depth=1
	s_mov_b64 s[10:11], exec
	v_readlane_b32 s16, v57, 8
	v_readlane_b32 s17, v57, 9
	s_and_b64 s[16:17], s[10:11], s[16:17]
	s_mov_b64 exec, s[16:17]
; %bb.382:                              ;   in Loop: Header=BB141_31 Depth=1
	v_mov_b32_e32 v6, s48
	v_mov_b32_e32 v7, s49
	ds_write_b64 v3, v[6:7] offset:5128
; %bb.383:                              ;   in Loop: Header=BB141_31 Depth=1
	s_or_b64 exec, exec, s[10:11]
	s_waitcnt lgkmcnt(0)
	s_barrier
.LBB141_384:                            ;   in Loop: Header=BB141_31 Depth=1
	s_or_saveexec_b64 s[4:5], s[4:5]
	s_mov_b64 s[10:11], 0
	v_mov_b32_e32 v2, 5
	s_xor_b64 exec, exec, s[4:5]
; %bb.385:                              ;   in Loop: Header=BB141_31 Depth=1
	v_subrev_co_u32_e32 v4, vcc, s48, v4
	v_mov_b32_e32 v2, s49
	v_subb_co_u32_e32 v5, vcc, v5, v2, vcc
	v_mov_b32_e32 v2, 0
	s_mov_b64 s[10:11], exec
; %bb.386:                              ;   in Loop: Header=BB141_31 Depth=1
	s_or_b64 exec, exec, s[4:5]
	v_mov_b32_e32 v7, v5
	s_and_b64 s[10:11], s[10:11], exec
	v_mov_b32_e32 v6, v4
.LBB141_387:                            ;   in Loop: Header=BB141_31 Depth=1
	s_or_b64 exec, exec, s[8:9]
	s_mov_b64 s[4:5], -1
                                        ; implicit-def: $sgpr48_sgpr49
                                        ; implicit-def: $sgpr66_sgpr67
	s_and_saveexec_b64 s[18:19], s[10:11]
	s_cbranch_execz .LBB141_485
; %bb.388:                              ;   in Loop: Header=BB141_31 Depth=1
	s_cmp_eq_u64 s[46:47], 1
	v_cmp_eq_u64_e32 vcc, 1, v[6:7]
	s_cselect_b64 s[4:5], -1, 0
	s_and_b64 s[10:11], s[4:5], vcc
	s_mov_b64 s[4:5], -1
                                        ; implicit-def: $sgpr66_sgpr67
                                        ; implicit-def: $sgpr48_sgpr49
	s_and_saveexec_b64 s[8:9], s[10:11]
	s_cbranch_execz .LBB141_422
; %bb.389:                              ;   in Loop: Header=BB141_31 Depth=1
	ds_read_b64 v[4:5], v3 offset:5120
	s_waitcnt lgkmcnt(0)
	s_barrier
	v_readfirstlane_b32 s16, v4
	v_readfirstlane_b32 s17, v5
	s_mov_b64 s[4:5], exec
	v_readlane_b32 s48, v57, 46
	v_readlane_b32 s49, v57, 47
	s_and_b64 s[48:49], s[4:5], s[48:49]
	s_mov_b64 exec, s[48:49]
; %bb.390:                              ;   in Loop: Header=BB141_31 Depth=1
	ds_write_b8 v0, v3 offset:3072
; %bb.391:                              ;   in Loop: Header=BB141_31 Depth=1
	s_or_b64 exec, exec, s[4:5]
	v_readlane_b32 s4, v57, 58
	v_and_b32_e32 v4, s4, v41
	v_lshl_or_b32 v41, 1, s63, v4
	v_or_b32_e32 v44, s1, v44
	s_mov_b64 s[48:49], -1
	s_mov_b64 s[66:67], 0
	s_cmp_eq_u64 s[16:17], 0
	s_mov_b64 s[60:61], 0
	s_mov_b64 s[68:69], -1
	s_waitcnt lgkmcnt(0)
	s_barrier
                                        ; implicit-def: $vgpr45
	s_cbranch_scc1 .LBB141_407
; %bb.392:                              ;   in Loop: Header=BB141_31 Depth=1
	v_readlane_b32 s4, v57, 22
	s_add_u32 s58, s16, s4
	v_readlane_b32 s4, v57, 24
	s_addc_u32 s61, s17, s4
	s_mov_b32 s60, s53
	s_mov_b64 s[72:73], s[64:65]
	s_cmp_lg_u64 s[60:61], 0
	s_cbranch_scc0 .LBB141_439
; %bb.393:                              ;   in Loop: Header=BB141_31 Depth=1
	v_cvt_f32_u32_e32 v4, s33
	s_sub_u32 s52, 0, s33
	s_subb_u32 s56, 0, 0
	v_mac_f32_e32 v4, 0, v42
	v_rcp_f32_e32 v4, v4
	v_mul_f32_e32 v4, 0x5f7ffffc, v4
	v_mul_f32_e32 v5, 0x2f800000, v4
	v_trunc_f32_e32 v5, v5
	v_mac_f32_e32 v4, 0xcf800000, v5
	v_cvt_u32_f32_e32 v5, v5
	v_cvt_u32_f32_e32 v4, v4
	v_readfirstlane_b32 s57, v5
	v_readfirstlane_b32 s4, v4
	s_mul_i32 s5, s52, s57
	s_mul_hi_u32 s60, s52, s4
	s_mul_i32 s59, s56, s4
	s_add_i32 s5, s60, s5
	s_mul_i32 s64, s52, s4
	s_add_i32 s5, s5, s59
	s_mul_hi_u32 s60, s4, s64
	s_mul_i32 s65, s4, s5
	s_mul_hi_u32 s59, s4, s5
	s_add_u32 s60, s60, s65
	s_addc_u32 s59, 0, s59
	s_mul_hi_u32 s68, s57, s64
	s_mul_i32 s64, s57, s64
	s_add_u32 s60, s60, s64
	s_mul_hi_u32 s65, s57, s5
	s_addc_u32 s59, s59, s68
	s_addc_u32 s60, s65, 0
	s_mul_i32 s5, s57, s5
	s_add_u32 s5, s59, s5
	s_addc_u32 s59, 0, s60
	s_add_u32 s60, s4, s5
	s_cselect_b64 s[4:5], -1, 0
	s_cmp_lg_u64 s[4:5], 0
	s_addc_u32 s57, s57, s59
	s_mul_i32 s4, s52, s57
	s_mul_hi_u32 s5, s52, s60
	s_add_i32 s4, s5, s4
	s_mul_i32 s56, s56, s60
	s_add_i32 s4, s4, s56
	s_mul_i32 s52, s52, s60
	s_mul_hi_u32 s56, s57, s52
	s_mul_i32 s59, s57, s52
	s_mul_i32 s65, s60, s4
	s_mul_hi_u32 s52, s60, s52
	s_mul_hi_u32 s64, s60, s4
	s_add_u32 s52, s52, s65
	s_addc_u32 s64, 0, s64
	s_add_u32 s52, s52, s59
	s_mul_hi_u32 s5, s57, s4
	s_addc_u32 s52, s64, s56
	s_addc_u32 s5, s5, 0
	s_mul_i32 s4, s57, s4
	s_add_u32 s4, s52, s4
	s_addc_u32 s52, 0, s5
	s_add_u32 s56, s60, s4
	s_cselect_b64 s[4:5], -1, 0
	s_cmp_lg_u64 s[4:5], 0
	s_addc_u32 s4, s57, s52
	s_mul_i32 s52, s58, s4
	s_mul_hi_u32 s57, s58, s56
	s_mul_hi_u32 s5, s58, s4
	s_add_u32 s52, s57, s52
	s_addc_u32 s5, 0, s5
	s_mul_hi_u32 s59, s61, s56
	s_mul_i32 s56, s61, s56
	s_add_u32 s52, s52, s56
	s_mul_hi_u32 s57, s61, s4
	s_addc_u32 s5, s5, s59
	s_addc_u32 s52, s57, 0
	s_mul_i32 s4, s61, s4
	s_add_u32 s4, s5, s4
	s_addc_u32 s5, 0, s52
	s_mul_i32 s5, s33, s5
	s_mul_hi_u32 s52, s33, s4
	s_add_i32 s52, s52, s5
	s_mul_i32 s4, s33, s4
	s_sub_u32 s56, s58, s4
	s_cselect_b64 s[4:5], -1, 0
	s_cmp_lg_u64 s[4:5], 0
	s_subb_u32 s52, s61, s52
	s_sub_u32 s57, s56, s33
	s_cselect_b64 s[4:5], -1, 0
	s_cmp_lg_u64 s[4:5], 0
	s_subb_u32 s59, s52, 0
	;; [unrolled: 4-line block ×3, first 2 shown]
	s_cmp_ge_u32 s57, s33
	s_cselect_b32 s5, -1, 0
	s_cmp_eq_u32 s59, 0
	s_cselect_b32 s5, s5, -1
	s_cmp_lg_u32 s5, 0
	s_cselect_b32 s4, s4, s59
	s_cselect_b32 s57, s60, s57
	s_cmp_ge_u32 s56, s33
	s_cselect_b32 s5, -1, 0
	s_cmp_eq_u32 s52, 0
	s_cselect_b32 s5, s5, -1
	s_cmp_lg_u32 s5, 0
	s_cselect_b32 s5, s4, s52
	s_cselect_b32 s4, s57, s56
	s_cbranch_execnz .LBB141_395
.LBB141_394:                            ;   in Loop: Header=BB141_31 Depth=1
	v_cvt_f32_u32_e32 v4, s33
	s_sub_i32 s4, 0, s33
	v_rcp_iflag_f32_e32 v4, v4
	v_mul_f32_e32 v4, 0x4f7ffffe, v4
	v_cvt_u32_f32_e32 v4, v4
	v_readfirstlane_b32 s5, v4
	s_mul_i32 s4, s4, s5
	s_mul_hi_u32 s4, s5, s4
	s_add_i32 s5, s5, s4
	s_mul_hi_u32 s4, s58, s5
	s_mul_i32 s4, s4, s33
	s_sub_i32 s4, s58, s4
	s_sub_i32 s5, s4, s33
	s_cmp_ge_u32 s4, s33
	s_cselect_b32 s4, s5, s4
	s_sub_i32 s5, s4, s33
	s_cmp_ge_u32 s4, s33
	s_cselect_b32 s52, s5, s4
	s_mov_b64 s[4:5], s[52:53]
.LBB141_395:                            ;   in Loop: Header=BB141_31 Depth=1
	s_sub_u32 s70, s58, s4
	s_subb_u32 s71, s61, s5
	v_cmp_gt_u64_e32 vcc, s[70:71], v[0:1]
	s_mov_b64 s[68:69], 0
	s_mov_b64 s[60:61], 0
                                        ; implicit-def: $vgpr45
	s_and_saveexec_b64 s[4:5], vcc
	s_mov_b64 s[64:65], s[72:73]
	s_mov_b32 s52, 0xc0c0004
	s_cbranch_execz .LBB141_406
; %bb.396:                              ;   in Loop: Header=BB141_31 Depth=1
	v_mov_b32_e32 v5, v1
	v_mov_b32_e32 v8, v0
	;; [unrolled: 1-line block ×3, first 2 shown]
                                        ; implicit-def: $sgpr72_sgpr73
	s_branch .LBB141_399
.LBB141_397:                            ;   in Loop: Header=BB141_399 Depth=2
	s_or_b64 exec, exec, s[56:57]
	s_waitcnt lgkmcnt(0)
	s_barrier
	ds_read_u16 v9, v3 offset:3072
	s_mov_b64 s[56:57], -1
	s_waitcnt lgkmcnt(0)
	s_barrier
	v_cmp_ne_u32_sdwa s[58:59], v9, v3 src0_sel:BYTE_0 src1_sel:DWORD
	s_and_b64 vcc, exec, s[58:59]
	s_mov_b64 s[58:59], -1
	s_cbranch_vccz .LBB141_402
.LBB141_398:                            ;   in Loop: Header=BB141_399 Depth=2
	s_and_b64 s[56:57], exec, s[56:57]
	s_or_b64 s[60:61], s[56:57], s[60:61]
	s_andn2_b64 s[56:57], s[72:73], exec
	s_and_b64 s[58:59], s[58:59], exec
	s_or_b64 s[72:73], s[56:57], s[58:59]
	s_andn2_b64 exec, exec, s[60:61]
	s_cbranch_execz .LBB141_405
.LBB141_399:                            ;   Parent Loop BB141_31 Depth=1
                                        ; =>  This Inner Loop Header: Depth=2
	v_cmp_gt_u64_e32 vcc, s[16:17], v[4:5]
	s_and_saveexec_b64 s[56:57], vcc
	s_cbranch_execz .LBB141_397
; %bb.400:                              ;   in Loop: Header=BB141_399 Depth=2
	ds_read_u8 v9, v8
	s_waitcnt lgkmcnt(0)
	v_add_u32_sdwa v10, sext(v9), s0 dst_sel:DWORD dst_unused:UNUSED_PAD src0_sel:BYTE_0 src1_sel:DWORD
	v_and_b32_e32 v10, v10, v44
	v_cmp_eq_u32_e32 vcc, v10, v41
	s_and_b64 exec, exec, vcc
	s_cbranch_execz .LBB141_397
; %bb.401:                              ;   in Loop: Header=BB141_399 Depth=2
	v_lshlrev_b16_e32 v9, 8, v9
	v_or_b32_e32 v9, 1, v9
	ds_write_b16 v3, v9 offset:3072
	s_branch .LBB141_397
.LBB141_402:                            ;   in Loop: Header=BB141_399 Depth=2
	v_add_co_u32_e32 v4, vcc, s33, v4
	v_addc_co_u32_e32 v5, vcc, 0, v5, vcc
	v_cmp_le_u64_e32 vcc, s[70:71], v[4:5]
	v_add_u32_e32 v8, s33, v8
	s_mov_b64 s[58:59], 0
	s_orn2_b64 s[56:57], vcc, exec
	s_branch .LBB141_398
.LBB141_403:                            ;   in Loop: Header=BB141_31 Depth=1
                                        ; implicit-def: $sgpr4_sgpr5
	s_andn2_b64 vcc, exec, s[18:19]
	s_cbranch_vccz .LBB141_349
	s_branch .LBB141_350
.LBB141_404:                            ;   in Loop: Header=BB141_31 Depth=1
                                        ; implicit-def: $sgpr4_sgpr5
	s_branch .LBB141_365
.LBB141_405:                            ;   in Loop: Header=BB141_31 Depth=1
	s_or_b64 exec, exec, s[60:61]
	v_lshrrev_b32_sdwa v45, v43, v9 dst_sel:DWORD dst_unused:UNUSED_PAD src0_sel:DWORD src1_sel:WORD_0
	s_and_b64 s[60:61], s[72:73], exec
.LBB141_406:                            ;   in Loop: Header=BB141_31 Depth=1
	s_or_b64 exec, exec, s[4:5]
	v_readlane_b32 s59, v57, 51
	s_mul_i32 s58, s26, s33
.LBB141_407:                            ;   in Loop: Header=BB141_31 Depth=1
	s_and_b64 vcc, exec, s[68:69]
	s_cbranch_vccz .LBB141_421
; %bb.408:                              ;   in Loop: Header=BB141_31 Depth=1
	v_readlane_b32 s66, v57, 25
	v_readlane_b32 s67, v57, 26
	s_mov_b32 s66, s53
	s_cmp_lg_u64 s[66:67], 0
	v_writelane_b32 v57, s66, 25
	v_writelane_b32 v57, s67, 26
	s_cbranch_scc0 .LBB141_440
; %bb.409:                              ;   in Loop: Header=BB141_31 Depth=1
	v_cvt_f32_u32_e32 v4, s33
	s_sub_u32 s16, 0, s33
	s_subb_u32 s17, 0, 0
	v_mac_f32_e32 v4, 0, v42
	v_rcp_f32_e32 v4, v4
	v_mul_f32_e32 v4, 0x5f7ffffc, v4
	v_mul_f32_e32 v5, 0x2f800000, v4
	v_trunc_f32_e32 v5, v5
	v_mac_f32_e32 v4, 0xcf800000, v5
	v_cvt_u32_f32_e32 v5, v5
	v_cvt_u32_f32_e32 v4, v4
	v_readfirstlane_b32 s48, v5
	v_readfirstlane_b32 s4, v4
	s_mul_i32 s5, s16, s48
	s_mul_hi_u32 s52, s16, s4
	s_mul_i32 s49, s17, s4
	s_add_i32 s5, s52, s5
	s_mul_i32 s56, s16, s4
	s_add_i32 s5, s5, s49
	s_mul_hi_u32 s52, s4, s56
	s_mul_i32 s57, s4, s5
	s_mul_hi_u32 s49, s4, s5
	s_add_u32 s52, s52, s57
	s_addc_u32 s49, 0, s49
	s_mul_hi_u32 s58, s48, s56
	s_mul_i32 s56, s48, s56
	s_add_u32 s52, s52, s56
	s_mul_hi_u32 s57, s48, s5
	s_addc_u32 s49, s49, s58
	s_addc_u32 s52, s57, 0
	s_mul_i32 s5, s48, s5
	s_add_u32 s5, s49, s5
	s_addc_u32 s49, 0, s52
	s_add_u32 s52, s4, s5
	s_cselect_b64 s[4:5], -1, 0
	s_cmp_lg_u64 s[4:5], 0
	s_addc_u32 s48, s48, s49
	s_mul_i32 s4, s16, s48
	s_mul_hi_u32 s5, s16, s52
	s_add_i32 s4, s5, s4
	s_mul_i32 s17, s17, s52
	s_add_i32 s4, s4, s17
	s_mul_i32 s16, s16, s52
	s_mul_hi_u32 s17, s48, s16
	s_mul_i32 s49, s48, s16
	s_mul_i32 s57, s52, s4
	s_mul_hi_u32 s16, s52, s16
	s_mul_hi_u32 s56, s52, s4
	s_add_u32 s16, s16, s57
	s_addc_u32 s56, 0, s56
	s_add_u32 s16, s16, s49
	s_mul_hi_u32 s5, s48, s4
	s_addc_u32 s16, s56, s17
	s_addc_u32 s5, s5, 0
	s_mul_i32 s4, s48, s4
	s_add_u32 s4, s16, s4
	s_addc_u32 s16, 0, s5
	s_add_u32 s17, s52, s4
	s_cselect_b64 s[4:5], -1, 0
	s_cmp_lg_u64 s[4:5], 0
	s_addc_u32 s4, s48, s16
	v_readlane_b32 s52, v57, 23
	s_mul_i32 s16, s52, s4
	s_mul_hi_u32 s48, s52, s17
	s_mul_hi_u32 s5, s52, s4
	s_add_u32 s16, s48, s16
	s_addc_u32 s5, 0, s5
	s_mul_hi_u32 s49, s67, s17
	s_mul_i32 s17, s67, s17
	s_add_u32 s16, s16, s17
	s_mul_hi_u32 s48, s67, s4
	s_addc_u32 s5, s5, s49
	s_addc_u32 s16, s48, 0
	s_mul_i32 s4, s67, s4
	s_add_u32 s4, s5, s4
	s_addc_u32 s5, 0, s16
	s_mul_i32 s5, s33, s5
	s_mul_hi_u32 s16, s33, s4
	s_add_i32 s16, s16, s5
	s_mul_i32 s4, s33, s4
	s_sub_u32 s17, s52, s4
	s_cselect_b64 s[4:5], -1, 0
	s_cmp_lg_u64 s[4:5], 0
	s_subb_u32 s16, s67, s16
	s_sub_u32 s48, s17, s33
	s_cselect_b64 s[4:5], -1, 0
	s_cmp_lg_u64 s[4:5], 0
	s_subb_u32 s49, s16, 0
	;; [unrolled: 4-line block ×3, first 2 shown]
	s_cmp_ge_u32 s48, s33
	s_cselect_b32 s5, -1, 0
	s_cmp_eq_u32 s49, 0
	s_cselect_b32 s5, s5, -1
	s_cmp_lg_u32 s5, 0
	s_cselect_b32 s4, s4, s49
	s_cselect_b32 s48, s52, s48
	s_cmp_ge_u32 s17, s33
	s_cselect_b32 s5, -1, 0
	s_cmp_eq_u32 s16, 0
	s_cselect_b32 s5, s5, -1
	s_cmp_lg_u32 s5, 0
	s_mul_i32 s58, s26, s33
	s_cselect_b32 s5, s4, s16
	s_cselect_b32 s4, s48, s17
	s_cbranch_execnz .LBB141_411
.LBB141_410:                            ;   in Loop: Header=BB141_31 Depth=1
	v_cvt_f32_u32_e32 v4, s33
	s_sub_i32 s4, 0, s33
	v_readlane_b32 s16, v57, 23
	v_rcp_iflag_f32_e32 v4, v4
	v_mul_f32_e32 v4, 0x4f7ffffe, v4
	v_cvt_u32_f32_e32 v4, v4
	v_readfirstlane_b32 s5, v4
	s_mul_i32 s4, s4, s5
	s_mul_hi_u32 s4, s5, s4
	s_add_i32 s5, s5, s4
	s_mul_hi_u32 s4, s16, s5
	s_mul_i32 s4, s4, s33
	s_sub_i32 s4, s16, s4
	s_sub_i32 s5, s4, s33
	s_cmp_ge_u32 s4, s33
	s_cselect_b32 s4, s5, s4
	s_sub_i32 s5, s4, s33
	s_cmp_ge_u32 s4, s33
	s_cselect_b32 s52, s5, s4
	s_mov_b64 s[4:5], s[52:53]
.LBB141_411:                            ;   in Loop: Header=BB141_31 Depth=1
	v_readlane_b32 s16, v57, 23
	v_readlane_b32 s48, v57, 25
	s_sub_u32 s16, s16, s4
	v_readlane_b32 s49, v57, 26
	s_subb_u32 s17, s49, s5
	v_cmp_gt_u64_e32 vcc, s[16:17], v[0:1]
                                        ; implicit-def: $vgpr45
	s_and_saveexec_b64 s[4:5], vcc
	s_mov_b32 s52, 0xc0c0004
	s_cbranch_execz .LBB141_420
; %bb.412:                              ;   in Loop: Header=BB141_31 Depth=1
	v_mov_b32_e32 v4, v21
	v_mov_b32_e32 v9, v1
	s_mov_b64 s[48:49], 0
	v_mov_b32_e32 v5, v22
	v_mov_b32_e32 v8, v0
                                        ; implicit-def: $sgpr66_sgpr67
	s_branch .LBB141_415
.LBB141_413:                            ;   in Loop: Header=BB141_415 Depth=2
	s_or_b64 exec, exec, s[56:57]
	s_waitcnt lgkmcnt(0)
	s_barrier
	ds_read_u16 v10, v3 offset:3072
	s_mov_b64 s[56:57], -1
	s_waitcnt lgkmcnt(0)
	s_barrier
	v_cmp_eq_u32_sdwa s[58:59], v10, v3 src0_sel:BYTE_0 src1_sel:DWORD
	s_and_b64 vcc, exec, s[58:59]
	s_mov_b64 s[58:59], -1
	s_cbranch_vccnz .LBB141_418
.LBB141_414:                            ;   in Loop: Header=BB141_415 Depth=2
	s_and_b64 s[56:57], exec, s[56:57]
	s_or_b64 s[48:49], s[56:57], s[48:49]
	s_andn2_b64 s[56:57], s[66:67], exec
	s_and_b64 s[58:59], s[58:59], exec
	s_or_b64 s[66:67], s[56:57], s[58:59]
	s_andn2_b64 exec, exec, s[48:49]
	s_cbranch_execz .LBB141_419
.LBB141_415:                            ;   Parent Loop BB141_31 Depth=1
                                        ; =>  This Inner Loop Header: Depth=2
	v_cmp_gt_u64_e32 vcc, s[28:29], v[8:9]
	s_and_saveexec_b64 s[56:57], vcc
	s_cbranch_execz .LBB141_413
; %bb.416:                              ;   in Loop: Header=BB141_415 Depth=2
	global_load_ubyte v10, v[4:5], off
	s_waitcnt vmcnt(0)
	v_add_u32_sdwa v11, sext(v10), s0 dst_sel:DWORD dst_unused:UNUSED_PAD src0_sel:BYTE_0 src1_sel:DWORD
	v_and_b32_e32 v11, v11, v44
	v_cmp_eq_u32_e32 vcc, v11, v41
	s_and_b64 exec, exec, vcc
	s_cbranch_execz .LBB141_413
; %bb.417:                              ;   in Loop: Header=BB141_415 Depth=2
	v_lshlrev_b16_e32 v10, 8, v10
	v_or_b32_e32 v10, 1, v10
	ds_write_b16 v3, v10 offset:3072
	s_branch .LBB141_413
.LBB141_418:                            ;   in Loop: Header=BB141_415 Depth=2
	v_add_co_u32_e32 v8, vcc, s33, v8
	v_readlane_b32 s52, v57, 51
	v_addc_co_u32_e32 v9, vcc, 0, v9, vcc
	v_mov_b32_e32 v11, s52
	s_mul_i32 s52, s26, s33
	v_add_co_u32_e32 v4, vcc, s52, v4
	v_addc_co_u32_e32 v5, vcc, v5, v11, vcc
	v_cmp_le_u64_e32 vcc, s[16:17], v[8:9]
	s_mov_b32 s52, 0xc0c0004
	s_mov_b64 s[58:59], 0
	s_orn2_b64 s[56:57], vcc, exec
	s_branch .LBB141_414
.LBB141_419:                            ;   in Loop: Header=BB141_31 Depth=1
	s_or_b64 exec, exec, s[48:49]
	s_andn2_b64 s[16:17], s[60:61], exec
	s_and_b64 s[48:49], s[66:67], exec
	v_lshrrev_b32_sdwa v45, v43, v10 dst_sel:DWORD dst_unused:UNUSED_PAD src0_sel:DWORD src1_sel:WORD_0
	s_or_b64 s[60:61], s[16:17], s[48:49]
	v_readlane_b32 s59, v57, 51
	s_mul_i32 s58, s26, s33
.LBB141_420:                            ;   in Loop: Header=BB141_31 Depth=1
	s_or_b64 exec, exec, s[4:5]
	s_mov_b64 s[48:49], 0
	s_mov_b64 s[66:67], -1
.LBB141_421:                            ;   in Loop: Header=BB141_31 Depth=1
	s_orn2_b64 s[4:5], s[60:61], exec
.LBB141_422:                            ;   in Loop: Header=BB141_31 Depth=1
	s_or_b64 exec, exec, s[8:9]
	s_mov_b64 s[16:17], 0
	s_and_saveexec_b64 s[8:9], s[4:5]
	s_cbranch_execz .LBB141_484
; %bb.423:                              ;   in Loop: Header=BB141_31 Depth=1
	v_mov_b32_e32 v4, 1
	s_xor_b64 s[4:5], s[10:11], -1
	v_mov_b32_e32 v2, 1
	v_mov_b32_e32 v5, 0
	s_and_saveexec_b64 s[10:11], s[4:5]
	s_cbranch_execz .LBB141_432
; %bb.424:                              ;   in Loop: Header=BB141_31 Depth=1
	v_cmp_ge_u64_e32 vcc, s[46:47], v[6:7]
	s_and_saveexec_b64 s[4:5], vcc
	s_xor_b64 s[4:5], exec, s[4:5]
	s_cbranch_execz .LBB141_429
; %bb.425:                              ;   in Loop: Header=BB141_31 Depth=1
	ds_read_b64 v[4:5], v3 offset:5120
	v_readlane_b32 s16, v57, 58
	v_and_b32_e32 v2, s16, v41
	v_lshl_or_b32 v41, 1, s63, v2
	v_or_b32_e32 v44, s1, v44
	s_waitcnt lgkmcnt(0)
	v_cmp_ne_u64_e32 vcc, 0, v[4:5]
	s_cbranch_vccnz .LBB141_429
; %bb.426:                              ;   in Loop: Header=BB141_31 Depth=1
	s_mov_b64 s[16:17], exec
	v_readlane_b32 s56, v57, 8
	v_readlane_b32 s57, v57, 9
	s_and_b64 s[56:57], s[16:17], s[56:57]
	s_mov_b64 exec, s[56:57]
; %bb.427:                              ;   in Loop: Header=BB141_31 Depth=1
	v_mov_b32_e32 v4, s46
	v_mov_b32_e32 v5, s47
	ds_write_b64 v3, v[4:5] offset:5128
; %bb.428:                              ;   in Loop: Header=BB141_31 Depth=1
	s_or_b64 exec, exec, s[16:17]
	s_waitcnt lgkmcnt(0)
	s_barrier
.LBB141_429:                            ;   in Loop: Header=BB141_31 Depth=1
	s_or_saveexec_b64 s[4:5], s[4:5]
	s_mov_b64 s[16:17], 0
	v_mov_b32_e32 v2, 5
	s_xor_b64 exec, exec, s[4:5]
; %bb.430:                              ;   in Loop: Header=BB141_31 Depth=1
	v_subrev_co_u32_e32 v6, vcc, s46, v6
	v_mov_b32_e32 v2, s47
	v_subb_co_u32_e32 v7, vcc, v7, v2, vcc
	v_mov_b32_e32 v2, 0
	s_mov_b64 s[16:17], exec
; %bb.431:                              ;   in Loop: Header=BB141_31 Depth=1
	s_or_b64 exec, exec, s[4:5]
	v_mov_b32_e32 v4, v6
	s_and_b64 s[16:17], s[16:17], exec
	v_mov_b32_e32 v5, v7
.LBB141_432:                            ;   in Loop: Header=BB141_31 Depth=1
	s_or_b64 exec, exec, s[10:11]
	s_mov_b64 s[4:5], -1
                                        ; implicit-def: $sgpr70_sgpr71
                                        ; implicit-def: $sgpr60_sgpr61
	s_and_saveexec_b64 s[10:11], s[16:17]
	s_cbranch_execz .LBB141_483
; %bb.433:                              ;   in Loop: Header=BB141_31 Depth=1
	s_cmp_eq_u64 s[22:23], 1
	v_cmp_eq_u64_e32 vcc, 1, v[4:5]
	s_cselect_b64 s[4:5], -1, 0
	s_and_b64 s[16:17], s[4:5], vcc
	s_mov_b64 s[4:5], -1
                                        ; implicit-def: $sgpr70_sgpr71
                                        ; implicit-def: $sgpr60_sgpr61
	s_mov_b64 s[46:47], exec
	v_writelane_b32 v57, s16, 59
	v_writelane_b32 v57, s17, 60
	s_and_b64 s[16:17], s[46:47], s[16:17]
	s_mov_b64 exec, s[16:17]
	s_cbranch_execz .LBB141_471
; %bb.434:                              ;   in Loop: Header=BB141_31 Depth=1
	ds_read_b64 v[6:7], v3 offset:5120
	v_writelane_b32 v57, s46, 61
	v_writelane_b32 v57, s47, 62
	s_waitcnt lgkmcnt(0)
	s_barrier
	v_readfirstlane_b32 s16, v6
	v_readfirstlane_b32 s17, v7
	s_mov_b64 s[4:5], exec
	v_readlane_b32 s46, v57, 46
	v_readlane_b32 s47, v57, 47
	s_and_b64 s[46:47], s[4:5], s[46:47]
	s_mov_b64 exec, s[46:47]
; %bb.435:                              ;   in Loop: Header=BB141_31 Depth=1
	ds_write_b8 v0, v3 offset:3072
; %bb.436:                              ;   in Loop: Header=BB141_31 Depth=1
	s_or_b64 exec, exec, s[4:5]
	v_readlane_b32 s4, v57, 58
	v_and_b32_e32 v41, s4, v41
	v_or_b32_e32 v44, s1, v44
	s_mov_b64 s[60:61], -1
	s_mov_b64 s[70:71], 0
	s_cmp_eq_u64 s[16:17], 0
	s_mov_b64 s[46:47], 0
	s_mov_b64 s[72:73], -1
	s_waitcnt lgkmcnt(0)
	s_barrier
                                        ; implicit-def: $vgpr45
	s_cbranch_scc1 .LBB141_454
; %bb.437:                              ;   in Loop: Header=BB141_31 Depth=1
	v_readlane_b32 s4, v57, 22
	s_add_u32 s58, s16, s4
	v_readlane_b32 s4, v57, 24
	s_addc_u32 s47, s17, s4
	s_mov_b32 s46, s53
	s_mov_b64 s[68:69], s[64:65]
	s_cmp_lg_u64 s[46:47], 0
	s_cbranch_scc0 .LBB141_441
; %bb.438:                              ;   in Loop: Header=BB141_31 Depth=1
	v_cvt_f32_u32_e32 v6, s33
	s_sub_u32 s46, 0, s33
	s_subb_u32 s52, 0, 0
	v_mac_f32_e32 v6, 0, v42
	v_rcp_f32_e32 v6, v6
	v_mul_f32_e32 v6, 0x5f7ffffc, v6
	v_mul_f32_e32 v7, 0x2f800000, v6
	v_trunc_f32_e32 v7, v7
	v_mac_f32_e32 v6, 0xcf800000, v7
	v_cvt_u32_f32_e32 v7, v7
	v_cvt_u32_f32_e32 v6, v6
	v_readfirstlane_b32 s56, v7
	v_readfirstlane_b32 s4, v6
	s_mul_i32 s5, s46, s56
	s_mul_hi_u32 s59, s46, s4
	s_mul_i32 s57, s52, s4
	s_add_i32 s5, s59, s5
	s_mul_i32 s60, s46, s4
	s_add_i32 s5, s5, s57
	s_mul_hi_u32 s59, s4, s60
	s_mul_i32 s61, s4, s5
	s_mul_hi_u32 s57, s4, s5
	s_add_u32 s59, s59, s61
	s_addc_u32 s57, 0, s57
	s_mul_hi_u32 s64, s56, s60
	s_mul_i32 s60, s56, s60
	s_add_u32 s59, s59, s60
	s_mul_hi_u32 s61, s56, s5
	s_addc_u32 s57, s57, s64
	s_addc_u32 s59, s61, 0
	s_mul_i32 s5, s56, s5
	s_add_u32 s5, s57, s5
	s_addc_u32 s57, 0, s59
	s_add_u32 s59, s4, s5
	s_cselect_b64 s[4:5], -1, 0
	s_cmp_lg_u64 s[4:5], 0
	s_addc_u32 s56, s56, s57
	s_mul_i32 s4, s46, s56
	s_mul_hi_u32 s5, s46, s59
	s_add_i32 s4, s5, s4
	s_mul_i32 s52, s52, s59
	s_add_i32 s4, s4, s52
	s_mul_i32 s46, s46, s59
	s_mul_hi_u32 s52, s56, s46
	s_mul_i32 s57, s56, s46
	s_mul_i32 s61, s59, s4
	s_mul_hi_u32 s46, s59, s46
	s_mul_hi_u32 s60, s59, s4
	s_add_u32 s46, s46, s61
	s_addc_u32 s60, 0, s60
	s_add_u32 s46, s46, s57
	s_mul_hi_u32 s5, s56, s4
	s_addc_u32 s46, s60, s52
	s_addc_u32 s5, s5, 0
	s_mul_i32 s4, s56, s4
	s_add_u32 s4, s46, s4
	s_addc_u32 s46, 0, s5
	s_add_u32 s52, s59, s4
	s_cselect_b64 s[4:5], -1, 0
	s_cmp_lg_u64 s[4:5], 0
	s_addc_u32 s4, s56, s46
	s_mul_i32 s46, s58, s4
	s_mul_hi_u32 s56, s58, s52
	s_mul_hi_u32 s5, s58, s4
	s_add_u32 s46, s56, s46
	s_addc_u32 s5, 0, s5
	s_mul_hi_u32 s57, s47, s52
	s_mul_i32 s52, s47, s52
	s_add_u32 s46, s46, s52
	s_mul_hi_u32 s56, s47, s4
	s_addc_u32 s5, s5, s57
	s_addc_u32 s46, s56, 0
	s_mul_i32 s4, s47, s4
	s_add_u32 s4, s5, s4
	s_addc_u32 s5, 0, s46
	s_mul_i32 s5, s33, s5
	s_mul_hi_u32 s46, s33, s4
	s_add_i32 s46, s46, s5
	s_mul_i32 s4, s33, s4
	s_sub_u32 s52, s58, s4
	s_cselect_b64 s[4:5], -1, 0
	s_cmp_lg_u64 s[4:5], 0
	s_subb_u32 s46, s47, s46
	s_sub_u32 s56, s52, s33
	s_cselect_b64 s[4:5], -1, 0
	s_cmp_lg_u64 s[4:5], 0
	s_subb_u32 s57, s46, 0
	;; [unrolled: 4-line block ×3, first 2 shown]
	s_cmp_ge_u32 s56, s33
	s_cselect_b32 s5, -1, 0
	s_cmp_eq_u32 s57, 0
	s_cselect_b32 s5, s5, -1
	s_cmp_lg_u32 s5, 0
	s_cselect_b32 s4, s4, s57
	s_cselect_b32 s56, s59, s56
	s_cmp_ge_u32 s52, s33
	s_cselect_b32 s5, -1, 0
	s_cmp_eq_u32 s46, 0
	s_cselect_b32 s5, s5, -1
	s_cmp_lg_u32 s5, 0
	s_cselect_b32 s5, s4, s46
	s_cselect_b32 s4, s56, s52
	s_mov_b64 s[56:57], 0
	s_branch .LBB141_442
.LBB141_439:                            ;   in Loop: Header=BB141_31 Depth=1
                                        ; implicit-def: $sgpr4_sgpr5
	s_branch .LBB141_394
.LBB141_440:                            ;   in Loop: Header=BB141_31 Depth=1
                                        ; implicit-def: $sgpr4_sgpr5
	s_branch .LBB141_410
.LBB141_441:                            ;   in Loop: Header=BB141_31 Depth=1
	s_mov_b64 s[56:57], -1
                                        ; implicit-def: $sgpr4_sgpr5
.LBB141_442:                            ;   in Loop: Header=BB141_31 Depth=1
	s_andn2_b64 vcc, exec, s[56:57]
	s_cbranch_vccnz .LBB141_444
; %bb.443:                              ;   in Loop: Header=BB141_31 Depth=1
	v_cvt_f32_u32_e32 v6, s33
	s_sub_i32 s4, 0, s33
	v_rcp_iflag_f32_e32 v6, v6
	v_mul_f32_e32 v6, 0x4f7ffffe, v6
	v_cvt_u32_f32_e32 v6, v6
	v_readfirstlane_b32 s5, v6
	s_mul_i32 s4, s4, s5
	s_mul_hi_u32 s4, s5, s4
	s_add_i32 s5, s5, s4
	s_mul_hi_u32 s4, s58, s5
	s_mul_i32 s4, s4, s33
	s_sub_i32 s4, s58, s4
	s_sub_i32 s5, s4, s33
	s_cmp_ge_u32 s4, s33
	s_cselect_b32 s4, s5, s4
	s_sub_i32 s5, s4, s33
	s_cmp_ge_u32 s4, s33
	s_cselect_b32 s52, s5, s4
	s_mov_b64 s[4:5], s[52:53]
.LBB141_444:                            ;   in Loop: Header=BB141_31 Depth=1
	s_sub_u32 s60, s58, s4
	s_subb_u32 s61, s47, s5
	v_cmp_gt_u64_e32 vcc, s[60:61], v[0:1]
	s_mov_b64 s[72:73], 0
	s_mov_b64 s[46:47], 0
                                        ; implicit-def: $vgpr45
	s_and_saveexec_b64 s[4:5], vcc
	s_mov_b64 s[64:65], s[68:69]
	s_mov_b32 s52, 0xc0c0004
	s_cbranch_execz .LBB141_453
; %bb.445:                              ;   in Loop: Header=BB141_31 Depth=1
	v_mov_b32_e32 v7, v1
	v_mov_b32_e32 v8, v0
	;; [unrolled: 1-line block ×3, first 2 shown]
                                        ; implicit-def: $sgpr68_sgpr69
	s_branch .LBB141_448
.LBB141_446:                            ;   in Loop: Header=BB141_448 Depth=2
	s_or_b64 exec, exec, s[56:57]
	s_waitcnt lgkmcnt(0)
	s_barrier
	ds_read_u16 v9, v3 offset:3072
	s_mov_b64 s[56:57], -1
	s_waitcnt lgkmcnt(0)
	s_barrier
	v_cmp_ne_u32_sdwa s[58:59], v9, v3 src0_sel:BYTE_0 src1_sel:DWORD
	s_and_b64 vcc, exec, s[58:59]
	s_mov_b64 s[58:59], -1
	s_cbranch_vccz .LBB141_451
.LBB141_447:                            ;   in Loop: Header=BB141_448 Depth=2
	s_and_b64 s[56:57], exec, s[56:57]
	s_or_b64 s[46:47], s[56:57], s[46:47]
	s_andn2_b64 s[56:57], s[68:69], exec
	s_and_b64 s[58:59], s[58:59], exec
	s_or_b64 s[68:69], s[56:57], s[58:59]
	s_andn2_b64 exec, exec, s[46:47]
	s_cbranch_execz .LBB141_452
.LBB141_448:                            ;   Parent Loop BB141_31 Depth=1
                                        ; =>  This Inner Loop Header: Depth=2
	v_cmp_gt_u64_e32 vcc, s[16:17], v[6:7]
	s_and_saveexec_b64 s[56:57], vcc
	s_cbranch_execz .LBB141_446
; %bb.449:                              ;   in Loop: Header=BB141_448 Depth=2
	ds_read_u8 v9, v8
	s_waitcnt lgkmcnt(0)
	v_add_u32_sdwa v10, sext(v9), s0 dst_sel:DWORD dst_unused:UNUSED_PAD src0_sel:BYTE_0 src1_sel:DWORD
	v_and_b32_e32 v10, v10, v44
	v_cmp_eq_u32_e32 vcc, v10, v41
	s_and_b64 exec, exec, vcc
	s_cbranch_execz .LBB141_446
; %bb.450:                              ;   in Loop: Header=BB141_448 Depth=2
	v_lshlrev_b16_e32 v9, 8, v9
	v_or_b32_e32 v9, 1, v9
	ds_write_b16 v3, v9 offset:3072
	s_branch .LBB141_446
.LBB141_451:                            ;   in Loop: Header=BB141_448 Depth=2
	v_add_co_u32_e32 v6, vcc, s33, v6
	v_addc_co_u32_e32 v7, vcc, 0, v7, vcc
	v_cmp_le_u64_e32 vcc, s[60:61], v[6:7]
	v_add_u32_e32 v8, s33, v8
	s_mov_b64 s[58:59], 0
	s_orn2_b64 s[56:57], vcc, exec
	s_branch .LBB141_447
.LBB141_452:                            ;   in Loop: Header=BB141_31 Depth=1
	s_or_b64 exec, exec, s[46:47]
	v_lshrrev_b32_sdwa v45, v43, v9 dst_sel:DWORD dst_unused:UNUSED_PAD src0_sel:DWORD src1_sel:WORD_0
	s_and_b64 s[46:47], s[68:69], exec
.LBB141_453:                            ;   in Loop: Header=BB141_31 Depth=1
	s_or_b64 exec, exec, s[4:5]
	v_readlane_b32 s59, v57, 51
	s_mul_i32 s58, s26, s33
	s_mov_b64 s[60:61], -1
.LBB141_454:                            ;   in Loop: Header=BB141_31 Depth=1
	s_and_b64 vcc, exec, s[72:73]
	s_cbranch_vccz .LBB141_470
; %bb.455:                              ;   in Loop: Header=BB141_31 Depth=1
	v_readlane_b32 s60, v57, 25
	v_readlane_b32 s61, v57, 26
	s_mov_b32 s60, s53
	s_cmp_lg_u64 s[60:61], 0
	v_writelane_b32 v57, s60, 25
	v_writelane_b32 v57, s61, 26
	s_cbranch_scc0 .LBB141_457
; %bb.456:                              ;   in Loop: Header=BB141_31 Depth=1
	v_cvt_f32_u32_e32 v6, s33
	s_sub_u32 s16, 0, s33
	s_subb_u32 s17, 0, 0
	v_mac_f32_e32 v6, 0, v42
	v_rcp_f32_e32 v6, v6
	v_mul_f32_e32 v6, 0x5f7ffffc, v6
	v_mul_f32_e32 v7, 0x2f800000, v6
	v_trunc_f32_e32 v7, v7
	v_mac_f32_e32 v6, 0xcf800000, v7
	v_cvt_u32_f32_e32 v7, v7
	v_cvt_u32_f32_e32 v6, v6
	v_readfirstlane_b32 s52, v7
	v_readfirstlane_b32 s4, v6
	s_mul_i32 s5, s16, s52
	s_mul_hi_u32 s57, s16, s4
	s_mul_i32 s56, s17, s4
	s_add_i32 s5, s57, s5
	s_mul_i32 s58, s16, s4
	s_add_i32 s5, s5, s56
	s_mul_hi_u32 s57, s4, s58
	s_mul_i32 s59, s4, s5
	s_mul_hi_u32 s56, s4, s5
	s_add_u32 s57, s57, s59
	s_addc_u32 s56, 0, s56
	s_mul_hi_u32 s60, s52, s58
	s_mul_i32 s58, s52, s58
	s_add_u32 s57, s57, s58
	s_mul_hi_u32 s59, s52, s5
	s_addc_u32 s56, s56, s60
	s_addc_u32 s57, s59, 0
	s_mul_i32 s5, s52, s5
	s_add_u32 s5, s56, s5
	s_addc_u32 s56, 0, s57
	s_add_u32 s57, s4, s5
	s_cselect_b64 s[4:5], -1, 0
	s_cmp_lg_u64 s[4:5], 0
	s_addc_u32 s52, s52, s56
	s_mul_i32 s4, s16, s52
	s_mul_hi_u32 s5, s16, s57
	s_add_i32 s4, s5, s4
	s_mul_i32 s17, s17, s57
	s_add_i32 s4, s4, s17
	s_mul_i32 s16, s16, s57
	s_mul_hi_u32 s17, s52, s16
	s_mul_i32 s56, s52, s16
	s_mul_i32 s59, s57, s4
	s_mul_hi_u32 s16, s57, s16
	s_mul_hi_u32 s58, s57, s4
	s_add_u32 s16, s16, s59
	s_addc_u32 s58, 0, s58
	s_add_u32 s16, s16, s56
	s_mul_hi_u32 s5, s52, s4
	s_addc_u32 s16, s58, s17
	s_addc_u32 s5, s5, 0
	s_mul_i32 s4, s52, s4
	s_add_u32 s4, s16, s4
	s_addc_u32 s16, 0, s5
	s_add_u32 s17, s57, s4
	s_cselect_b64 s[4:5], -1, 0
	s_cmp_lg_u64 s[4:5], 0
	s_addc_u32 s4, s52, s16
	v_readlane_b32 s57, v57, 23
	s_mul_i32 s16, s57, s4
	s_mul_hi_u32 s52, s57, s17
	s_mul_hi_u32 s5, s57, s4
	s_add_u32 s16, s52, s16
	s_addc_u32 s5, 0, s5
	s_mul_hi_u32 s56, s61, s17
	s_mul_i32 s17, s61, s17
	s_add_u32 s16, s16, s17
	s_mul_hi_u32 s52, s61, s4
	s_addc_u32 s5, s5, s56
	s_addc_u32 s16, s52, 0
	s_mul_i32 s4, s61, s4
	s_add_u32 s4, s5, s4
	s_addc_u32 s5, 0, s16
	s_mul_i32 s5, s33, s5
	s_mul_hi_u32 s16, s33, s4
	s_add_i32 s16, s16, s5
	s_mul_i32 s4, s33, s4
	s_sub_u32 s17, s57, s4
	s_cselect_b64 s[4:5], -1, 0
	s_cmp_lg_u64 s[4:5], 0
	s_subb_u32 s16, s61, s16
	s_sub_u32 s52, s17, s33
	s_cselect_b64 s[4:5], -1, 0
	s_cmp_lg_u64 s[4:5], 0
	s_subb_u32 s56, s16, 0
	;; [unrolled: 4-line block ×3, first 2 shown]
	s_cmp_ge_u32 s52, s33
	s_cselect_b32 s5, -1, 0
	s_cmp_eq_u32 s56, 0
	s_cselect_b32 s5, s5, -1
	s_cmp_lg_u32 s5, 0
	s_cselect_b32 s4, s4, s56
	s_cselect_b32 s52, s57, s52
	s_cmp_ge_u32 s17, s33
	s_cselect_b32 s5, -1, 0
	s_cmp_eq_u32 s16, 0
	s_cselect_b32 s5, s5, -1
	s_cmp_lg_u32 s5, 0
	v_readlane_b32 s59, v57, 51
	s_mul_i32 s58, s26, s33
	s_cselect_b32 s5, s4, s16
	s_cselect_b32 s4, s52, s17
	s_mov_b64 s[16:17], 0
	s_branch .LBB141_458
.LBB141_457:                            ;   in Loop: Header=BB141_31 Depth=1
	s_mov_b64 s[16:17], -1
                                        ; implicit-def: $sgpr4_sgpr5
.LBB141_458:                            ;   in Loop: Header=BB141_31 Depth=1
	s_andn2_b64 vcc, exec, s[16:17]
	s_cbranch_vccnz .LBB141_460
; %bb.459:                              ;   in Loop: Header=BB141_31 Depth=1
	v_cvt_f32_u32_e32 v6, s33
	s_sub_i32 s4, 0, s33
	v_readlane_b32 s16, v57, 23
	v_rcp_iflag_f32_e32 v6, v6
	v_mul_f32_e32 v6, 0x4f7ffffe, v6
	v_cvt_u32_f32_e32 v6, v6
	v_readfirstlane_b32 s5, v6
	s_mul_i32 s4, s4, s5
	s_mul_hi_u32 s4, s5, s4
	s_add_i32 s5, s5, s4
	s_mul_hi_u32 s4, s16, s5
	s_mul_i32 s4, s4, s33
	s_sub_i32 s4, s16, s4
	s_sub_i32 s5, s4, s33
	s_cmp_ge_u32 s4, s33
	s_cselect_b32 s4, s5, s4
	s_sub_i32 s5, s4, s33
	s_cmp_ge_u32 s4, s33
	s_cselect_b32 s52, s5, s4
	s_mov_b64 s[4:5], s[52:53]
.LBB141_460:                            ;   in Loop: Header=BB141_31 Depth=1
	v_readlane_b32 s16, v57, 23
	v_readlane_b32 s56, v57, 25
	s_sub_u32 s16, s16, s4
	v_readlane_b32 s57, v57, 26
	s_subb_u32 s17, s57, s5
	v_cmp_gt_u64_e32 vcc, s[16:17], v[0:1]
                                        ; implicit-def: $vgpr45
	s_and_saveexec_b64 s[4:5], vcc
	s_mov_b32 s52, 0xc0c0004
	s_cbranch_execz .LBB141_469
; %bb.461:                              ;   in Loop: Header=BB141_31 Depth=1
	v_mov_b32_e32 v6, v21
	v_mov_b32_e32 v9, v1
	s_mov_b64 s[60:61], 0
	v_mov_b32_e32 v7, v22
	v_mov_b32_e32 v8, v0
                                        ; implicit-def: $sgpr68_sgpr69
	s_branch .LBB141_464
.LBB141_462:                            ;   in Loop: Header=BB141_464 Depth=2
	s_or_b64 exec, exec, s[56:57]
	s_waitcnt lgkmcnt(0)
	s_barrier
	ds_read_u16 v10, v3 offset:3072
	s_mov_b64 s[56:57], -1
	s_waitcnt lgkmcnt(0)
	s_barrier
	v_cmp_eq_u32_sdwa s[58:59], v10, v3 src0_sel:BYTE_0 src1_sel:DWORD
	s_and_b64 vcc, exec, s[58:59]
	s_mov_b64 s[58:59], -1
	s_cbranch_vccnz .LBB141_467
.LBB141_463:                            ;   in Loop: Header=BB141_464 Depth=2
	s_and_b64 s[56:57], exec, s[56:57]
	s_or_b64 s[60:61], s[56:57], s[60:61]
	s_andn2_b64 s[56:57], s[68:69], exec
	s_and_b64 s[58:59], s[58:59], exec
	s_or_b64 s[68:69], s[56:57], s[58:59]
	s_andn2_b64 exec, exec, s[60:61]
	s_cbranch_execz .LBB141_468
.LBB141_464:                            ;   Parent Loop BB141_31 Depth=1
                                        ; =>  This Inner Loop Header: Depth=2
	v_cmp_gt_u64_e32 vcc, s[28:29], v[8:9]
	s_and_saveexec_b64 s[56:57], vcc
	s_cbranch_execz .LBB141_462
; %bb.465:                              ;   in Loop: Header=BB141_464 Depth=2
	global_load_ubyte v10, v[6:7], off
	s_waitcnt vmcnt(0)
	v_add_u32_sdwa v11, sext(v10), s0 dst_sel:DWORD dst_unused:UNUSED_PAD src0_sel:BYTE_0 src1_sel:DWORD
	v_and_b32_e32 v11, v11, v44
	v_cmp_eq_u32_e32 vcc, v11, v41
	s_and_b64 exec, exec, vcc
	s_cbranch_execz .LBB141_462
; %bb.466:                              ;   in Loop: Header=BB141_464 Depth=2
	v_lshlrev_b16_e32 v10, 8, v10
	v_or_b32_e32 v10, 1, v10
	ds_write_b16 v3, v10 offset:3072
	s_branch .LBB141_462
.LBB141_467:                            ;   in Loop: Header=BB141_464 Depth=2
	v_add_co_u32_e32 v8, vcc, s33, v8
	v_readlane_b32 s52, v57, 51
	v_addc_co_u32_e32 v9, vcc, 0, v9, vcc
	v_mov_b32_e32 v11, s52
	s_mul_i32 s52, s26, s33
	v_add_co_u32_e32 v6, vcc, s52, v6
	v_addc_co_u32_e32 v7, vcc, v7, v11, vcc
	v_cmp_le_u64_e32 vcc, s[16:17], v[8:9]
	s_mov_b32 s52, 0xc0c0004
	s_mov_b64 s[58:59], 0
	s_orn2_b64 s[56:57], vcc, exec
	s_branch .LBB141_463
.LBB141_468:                            ;   in Loop: Header=BB141_31 Depth=1
	s_or_b64 exec, exec, s[60:61]
	s_andn2_b64 s[16:17], s[46:47], exec
	s_and_b64 s[46:47], s[68:69], exec
	v_lshrrev_b32_sdwa v45, v43, v10 dst_sel:DWORD dst_unused:UNUSED_PAD src0_sel:DWORD src1_sel:WORD_0
	s_or_b64 s[46:47], s[16:17], s[46:47]
	v_readlane_b32 s59, v57, 51
	s_mul_i32 s58, s26, s33
.LBB141_469:                            ;   in Loop: Header=BB141_31 Depth=1
	s_or_b64 exec, exec, s[4:5]
	s_mov_b64 s[60:61], 0
	s_mov_b64 s[70:71], -1
.LBB141_470:                            ;   in Loop: Header=BB141_31 Depth=1
	s_orn2_b64 s[4:5], s[46:47], exec
	v_readlane_b32 s46, v57, 61
	v_readlane_b32 s47, v57, 62
.LBB141_471:                            ;   in Loop: Header=BB141_31 Depth=1
	s_or_b64 exec, exec, s[46:47]
	s_mov_b64 s[46:47], 0
	s_and_saveexec_b64 s[16:17], s[4:5]
	s_cbranch_execz .LBB141_482
; %bb.472:                              ;   in Loop: Header=BB141_31 Depth=1
	v_readlane_b32 s4, v57, 59
	v_readlane_b32 s5, v57, 60
	v_mov_b32_e32 v6, 1
	s_xor_b64 s[46:47], s[4:5], -1
	v_mov_b32_e32 v7, 0
	v_mov_b32_e32 v2, 1
	s_and_saveexec_b64 s[4:5], s[46:47]
	s_cbranch_execz .LBB141_481
; %bb.473:                              ;   in Loop: Header=BB141_31 Depth=1
	v_cmp_ge_u64_e32 vcc, s[22:23], v[4:5]
	s_and_saveexec_b64 s[46:47], vcc
	s_xor_b64 s[46:47], exec, s[46:47]
	s_cbranch_execz .LBB141_478
; %bb.474:                              ;   in Loop: Header=BB141_31 Depth=1
	ds_read_b64 v[6:7], v3 offset:5120
	v_readlane_b32 s56, v57, 58
	v_and_b32_e32 v41, s56, v41
	v_or_b32_e32 v44, s1, v44
	s_waitcnt lgkmcnt(0)
	v_cmp_ne_u64_e32 vcc, 0, v[6:7]
	s_cbranch_vccnz .LBB141_478
; %bb.475:                              ;   in Loop: Header=BB141_31 Depth=1
	s_mov_b64 s[56:57], exec
	v_readlane_b32 s58, v57, 8
	v_readlane_b32 s59, v57, 9
	s_and_b64 s[58:59], s[56:57], s[58:59]
	s_mov_b64 exec, s[58:59]
; %bb.476:                              ;   in Loop: Header=BB141_31 Depth=1
	v_mov_b32_e32 v6, s22
	v_mov_b32_e32 v7, s23
	ds_write_b64 v3, v[6:7] offset:5128
; %bb.477:                              ;   in Loop: Header=BB141_31 Depth=1
	s_or_b64 exec, exec, s[56:57]
	v_readlane_b32 s59, v57, 51
	s_mul_i32 s58, s26, s33
	s_waitcnt lgkmcnt(0)
	s_barrier
.LBB141_478:                            ;   in Loop: Header=BB141_31 Depth=1
	s_andn2_saveexec_b64 s[46:47], s[46:47]
; %bb.479:                              ;   in Loop: Header=BB141_31 Depth=1
	v_mov_b32_e32 v2, s23
	v_subrev_co_u32_e32 v4, vcc, s22, v4
	v_subb_co_u32_e32 v5, vcc, v5, v2, vcc
; %bb.480:                              ;   in Loop: Header=BB141_31 Depth=1
	s_or_b64 exec, exec, s[46:47]
	v_mov_b32_e32 v7, v5
	v_mov_b32_e32 v2, 5
	;; [unrolled: 1-line block ×3, first 2 shown]
.LBB141_481:                            ;   in Loop: Header=BB141_31 Depth=1
	s_or_b64 exec, exec, s[4:5]
	v_mov_b32_e32 v4, v6
	s_mov_b64 s[46:47], exec
	v_mov_b32_e32 v5, v7
.LBB141_482:                            ;   in Loop: Header=BB141_31 Depth=1
	s_or_b64 exec, exec, s[16:17]
	s_orn2_b64 s[4:5], s[46:47], exec
.LBB141_483:                            ;   in Loop: Header=BB141_31 Depth=1
	s_or_b64 exec, exec, s[10:11]
	s_andn2_b64 s[10:11], s[66:67], exec
	s_and_b64 s[16:17], s[70:71], exec
	s_or_b64 s[66:67], s[10:11], s[16:17]
	s_andn2_b64 s[10:11], s[48:49], exec
	s_and_b64 s[16:17], s[60:61], exec
	v_mov_b32_e32 v7, v5
	s_or_b64 s[48:49], s[10:11], s[16:17]
	s_and_b64 s[16:17], s[4:5], exec
	v_mov_b32_e32 v6, v4
.LBB141_484:                            ;   in Loop: Header=BB141_31 Depth=1
	s_or_b64 exec, exec, s[8:9]
	s_orn2_b64 s[4:5], s[16:17], exec
.LBB141_485:                            ;   in Loop: Header=BB141_31 Depth=1
	s_or_b64 exec, exec, s[18:19]
	s_andn2_b64 s[8:9], s[50:51], exec
	s_and_b64 s[10:11], s[66:67], exec
	s_or_b64 s[50:51], s[8:9], s[10:11]
	s_andn2_b64 s[8:9], s[38:39], exec
	s_and_b64 s[10:11], s[48:49], exec
	v_mov_b32_e32 v4, v6
	s_or_b64 s[38:39], s[8:9], s[10:11]
	s_and_b64 s[10:11], s[4:5], exec
	v_mov_b32_e32 v5, v7
.LBB141_486:                            ;   in Loop: Header=BB141_31 Depth=1
	s_or_b64 exec, exec, s[6:7]
	s_orn2_b64 s[4:5], s[10:11], exec
.LBB141_487:                            ;   in Loop: Header=BB141_31 Depth=1
	s_or_b64 exec, exec, s[14:15]
	s_mov_b64 s[6:7], s[40:41]
	s_mov_b64 s[8:9], s[20:21]
	s_and_saveexec_b64 s[10:11], s[4:5]
; %bb.488:                              ;   in Loop: Header=BB141_31 Depth=1
	v_cmp_ne_u32_e64 s[18:19], 5, v2
	v_cmp_eq_u32_e32 vcc, 5, v2
	s_andn2_b64 s[4:5], s[20:21], exec
	s_and_b64 s[6:7], s[18:19], exec
	s_or_b64 s[8:9], s[4:5], s[6:7]
	s_andn2_b64 s[4:5], s[40:41], exec
	s_and_b64 s[6:7], vcc, exec
	s_or_b64 s[6:7], s[4:5], s[6:7]
; %bb.489:                              ;   in Loop: Header=BB141_31 Depth=1
	s_or_b64 exec, exec, s[10:11]
	s_andn2_b64 s[2:3], s[2:3], exec
	s_and_b64 s[4:5], s[50:51], exec
	s_or_b64 s[2:3], s[2:3], s[4:5]
	s_andn2_b64 s[4:5], s[24:25], exec
	s_and_b64 s[10:11], s[38:39], exec
	s_or_b64 s[24:25], s[4:5], s[10:11]
	;; [unrolled: 3-line block ×4, first 2 shown]
.LBB141_490:                            ;   in Loop: Header=BB141_31 Depth=1
	s_or_b64 exec, exec, s[12:13]
	s_mov_b64 s[14:15], 0
	s_mov_b64 s[12:13], 0
	s_and_saveexec_b64 s[4:5], s[40:41]
.LBB141_491:                            ;   in Loop: Header=BB141_31 Depth=1
	v_mov_b32_e32 v2, 0
	s_or_b64 s[20:21], s[20:21], exec
.LBB141_492:                            ;   in Loop: Header=BB141_31 Depth=1
	s_or_b64 exec, exec, s[4:5]
	s_andn2_b64 s[6:7], s[92:93], exec
	s_and_b64 s[2:3], s[2:3], exec
	s_or_b64 s[92:93], s[6:7], s[2:3]
	s_andn2_b64 s[2:3], s[90:91], exec
	s_and_b64 s[6:7], s[24:25], exec
	s_or_b64 s[90:91], s[2:3], s[6:7]
	;; [unrolled: 3-line block ×3, first 2 shown]
	s_andn2_b64 s[2:3], s[86:87], exec
	s_and_b64 s[6:7], s[14:15], exec
	v_mov_b32_e32 v27, v5
	s_mov_b64 s[4:5], -1
	s_andn2_b64 s[94:95], s[94:95], exec
	s_or_b64 s[86:87], s[2:3], s[6:7]
	v_mov_b32_e32 v26, v4
	s_and_saveexec_b64 s[2:3], s[20:21]
	s_xor_b64 s[2:3], exec, s[2:3]
	v_readlane_b32 s16, v57, 52
	v_readlane_b32 s17, v57, 53
	;; [unrolled: 1-line block ×6, first 2 shown]
	s_cbranch_execz .LBB141_30
; %bb.493:                              ;   in Loop: Header=BB141_31 Depth=1
	v_cmp_eq_u32_e32 vcc, 0, v2
	s_mov_b64 s[6:7], -1
	s_and_saveexec_b64 s[8:9], vcc
	s_cbranch_execz .LBB141_29
; %bb.494:                              ;   in Loop: Header=BB141_31 Depth=1
	v_readlane_b32 s1, v57, 50
	s_xor_b32 s1, s1, 1
	v_writelane_b32 v57, s1, 50
	s_add_i32 s1, s63, -2
	s_cmp_eq_u32 s63, 0
	s_cselect_b64 s[4:5], -1, 0
	s_xor_b64 s[6:7], exec, -1
	s_orn2_b64 s[4:5], s[4:5], exec
	s_mov_b32 s63, s1
	s_branch .LBB141_29
.LBB141_495:
	s_or_b64 exec, exec, s[74:75]
	s_xor_b64 s[4:5], s[84:85], -1
	s_xor_b64 s[12:13], s[82:83], -1
	;; [unrolled: 1-line block ×5, first 2 shown]
	s_mov_b64 s[8:9], 0
	s_and_saveexec_b64 s[6:7], s[0:1]
	s_xor_b64 s[6:7], exec, s[6:7]
	s_cbranch_execnz .LBB141_500
; %bb.496:
	s_andn2_saveexec_b64 s[0:1], s[6:7]
	s_cbranch_execnz .LBB141_519
.LBB141_497:
	s_or_b64 exec, exec, s[0:1]
	s_and_saveexec_b64 s[0:1], s[8:9]
.LBB141_498:
	; divergent unreachable
.LBB141_499:
	s_endpgm
.LBB141_500:
	s_and_saveexec_b64 s[0:1], s[10:11]
	s_xor_b64 s[10:11], exec, s[0:1]
	s_cbranch_execz .LBB141_517
; %bb.501:
	s_and_saveexec_b64 s[0:1], s[12:13]
	s_xor_b64 s[12:13], exec, s[0:1]
	s_cbranch_execz .LBB141_515
; %bb.502:
	;; [unrolled: 4-line block ×3, first 2 shown]
	s_and_saveexec_b64 s[0:1], s[2:3]
	s_xor_b64 s[2:3], exec, s[0:1]
; %bb.504:
	v_xor_b32_e32 v45, 0xffffff80, v41
; %bb.505:
	s_or_b64 exec, exec, s[2:3]
	s_mov_b64 s[2:3], exec
	v_readlane_b32 s0, v57, 8
	v_readlane_b32 s1, v57, 9
	;; [unrolled: 1-line block ×5, first 2 shown]
	s_and_b64 s[0:1], s[2:3], s[0:1]
	v_readlane_b32 s5, v57, 11
	v_readlane_b32 s49, v57, 40
	;; [unrolled: 1-line block ×3, first 2 shown]
	s_mov_b64 exec, s[0:1]
; %bb.506:
	v_mov_b32_e32 v2, 0
	v_mov_b32_e32 v3, v2
	ds_write_b64 v2, v[2:3] offset:5136
; %bb.507:
	s_or_b64 exec, exec, s[2:3]
	v_mov_b32_e32 v16, 0
	s_waitcnt lgkmcnt(0)
	s_barrier
	s_mov_b64 s[2:3], exec
	v_readlane_b32 s0, v57, 44
	v_readlane_b32 s1, v57, 45
	s_and_b64 s[0:1], s[2:3], s[0:1]
	s_mov_b64 exec, s[0:1]
	s_cbranch_execz .LBB141_509
; %bb.508:
	global_load_ubyte v16, v[12:13], off
.LBB141_509:
	s_or_b64 exec, exec, s[2:3]
	s_add_u32 s0, s28, 63
	v_readlane_b32 s8, v57, 0
	s_addc_u32 s17, s29, 0
	s_and_b32 s16, s0, 0xffffffc0
	v_readlane_b32 s9, v57, 1
	s_mul_i32 s0, s8, s37
	s_mul_hi_u32 s1, s8, s36
	s_add_i32 s0, s1, s0
	s_mul_i32 s1, s9, s36
	s_mul_i32 s3, s8, s36
	v_readlane_b32 s8, v57, 2
	s_add_i32 s2, s0, s1
	v_readlane_b32 s9, v57, 3
	s_mul_i32 s0, s8, s45
	s_mul_hi_u32 s1, s8, s44
	s_add_i32 s0, s1, s0
	s_mul_i32 s1, s9, s44
	s_add_i32 s1, s0, s1
	s_mul_i32 s0, s8, s44
	v_readlane_b32 s8, v57, 4
	v_readlane_b32 s9, v57, 5
	s_add_u32 s3, s8, s3
	s_addc_u32 s2, s9, s2
	s_add_u32 s18, s3, s34
	s_addc_u32 s19, s2, s35
	s_lshl_b64 s[0:1], s[0:1], 3
	v_readlane_b32 s2, v57, 6
	s_load_dwordx2 s[20:21], s[4:5], 0x368
	s_load_dwordx2 s[22:23], s[4:5], 0x510
	v_readlane_b32 s3, v57, 7
	s_add_u32 s2, s2, s0
	s_addc_u32 s3, s3, s1
	s_lshl_b64 s[0:1], s[42:43], 3
	s_add_u32 s0, s2, s0
	v_cmp_gt_u64_e32 vcc, s[16:17], v[0:1]
	s_addc_u32 s1, s3, s1
	s_mov_b64 s[34:35], -1
	s_mov_b64 s[2:3], 0
	s_mov_b64 s[4:5], 0
	s_and_saveexec_b64 s[24:25], vcc
	s_cbranch_execnz .LBB141_520
; %bb.510:
	s_or_b64 exec, exec, s[24:25]
	s_and_saveexec_b64 s[8:9], s[34:35]
	s_cbranch_execnz .LBB141_535
.LBB141_511:
	s_or_b64 exec, exec, s[8:9]
	s_and_saveexec_b64 s[0:1], s[4:5]
	s_xor_b64 s[0:1], exec, s[0:1]
	s_cbranch_execnz .LBB141_558
.LBB141_512:
	s_or_b64 exec, exec, s[0:1]
	s_and_b64 s[8:9], s[2:3], exec
.LBB141_513:
	s_andn2_saveexec_b64 s[0:1], s[14:15]
	s_cbranch_execnz .LBB141_560
.LBB141_514:
	s_or_b64 exec, exec, s[0:1]
	s_and_b64 s[8:9], s[8:9], exec
.LBB141_515:
	s_andn2_saveexec_b64 s[0:1], s[12:13]
	s_cbranch_execnz .LBB141_559
.LBB141_516:
	s_or_b64 exec, exec, s[0:1]
	s_and_b64 s[8:9], s[8:9], exec
.LBB141_517:
	s_andn2_saveexec_b64 s[0:1], s[10:11]
	s_cbranch_execnz .LBB141_554
.LBB141_518:
	s_or_b64 exec, exec, s[0:1]
	s_and_b64 s[8:9], s[8:9], exec
	s_andn2_saveexec_b64 s[0:1], s[6:7]
	s_cbranch_execz .LBB141_497
.LBB141_519:
	s_or_b64 s[8:9], s[8:9], exec
	s_trap 2
	s_or_b64 exec, exec, s[0:1]
	s_and_saveexec_b64 s[0:1], s[8:9]
	s_cbranch_execnz .LBB141_498
	s_branch .LBB141_499
.LBB141_520:
	v_add_co_u32_e64 v4, s[4:5], s33, v0
	v_addc_co_u32_e64 v5, s[4:5], 0, 0, s[4:5]
	v_readlane_b32 s4, v57, 38
	s_add_u32 s4, s48, s4
	v_readlane_b32 s5, v57, 41
	s_addc_u32 s5, s49, s5
	v_mov_b32_e32 v2, s4
	v_mov_b32_e32 v3, s5
	v_mad_u64_u32 v[2:3], s[4:5], s26, v4, v[2:3]
	v_mul_lo_u32 v5, s26, v5
	v_mul_lo_u32 v4, s27, v4
	s_movk_i32 s46, 0x80
	v_mov_b32_e32 v11, v1
	v_add_u32_sdwa v17, sext(v45), s46 dst_sel:DWORD dst_unused:UNUSED_PAD src0_sel:BYTE_0 src1_sel:DWORD
	v_add3_u32 v3, v4, v3, v5
	s_mov_b64 s[34:35], 0
	v_mov_b32_e32 v5, 0
	v_mov_b32_e32 v10, v0
                                        ; implicit-def: $sgpr36_sgpr37
                                        ; implicit-def: $vgpr8_vgpr9
	s_branch .LBB141_522
.LBB141_521:                            ;   in Loop: Header=BB141_522 Depth=1
	s_or_b64 exec, exec, s[38:39]
	s_xor_b64 s[4:5], s[40:41], -1
	s_and_b64 s[8:9], exec, s[8:9]
	s_or_b64 s[34:35], s[8:9], s[34:35]
	s_andn2_b64 s[8:9], s[36:37], exec
	s_and_b64 s[4:5], s[4:5], exec
	v_mov_b32_e32 v11, v7
	s_or_b64 s[36:37], s[8:9], s[4:5]
	v_mov_b32_e32 v16, v18
	v_mov_b32_e32 v10, v6
	s_andn2_b64 exec, exec, s[34:35]
	s_cbranch_execz .LBB141_534
.LBB141_522:                            ; =>This Inner Loop Header: Depth=1
	v_add_co_u32_e64 v6, s[4:5], s33, v10
	v_addc_co_u32_e64 v7, s[4:5], 0, v11, s[4:5]
	v_cmp_gt_u64_e64 s[4:5], s[28:29], v[6:7]
	v_mov_b32_e32 v18, 0
	s_and_saveexec_b64 s[8:9], s[4:5]
	s_cbranch_execz .LBB141_524
; %bb.523:                              ;   in Loop: Header=BB141_522 Depth=1
	global_load_ubyte v18, v[2:3], off
.LBB141_524:                            ;   in Loop: Header=BB141_522 Depth=1
	s_or_b64 exec, exec, s[8:9]
	s_waitcnt vmcnt(0)
	v_add_u32_sdwa v4, sext(v16), s46 dst_sel:DWORD dst_unused:UNUSED_PAD src0_sel:BYTE_0 src1_sel:DWORD
	v_cmp_gt_u32_e64 s[8:9], v4, v17
	v_cndmask_b32_e64 v14, 0, 1, s[8:9]
	v_cmp_lt_u32_e64 s[8:9], v4, v17
	v_cndmask_b32_e64 v4, 0, 1, s[8:9]
	v_cndmask_b32_e64 v4, v4, v14, s[50:51]
	v_cmp_gt_u64_e64 s[4:5], s[28:29], v[10:11]
	v_and_b32_e32 v4, 1, v4
	v_cmp_eq_u32_e64 s[8:9], 1, v4
	s_and_b64 s[38:39], s[4:5], s[8:9]
	v_cndmask_b32_e64 v4, 0, 1, s[38:39]
	v_cmp_ne_u32_e64 s[4:5], 0, v4
	s_cmp_lg_u64 s[4:5], 0
	s_cselect_b64 s[8:9], -1, 0
	s_and_b64 s[8:9], s[64:65], s[8:9]
	s_and_saveexec_b64 s[40:41], s[8:9]
	s_cbranch_execz .LBB141_528
; %bb.525:                              ;   in Loop: Header=BB141_522 Depth=1
	s_mov_b64 s[44:45], exec
	v_mbcnt_lo_u32_b32 v4, s44, 0
	v_mbcnt_hi_u32_b32 v14, s45, v4
	s_bcnt1_i32_b64 s47, s[4:5]
	v_cmp_eq_u32_e64 s[8:9], 0, v14
                                        ; implicit-def: $vgpr8_vgpr9
	s_and_saveexec_b64 s[42:43], s[8:9]
	s_cbranch_execz .LBB141_527
; %bb.526:                              ;   in Loop: Header=BB141_522 Depth=1
	s_bcnt1_i32_b64 s8, s[44:45]
	s_mul_i32 s8, s47, s8
	v_mov_b32_e32 v4, s8
	s_waitcnt lgkmcnt(0)
	ds_add_rtn_u64 v[8:9], v5, v[4:5] offset:5136
.LBB141_527:                            ;   in Loop: Header=BB141_522 Depth=1
	s_or_b64 exec, exec, s[42:43]
	s_waitcnt lgkmcnt(0)
	v_readfirstlane_b32 s8, v9
	v_readfirstlane_b32 s9, v8
	v_mov_b32_e32 v8, s9
	v_mov_b32_e32 v9, s8
	v_mad_u64_u32 v[8:9], s[8:9], s47, v14, v[8:9]
.LBB141_528:                            ;   in Loop: Header=BB141_522 Depth=1
	s_or_b64 exec, exec, s[40:41]
	s_waitcnt lgkmcnt(0)
	ds_bpermute_b32 v8, v34, v8
	ds_bpermute_b32 v9, v34, v9
	s_mov_b64 s[8:9], -1
	s_mov_b64 s[42:43], -1
	s_and_saveexec_b64 s[40:41], s[38:39]
	s_cbranch_execz .LBB141_532
; %bb.529:                              ;   in Loop: Header=BB141_522 Depth=1
	v_and_b32_e32 v14, s4, v33
	v_and_b32_e32 v4, s5, v32
	v_bcnt_u32_b32 v14, v14, 0
	v_bcnt_u32_b32 v4, v4, v14
	s_waitcnt lgkmcnt(0)
	v_add_co_u32_e64 v14, s[4:5], v8, v4
	v_addc_co_u32_e64 v15, s[4:5], 0, v9, s[4:5]
	v_cmp_gt_u64_e64 s[4:5], s[30:31], v[14:15]
	s_mov_b64 s[38:39], 0
	s_and_saveexec_b64 s[42:43], s[4:5]
; %bb.530:                              ;   in Loop: Header=BB141_522 Depth=1
	v_mov_b32_e32 v22, s19
	v_mul_lo_u32 v4, v15, s22
	v_mul_lo_u32 v23, v14, s23
	v_mad_u64_u32 v[19:20], s[4:5], v14, s22, 0
	v_mov_b32_e32 v21, s18
	v_mad_u64_u32 v[21:22], s[4:5], v14, s20, v[21:22]
	v_mul_lo_u32 v14, v14, s21
	v_mul_lo_u32 v15, v15, s20
	v_add3_u32 v20, v20, v23, v4
	v_mov_b32_e32 v4, s1
	s_mov_b64 s[38:39], exec
	v_add3_u32 v22, v15, v22, v14
	v_lshlrev_b64 v[14:15], 3, v[19:20]
	global_store_byte v[21:22], v16, off
	v_add_co_u32_e64 v14, s[4:5], s0, v14
	v_addc_co_u32_e64 v15, s[4:5], v4, v15, s[4:5]
	global_store_dwordx2 v[14:15], v[10:11], off
; %bb.531:                              ;   in Loop: Header=BB141_522 Depth=1
	s_or_b64 exec, exec, s[42:43]
	s_orn2_b64 s[42:43], s[38:39], exec
.LBB141_532:                            ;   in Loop: Header=BB141_522 Depth=1
	s_or_b64 exec, exec, s[40:41]
	s_mov_b64 s[40:41], -1
	s_and_saveexec_b64 s[38:39], s[42:43]
	s_cbranch_execz .LBB141_521
; %bb.533:                              ;   in Loop: Header=BB141_522 Depth=1
	v_mov_b32_e32 v4, s59
	v_add_co_u32_e64 v2, s[4:5], s58, v2
	v_addc_co_u32_e64 v3, s[4:5], v3, v4, s[4:5]
	v_cmp_le_u64_e64 s[4:5], s[16:17], v[6:7]
	s_xor_b64 s[40:41], exec, -1
	s_orn2_b64 s[8:9], s[4:5], exec
	s_branch .LBB141_521
.LBB141_534:
	s_or_b64 exec, exec, s[34:35]
	s_mov_b64 s[4:5], exec
	s_orn2_b64 s[34:35], s[36:37], exec
	s_or_b64 exec, exec, s[24:25]
	s_and_saveexec_b64 s[8:9], s[34:35]
	s_cbranch_execz .LBB141_511
.LBB141_535:
	v_mov_b32_e32 v4, 0
	s_waitcnt vmcnt(0) lgkmcnt(0)
	s_barrier
	s_mov_b64 s[2:3], exec
	v_readlane_b32 s24, v57, 44
	v_readlane_b32 s25, v57, 45
	s_and_b64 s[24:25], s[2:3], s[24:25]
	s_mov_b64 exec, s[24:25]
	s_cbranch_execz .LBB141_537
; %bb.536:
	global_load_ubyte v4, v[12:13], off
.LBB141_537:
	s_or_b64 exec, exec, s[2:3]
	s_mov_b64 s[2:3], 0
	s_and_saveexec_b64 s[24:25], vcc
	s_cbranch_execz .LBB141_557
; %bb.538:
	v_add_co_u32_e32 v5, vcc, s33, v0
	v_addc_co_u32_e64 v6, s[2:3], 0, 0, vcc
	v_readlane_b32 s2, v57, 38
	s_add_u32 s2, s48, s2
	v_readlane_b32 s3, v57, 41
	s_addc_u32 s3, s49, s3
	v_mov_b32_e32 v2, s2
	v_mov_b32_e32 v3, s3
	v_mad_u64_u32 v[2:3], s[2:3], s26, v5, v[2:3]
	v_mul_lo_u32 v6, s26, v6
	v_mul_lo_u32 v5, s27, v5
	s_mov_b64 s[26:27], 0
                                        ; implicit-def: $sgpr34_sgpr35
                                        ; implicit-def: $vgpr8_vgpr9
	v_add3_u32 v3, v5, v3, v6
	v_mov_b32_e32 v5, 0
	s_branch .LBB141_541
.LBB141_539:                            ;   in Loop: Header=BB141_541 Depth=1
	s_or_b64 exec, exec, s[38:39]
	s_orn2_b64 s[40:41], s[40:41], exec
	s_orn2_b64 s[38:39], s[36:37], exec
.LBB141_540:                            ;   in Loop: Header=BB141_541 Depth=1
	s_or_b64 exec, exec, s[2:3]
	s_xor_b64 s[2:3], s[40:41], -1
	s_and_b64 s[36:37], exec, s[38:39]
	s_or_b64 s[26:27], s[36:37], s[26:27]
	s_andn2_b64 s[34:35], s[34:35], exec
	s_and_b64 s[2:3], s[2:3], exec
	v_mov_b32_e32 v0, v6
	s_or_b64 s[34:35], s[34:35], s[2:3]
	v_mov_b32_e32 v1, v7
	v_mov_b32_e32 v4, v12
	s_andn2_b64 exec, exec, s[26:27]
	s_cbranch_execz .LBB141_555
.LBB141_541:                            ; =>This Inner Loop Header: Depth=1
	v_add_co_u32_e32 v6, vcc, s33, v0
	v_addc_co_u32_e32 v7, vcc, 0, v1, vcc
	v_cmp_gt_u64_e32 vcc, s[28:29], v[6:7]
	v_mov_b32_e32 v12, 0
	s_and_saveexec_b64 s[2:3], vcc
	s_cbranch_execz .LBB141_543
; %bb.542:                              ;   in Loop: Header=BB141_541 Depth=1
	global_load_ubyte v12, v[2:3], off
.LBB141_543:                            ;   in Loop: Header=BB141_541 Depth=1
	s_or_b64 exec, exec, s[2:3]
	v_cmp_gt_u64_e32 vcc, s[28:29], v[0:1]
	s_waitcnt vmcnt(0)
	v_cmp_eq_u16_sdwa s[2:3], v4, v45 src0_sel:BYTE_0 src1_sel:BYTE_0
	s_and_b64 s[36:37], vcc, s[2:3]
	v_cndmask_b32_e64 v4, 0, 1, s[36:37]
	v_cmp_ne_u32_e32 vcc, 0, v4
	s_cmp_lg_u64 vcc, 0
	s_cselect_b64 s[2:3], -1, 0
	s_and_b64 s[2:3], s[64:65], s[2:3]
	s_and_saveexec_b64 s[38:39], s[2:3]
	s_cbranch_execz .LBB141_547
; %bb.544:                              ;   in Loop: Header=BB141_541 Depth=1
	s_mov_b64 s[42:43], exec
	v_mbcnt_lo_u32_b32 v4, s42, 0
	v_mbcnt_hi_u32_b32 v10, s43, v4
	s_bcnt1_i32_b64 s44, vcc
	v_cmp_eq_u32_e64 s[2:3], 0, v10
                                        ; implicit-def: $vgpr8_vgpr9
	s_and_saveexec_b64 s[40:41], s[2:3]
; %bb.545:                              ;   in Loop: Header=BB141_541 Depth=1
	s_bcnt1_i32_b64 s2, s[42:43]
	s_mul_i32 s2, s44, s2
	v_mov_b32_e32 v4, s2
	ds_add_rtn_u64 v[8:9], v5, v[4:5] offset:5136
; %bb.546:                              ;   in Loop: Header=BB141_541 Depth=1
	s_or_b64 exec, exec, s[40:41]
	s_waitcnt lgkmcnt(0)
	v_readfirstlane_b32 s2, v9
	v_readfirstlane_b32 s3, v8
	v_mov_b32_e32 v8, s3
	v_mov_b32_e32 v9, s2
	v_mad_u64_u32 v[8:9], s[2:3], s44, v10, v[8:9]
.LBB141_547:                            ;   in Loop: Header=BB141_541 Depth=1
	s_or_b64 exec, exec, s[38:39]
	ds_bpermute_b32 v8, v34, v8
	ds_bpermute_b32 v9, v34, v9
	s_cmp_eq_u64 vcc, 0
	s_cselect_b64 s[40:41], -1, 0
	s_mov_b64 s[38:39], -1
	s_waitcnt lgkmcnt(0)
	v_cmp_gt_u64_e64 s[2:3], s[30:31], v[8:9]
	s_or_b64 s[42:43], s[40:41], s[2:3]
	s_mov_b64 s[40:41], -1
	s_and_saveexec_b64 s[2:3], s[42:43]
	s_cbranch_execz .LBB141_540
; %bb.548:                              ;   in Loop: Header=BB141_541 Depth=1
	v_and_b32_e32 v10, vcc_lo, v33
	v_and_b32_e32 v4, vcc_hi, v32
	v_bcnt_u32_b32 v10, v10, 0
	v_bcnt_u32_b32 v4, v4, v10
	v_mov_b32_e32 v11, s31
	v_sub_co_u32_e32 v10, vcc, s30, v8
	v_subb_co_u32_e32 v11, vcc, v11, v9, vcc
	v_cmp_gt_u64_e32 vcc, v[10:11], v[4:5]
	s_mov_b64 s[42:43], -1
	s_and_b64 s[44:45], s[36:37], vcc
	s_mov_b64 s[36:37], -1
	s_and_saveexec_b64 s[38:39], s[44:45]
	s_cbranch_execz .LBB141_552
; %bb.549:                              ;   in Loop: Header=BB141_541 Depth=1
	v_add_co_u32_e32 v10, vcc, v8, v4
	v_addc_co_u32_e32 v11, vcc, 0, v9, vcc
	v_cmp_gt_u64_e32 vcc, s[30:31], v[10:11]
	s_mov_b64 s[42:43], 0
	s_and_saveexec_b64 s[40:41], vcc
; %bb.550:                              ;   in Loop: Header=BB141_541 Depth=1
	v_mov_b32_e32 v15, s18
	v_mul_lo_u32 v4, v11, s22
	v_mul_lo_u32 v17, v10, s23
	v_mad_u64_u32 v[13:14], s[44:45], v10, s22, 0
	v_mov_b32_e32 v16, s19
	v_mad_u64_u32 v[15:16], s[44:45], v10, s20, v[15:16]
	v_mul_lo_u32 v10, v10, s21
	v_mul_lo_u32 v11, v11, s20
	v_add3_u32 v14, v14, v17, v4
	v_mov_b32_e32 v4, s1
	s_mov_b64 s[42:43], exec
	v_add3_u32 v16, v11, v16, v10
	v_lshlrev_b64 v[10:11], 3, v[13:14]
	global_store_byte v[15:16], v45, off
	v_add_co_u32_e32 v10, vcc, s0, v10
	v_addc_co_u32_e32 v11, vcc, v4, v11, vcc
	global_store_dwordx2 v[10:11], v[0:1], off
; %bb.551:                              ;   in Loop: Header=BB141_541 Depth=1
	s_or_b64 exec, exec, s[40:41]
	s_xor_b64 s[40:41], exec, -1
	s_orn2_b64 s[42:43], s[42:43], exec
.LBB141_552:                            ;   in Loop: Header=BB141_541 Depth=1
	s_or_b64 exec, exec, s[38:39]
	s_and_saveexec_b64 s[38:39], s[42:43]
	s_cbranch_execz .LBB141_539
; %bb.553:                              ;   in Loop: Header=BB141_541 Depth=1
	v_mov_b32_e32 v0, s59
	v_add_co_u32_e32 v2, vcc, s58, v2
	v_addc_co_u32_e32 v3, vcc, v3, v0, vcc
	v_cmp_le_u64_e32 vcc, s[16:17], v[6:7]
	s_or_b64 s[40:41], s[40:41], exec
	s_orn2_b64 s[36:37], vcc, exec
	s_branch .LBB141_539
.LBB141_554:
	s_or_b64 s[8:9], s[8:9], exec
	s_trap 2
	s_branch .LBB141_518
.LBB141_555:
	s_or_b64 exec, exec, s[26:27]
	s_mov_b64 s[0:1], 0
	s_and_saveexec_b64 s[2:3], s[34:35]
	s_xor_b64 s[2:3], exec, s[2:3]
	s_cbranch_execnz .LBB141_561
.LBB141_556:
	s_or_b64 exec, exec, s[2:3]
	s_and_b64 s[2:3], s[0:1], exec
.LBB141_557:
	s_or_b64 exec, exec, s[24:25]
	s_and_b64 s[2:3], s[2:3], exec
	s_andn2_b64 s[4:5], s[4:5], exec
	s_or_b64 exec, exec, s[8:9]
	s_and_saveexec_b64 s[0:1], s[4:5]
	s_xor_b64 s[0:1], exec, s[0:1]
	s_cbranch_execz .LBB141_512
.LBB141_558:
	s_trap 2
	s_or_b64 s[2:3], s[2:3], exec
	s_branch .LBB141_512
.LBB141_559:
	s_or_b64 s[8:9], s[8:9], exec
	s_trap 2
	s_branch .LBB141_516
.LBB141_560:
	s_trap 2
	s_or_b64 s[8:9], s[8:9], exec
	s_branch .LBB141_514
.LBB141_561:
	s_mov_b64 s[0:1], exec
	s_trap 2
	s_branch .LBB141_556
	.section	.rodata,"a",@progbits
	.p2align	6, 0x0
	.amdhsa_kernel _ZN2at6native6sbtopk10gatherTopKIamLin1ELb0EEEvNS_4cuda6detail10TensorInfoIKT_T0_EES8_S8_bS8_S8_NS5_IS6_S8_EES8_NS5_IlS8_EES8_PS6_
		.amdhsa_group_segment_fixed_size 5152
		.amdhsa_private_segment_fixed_size 0
		.amdhsa_kernarg_size 1568
		.amdhsa_user_sgpr_count 6
		.amdhsa_user_sgpr_private_segment_buffer 1
		.amdhsa_user_sgpr_dispatch_ptr 0
		.amdhsa_user_sgpr_queue_ptr 0
		.amdhsa_user_sgpr_kernarg_segment_ptr 1
		.amdhsa_user_sgpr_dispatch_id 0
		.amdhsa_user_sgpr_flat_scratch_init 0
		.amdhsa_user_sgpr_private_segment_size 0
		.amdhsa_uses_dynamic_stack 0
		.amdhsa_system_sgpr_private_segment_wavefront_offset 0
		.amdhsa_system_sgpr_workgroup_id_x 1
		.amdhsa_system_sgpr_workgroup_id_y 1
		.amdhsa_system_sgpr_workgroup_id_z 1
		.amdhsa_system_sgpr_workgroup_info 0
		.amdhsa_system_vgpr_workitem_id 0
		.amdhsa_next_free_vgpr 58
		.amdhsa_next_free_sgpr 96
		.amdhsa_reserve_vcc 1
		.amdhsa_reserve_flat_scratch 0
		.amdhsa_float_round_mode_32 0
		.amdhsa_float_round_mode_16_64 0
		.amdhsa_float_denorm_mode_32 3
		.amdhsa_float_denorm_mode_16_64 3
		.amdhsa_dx10_clamp 1
		.amdhsa_ieee_mode 1
		.amdhsa_fp16_overflow 0
		.amdhsa_exception_fp_ieee_invalid_op 0
		.amdhsa_exception_fp_denorm_src 0
		.amdhsa_exception_fp_ieee_div_zero 0
		.amdhsa_exception_fp_ieee_overflow 0
		.amdhsa_exception_fp_ieee_underflow 0
		.amdhsa_exception_fp_ieee_inexact 0
		.amdhsa_exception_int_div_zero 0
	.end_amdhsa_kernel
	.section	.text._ZN2at6native6sbtopk10gatherTopKIamLin1ELb0EEEvNS_4cuda6detail10TensorInfoIKT_T0_EES8_S8_bS8_S8_NS5_IS6_S8_EES8_NS5_IlS8_EES8_PS6_,"axG",@progbits,_ZN2at6native6sbtopk10gatherTopKIamLin1ELb0EEEvNS_4cuda6detail10TensorInfoIKT_T0_EES8_S8_bS8_S8_NS5_IS6_S8_EES8_NS5_IlS8_EES8_PS6_,comdat
.Lfunc_end141:
	.size	_ZN2at6native6sbtopk10gatherTopKIamLin1ELb0EEEvNS_4cuda6detail10TensorInfoIKT_T0_EES8_S8_bS8_S8_NS5_IS6_S8_EES8_NS5_IlS8_EES8_PS6_, .Lfunc_end141-_ZN2at6native6sbtopk10gatherTopKIamLin1ELb0EEEvNS_4cuda6detail10TensorInfoIKT_T0_EES8_S8_bS8_S8_NS5_IS6_S8_EES8_NS5_IlS8_EES8_PS6_
                                        ; -- End function
	.set _ZN2at6native6sbtopk10gatherTopKIamLin1ELb0EEEvNS_4cuda6detail10TensorInfoIKT_T0_EES8_S8_bS8_S8_NS5_IS6_S8_EES8_NS5_IlS8_EES8_PS6_.num_vgpr, 58
	.set _ZN2at6native6sbtopk10gatherTopKIamLin1ELb0EEEvNS_4cuda6detail10TensorInfoIKT_T0_EES8_S8_bS8_S8_NS5_IS6_S8_EES8_NS5_IlS8_EES8_PS6_.num_agpr, 0
	.set _ZN2at6native6sbtopk10gatherTopKIamLin1ELb0EEEvNS_4cuda6detail10TensorInfoIKT_T0_EES8_S8_bS8_S8_NS5_IS6_S8_EES8_NS5_IlS8_EES8_PS6_.numbered_sgpr, 96
	.set _ZN2at6native6sbtopk10gatherTopKIamLin1ELb0EEEvNS_4cuda6detail10TensorInfoIKT_T0_EES8_S8_bS8_S8_NS5_IS6_S8_EES8_NS5_IlS8_EES8_PS6_.num_named_barrier, 0
	.set _ZN2at6native6sbtopk10gatherTopKIamLin1ELb0EEEvNS_4cuda6detail10TensorInfoIKT_T0_EES8_S8_bS8_S8_NS5_IS6_S8_EES8_NS5_IlS8_EES8_PS6_.private_seg_size, 0
	.set _ZN2at6native6sbtopk10gatherTopKIamLin1ELb0EEEvNS_4cuda6detail10TensorInfoIKT_T0_EES8_S8_bS8_S8_NS5_IS6_S8_EES8_NS5_IlS8_EES8_PS6_.uses_vcc, 1
	.set _ZN2at6native6sbtopk10gatherTopKIamLin1ELb0EEEvNS_4cuda6detail10TensorInfoIKT_T0_EES8_S8_bS8_S8_NS5_IS6_S8_EES8_NS5_IlS8_EES8_PS6_.uses_flat_scratch, 0
	.set _ZN2at6native6sbtopk10gatherTopKIamLin1ELb0EEEvNS_4cuda6detail10TensorInfoIKT_T0_EES8_S8_bS8_S8_NS5_IS6_S8_EES8_NS5_IlS8_EES8_PS6_.has_dyn_sized_stack, 0
	.set _ZN2at6native6sbtopk10gatherTopKIamLin1ELb0EEEvNS_4cuda6detail10TensorInfoIKT_T0_EES8_S8_bS8_S8_NS5_IS6_S8_EES8_NS5_IlS8_EES8_PS6_.has_recursion, 0
	.set _ZN2at6native6sbtopk10gatherTopKIamLin1ELb0EEEvNS_4cuda6detail10TensorInfoIKT_T0_EES8_S8_bS8_S8_NS5_IS6_S8_EES8_NS5_IlS8_EES8_PS6_.has_indirect_call, 0
	.section	.AMDGPU.csdata,"",@progbits
; Kernel info:
; codeLenInByte = 29256
; TotalNumSgprs: 100
; NumVgprs: 58
; ScratchSize: 0
; MemoryBound: 0
; FloatMode: 240
; IeeeMode: 1
; LDSByteSize: 5152 bytes/workgroup (compile time only)
; SGPRBlocks: 12
; VGPRBlocks: 14
; NumSGPRsForWavesPerEU: 100
; NumVGPRsForWavesPerEU: 58
; Occupancy: 4
; WaveLimiterHint : 1
; COMPUTE_PGM_RSRC2:SCRATCH_EN: 0
; COMPUTE_PGM_RSRC2:USER_SGPR: 6
; COMPUTE_PGM_RSRC2:TRAP_HANDLER: 0
; COMPUTE_PGM_RSRC2:TGID_X_EN: 1
; COMPUTE_PGM_RSRC2:TGID_Y_EN: 1
; COMPUTE_PGM_RSRC2:TGID_Z_EN: 1
; COMPUTE_PGM_RSRC2:TIDIG_COMP_CNT: 0
	.section	.text._ZN2at6native6mbtopk23computeBlockDigitCountsIimjLi1EEEvNS_4cuda6detail10TensorInfoIKT_T0_EEjPjjS8_iijT1_PSB_Ps,"axG",@progbits,_ZN2at6native6mbtopk23computeBlockDigitCountsIimjLi1EEEvNS_4cuda6detail10TensorInfoIKT_T0_EEjPjjS8_iijT1_PSB_Ps,comdat
	.protected	_ZN2at6native6mbtopk23computeBlockDigitCountsIimjLi1EEEvNS_4cuda6detail10TensorInfoIKT_T0_EEjPjjS8_iijT1_PSB_Ps ; -- Begin function _ZN2at6native6mbtopk23computeBlockDigitCountsIimjLi1EEEvNS_4cuda6detail10TensorInfoIKT_T0_EEjPjjS8_iijT1_PSB_Ps
	.globl	_ZN2at6native6mbtopk23computeBlockDigitCountsIimjLi1EEEvNS_4cuda6detail10TensorInfoIKT_T0_EEjPjjS8_iijT1_PSB_Ps
	.p2align	8
	.type	_ZN2at6native6mbtopk23computeBlockDigitCountsIimjLi1EEEvNS_4cuda6detail10TensorInfoIKT_T0_EEjPjjS8_iijT1_PSB_Ps,@function
_ZN2at6native6mbtopk23computeBlockDigitCountsIimjLi1EEEvNS_4cuda6detail10TensorInfoIKT_T0_EEjPjjS8_iijT1_PSB_Ps: ; @_ZN2at6native6mbtopk23computeBlockDigitCountsIimjLi1EEEvNS_4cuda6detail10TensorInfoIKT_T0_EEjPjjS8_iijT1_PSB_Ps
; %bb.0:
	s_load_dwordx4 s[0:3], s[4:5], 0x1c0
	s_load_dword s9, s[4:5], 0x1b0
	s_load_dwordx2 s[10:11], s[4:5], 0x1e0
	s_mov_b32 s13, 0
	s_waitcnt lgkmcnt(0)
	v_cvt_f32_u32_e32 v1, s2
	s_mul_i32 s8, s11, s8
	s_add_i32 s7, s8, s7
	v_rcp_iflag_f32_e32 v1, v1
	s_mul_i32 s14, s7, s10
	s_sub_i32 s11, 0, s2
	s_add_i32 s14, s14, s6
	v_mul_f32_e32 v1, 0x4f7ffffe, v1
	v_cvt_u32_f32_e32 v1, v1
	v_readfirstlane_b32 s6, v1
	s_mul_i32 s11, s11, s6
	s_mul_hi_u32 s7, s6, s11
	s_add_i32 s6, s6, s7
	s_mul_hi_u32 s6, s14, s6
	s_mul_i32 s7, s6, s2
	s_sub_i32 s7, s14, s7
	s_add_i32 s8, s6, 1
	s_sub_i32 s10, s7, s2
	s_cmp_ge_u32 s7, s2
	s_cselect_b32 s6, s8, s6
	s_cselect_b32 s7, s10, s7
	s_add_i32 s8, s6, 1
	s_cmp_ge_u32 s7, s2
	s_cselect_b32 s12, s8, s6
	s_cmp_ge_u32 s12, s9
	s_cbranch_scc1 .LBB142_21
; %bb.1:
	s_load_dwordx4 s[8:11], s[4:5], 0x1d0
	s_lshl_b64 s[6:7], s[12:13], 2
	s_movk_i32 s13, 0x100
	v_cmp_gt_u32_e32 vcc, s13, v0
	v_lshlrev_b32_e32 v1, 2, v0
	s_waitcnt lgkmcnt(0)
	s_add_u32 s8, s8, s6
	s_addc_u32 s9, s9, s7
	s_and_saveexec_b64 s[6:7], vcc
; %bb.2:
	v_mov_b32_e32 v2, 0
	ds_write_b32 v1, v2
; %bb.3:
	s_or_b64 exec, exec, s[6:7]
	s_load_dword s13, s[4:5], 0x1a0
	s_mul_i32 s6, s12, s2
	s_sub_i32 s6, s14, s6
	s_add_i32 s15, s6, 1
	s_mul_i32 s6, s1, s6
	s_lshl_b32 s16, s6, 8
	s_waitcnt lgkmcnt(0)
	s_sub_i32 s6, s13, s16
	s_add_u32 s6, s6, 0xff
	s_addc_u32 s7, 0, 0
	s_lshr_b64 s[6:7], s[6:7], 8
	s_cmp_lt_u32 s15, s2
	s_cselect_b32 s15, s1, s6
	s_cmp_lt_i32 s15, 1
	s_mov_b32 s1, 0
	s_barrier
	s_cbranch_scc1 .LBB142_19
; %bb.4:
	s_load_dwordx2 s[18:19], s[4:5], 0xd0
	s_load_dwordx2 s[6:7], s[4:5], 0x1b8
	;; [unrolled: 1-line block ×3, first 2 shown]
	s_load_dword s2, s[8:9], 0x0
	v_add_u32_e32 v2, s16, v0
	s_waitcnt lgkmcnt(0)
	s_mul_i32 s4, s19, s12
	s_mul_hi_u32 s5, s18, s12
	s_add_i32 s5, s5, s4
	s_mul_i32 s4, s18, s12
	s_lshl_b64 s[4:5], s[4:5], 2
	s_add_u32 s9, s20, s4
	s_addc_u32 s12, s21, s5
	s_and_b32 s8, s0, 0xff
	s_cmp_eq_u32 s15, 1
	s_cbranch_scc1 .LBB142_14
; %bb.5:
	s_and_b32 s16, s15, 0x7ffffffe
	s_mov_b32 s17, 0
	v_mov_b32_e32 v3, 1
	v_mov_b32_e32 v4, v2
	s_branch .LBB142_7
.LBB142_6:                              ;   in Loop: Header=BB142_7 Depth=1
	s_or_b64 exec, exec, s[4:5]
	s_add_i32 s17, s17, 2
	s_cmp_eq_u32 s16, s17
	v_add_u32_e32 v4, 0x200, v4
	s_cbranch_scc1 .LBB142_13
.LBB142_7:                              ; =>This Inner Loop Header: Depth=1
	v_cmp_gt_u32_e64 s[0:1], s13, v4
	s_and_saveexec_b64 s[4:5], s[0:1]
	s_cbranch_execz .LBB142_10
; %bb.8:                                ;   in Loop: Header=BB142_7 Depth=1
	v_mad_u64_u32 v[5:6], s[0:1], s6, v4, 0
	v_mad_u64_u32 v[6:7], s[0:1], s7, v4, v[6:7]
	v_mov_b32_e32 v7, s12
	v_lshlrev_b64 v[5:6], 2, v[5:6]
	v_add_co_u32_e64 v5, s[0:1], s9, v5
	v_addc_co_u32_e64 v6, s[0:1], v7, v6, s[0:1]
	global_load_dword v5, v[5:6], off
	s_waitcnt vmcnt(0)
	v_xor_b32_e32 v5, 0x80000000, v5
	v_xor_b32_e32 v6, s2, v5
	v_and_b32_e32 v6, s3, v6
	v_cmp_eq_u32_e64 s[0:1], 0, v6
	s_and_b64 exec, exec, s[0:1]
; %bb.9:                                ;   in Loop: Header=BB142_7 Depth=1
	v_bfe_u32 v5, v5, s8, 8
	v_lshlrev_b32_e32 v5, 2, v5
	ds_add_u32 v5, v3
.LBB142_10:                             ;   in Loop: Header=BB142_7 Depth=1
	s_or_b64 exec, exec, s[4:5]
	v_add_u32_e32 v5, 0x100, v4
	v_cmp_gt_u32_e64 s[0:1], s13, v5
	s_and_saveexec_b64 s[4:5], s[0:1]
	s_cbranch_execz .LBB142_6
; %bb.11:                               ;   in Loop: Header=BB142_7 Depth=1
	v_mad_u64_u32 v[6:7], s[0:1], s6, v5, 0
	v_mad_u64_u32 v[7:8], s[0:1], s7, v5, v[7:8]
	v_mov_b32_e32 v8, s12
	v_lshlrev_b64 v[5:6], 2, v[6:7]
	v_add_co_u32_e64 v5, s[0:1], s9, v5
	v_addc_co_u32_e64 v6, s[0:1], v8, v6, s[0:1]
	global_load_dword v5, v[5:6], off
	s_waitcnt vmcnt(0)
	v_xor_b32_e32 v5, 0x80000000, v5
	v_xor_b32_e32 v6, s2, v5
	v_and_b32_e32 v6, s3, v6
	v_cmp_eq_u32_e64 s[0:1], 0, v6
	s_and_b64 exec, exec, s[0:1]
	s_cbranch_execz .LBB142_6
; %bb.12:                               ;   in Loop: Header=BB142_7 Depth=1
	v_bfe_u32 v5, v5, s8, 8
	v_lshlrev_b32_e32 v5, 2, v5
	ds_add_u32 v5, v3
	s_branch .LBB142_6
.LBB142_13:
	s_lshl_b32 s1, s16, 8
.LBB142_14:
	s_bitcmp0_b32 s15, 0
	s_cbranch_scc1 .LBB142_19
; %bb.15:
	v_add_u32_e32 v2, s1, v2
	v_cmp_gt_u32_e64 s[0:1], s13, v2
	s_and_saveexec_b64 s[4:5], s[0:1]
	s_cbranch_execz .LBB142_18
; %bb.16:
	v_mad_u64_u32 v[3:4], s[0:1], s6, v2, 0
	v_mad_u64_u32 v[4:5], s[0:1], s7, v2, v[4:5]
	v_mov_b32_e32 v5, s12
	v_lshlrev_b64 v[2:3], 2, v[3:4]
	v_add_co_u32_e64 v2, s[0:1], s9, v2
	v_addc_co_u32_e64 v3, s[0:1], v5, v3, s[0:1]
	global_load_dword v2, v[2:3], off
	s_waitcnt vmcnt(0)
	v_xor_b32_e32 v2, 0x80000000, v2
	v_xor_b32_e32 v3, s2, v2
	v_and_b32_e32 v3, s3, v3
	v_cmp_eq_u32_e64 s[0:1], 0, v3
	s_and_b64 exec, exec, s[0:1]
; %bb.17:
	v_bfe_u32 v2, v2, s8, 8
	v_lshlrev_b32_e32 v2, 2, v2
	v_mov_b32_e32 v3, 1
	ds_add_u32 v2, v3
.LBB142_18:
	s_or_b64 exec, exec, s[4:5]
.LBB142_19:
	s_waitcnt lgkmcnt(0)
	s_barrier
	s_and_saveexec_b64 s[0:1], vcc
	s_cbranch_execz .LBB142_21
; %bb.20:
	v_lshl_or_b32 v2, s14, 8, v0
	v_mov_b32_e32 v3, 0
	ds_read_b32 v5, v1
	v_lshlrev_b64 v[2:3], 1, v[2:3]
	v_mov_b32_e32 v4, s11
	v_add_co_u32_e32 v0, vcc, s10, v2
	v_addc_co_u32_e32 v1, vcc, v4, v3, vcc
	s_waitcnt lgkmcnt(0)
	global_store_short v[0:1], v5, off
.LBB142_21:
	s_endpgm
	.section	.rodata,"a",@progbits
	.p2align	6, 0x0
	.amdhsa_kernel _ZN2at6native6mbtopk23computeBlockDigitCountsIimjLi1EEEvNS_4cuda6detail10TensorInfoIKT_T0_EEjPjjS8_iijT1_PSB_Ps
		.amdhsa_group_segment_fixed_size 1024
		.amdhsa_private_segment_fixed_size 0
		.amdhsa_kernarg_size 736
		.amdhsa_user_sgpr_count 6
		.amdhsa_user_sgpr_private_segment_buffer 1
		.amdhsa_user_sgpr_dispatch_ptr 0
		.amdhsa_user_sgpr_queue_ptr 0
		.amdhsa_user_sgpr_kernarg_segment_ptr 1
		.amdhsa_user_sgpr_dispatch_id 0
		.amdhsa_user_sgpr_flat_scratch_init 0
		.amdhsa_user_sgpr_private_segment_size 0
		.amdhsa_uses_dynamic_stack 0
		.amdhsa_system_sgpr_private_segment_wavefront_offset 0
		.amdhsa_system_sgpr_workgroup_id_x 1
		.amdhsa_system_sgpr_workgroup_id_y 1
		.amdhsa_system_sgpr_workgroup_id_z 1
		.amdhsa_system_sgpr_workgroup_info 0
		.amdhsa_system_vgpr_workitem_id 0
		.amdhsa_next_free_vgpr 9
		.amdhsa_next_free_sgpr 22
		.amdhsa_reserve_vcc 1
		.amdhsa_reserve_flat_scratch 0
		.amdhsa_float_round_mode_32 0
		.amdhsa_float_round_mode_16_64 0
		.amdhsa_float_denorm_mode_32 3
		.amdhsa_float_denorm_mode_16_64 3
		.amdhsa_dx10_clamp 1
		.amdhsa_ieee_mode 1
		.amdhsa_fp16_overflow 0
		.amdhsa_exception_fp_ieee_invalid_op 0
		.amdhsa_exception_fp_denorm_src 0
		.amdhsa_exception_fp_ieee_div_zero 0
		.amdhsa_exception_fp_ieee_overflow 0
		.amdhsa_exception_fp_ieee_underflow 0
		.amdhsa_exception_fp_ieee_inexact 0
		.amdhsa_exception_int_div_zero 0
	.end_amdhsa_kernel
	.section	.text._ZN2at6native6mbtopk23computeBlockDigitCountsIimjLi1EEEvNS_4cuda6detail10TensorInfoIKT_T0_EEjPjjS8_iijT1_PSB_Ps,"axG",@progbits,_ZN2at6native6mbtopk23computeBlockDigitCountsIimjLi1EEEvNS_4cuda6detail10TensorInfoIKT_T0_EEjPjjS8_iijT1_PSB_Ps,comdat
.Lfunc_end142:
	.size	_ZN2at6native6mbtopk23computeBlockDigitCountsIimjLi1EEEvNS_4cuda6detail10TensorInfoIKT_T0_EEjPjjS8_iijT1_PSB_Ps, .Lfunc_end142-_ZN2at6native6mbtopk23computeBlockDigitCountsIimjLi1EEEvNS_4cuda6detail10TensorInfoIKT_T0_EEjPjjS8_iijT1_PSB_Ps
                                        ; -- End function
	.set _ZN2at6native6mbtopk23computeBlockDigitCountsIimjLi1EEEvNS_4cuda6detail10TensorInfoIKT_T0_EEjPjjS8_iijT1_PSB_Ps.num_vgpr, 9
	.set _ZN2at6native6mbtopk23computeBlockDigitCountsIimjLi1EEEvNS_4cuda6detail10TensorInfoIKT_T0_EEjPjjS8_iijT1_PSB_Ps.num_agpr, 0
	.set _ZN2at6native6mbtopk23computeBlockDigitCountsIimjLi1EEEvNS_4cuda6detail10TensorInfoIKT_T0_EEjPjjS8_iijT1_PSB_Ps.numbered_sgpr, 22
	.set _ZN2at6native6mbtopk23computeBlockDigitCountsIimjLi1EEEvNS_4cuda6detail10TensorInfoIKT_T0_EEjPjjS8_iijT1_PSB_Ps.num_named_barrier, 0
	.set _ZN2at6native6mbtopk23computeBlockDigitCountsIimjLi1EEEvNS_4cuda6detail10TensorInfoIKT_T0_EEjPjjS8_iijT1_PSB_Ps.private_seg_size, 0
	.set _ZN2at6native6mbtopk23computeBlockDigitCountsIimjLi1EEEvNS_4cuda6detail10TensorInfoIKT_T0_EEjPjjS8_iijT1_PSB_Ps.uses_vcc, 1
	.set _ZN2at6native6mbtopk23computeBlockDigitCountsIimjLi1EEEvNS_4cuda6detail10TensorInfoIKT_T0_EEjPjjS8_iijT1_PSB_Ps.uses_flat_scratch, 0
	.set _ZN2at6native6mbtopk23computeBlockDigitCountsIimjLi1EEEvNS_4cuda6detail10TensorInfoIKT_T0_EEjPjjS8_iijT1_PSB_Ps.has_dyn_sized_stack, 0
	.set _ZN2at6native6mbtopk23computeBlockDigitCountsIimjLi1EEEvNS_4cuda6detail10TensorInfoIKT_T0_EEjPjjS8_iijT1_PSB_Ps.has_recursion, 0
	.set _ZN2at6native6mbtopk23computeBlockDigitCountsIimjLi1EEEvNS_4cuda6detail10TensorInfoIKT_T0_EEjPjjS8_iijT1_PSB_Ps.has_indirect_call, 0
	.section	.AMDGPU.csdata,"",@progbits
; Kernel info:
; codeLenInByte = 880
; TotalNumSgprs: 26
; NumVgprs: 9
; ScratchSize: 0
; MemoryBound: 0
; FloatMode: 240
; IeeeMode: 1
; LDSByteSize: 1024 bytes/workgroup (compile time only)
; SGPRBlocks: 3
; VGPRBlocks: 2
; NumSGPRsForWavesPerEU: 26
; NumVGPRsForWavesPerEU: 9
; Occupancy: 10
; WaveLimiterHint : 1
; COMPUTE_PGM_RSRC2:SCRATCH_EN: 0
; COMPUTE_PGM_RSRC2:USER_SGPR: 6
; COMPUTE_PGM_RSRC2:TRAP_HANDLER: 0
; COMPUTE_PGM_RSRC2:TGID_X_EN: 1
; COMPUTE_PGM_RSRC2:TGID_Y_EN: 1
; COMPUTE_PGM_RSRC2:TGID_Z_EN: 1
; COMPUTE_PGM_RSRC2:TIDIG_COMP_CNT: 0
	.section	.text._ZN2at6native6mbtopk10gatherTopKIimLi1EEEvNS_4cuda6detail10TensorInfoIKT_T0_EES8_S8_bjS8_NS5_IS6_S8_EES8_NS5_IlS8_EES8_jjPS6_PjSD_j,"axG",@progbits,_ZN2at6native6mbtopk10gatherTopKIimLi1EEEvNS_4cuda6detail10TensorInfoIKT_T0_EES8_S8_bjS8_NS5_IS6_S8_EES8_NS5_IlS8_EES8_jjPS6_PjSD_j,comdat
	.protected	_ZN2at6native6mbtopk10gatherTopKIimLi1EEEvNS_4cuda6detail10TensorInfoIKT_T0_EES8_S8_bjS8_NS5_IS6_S8_EES8_NS5_IlS8_EES8_jjPS6_PjSD_j ; -- Begin function _ZN2at6native6mbtopk10gatherTopKIimLi1EEEvNS_4cuda6detail10TensorInfoIKT_T0_EES8_S8_bjS8_NS5_IS6_S8_EES8_NS5_IlS8_EES8_jjPS6_PjSD_j
	.globl	_ZN2at6native6mbtopk10gatherTopKIimLi1EEEvNS_4cuda6detail10TensorInfoIKT_T0_EES8_S8_bjS8_NS5_IS6_S8_EES8_NS5_IlS8_EES8_jjPS6_PjSD_j
	.p2align	8
	.type	_ZN2at6native6mbtopk10gatherTopKIimLi1EEEvNS_4cuda6detail10TensorInfoIKT_T0_EES8_S8_bjS8_NS5_IS6_S8_EES8_NS5_IlS8_EES8_jjPS6_PjSD_j,@function
_ZN2at6native6mbtopk10gatherTopKIimLi1EEEvNS_4cuda6detail10TensorInfoIKT_T0_EES8_S8_bjS8_NS5_IS6_S8_EES8_NS5_IlS8_EES8_jjPS6_PjSD_j: ; @_ZN2at6native6mbtopk10gatherTopKIimLi1EEEvNS_4cuda6detail10TensorInfoIKT_T0_EES8_S8_bjS8_NS5_IS6_S8_EES8_NS5_IlS8_EES8_jjPS6_PjSD_j
; %bb.0:
	s_load_dwordx2 s[0:1], s[4:5], 0x538
	s_load_dword s2, s[4:5], 0x530
	s_waitcnt lgkmcnt(0)
	s_mul_i32 s1, s1, s8
	s_add_i32 s1, s1, s7
	s_mul_i32 s0, s1, s0
	s_add_i32 s0, s0, s6
	s_cmp_ge_u32 s0, s2
	s_cbranch_scc1 .LBB143_42
; %bb.1:
	s_load_dwordx2 s[20:21], s[4:5], 0x510
	s_load_dwordx4 s[8:11], s[4:5], 0x1a0
	s_mov_b32 s7, 0
	s_waitcnt lgkmcnt(0)
	v_cvt_f32_u32_e32 v1, s21
	s_sub_i32 s2, 0, s21
	s_lshl_b32 s1, s20, 8
	v_rcp_iflag_f32_e32 v1, v1
	v_mul_f32_e32 v1, 0x4f7ffffe, v1
	v_cvt_u32_f32_e32 v1, v1
	v_readfirstlane_b32 s3, v1
	s_mul_i32 s2, s2, s3
	s_mul_hi_u32 s2, s3, s2
	s_add_i32 s3, s3, s2
	s_mul_hi_u32 s2, s0, s3
	s_mul_i32 s3, s2, s21
	s_sub_i32 s3, s0, s3
	s_add_i32 s6, s2, 1
	s_sub_i32 s12, s3, s21
	s_cmp_ge_u32 s3, s21
	s_cselect_b32 s2, s6, s2
	s_cselect_b32 s3, s12, s3
	s_add_i32 s6, s2, 1
	s_cmp_ge_u32 s3, s21
	s_cselect_b32 s6, s6, s2
	s_mul_i32 s28, s6, s21
	s_sub_i32 s41, s0, s28
	s_add_i32 s0, s41, 1
	s_cmp_lt_u32 s0, s21
	s_mul_i32 s40, s41, s1
	s_cbranch_scc1 .LBB143_3
; %bb.2:
	s_sub_u32 s0, s8, s40
	s_subb_u32 s1, s9, 0
	s_add_u32 s0, s0, 0xff
	s_addc_u32 s1, s1, 0
	s_ashr_i32 s2, s1, 31
	s_lshr_b32 s2, s2, 24
	s_add_u32 s0, s0, s2
	s_addc_u32 s1, s1, 0
	s_lshr_b64 s[0:1], s[0:1], 8
	s_mov_b32 s20, s0
.LBB143_3:
	s_load_dwordx4 s[12:15], s[4:5], 0x518
	s_load_dwordx2 s[22:23], s[4:5], 0x0
	s_load_dwordx2 s[30:31], s[4:5], 0xd0
	;; [unrolled: 1-line block ×4, first 2 shown]
	s_lshl_b64 s[0:1], s[6:7], 2
	s_waitcnt lgkmcnt(0)
	s_add_u32 s0, s12, s0
	s_addc_u32 s1, s13, s1
	s_load_dword s33, s[0:1], 0x0
	v_cmp_ne_u32_e64 s[0:1], 0, v0
	v_cmp_eq_u32_e64 s[2:3], 0, v0
	s_and_saveexec_b64 s[12:13], s[2:3]
	s_cbranch_execz .LBB143_19
; %bb.4:
	s_load_dwordx2 s[34:35], s[4:5], 0x528
	s_mov_b32 s29, 0
	s_lshl_b64 s[36:37], s[28:29], 2
	s_add_u32 s16, s14, s36
	s_addc_u32 s17, s15, s37
	s_waitcnt lgkmcnt(0)
	s_add_u32 s18, s34, s36
	s_addc_u32 s19, s35, s37
	s_mov_b32 s28, 0
	s_cmp_lt_u32 s21, 4
	s_cbranch_scc1 .LBB143_16
; %bb.5:
	s_mov_b32 s42, 0
.LBB143_6:                              ; =>This Inner Loop Header: Depth=1
	s_add_u32 s38, s14, s36
	s_addc_u32 s39, s15, s37
	s_load_dwordx4 s[16:19], s[38:39], 0x0
	s_add_u32 s38, s34, s36
	s_addc_u32 s39, s35, s37
	s_cmp_ge_u32 s42, s41
	s_cbranch_scc0 .LBB143_13
; %bb.7:                                ;   in Loop: Header=BB143_6 Depth=1
	s_add_i32 s43, s42, 1
	s_cmp_ge_u32 s43, s41
	s_cbranch_scc0 .LBB143_14
.LBB143_8:                              ;   in Loop: Header=BB143_6 Depth=1
	s_add_i32 s43, s43, 1
	s_cmp_ge_u32 s43, s41
	s_cbranch_scc0 .LBB143_15
.LBB143_9:                              ;   in Loop: Header=BB143_6 Depth=1
	s_add_i32 s43, s43, 1
	s_cmp_ge_u32 s43, s41
	s_cbranch_scc1 .LBB143_11
.LBB143_10:                             ;   in Loop: Header=BB143_6 Depth=1
	s_load_dword s38, s[38:39], 0xc
	s_waitcnt lgkmcnt(0)
	s_add_i32 s29, s29, s19
	s_add_i32 s7, s38, s7
.LBB143_11:                             ;   in Loop: Header=BB143_6 Depth=1
	s_waitcnt lgkmcnt(0)
	s_add_i32 s16, s16, s28
	s_add_i32 s16, s16, s17
	;; [unrolled: 1-line block ×4, first 2 shown]
	s_add_u32 s14, s14, 16
	s_addc_u32 s15, s15, 0
	s_add_u32 s34, s34, 16
	s_addc_u32 s35, s35, 0
	s_add_i32 s39, s43, 4
	s_add_u32 s18, s34, s36
	s_addc_u32 s19, s35, s37
	s_add_u32 s16, s14, s36
	s_addc_u32 s17, s15, s37
	s_add_i32 s38, s43, 1
	s_cmp_ge_u32 s39, s21
	s_cbranch_scc1 .LBB143_17
; %bb.12:                               ;   in Loop: Header=BB143_6 Depth=1
	s_mov_b32 s42, s38
	s_branch .LBB143_6
.LBB143_13:                             ;   in Loop: Header=BB143_6 Depth=1
	s_load_dword s43, s[38:39], 0x0
	s_waitcnt lgkmcnt(0)
	s_add_i32 s29, s16, s29
	s_add_i32 s7, s43, s7
	;; [unrolled: 1-line block ×3, first 2 shown]
	s_cmp_ge_u32 s43, s41
	s_cbranch_scc1 .LBB143_8
.LBB143_14:                             ;   in Loop: Header=BB143_6 Depth=1
	s_load_dword s44, s[38:39], 0x4
	s_waitcnt lgkmcnt(0)
	s_add_i32 s29, s29, s17
	s_add_i32 s7, s44, s7
	;; [unrolled: 1-line block ×3, first 2 shown]
	s_cmp_ge_u32 s43, s41
	s_cbranch_scc1 .LBB143_9
.LBB143_15:                             ;   in Loop: Header=BB143_6 Depth=1
	s_load_dword s44, s[38:39], 0x8
	s_waitcnt lgkmcnt(0)
	s_add_i32 s29, s29, s18
	s_add_i32 s7, s44, s7
	;; [unrolled: 1-line block ×3, first 2 shown]
	s_cmp_ge_u32 s43, s41
	s_cbranch_scc0 .LBB143_10
	s_branch .LBB143_11
.LBB143_16:
	s_mov_b32 s14, 0
	s_cmp_ge_u32 s14, s21
	s_cbranch_scc0 .LBB143_40
	s_branch .LBB143_18
.LBB143_17:
	s_add_i32 s14, s42, 4
	s_cmp_ge_u32 s14, s21
	s_cbranch_scc0 .LBB143_40
.LBB143_18:
	v_mov_b32_e32 v1, s7
	v_mov_b32_e32 v2, s28
	v_mov_b32_e32 v3, s29
	v_mov_b32_e32 v4, 0
	ds_write_b96 v4, v[1:3] offset:1056
.LBB143_19:
	s_or_b64 exec, exec, s[12:13]
	s_load_dwordx4 s[12:15], s[4:5], 0x1b8
	s_load_dwordx4 s[16:19], s[4:5], 0x360
	s_cmp_eq_u32 s20, 0
	s_waitcnt lgkmcnt(0)
	s_barrier
	s_cbranch_scc1 .LBB143_42
; %bb.20:
	s_mul_i32 s7, s31, s6
	s_mul_hi_u32 s21, s30, s6
	s_add_i32 s29, s21, s7
	s_mul_i32 s7, s27, s6
	s_mul_hi_u32 s21, s26, s6
	v_mov_b32_e32 v5, 0
	s_mul_i32 s28, s30, s6
	s_add_i32 s27, s21, s7
	s_mul_i32 s7, s25, s6
	s_mul_hi_u32 s21, s24, s6
	ds_read_b96 v[1:3], v5 offset:1056
	s_mul_i32 s26, s26, s6
	s_add_i32 s7, s21, s7
	s_mul_i32 s6, s24, s6
	s_lshl_b64 s[24:25], s[28:29], 2
	s_add_u32 s21, s22, s24
	s_addc_u32 s22, s23, s25
	s_lshl_b64 s[24:25], s[26:27], 2
	s_add_u32 s23, s14, s24
	s_addc_u32 s24, s15, s25
	s_lshl_b64 s[6:7], s[6:7], 3
	s_waitcnt lgkmcnt(0)
	v_add_u32_e32 v1, v1, v2
	v_lshrrev_b32_e32 v2, 3, v0
	s_add_u32 s25, s18, s6
	s_load_dword s6, s[4:5], 0x1b0
	s_load_dwordx2 s[14:15], s[4:5], 0x508
	v_and_b32_e32 v2, 28, v2
	v_lshl_add_u32 v8, v0, 2, v2
	v_lshrrev_b32_e32 v2, 1, v0
	v_and_b32_e32 v9, 0x7c, v2
	v_add_u32_e32 v2, -1, v0
	v_lshrrev_b32_e32 v4, 3, v2
	s_addc_u32 s26, s19, s7
	s_xor_b32 s27, s33, 0x80000000
	v_and_b32_e32 v4, 0x1ffffffc, v4
	s_waitcnt lgkmcnt(0)
	s_bitcmp1_b32 s6, 0
	v_cmp_gt_u32_e64 s[6:7], 64, v0
	v_lshlrev_b32_e32 v10, 4, v0
	v_lshl_add_u32 v11, v2, 2, v4
	v_add_u32_e32 v4, s40, v0
	v_mbcnt_lo_u32_b32 v0, -1, 0
	s_cselect_b64 s[4:5], -1, 0
	v_mbcnt_hi_u32_b32 v0, -1, v0
                                        ; implicit-def: $vgpr12
	s_branch .LBB143_23
.LBB143_21:                             ;   in Loop: Header=BB143_23 Depth=1
	s_or_b64 exec, exec, s[18:19]
	v_add_u32_e32 v1, v2, v1
.LBB143_22:                             ;   in Loop: Header=BB143_23 Depth=1
	s_add_i32 s20, s20, -1
	v_add_u32_e32 v3, v13, v3
	s_cmp_lg_u32 s20, 0
	v_add_u32_e32 v4, 0x100, v4
	s_cbranch_scc0 .LBB143_42
.LBB143_23:                             ; =>This Inner Loop Header: Depth=1
	v_cmp_gt_u64_e32 vcc, s[8:9], v[4:5]
	v_mov_b32_e32 v2, v5
	v_mov_b32_e32 v6, v5
	s_and_saveexec_b64 s[18:19], vcc
	s_cbranch_execz .LBB143_25
; %bb.24:                               ;   in Loop: Header=BB143_23 Depth=1
	v_mad_u64_u32 v[6:7], s[28:29], s12, v4, 0
	v_mov_b32_e32 v2, v7
	v_mad_u64_u32 v[12:13], s[28:29], s13, v4, v[2:3]
	v_mov_b32_e32 v2, s22
	v_mov_b32_e32 v7, v12
	v_lshlrev_b64 v[6:7], 2, v[6:7]
	v_add_co_u32_e32 v6, vcc, s21, v6
	v_addc_co_u32_e32 v7, vcc, v2, v7, vcc
	global_load_dword v12, v[6:7], off
	s_waitcnt vmcnt(0)
	v_xor_b32_e32 v2, 0x80000000, v12
	v_cmp_lt_u32_e32 vcc, s27, v2
	v_cndmask_b32_e64 v6, 0, 1, vcc
	v_cmp_gt_u32_e32 vcc, s27, v2
	v_cndmask_b32_e64 v2, 0, 1, vcc
	v_cndmask_b32_e64 v2, v2, v6, s[4:5]
	v_cmp_eq_u32_e32 vcc, s33, v12
	v_and_b32_e32 v2, 1, v2
	v_cndmask_b32_e64 v6, 0, 1, vcc
.LBB143_25:                             ;   in Loop: Header=BB143_23 Depth=1
	s_or_b64 exec, exec, s[18:19]
	ds_write_b32 v8, v2
	s_waitcnt vmcnt(0) lgkmcnt(0)
	s_barrier
	s_and_saveexec_b64 s[18:19], s[6:7]
	s_cbranch_execz .LBB143_27
; %bb.26:                               ;   in Loop: Header=BB143_23 Depth=1
	v_add_u32_e32 v7, v9, v10
	ds_read2_b32 v[13:14], v7 offset1:1
	ds_read2_b32 v[15:16], v7 offset0:2 offset1:3
	v_and_b32_e32 v17, 15, v0
	v_cmp_ne_u32_e32 vcc, 0, v17
	s_waitcnt lgkmcnt(1)
	v_add_u32_e32 v14, v14, v13
	s_waitcnt lgkmcnt(0)
	v_add3_u32 v14, v14, v15, v16
	v_bfe_i32 v16, v0, 4, 1
	; wave barrier
	s_nop 0
	v_mov_b32_dpp v15, v14 row_shr:1 row_mask:0xf bank_mask:0xf
	v_cndmask_b32_e32 v15, 0, v15, vcc
	v_add_u32_e32 v14, v15, v14
	v_cmp_lt_u32_e32 vcc, 1, v17
	s_nop 0
	v_mov_b32_dpp v15, v14 row_shr:2 row_mask:0xf bank_mask:0xf
	v_cndmask_b32_e32 v15, 0, v15, vcc
	v_add_u32_e32 v14, v14, v15
	v_cmp_lt_u32_e32 vcc, 3, v17
	;; [unrolled: 5-line block ×4, first 2 shown]
	s_nop 0
	v_mov_b32_dpp v15, v14 row_bcast:15 row_mask:0xf bank_mask:0xf
	v_and_b32_e32 v15, v16, v15
	v_add_u32_e32 v14, v14, v15
	v_and_b32_e32 v16, 64, v0
	s_nop 0
	v_mov_b32_dpp v15, v14 row_bcast:31 row_mask:0xf bank_mask:0xf
	v_cndmask_b32_e32 v15, 0, v15, vcc
	v_add_u32_e32 v14, v14, v15
	v_add_u32_e32 v15, -1, v0
	v_cmp_lt_i32_e32 vcc, v15, v16
	v_cndmask_b32_e32 v15, v15, v0, vcc
	v_lshlrev_b32_e32 v15, 2, v15
	ds_bpermute_b32 v14, v15, v14
	s_waitcnt lgkmcnt(0)
	v_add_u32_e32 v13, v14, v13
	v_cndmask_b32_e64 v15, v13, v2, s[2:3]
	ds_write_b32 v7, v15
	; wave barrier
	ds_read2_b32 v[13:14], v7 offset0:1 offset1:2
	ds_read_b32 v16, v7 offset:12
	s_waitcnt lgkmcnt(1)
	v_add_u32_e32 v13, v13, v15
	v_add_u32_e32 v14, v14, v13
	ds_write2_b32 v7, v13, v14 offset0:1 offset1:2
	s_waitcnt lgkmcnt(1)
	v_add_u32_e32 v13, v16, v14
	ds_write_b32 v7, v13 offset:12
.LBB143_27:                             ;   in Loop: Header=BB143_23 Depth=1
	s_or_b64 exec, exec, s[18:19]
	v_mov_b32_e32 v7, 0
	s_waitcnt lgkmcnt(0)
	s_barrier
	s_and_saveexec_b64 s[18:19], s[0:1]
; %bb.28:                               ;   in Loop: Header=BB143_23 Depth=1
	ds_read_b32 v7, v11
; %bb.29:                               ;   in Loop: Header=BB143_23 Depth=1
	s_or_b64 exec, exec, s[18:19]
	ds_read_b32 v13, v5 offset:1048
	v_cmp_ne_u32_e32 vcc, 0, v2
	s_waitcnt lgkmcnt(0)
	s_barrier
	s_and_saveexec_b64 s[18:19], vcc
	s_cbranch_execz .LBB143_31
; %bb.30:                               ;   in Loop: Header=BB143_23 Depth=1
	v_add_u32_e32 v7, v7, v3
	v_mad_u64_u32 v[14:15], s[28:29], s16, v7, 0
	v_mad_u64_u32 v[16:17], s[28:29], s14, v7, 0
	v_mov_b32_e32 v2, v15
	v_mad_u64_u32 v[18:19], s[28:29], s17, v7, v[2:3]
	v_mov_b32_e32 v2, v17
	v_mov_b32_e32 v19, s24
	;; [unrolled: 1-line block ×3, first 2 shown]
	v_lshlrev_b64 v[14:15], 2, v[14:15]
	v_mad_u64_u32 v[17:18], s[28:29], s15, v7, v[2:3]
	v_add_co_u32_e32 v14, vcc, s23, v14
	v_addc_co_u32_e32 v15, vcc, v19, v15, vcc
	global_store_dword v[14:15], v12, off
	v_lshlrev_b64 v[14:15], 3, v[16:17]
	v_mov_b32_e32 v2, s26
	v_add_co_u32_e32 v14, vcc, s25, v14
	v_addc_co_u32_e32 v15, vcc, v2, v15, vcc
	global_store_dwordx2 v[14:15], v[4:5], off
.LBB143_31:                             ;   in Loop: Header=BB143_23 Depth=1
	s_or_b64 exec, exec, s[18:19]
	v_mov_b32_e32 v2, v5
	v_cmp_le_u64_e32 vcc, s[10:11], v[1:2]
	s_cbranch_vccnz .LBB143_22
; %bb.32:                               ;   in Loop: Header=BB143_23 Depth=1
	ds_write_b32 v8, v6
	s_waitcnt vmcnt(0) lgkmcnt(0)
	s_barrier
	s_and_saveexec_b64 s[18:19], s[6:7]
	s_cbranch_execz .LBB143_34
; %bb.33:                               ;   in Loop: Header=BB143_23 Depth=1
	v_add_u32_e32 v2, v9, v10
	ds_read2_b32 v[14:15], v2 offset1:1
	ds_read2_b32 v[16:17], v2 offset0:2 offset1:3
	v_and_b32_e32 v7, 15, v0
	v_cmp_ne_u32_e32 vcc, 0, v7
	s_waitcnt lgkmcnt(1)
	v_add_u32_e32 v15, v15, v14
	s_waitcnt lgkmcnt(0)
	v_add3_u32 v15, v15, v16, v17
	; wave barrier
	s_nop 1
	v_mov_b32_dpp v16, v15 row_shr:1 row_mask:0xf bank_mask:0xf
	v_cndmask_b32_e32 v16, 0, v16, vcc
	v_add_u32_e32 v15, v16, v15
	v_cmp_lt_u32_e32 vcc, 1, v7
	s_nop 0
	v_mov_b32_dpp v16, v15 row_shr:2 row_mask:0xf bank_mask:0xf
	v_cndmask_b32_e32 v16, 0, v16, vcc
	v_add_u32_e32 v15, v15, v16
	v_cmp_lt_u32_e32 vcc, 3, v7
	s_nop 0
	v_mov_b32_dpp v16, v15 row_shr:4 row_mask:0xf bank_mask:0xf
	v_cndmask_b32_e32 v16, 0, v16, vcc
	v_add_u32_e32 v15, v15, v16
	v_cmp_lt_u32_e32 vcc, 7, v7
	s_nop 0
	v_mov_b32_dpp v16, v15 row_shr:8 row_mask:0xf bank_mask:0xf
	v_cndmask_b32_e32 v7, 0, v16, vcc
	v_add_u32_e32 v7, v15, v7
	v_bfe_i32 v16, v0, 4, 1
	v_cmp_lt_u32_e32 vcc, 31, v0
	v_mov_b32_dpp v15, v7 row_bcast:15 row_mask:0xf bank_mask:0xf
	v_and_b32_e32 v15, v16, v15
	v_add_u32_e32 v7, v7, v15
	v_and_b32_e32 v16, 64, v0
	s_nop 0
	v_mov_b32_dpp v15, v7 row_bcast:31 row_mask:0xf bank_mask:0xf
	v_cndmask_b32_e32 v15, 0, v15, vcc
	v_add_u32_e32 v7, v7, v15
	v_add_u32_e32 v15, -1, v0
	v_cmp_lt_i32_e32 vcc, v15, v16
	v_cndmask_b32_e32 v15, v15, v0, vcc
	v_lshlrev_b32_e32 v15, 2, v15
	ds_bpermute_b32 v7, v15, v7
	s_waitcnt lgkmcnt(0)
	v_add_u32_e32 v7, v7, v14
	v_cndmask_b32_e64 v7, v7, v6, s[2:3]
	ds_write_b32 v2, v7
	; wave barrier
	ds_read2_b32 v[14:15], v2 offset0:1 offset1:2
	ds_read_b32 v16, v2 offset:12
	s_waitcnt lgkmcnt(1)
	v_add_u32_e32 v7, v14, v7
	v_add_u32_e32 v14, v15, v7
	ds_write2_b32 v2, v7, v14 offset0:1 offset1:2
	s_waitcnt lgkmcnt(1)
	v_add_u32_e32 v7, v16, v14
	ds_write_b32 v2, v7 offset:12
.LBB143_34:                             ;   in Loop: Header=BB143_23 Depth=1
	s_or_b64 exec, exec, s[18:19]
	v_mov_b32_e32 v7, 0
	s_waitcnt lgkmcnt(0)
	s_barrier
	s_and_saveexec_b64 s[18:19], s[0:1]
; %bb.35:                               ;   in Loop: Header=BB143_23 Depth=1
	ds_read_b32 v7, v11
; %bb.36:                               ;   in Loop: Header=BB143_23 Depth=1
	s_or_b64 exec, exec, s[18:19]
	ds_read_b32 v2, v5 offset:1048
	v_cmp_ne_u32_e32 vcc, 0, v6
	s_waitcnt lgkmcnt(0)
	s_barrier
	s_and_saveexec_b64 s[18:19], vcc
	s_cbranch_execz .LBB143_21
; %bb.37:                               ;   in Loop: Header=BB143_23 Depth=1
	v_add_u32_e32 v6, v7, v1
	v_mov_b32_e32 v7, v5
	v_cmp_gt_u64_e32 vcc, s[10:11], v[6:7]
	s_and_b64 exec, exec, vcc
	s_cbranch_execz .LBB143_21
; %bb.38:                               ;   in Loop: Header=BB143_23 Depth=1
	v_mad_u64_u32 v[14:15], s[28:29], s16, v6, 0
	v_mad_u64_u32 v[16:17], s[28:29], s14, v6, 0
	v_mov_b32_e32 v7, v15
	v_mad_u64_u32 v[18:19], s[28:29], s17, v6, v[7:8]
	v_mov_b32_e32 v7, v17
	v_mad_u64_u32 v[6:7], s[28:29], s15, v6, v[7:8]
	v_mov_b32_e32 v15, v18
	v_lshlrev_b64 v[14:15], 2, v[14:15]
	v_mov_b32_e32 v17, v6
	v_mov_b32_e32 v19, s24
	v_add_co_u32_e32 v14, vcc, s23, v14
	v_lshlrev_b64 v[6:7], 3, v[16:17]
	v_addc_co_u32_e32 v15, vcc, v19, v15, vcc
	global_store_dword v[14:15], v12, off
	v_mov_b32_e32 v14, s26
	v_add_co_u32_e32 v6, vcc, s25, v6
	v_addc_co_u32_e32 v7, vcc, v14, v7, vcc
	global_store_dwordx2 v[6:7], v[4:5], off
	s_branch .LBB143_21
.LBB143_39:                             ;   in Loop: Header=BB143_40 Depth=1
	s_add_u32 s16, s16, 4
	s_addc_u32 s17, s17, 0
	s_waitcnt lgkmcnt(0)
	s_add_i32 s28, s15, s28
	s_add_u32 s18, s18, 4
	s_addc_u32 s19, s19, 0
	s_add_i32 s14, s14, 1
	s_cmp_lt_u32 s14, s21
	s_cbranch_scc0 .LBB143_18
.LBB143_40:                             ; =>This Inner Loop Header: Depth=1
	s_load_dword s15, s[16:17], 0x0
	s_cmp_ge_u32 s14, s41
	s_cbranch_scc1 .LBB143_39
; %bb.41:                               ;   in Loop: Header=BB143_40 Depth=1
	s_load_dword s34, s[18:19], 0x0
	s_waitcnt lgkmcnt(0)
	s_add_i32 s29, s15, s29
	s_add_i32 s7, s34, s7
	s_branch .LBB143_39
.LBB143_42:
	s_endpgm
	.section	.rodata,"a",@progbits
	.p2align	6, 0x0
	.amdhsa_kernel _ZN2at6native6mbtopk10gatherTopKIimLi1EEEvNS_4cuda6detail10TensorInfoIKT_T0_EES8_S8_bjS8_NS5_IS6_S8_EES8_NS5_IlS8_EES8_jjPS6_PjSD_j
		.amdhsa_group_segment_fixed_size 1068
		.amdhsa_private_segment_fixed_size 0
		.amdhsa_kernarg_size 1592
		.amdhsa_user_sgpr_count 6
		.amdhsa_user_sgpr_private_segment_buffer 1
		.amdhsa_user_sgpr_dispatch_ptr 0
		.amdhsa_user_sgpr_queue_ptr 0
		.amdhsa_user_sgpr_kernarg_segment_ptr 1
		.amdhsa_user_sgpr_dispatch_id 0
		.amdhsa_user_sgpr_flat_scratch_init 0
		.amdhsa_user_sgpr_private_segment_size 0
		.amdhsa_uses_dynamic_stack 0
		.amdhsa_system_sgpr_private_segment_wavefront_offset 0
		.amdhsa_system_sgpr_workgroup_id_x 1
		.amdhsa_system_sgpr_workgroup_id_y 1
		.amdhsa_system_sgpr_workgroup_id_z 1
		.amdhsa_system_sgpr_workgroup_info 0
		.amdhsa_system_vgpr_workitem_id 0
		.amdhsa_next_free_vgpr 20
		.amdhsa_next_free_sgpr 45
		.amdhsa_reserve_vcc 1
		.amdhsa_reserve_flat_scratch 0
		.amdhsa_float_round_mode_32 0
		.amdhsa_float_round_mode_16_64 0
		.amdhsa_float_denorm_mode_32 3
		.amdhsa_float_denorm_mode_16_64 3
		.amdhsa_dx10_clamp 1
		.amdhsa_ieee_mode 1
		.amdhsa_fp16_overflow 0
		.amdhsa_exception_fp_ieee_invalid_op 0
		.amdhsa_exception_fp_denorm_src 0
		.amdhsa_exception_fp_ieee_div_zero 0
		.amdhsa_exception_fp_ieee_overflow 0
		.amdhsa_exception_fp_ieee_underflow 0
		.amdhsa_exception_fp_ieee_inexact 0
		.amdhsa_exception_int_div_zero 0
	.end_amdhsa_kernel
	.section	.text._ZN2at6native6mbtopk10gatherTopKIimLi1EEEvNS_4cuda6detail10TensorInfoIKT_T0_EES8_S8_bjS8_NS5_IS6_S8_EES8_NS5_IlS8_EES8_jjPS6_PjSD_j,"axG",@progbits,_ZN2at6native6mbtopk10gatherTopKIimLi1EEEvNS_4cuda6detail10TensorInfoIKT_T0_EES8_S8_bjS8_NS5_IS6_S8_EES8_NS5_IlS8_EES8_jjPS6_PjSD_j,comdat
.Lfunc_end143:
	.size	_ZN2at6native6mbtopk10gatherTopKIimLi1EEEvNS_4cuda6detail10TensorInfoIKT_T0_EES8_S8_bjS8_NS5_IS6_S8_EES8_NS5_IlS8_EES8_jjPS6_PjSD_j, .Lfunc_end143-_ZN2at6native6mbtopk10gatherTopKIimLi1EEEvNS_4cuda6detail10TensorInfoIKT_T0_EES8_S8_bjS8_NS5_IS6_S8_EES8_NS5_IlS8_EES8_jjPS6_PjSD_j
                                        ; -- End function
	.set _ZN2at6native6mbtopk10gatherTopKIimLi1EEEvNS_4cuda6detail10TensorInfoIKT_T0_EES8_S8_bjS8_NS5_IS6_S8_EES8_NS5_IlS8_EES8_jjPS6_PjSD_j.num_vgpr, 20
	.set _ZN2at6native6mbtopk10gatherTopKIimLi1EEEvNS_4cuda6detail10TensorInfoIKT_T0_EES8_S8_bjS8_NS5_IS6_S8_EES8_NS5_IlS8_EES8_jjPS6_PjSD_j.num_agpr, 0
	.set _ZN2at6native6mbtopk10gatherTopKIimLi1EEEvNS_4cuda6detail10TensorInfoIKT_T0_EES8_S8_bjS8_NS5_IS6_S8_EES8_NS5_IlS8_EES8_jjPS6_PjSD_j.numbered_sgpr, 45
	.set _ZN2at6native6mbtopk10gatherTopKIimLi1EEEvNS_4cuda6detail10TensorInfoIKT_T0_EES8_S8_bjS8_NS5_IS6_S8_EES8_NS5_IlS8_EES8_jjPS6_PjSD_j.num_named_barrier, 0
	.set _ZN2at6native6mbtopk10gatherTopKIimLi1EEEvNS_4cuda6detail10TensorInfoIKT_T0_EES8_S8_bjS8_NS5_IS6_S8_EES8_NS5_IlS8_EES8_jjPS6_PjSD_j.private_seg_size, 0
	.set _ZN2at6native6mbtopk10gatherTopKIimLi1EEEvNS_4cuda6detail10TensorInfoIKT_T0_EES8_S8_bjS8_NS5_IS6_S8_EES8_NS5_IlS8_EES8_jjPS6_PjSD_j.uses_vcc, 1
	.set _ZN2at6native6mbtopk10gatherTopKIimLi1EEEvNS_4cuda6detail10TensorInfoIKT_T0_EES8_S8_bjS8_NS5_IS6_S8_EES8_NS5_IlS8_EES8_jjPS6_PjSD_j.uses_flat_scratch, 0
	.set _ZN2at6native6mbtopk10gatherTopKIimLi1EEEvNS_4cuda6detail10TensorInfoIKT_T0_EES8_S8_bjS8_NS5_IS6_S8_EES8_NS5_IlS8_EES8_jjPS6_PjSD_j.has_dyn_sized_stack, 0
	.set _ZN2at6native6mbtopk10gatherTopKIimLi1EEEvNS_4cuda6detail10TensorInfoIKT_T0_EES8_S8_bjS8_NS5_IS6_S8_EES8_NS5_IlS8_EES8_jjPS6_PjSD_j.has_recursion, 0
	.set _ZN2at6native6mbtopk10gatherTopKIimLi1EEEvNS_4cuda6detail10TensorInfoIKT_T0_EES8_S8_bjS8_NS5_IS6_S8_EES8_NS5_IlS8_EES8_jjPS6_PjSD_j.has_indirect_call, 0
	.section	.AMDGPU.csdata,"",@progbits
; Kernel info:
; codeLenInByte = 2196
; TotalNumSgprs: 49
; NumVgprs: 20
; ScratchSize: 0
; MemoryBound: 0
; FloatMode: 240
; IeeeMode: 1
; LDSByteSize: 1068 bytes/workgroup (compile time only)
; SGPRBlocks: 6
; VGPRBlocks: 4
; NumSGPRsForWavesPerEU: 49
; NumVGPRsForWavesPerEU: 20
; Occupancy: 10
; WaveLimiterHint : 1
; COMPUTE_PGM_RSRC2:SCRATCH_EN: 0
; COMPUTE_PGM_RSRC2:USER_SGPR: 6
; COMPUTE_PGM_RSRC2:TRAP_HANDLER: 0
; COMPUTE_PGM_RSRC2:TGID_X_EN: 1
; COMPUTE_PGM_RSRC2:TGID_Y_EN: 1
; COMPUTE_PGM_RSRC2:TGID_Z_EN: 1
; COMPUTE_PGM_RSRC2:TIDIG_COMP_CNT: 0
	.section	.text._ZN2at6native6sbtopk10gatherTopKIimLi1ELb0EEEvNS_4cuda6detail10TensorInfoIKT_T0_EES8_S8_bS8_S8_NS5_IS6_S8_EES8_NS5_IlS8_EES8_PS6_,"axG",@progbits,_ZN2at6native6sbtopk10gatherTopKIimLi1ELb0EEEvNS_4cuda6detail10TensorInfoIKT_T0_EES8_S8_bS8_S8_NS5_IS6_S8_EES8_NS5_IlS8_EES8_PS6_,comdat
	.protected	_ZN2at6native6sbtopk10gatherTopKIimLi1ELb0EEEvNS_4cuda6detail10TensorInfoIKT_T0_EES8_S8_bS8_S8_NS5_IS6_S8_EES8_NS5_IlS8_EES8_PS6_ ; -- Begin function _ZN2at6native6sbtopk10gatherTopKIimLi1ELb0EEEvNS_4cuda6detail10TensorInfoIKT_T0_EES8_S8_bS8_S8_NS5_IS6_S8_EES8_NS5_IlS8_EES8_PS6_
	.globl	_ZN2at6native6sbtopk10gatherTopKIimLi1ELb0EEEvNS_4cuda6detail10TensorInfoIKT_T0_EES8_S8_bS8_S8_NS5_IS6_S8_EES8_NS5_IlS8_EES8_PS6_
	.p2align	8
	.type	_ZN2at6native6sbtopk10gatherTopKIimLi1ELb0EEEvNS_4cuda6detail10TensorInfoIKT_T0_EES8_S8_bS8_S8_NS5_IS6_S8_EES8_NS5_IlS8_EES8_PS6_,@function
_ZN2at6native6sbtopk10gatherTopKIimLi1ELb0EEEvNS_4cuda6detail10TensorInfoIKT_T0_EES8_S8_bS8_S8_NS5_IS6_S8_EES8_NS5_IlS8_EES8_PS6_: ; @_ZN2at6native6sbtopk10gatherTopKIimLi1ELb0EEEvNS_4cuda6detail10TensorInfoIKT_T0_EES8_S8_bS8_S8_NS5_IS6_S8_EES8_NS5_IlS8_EES8_PS6_
; %bb.0:
	s_load_dwordx2 s[2:3], s[4:5], 0x520
	s_load_dwordx4 s[60:63], s[4:5], 0x1b8
	s_add_u32 s0, s4, 0x520
	s_addc_u32 s1, s5, 0
	s_mov_b32 s17, 0
	s_waitcnt lgkmcnt(0)
	s_mul_i32 s3, s3, s8
	s_add_i32 s3, s3, s7
	s_mul_i32 s3, s3, s2
	s_add_i32 s16, s3, s6
	v_mov_b32_e32 v1, s16
	v_mov_b32_e32 v2, s17
	v_cmp_le_u64_e32 vcc, s[60:61], v[1:2]
	s_cbranch_vccnz .LBB144_469
; %bb.1:
	s_load_dwordx2 s[8:9], s[4:5], 0x440
                                        ; implicit-def: $vgpr55 : SGPR spill to VGPR lane
	v_cmp_eq_u32_e64 s[10:11], 0, v0
	s_waitcnt lgkmcnt(0)
	v_writelane_b32 v55, s8, 0
	v_writelane_b32 v55, s9, 1
	s_load_dwordx2 s[8:9], s[4:5], 0x370
	s_waitcnt lgkmcnt(0)
	v_writelane_b32 v55, s8, 2
	v_writelane_b32 v55, s9, 3
	s_load_dwordx2 s[8:9], s[4:5], 0x298
	s_waitcnt lgkmcnt(0)
	v_writelane_b32 v55, s8, 4
	v_writelane_b32 v55, s9, 5
	s_load_dwordx4 s[56:59], s[4:5], 0x1a0
	s_load_dwordx2 s[8:9], s[4:5], 0x1c8
	s_load_dwordx2 s[14:15], s[4:5], 0xd0
	;; [unrolled: 1-line block ×3, first 2 shown]
	s_waitcnt lgkmcnt(0)
	v_writelane_b32 v55, s8, 6
	v_writelane_b32 v55, s9, 7
	s_mov_b64 s[8:9], exec
	v_writelane_b32 v55, s10, 8
	v_writelane_b32 v55, s11, 9
	s_and_b64 s[10:11], s[8:9], s[10:11]
	s_mov_b64 exec, s[10:11]
	s_cbranch_execz .LBB144_3
; %bb.2:
	v_mov_b32_e32 v1, 0
	v_mov_b32_e32 v3, s56
	;; [unrolled: 1-line block ×4, first 2 shown]
	ds_write_b32 v1, v1 offset:5144
	ds_write_b128 v1, v[1:4] offset:5120
.LBB144_3:
	s_or_b64 exec, exec, s[8:9]
	s_mul_i32 s3, s15, s16
	s_mul_hi_u32 s7, s14, s16
	v_writelane_b32 v55, s4, 10
	s_add_i32 s9, s7, s3
	v_writelane_b32 v55, s5, 11
	s_load_dword s3, s[4:5], 0x1b0
	s_mov_b32 s4, s16
	v_writelane_b32 v55, s4, 12
	s_mul_i32 s8, s14, s16
	v_writelane_b32 v55, s5, 13
	s_lshl_b64 s[4:5], s[8:9], 2
	s_add_u32 s80, s12, s4
	v_writelane_b32 v55, s4, 14
	s_addc_u32 s81, s13, s5
	s_waitcnt lgkmcnt(0)
	s_bitcmp1_b32 s3, 0
	v_writelane_b32 v55, s5, 15
	s_cselect_b64 s[4:5], -1, 0
	v_writelane_b32 v55, s4, 16
	v_writelane_b32 v55, s5, 17
	s_xor_b64 s[4:5], s[4:5], -1
	v_mbcnt_lo_u32_b32 v1, -1, 0
	v_writelane_b32 v55, s4, 18
	v_mbcnt_hi_u32_b32 v32, -1, v1
	v_writelane_b32 v55, s5, 19
	v_cmp_gt_u32_e32 vcc, 64, v0
	v_cmp_gt_i32_e64 s[10:11], 4, v32
	v_mad_u64_u32 v[2:3], s[4:5], s62, v0, 0
	v_mov_b32_e32 v4, 0x300
	s_and_b64 s[4:5], vcc, s[10:11]
	v_mov_b32_e32 v5, 0
	v_writelane_b32 v55, s4, 20
	v_writelane_b32 v55, s5, 21
	v_cmp_gt_u64_e64 s[4:5], s[56:57], v[4:5]
	v_mov_b32_e32 v1, v3
	v_writelane_b32 v55, s4, 22
	v_writelane_b32 v55, s5, 23
	v_mad_u64_u32 v[3:4], s[4:5], s63, v0, v[1:2]
	v_mov_b32_e32 v13, 0
	v_mov_b32_e32 v1, v13
	v_lshlrev_b64 v[4:5], 2, v[2:3]
	v_cmp_gt_u64_e64 s[4:5], s[56:57], v[0:1]
	s_barrier
	v_mov_b32_e32 v6, s81
	v_add_co_u32_e32 v10, vcc, s80, v4
	s_load_dword s3, s[0:1], 0xc
	v_writelane_b32 v55, s4, 24
	v_addc_co_u32_e32 v11, vcc, v6, v5, vcc
	v_lshlrev_b64 v[4:5], v32, -1
	v_writelane_b32 v55, s5, 25
	v_cmp_gt_u32_e64 s[4:5], 2, v0
	v_lshlrev_b32_e32 v34, 4, v0
	v_writelane_b32 v55, s4, 26
	v_not_b32_e32 v30, v5
	v_or_b32_e32 v5, 12, v34
	v_writelane_b32 v55, s5, 27
	v_mad_u64_u32 v[16:17], s[4:5], s62, v5, 0
	s_waitcnt lgkmcnt(0)
	s_and_b32 s33, s3, 0xffff
	s_bfe_u32 s3, s3, 0xa0006
	s_cmp_gt_u32 s33, 63
	s_cselect_b64 s[4:5], -1, 0
	v_not_b32_e32 v31, v4
	v_writelane_b32 v55, s4, 28
	v_mov_b32_e32 v4, v17
	v_writelane_b32 v55, s5, 29
	s_add_u32 s7, s33, -1
	v_mad_u64_u32 v[4:5], s[4:5], s63, v5, v[4:5]
	s_addc_u32 s4, 0, -1
	s_add_u32 s5, s7, s56
	s_addc_u32 s31, s4, s57
	s_cmp_lt_u32 s6, s2
	v_writelane_b32 v55, s7, 30
	s_cselect_b32 s2, 12, 18
	v_writelane_b32 v55, s5, 31
	s_add_u32 s0, s0, s2
	v_writelane_b32 v55, s4, 32
	s_addc_u32 s1, s1, 0
	v_writelane_b32 v55, s0, 33
	v_writelane_b32 v55, s1, 34
	s_add_i32 s0, s3, -1
	v_or_b32_e32 v5, 8, v34
	s_bfe_u32 s68, s33, 0x30006
	s_and_b32 s0, s0, 0xffff
	v_lshlrev_b32_e32 v6, 2, v32
	v_mad_u64_u32 v[17:18], s[4:5], s62, v5, 0
	s_cmp_gt_u32 s0, 6
	v_and_b32_e32 v29, 0x100, v6
	v_or_b32_e32 v6, 4, v34
	s_cselect_b64 s[0:1], -1, 0
	s_and_b32 s60, s3, 0x3f8
	v_mad_u64_u32 v[19:20], s[4:5], s62, v6, 0
	v_writelane_b32 v55, s0, 35
	s_cmp_lg_u32 s68, 0
	v_writelane_b32 v55, s1, 36
	s_cselect_b64 s[0:1], -1, 0
	v_mov_b32_e32 v35, v4
	v_mov_b32_e32 v4, v18
	v_writelane_b32 v55, s0, 37
	v_mad_u64_u32 v[4:5], s[4:5], s63, v5, v[4:5]
	v_writelane_b32 v55, s1, 38
	s_lshl_b64 s[0:1], s[62:63], 2
	v_mov_b32_e32 v5, v20
	v_writelane_b32 v55, s0, 39
	v_mad_u64_u32 v[5:6], s[4:5], s63, v6, v[5:6]
	v_writelane_b32 v55, s1, 40
	s_lshl_b32 s0, s33, 2
	v_writelane_b32 v55, s0, 41
	s_mul_i32 s0, s63, s33
	s_mul_hi_u32 s1, s62, s33
	v_lshrrev_b32_e32 v6, 1, v0
	s_add_i32 s1, s1, s0
	s_mul_i32 s0, s62, s33
	v_lshlrev_b32_e32 v14, 2, v0
	v_and_b32_e32 v6, 0x1e0, v6
	v_lshlrev_b64 v[20:21], 4, v[2:3]
	v_mov_b32_e32 v2, 0xc00
	s_lshl_b64 s[0:1], s[0:1], 2
	v_mov_b32_e32 v25, s58
	s_mov_b32 s83, 0
	v_cmp_eq_u32_e64 s[94:95], 0, v32
	v_mov_b32_e32 v15, v13
	v_add_u32_e32 v33, 0xc00, v14
	v_or_b32_e32 v18, 0xc00, v6
	s_lshl_b64 s[72:73], s[62:63], 4
	v_mov_b32_e32 v37, v4
	v_mov_b32_e32 v38, v5
	v_lshl_or_b32 v39, v32, 3, v2
	v_writelane_b32 v55, s0, 42
	s_mov_b32 s61, 30
	s_mov_b64 s[74:75], 0
	v_mov_b32_e32 v40, 0x4f800000
	v_mov_b32_e32 v41, 0
	;; [unrolled: 1-line block ×7, first 2 shown]
	v_writelane_b32 v55, s1, 43
                                        ; implicit-def: $sgpr76_sgpr77
                                        ; implicit-def: $sgpr2_sgpr3
                                        ; implicit-def: $sgpr66_sgpr67
                                        ; implicit-def: $sgpr92_sgpr93
                                        ; implicit-def: $sgpr64_sgpr65
                                        ; implicit-def: $sgpr28_sgpr29
                                        ; implicit-def: $sgpr36_sgpr37
                                        ; implicit-def: $sgpr26_sgpr27
                                        ; implicit-def: $sgpr8_sgpr9
                                        ; implicit-def: $sgpr10_sgpr11
	s_branch .LBB144_6
.LBB144_4:                              ;   in Loop: Header=BB144_6 Depth=1
	s_or_b64 exec, exec, s[12:13]
	s_andn2_b64 s[10:11], s[10:11], exec
	s_and_b64 s[6:7], s[6:7], exec
	v_mov_b32_e32 v26, v3
	s_or_b64 s[10:11], s[10:11], s[6:7]
	s_andn2_b64 s[8:9], s[8:9], exec
	s_andn2_b64 s[26:27], s[26:27], exec
	;; [unrolled: 1-line block ×4, first 2 shown]
	s_orn2_b64 s[4:5], s[4:5], exec
	v_mov_b32_e32 v25, v2
.LBB144_5:                              ;   in Loop: Header=BB144_6 Depth=1
	s_or_b64 exec, exec, s[0:1]
	s_and_b64 s[0:1], exec, s[4:5]
	s_or_b64 s[74:75], s[0:1], s[74:75]
	s_andn2_b64 s[0:1], s[64:65], exec
	s_and_b64 s[4:5], s[10:11], exec
	s_or_b64 s[64:65], s[0:1], s[4:5]
	s_andn2_b64 s[0:1], s[92:93], exec
	s_and_b64 s[4:5], s[8:9], exec
	;; [unrolled: 3-line block ×5, first 2 shown]
	s_or_b64 s[76:77], s[0:1], s[4:5]
	s_andn2_b64 exec, exec, s[74:75]
	s_cbranch_execz .LBB144_465
.LBB144_6:                              ; =>This Loop Header: Depth=1
                                        ;     Child Loop BB144_12 Depth 2
                                        ;     Child Loop BB144_25 Depth 2
	;; [unrolled: 1-line block ×24, first 2 shown]
	ds_read_b128 v[2:5], v13 offset:5120
	s_waitcnt lgkmcnt(0)
	v_readfirstlane_b32 s71, v3
	v_readfirstlane_b32 s70, v2
	s_cmp_lg_u64 s[70:71], 0
	s_cbranch_scc1 .LBB144_33
; %bb.7:                                ;   in Loop: Header=BB144_6 Depth=1
	v_readlane_b32 s0, v55, 22
	v_readlane_b32 s1, v55, 23
	s_and_b64 vcc, exec, s[0:1]
	s_cbranch_vccz .LBB144_20
; %bb.8:                                ;   in Loop: Header=BB144_6 Depth=1
	s_mov_b64 s[0:1], 0x301
	v_cmp_gt_u64_e32 vcc, s[0:1], v[4:5]
	s_mov_b64 s[0:1], 0
	s_mov_b64 s[4:5], 0
	s_cbranch_vccz .LBB144_21
; %bb.9:                                ;   in Loop: Header=BB144_6 Depth=1
	s_mov_b64 s[4:5], exec
	v_readlane_b32 s6, v55, 24
	v_readlane_b32 s7, v55, 25
	s_and_b64 s[6:7], s[4:5], s[6:7]
	s_mov_b64 exec, s[6:7]
	s_cbranch_execz .LBB144_88
; %bb.10:                               ;   in Loop: Header=BB144_6 Depth=1
	v_readlane_b32 s6, v55, 33
	v_readlane_b32 s7, v55, 34
	s_nop 4
	global_load_ushort v6, v13, s[6:7]
	global_load_dword v7, v[10:11], off
	v_mov_b32_e32 v2, s80
	v_mov_b32_e32 v3, s81
	v_readlane_b32 s16, v55, 39
	v_readlane_b32 s17, v55, 40
	s_mov_b64 s[12:13], 0
	s_waitcnt vmcnt(1)
	v_readfirstlane_b32 s6, v6
	s_and_b32 s14, 0xffff, s6
	v_add_u32_e32 v4, s14, v0
	v_mad_u64_u32 v[2:3], s[6:7], s16, v4, v[2:3]
	s_mul_i32 s15, s17, s14
	s_mul_i32 s22, s16, s14
	v_mad_u64_u32 v[3:4], s[6:7], s17, v4, v[3:4]
	s_mul_hi_u32 s6, s16, s14
	v_mov_b32_e32 v5, v1
	s_add_i32 s23, s6, s15
	v_mov_b32_e32 v4, v0
	s_branch .LBB144_12
.LBB144_11:                             ;   in Loop: Header=BB144_12 Depth=2
	s_or_b64 exec, exec, s[6:7]
	v_mov_b32_e32 v7, s23
	v_add_co_u32_e32 v2, vcc, s22, v2
	v_addc_co_u32_e32 v3, vcc, v3, v7, vcc
	v_mov_b32_e32 v7, v8
	s_andn2_b64 exec, exec, s[12:13]
	s_cbranch_execz .LBB144_88
.LBB144_12:                             ;   Parent Loop BB144_6 Depth=1
                                        ; =>  This Inner Loop Header: Depth=2
	v_add_co_u32_sdwa v4, vcc, v4, v6 dst_sel:DWORD dst_unused:UNUSED_PAD src0_sel:DWORD src1_sel:WORD_0
	v_addc_co_u32_e32 v5, vcc, 0, v5, vcc
	v_cmp_gt_u64_e64 s[6:7], s[56:57], v[4:5]
	v_cmp_le_u64_e32 vcc, s[56:57], v[4:5]
	s_waitcnt lgkmcnt(0)
	v_mov_b32_e32 v9, 0
	v_mov_b32_e32 v8, 0
	s_and_saveexec_b64 s[14:15], s[6:7]
	s_cbranch_execz .LBB144_14
; %bb.13:                               ;   in Loop: Header=BB144_12 Depth=2
	global_load_dword v8, v[2:3], off
.LBB144_14:                             ;   in Loop: Header=BB144_12 Depth=2
	s_or_b64 exec, exec, s[14:15]
	s_waitcnt vmcnt(0)
	v_xor_b32_e32 v12, 0x80000000, v7
	v_and_b32_e32 v12, v12, v42
	v_cmp_eq_u32_e64 s[14:15], v12, v36
	s_cmp_lg_u64 s[14:15], 0
	s_cselect_b64 s[6:7], -1, 0
	s_and_b64 s[6:7], s[94:95], s[6:7]
	s_and_saveexec_b64 s[16:17], s[6:7]
	s_cbranch_execz .LBB144_18
; %bb.15:                               ;   in Loop: Header=BB144_12 Depth=2
	s_mov_b64 s[20:21], exec
	v_mbcnt_lo_u32_b32 v9, s20, 0
	v_mbcnt_hi_u32_b32 v9, s21, v9
	s_bcnt1_i32_b64 s24, s[14:15]
	v_cmp_eq_u32_e64 s[6:7], 0, v9
                                        ; implicit-def: $vgpr12
	s_and_saveexec_b64 s[18:19], s[6:7]
; %bb.16:                               ;   in Loop: Header=BB144_12 Depth=2
	s_bcnt1_i32_b64 s6, s[20:21]
	s_mul_i32 s6, s24, s6
	v_mov_b32_e32 v12, s6
	ds_add_rtn_u32 v12, v13, v12 offset:5144
; %bb.17:                               ;   in Loop: Header=BB144_12 Depth=2
	s_or_b64 exec, exec, s[18:19]
	s_waitcnt lgkmcnt(0)
	v_readfirstlane_b32 s6, v12
	v_mov_b32_e32 v12, s6
	v_mad_u32_u24 v9, s24, v9, v12
.LBB144_18:                             ;   in Loop: Header=BB144_12 Depth=2
	s_or_b64 exec, exec, s[16:17]
	ds_bpermute_b32 v9, v29, v9
	s_and_b64 s[6:7], exec, vcc
	s_or_b64 s[12:13], s[6:7], s[12:13]
	s_and_saveexec_b64 s[6:7], s[14:15]
	s_cbranch_execz .LBB144_11
; %bb.19:                               ;   in Loop: Header=BB144_12 Depth=2
	v_and_b32_e32 v23, s14, v31
	v_and_b32_e32 v12, s15, v30
	v_bcnt_u32_b32 v23, v23, 0
	v_bcnt_u32_b32 v12, v12, v23
	v_lshlrev_b32_e32 v12, 2, v12
	s_waitcnt lgkmcnt(0)
	v_lshl_add_u32 v9, v9, 2, v12
	ds_write_b32 v9, v7
	s_branch .LBB144_11
.LBB144_20:                             ;   in Loop: Header=BB144_6 Depth=1
	s_mov_b64 s[0:1], -1
	s_mov_b64 s[4:5], 0
.LBB144_21:                             ;   in Loop: Header=BB144_6 Depth=1
	s_and_b64 vcc, exec, s[0:1]
	s_cbranch_vccz .LBB144_31
.LBB144_22:                             ;   in Loop: Header=BB144_6 Depth=1
	s_mov_b64 s[0:1], exec
	v_readlane_b32 s4, v55, 24
	v_readlane_b32 s5, v55, 25
	s_and_b64 s[4:5], s[0:1], s[4:5]
	s_mov_b64 exec, s[4:5]
	s_cbranch_execz .LBB144_28
; %bb.23:                               ;   in Loop: Header=BB144_6 Depth=1
	v_readlane_b32 s4, v55, 33
	v_readlane_b32 s5, v55, 34
	s_nop 4
	global_load_ushort v2, v13, s[4:5]
	global_load_dword v8, v[10:11], off
	s_waitcnt vmcnt(1)
	v_add_u32_sdwa v12, v2, v0 dst_sel:DWORD dst_unused:UNUSED_PAD src0_sel:WORD_0 src1_sel:DWORD
	v_cmp_gt_u64_e32 vcc, s[56:57], v[12:13]
	v_readfirstlane_b32 s6, v2
	v_mov_b32_e32 v2, v0
	s_and_saveexec_b64 s[4:5], vcc
	s_cbranch_execz .LBB144_27
; %bb.24:                               ;   in Loop: Header=BB144_6 Depth=1
	v_mov_b32_e32 v2, s80
	v_mov_b32_e32 v3, s81
	v_readlane_b32 s16, v55, 39
	v_mad_u64_u32 v[2:3], s[12:13], s16, v12, v[2:3]
	v_readlane_b32 s17, v55, 40
	s_and_b32 s14, s6, 0xffff
	v_mad_u64_u32 v[3:4], s[6:7], s17, v12, v[3:4]
	s_mul_i32 s6, s17, s14
	s_mul_hi_u32 s7, s16, s14
	v_mov_b32_e32 v4, v12
	v_mov_b32_e32 v7, v1
	s_add_i32 s15, s7, s6
	s_mul_i32 s16, s16, s14
	s_mov_b64 s[12:13], 0
	v_mov_b32_e32 v5, v13
	v_mov_b32_e32 v6, v0
.LBB144_25:                             ;   Parent Loop BB144_6 Depth=1
                                        ; =>  This Inner Loop Header: Depth=2
	global_load_dword v9, v[2:3], off
	v_mov_b32_e32 v28, v5
	v_mov_b32_e32 v27, v4
	v_lshlrev_b32_e32 v4, 2, v6
	v_mov_b32_e32 v6, s15
	v_add_co_u32_e32 v2, vcc, s16, v2
	s_waitcnt vmcnt(1)
	ds_write_b32 v4, v8
	v_add_co_u32_e64 v4, s[6:7], s14, v27
	v_addc_co_u32_e64 v5, s[6:7], 0, v28, s[6:7]
	v_addc_co_u32_e32 v3, vcc, v3, v6, vcc
	v_cmp_le_u64_e32 vcc, s[56:57], v[4:5]
	v_mov_b32_e32 v6, v27
	s_or_b64 s[12:13], vcc, s[12:13]
	v_mov_b32_e32 v7, v28
	s_waitcnt vmcnt(0)
	v_mov_b32_e32 v8, v9
	s_andn2_b64 exec, exec, s[12:13]
	s_cbranch_execnz .LBB144_25
; %bb.26:                               ;   in Loop: Header=BB144_6 Depth=1
	s_or_b64 exec, exec, s[12:13]
	v_subrev_u32_e32 v2, s14, v4
	v_mov_b32_e32 v8, v9
.LBB144_27:                             ;   in Loop: Header=BB144_6 Depth=1
	s_or_b64 exec, exec, s[4:5]
	v_lshlrev_b32_e32 v2, 2, v2
	s_waitcnt vmcnt(0)
	ds_write_b32 v2, v8
.LBB144_28:                             ;   in Loop: Header=BB144_6 Depth=1
	s_or_b64 exec, exec, s[0:1]
	s_waitcnt lgkmcnt(0)
	s_barrier
	s_mov_b64 s[0:1], exec
	v_readlane_b32 s4, v55, 8
	v_readlane_b32 s5, v55, 9
	s_and_b64 s[4:5], s[0:1], s[4:5]
	s_mov_b64 exec, s[4:5]
; %bb.29:                               ;   in Loop: Header=BB144_6 Depth=1
	v_mov_b32_e32 v2, s56
	v_mov_b32_e32 v3, s57
	ds_write_b64 v13, v[2:3] offset:5120
; %bb.30:                               ;   in Loop: Header=BB144_6 Depth=1
	s_or_b64 exec, exec, s[0:1]
	s_mov_b64 s[4:5], -1
	s_waitcnt lgkmcnt(0)
	s_barrier
.LBB144_31:                             ;   in Loop: Header=BB144_6 Depth=1
	s_mov_b64 s[70:71], 0
	s_and_b64 vcc, exec, s[4:5]
	s_cbranch_vccz .LBB144_33
; %bb.32:                               ;   in Loop: Header=BB144_6 Depth=1
	ds_read_b64 v[2:3], v13 offset:5120
	s_waitcnt lgkmcnt(0)
	v_readfirstlane_b32 s70, v2
.LBB144_33:                             ;   in Loop: Header=BB144_6 Depth=1
	v_writelane_b32 v55, s28, 44
	v_writelane_b32 v55, s29, 45
	;; [unrolled: 1-line block ×4, first 2 shown]
	s_cmp_lt_i32 s70, 1
	s_mov_b64 s[0:1], -1
	v_writelane_b32 v55, s26, 48
                                        ; implicit-def: $vgpr2_vgpr3
                                        ; implicit-def: $vgpr6_vgpr7
	v_writelane_b32 v55, s27, 49
	s_cbranch_scc1 .LBB144_43
; %bb.34:                               ;   in Loop: Header=BB144_6 Depth=1
	s_and_b64 vcc, exec, s[0:1]
	s_cbranch_vccnz .LBB144_57
.LBB144_35:                             ;   in Loop: Header=BB144_6 Depth=1
	v_lshlrev_b32_e32 v12, 6, v41
	s_and_saveexec_b64 s[0:1], s[94:95]
	s_cbranch_execz .LBB144_37
.LBB144_36:                             ;   in Loop: Header=BB144_6 Depth=1
	v_lshl_add_u32 v23, v12, 3, v18
	ds_write_b128 v23, v[2:5]
	ds_write_b128 v23, v[6:9] offset:16
.LBB144_37:                             ;   in Loop: Header=BB144_6 Depth=1
	s_or_b64 exec, exec, s[0:1]
	s_waitcnt lgkmcnt(0)
	s_barrier
	s_mov_b64 s[0:1], exec
	v_readlane_b32 s4, v55, 20
	v_readlane_b32 s5, v55, 21
	s_and_b64 s[4:5], s[0:1], s[4:5]
	s_mov_b64 exec, s[4:5]
	s_cbranch_execz .LBB144_72
; %bb.38:                               ;   in Loop: Header=BB144_6 Depth=1
	v_readlane_b32 s4, v55, 28
	v_mov_b32_e32 v2, 0
	v_readlane_b32 s5, v55, 29
	v_mov_b32_e32 v3, 0
	s_andn2_b64 vcc, exec, s[4:5]
	s_cbranch_vccnz .LBB144_71
; %bb.39:                               ;   in Loop: Header=BB144_6 Depth=1
	v_readlane_b32 s4, v55, 35
	v_readlane_b32 s5, v55, 36
	s_andn2_b64 vcc, exec, s[4:5]
	s_cbranch_vccnz .LBB144_67
; %bb.40:                               ;   in Loop: Header=BB144_6 Depth=1
	v_mov_b32_e32 v2, 0
	v_lshl_add_u32 v4, v41, 9, v39
	v_mov_b32_e32 v3, 0
	s_mov_b32 s4, 0
.LBB144_41:                             ;   Parent Loop BB144_6 Depth=1
                                        ; =>  This Inner Loop Header: Depth=2
	ds_read2_b64 v[5:8], v4 offset1:4
	ds_read2_b64 v[43:46], v4 offset0:8 offset1:12
	ds_read2_b64 v[47:50], v4 offset0:16 offset1:20
	;; [unrolled: 1-line block ×3, first 2 shown]
	s_add_i32 s4, s4, 8
	s_waitcnt lgkmcnt(3)
	v_add_co_u32_e32 v2, vcc, v5, v2
	v_addc_co_u32_e32 v3, vcc, v6, v3, vcc
	v_add_co_u32_e32 v2, vcc, v7, v2
	v_addc_co_u32_e32 v3, vcc, v8, v3, vcc
	s_waitcnt lgkmcnt(2)
	v_add_co_u32_e32 v2, vcc, v43, v2
	v_addc_co_u32_e32 v3, vcc, v44, v3, vcc
	v_add_co_u32_e32 v2, vcc, v45, v2
	v_addc_co_u32_e32 v3, vcc, v46, v3, vcc
	;; [unrolled: 5-line block ×3, first 2 shown]
	s_waitcnt lgkmcnt(0)
	v_add_co_u32_e32 v2, vcc, v51, v2
	v_addc_co_u32_e32 v3, vcc, v52, v3, vcc
	v_add_co_u32_e32 v2, vcc, v53, v2
	v_add_u32_e32 v4, 0x100, v4
	s_cmp_eq_u32 s60, s4
	v_addc_co_u32_e32 v3, vcc, v54, v3, vcc
	s_cbranch_scc0 .LBB144_41
; %bb.42:                               ;   in Loop: Header=BB144_6 Depth=1
	s_mov_b32 s4, s60
	s_branch .LBB144_68
.LBB144_43:                             ;   in Loop: Header=BB144_6 Depth=1
	v_readlane_b32 s0, v55, 33
	v_readlane_b32 s1, v55, 34
	s_mov_b32 s69, s31
	s_mov_b64 s[30:31], s[94:95]
	s_nop 2
	global_load_ushort v2, v13, s[0:1]
	s_mov_b32 s0, s83
	s_waitcnt vmcnt(0)
	v_readfirstlane_b32 s1, v2
	s_and_b32 s71, s1, 0xffff
	s_lshl_b32 s94, s71, 2
	s_mov_b32 s1, s57
	s_cmp_lg_u64 s[0:1], 0
	s_cbranch_scc0 .LBB144_66
; %bb.44:                               ;   in Loop: Header=BB144_6 Depth=1
	v_cvt_f32_u32_e32 v2, s94
	s_sub_u32 s4, 0, s94
	s_subb_u32 s5, 0, 0
	v_mac_f32_e32 v2, 0, v40
	v_rcp_f32_e32 v2, v2
	v_mul_f32_e32 v2, 0x5f7ffffc, v2
	v_mul_f32_e32 v3, 0x2f800000, v2
	v_trunc_f32_e32 v3, v3
	v_mac_f32_e32 v2, 0xcf800000, v3
	v_cvt_u32_f32_e32 v3, v3
	v_cvt_u32_f32_e32 v2, v2
	v_readfirstlane_b32 s6, v3
	v_readfirstlane_b32 s0, v2
	s_mul_i32 s1, s4, s6
	s_mul_hi_u32 s12, s4, s0
	s_mul_i32 s7, s5, s0
	s_add_i32 s1, s12, s1
	s_mul_i32 s13, s4, s0
	s_add_i32 s1, s1, s7
	s_mul_hi_u32 s12, s0, s13
	s_mul_i32 s14, s0, s1
	s_mul_hi_u32 s7, s0, s1
	s_add_u32 s12, s12, s14
	s_addc_u32 s7, 0, s7
	s_mul_hi_u32 s15, s6, s13
	s_mul_i32 s13, s6, s13
	s_add_u32 s12, s12, s13
	s_mul_hi_u32 s14, s6, s1
	s_addc_u32 s7, s7, s15
	s_addc_u32 s12, s14, 0
	s_mul_i32 s1, s6, s1
	s_add_u32 s1, s7, s1
	s_addc_u32 s7, 0, s12
	s_add_u32 s12, s0, s1
	s_cselect_b64 s[0:1], -1, 0
	s_cmp_lg_u64 s[0:1], 0
	s_addc_u32 s6, s6, s7
	s_mul_i32 s0, s4, s6
	s_mul_hi_u32 s1, s4, s12
	s_add_i32 s0, s1, s0
	s_mul_i32 s5, s5, s12
	s_add_i32 s0, s0, s5
	s_mul_i32 s4, s4, s12
	s_mul_hi_u32 s5, s6, s4
	s_mul_i32 s7, s6, s4
	s_mul_i32 s14, s12, s0
	s_mul_hi_u32 s4, s12, s4
	s_mul_hi_u32 s13, s12, s0
	s_add_u32 s4, s4, s14
	s_addc_u32 s13, 0, s13
	s_add_u32 s4, s4, s7
	s_mul_hi_u32 s1, s6, s0
	s_addc_u32 s4, s13, s5
	s_addc_u32 s1, s1, 0
	s_mul_i32 s0, s6, s0
	s_add_u32 s0, s4, s0
	s_addc_u32 s4, 0, s1
	s_add_u32 s5, s12, s0
	s_cselect_b64 s[0:1], -1, 0
	s_cmp_lg_u64 s[0:1], 0
	s_addc_u32 s0, s6, s4
	s_mul_i32 s4, s56, s0
	s_mul_hi_u32 s6, s56, s5
	s_mul_hi_u32 s1, s56, s0
	s_add_u32 s4, s6, s4
	s_addc_u32 s1, 0, s1
	s_mul_hi_u32 s7, s57, s5
	s_mul_i32 s5, s57, s5
	s_add_u32 s4, s4, s5
	s_mul_hi_u32 s6, s57, s0
	s_addc_u32 s1, s1, s7
	s_addc_u32 s4, s6, 0
	s_mul_i32 s0, s57, s0
	s_add_u32 s0, s1, s0
	s_addc_u32 s1, 0, s4
	s_mul_i32 s1, s94, s1
	s_mul_hi_u32 s4, s94, s0
	s_add_i32 s4, s4, s1
	s_mul_i32 s0, s94, s0
	s_sub_u32 s5, s56, s0
	s_cselect_b64 s[0:1], -1, 0
	s_cmp_lg_u64 s[0:1], 0
	s_subb_u32 s4, s57, s4
	s_sub_u32 s6, s5, s94
	s_cselect_b64 s[0:1], -1, 0
	s_cmp_lg_u64 s[0:1], 0
	s_subb_u32 s7, s4, 0
	s_sub_u32 s12, s6, s94
	s_cselect_b64 s[0:1], -1, 0
	s_cmp_lg_u64 s[0:1], 0
	s_subb_u32 s0, s7, 0
	s_cmp_ge_u32 s6, s94
	s_cselect_b32 s1, -1, 0
	s_cmp_eq_u32 s7, 0
	s_cselect_b32 s1, s1, -1
	s_cmp_lg_u32 s1, 0
	s_cselect_b32 s0, s0, s7
	s_cselect_b32 s6, s12, s6
	s_cmp_ge_u32 s5, s94
	s_cselect_b32 s1, -1, 0
	s_cmp_eq_u32 s4, 0
	s_cselect_b32 s1, s1, -1
	s_cmp_lg_u32 s1, 0
	s_cselect_b32 s1, s0, s4
	s_cselect_b32 s0, s6, s5
	s_cbranch_execnz .LBB144_46
.LBB144_45:                             ;   in Loop: Header=BB144_6 Depth=1
	v_cvt_f32_u32_e32 v2, s94
	s_sub_i32 s0, 0, s94
	v_rcp_iflag_f32_e32 v2, v2
	v_mul_f32_e32 v2, 0x4f7ffffe, v2
	v_cvt_u32_f32_e32 v2, v2
	v_readfirstlane_b32 s1, v2
	s_mul_i32 s0, s0, s1
	s_mul_hi_u32 s0, s1, s0
	s_add_i32 s1, s1, s0
	s_mul_hi_u32 s0, s56, s1
	s_mul_i32 s0, s0, s94
	s_sub_i32 s0, s56, s0
	s_sub_i32 s1, s0, s94
	s_cmp_ge_u32 s0, s94
	s_cselect_b32 s0, s1, s0
	s_sub_i32 s1, s0, s94
	s_cmp_ge_u32 s0, s94
	s_cselect_b32 s82, s1, s0
	s_mov_b64 s[0:1], s[82:83]
.LBB144_46:                             ;   in Loop: Header=BB144_6 Depth=1
	s_sub_u32 s86, s56, s0
	s_subb_u32 s87, s57, s1
	v_cmp_gt_u64_e32 vcc, s[86:87], v[14:15]
	v_mov_b32_e32 v2, 0
	v_mov_b32_e32 v4, 0
	;; [unrolled: 1-line block ×8, first 2 shown]
	s_and_saveexec_b64 s[12:13], vcc
	s_cbranch_execz .LBB144_50
; %bb.47:                               ;   in Loop: Header=BB144_6 Depth=1
	s_mul_i32 s0, s73, s71
	s_mul_hi_u32 s1, s72, s71
	v_mov_b32_e32 v28, v15
	s_add_i32 s82, s1, s0
	s_mov_b64 s[4:5], 0
	s_mov_b64 s[78:79], s[80:81]
	;; [unrolled: 1-line block ×6, first 2 shown]
	v_mov_b32_e32 v27, v14
.LBB144_48:                             ;   Parent Loop BB144_6 Depth=1
                                        ; =>  This Inner Loop Header: Depth=2
	v_add_co_u32_e64 v27, s[6:7], s94, v27
	v_addc_co_u32_e64 v28, s[6:7], 0, v28, s[6:7]
	v_mov_b32_e32 v7, s79
	v_add_co_u32_e32 v2, vcc, s78, v19
	v_add_co_u32_e64 v8, s[6:7], s78, v20
	v_add_co_u32_e64 v4, s[14:15], s78, v17
	;; [unrolled: 1-line block ×3, first 2 shown]
	v_addc_co_u32_e64 v9, s[6:7], v7, v21, s[6:7]
	v_addc_co_u32_e32 v3, vcc, v7, v38, vcc
	v_addc_co_u32_e64 v5, vcc, v7, v37, s[14:15]
	v_addc_co_u32_e64 v7, vcc, v7, v35, s[16:17]
	global_load_dword v8, v[8:9], off
	s_nop 0
	global_load_dword v2, v[2:3], off
	s_nop 0
	global_load_dword v3, v[4:5], off
	s_nop 0
	global_load_dword v4, v[6:7], off
	s_mul_i32 s95, s72, s71
	v_cmp_le_u64_e32 vcc, s[86:87], v[27:28]
	s_waitcnt vmcnt(3)
	v_xor_b32_e32 v5, 0x80000000, v8
	s_waitcnt vmcnt(2)
	v_xor_b32_e32 v2, 0x80000000, v2
	v_and_b32_e32 v6, v5, v42
	v_bfe_u32 v5, v5, s61, 2
	s_waitcnt vmcnt(1)
	v_xor_b32_e32 v3, 0x80000000, v3
	v_and_b32_e32 v7, v2, v42
	v_bfe_u32 v2, v2, s61, 2
	v_cmp_eq_u32_e64 s[6:7], v6, v36
	v_cmp_eq_u32_e64 s[20:21], 0, v5
	s_waitcnt vmcnt(0)
	v_xor_b32_e32 v4, 0x80000000, v4
	v_and_b32_e32 v8, v3, v42
	v_bfe_u32 v3, v3, s61, 2
	v_cmp_eq_u32_e64 s[16:17], v7, v36
	v_cmp_eq_u32_e64 s[22:23], 0, v2
	s_and_b64 s[20:21], s[6:7], s[20:21]
	v_and_b32_e32 v9, v4, v42
	v_bfe_u32 v4, v4, s61, 2
	v_cmp_eq_u32_e64 s[18:19], v8, v36
	v_cmp_eq_u32_e64 s[24:25], 0, v3
	;; [unrolled: 1-line block ×5, first 2 shown]
	v_cndmask_b32_e64 v2, 0, 1, s[20:21]
	s_and_b64 s[20:21], s[16:17], s[22:23]
	v_cmp_eq_u32_e64 s[14:15], v9, v36
	v_cmp_eq_u32_e64 s[26:27], 0, v4
	;; [unrolled: 1-line block ×5, first 2 shown]
	v_cndmask_b32_e64 v3, 0, 1, s[20:21]
	s_and_b64 s[20:21], s[18:19], s[24:25]
	v_cmp_eq_u32_e64 s[38:39], 1, v4
	v_cmp_eq_u32_e64 s[46:47], 2, v4
	;; [unrolled: 1-line block ×3, first 2 shown]
	v_cndmask_b32_e64 v4, 0, 1, s[20:21]
	s_and_b64 s[20:21], s[14:15], s[26:27]
	v_cmp_eq_u32_e64 s[28:29], 1, v5
	v_cmp_eq_u32_e64 s[40:41], 2, v5
	;; [unrolled: 1-line block ×3, first 2 shown]
	v_cndmask_b32_e64 v5, 0, 1, s[20:21]
	v_cmp_ne_u32_e64 s[20:21], 0, v2
	v_cmp_ne_u32_e64 s[22:23], 0, v3
	v_cmp_ne_u32_e64 s[24:25], 0, v4
	v_cmp_ne_u32_e64 s[26:27], 0, v5
	s_bcnt1_i32_b64 s20, s[20:21]
	s_bcnt1_i32_b64 s21, s[22:23]
	s_bcnt1_i32_b64 s22, s[24:25]
	s_bcnt1_i32_b64 s23, s[26:27]
	s_add_u32 s20, s20, s88
	s_addc_u32 s24, 0, s89
	s_add_u32 s20, s20, s21
	s_addc_u32 s21, s24, 0
	s_add_u32 s20, s20, s22
	s_addc_u32 s21, s21, 0
	s_add_u32 s88, s20, s23
	s_addc_u32 s89, s21, 0
	s_and_b64 s[20:21], s[6:7], s[28:29]
	v_cndmask_b32_e64 v4, 0, 1, s[20:21]
	s_and_b64 s[20:21], s[16:17], s[34:35]
	v_cndmask_b32_e64 v5, 0, 1, s[20:21]
	s_and_b64 s[20:21], s[18:19], s[36:37]
	v_cndmask_b32_e64 v6, 0, 1, s[20:21]
	s_and_b64 s[20:21], s[14:15], s[38:39]
	v_cndmask_b32_e64 v7, 0, 1, s[20:21]
	v_cmp_ne_u32_e64 s[20:21], 0, v4
	v_cmp_ne_u32_e64 s[22:23], 0, v5
	v_cmp_ne_u32_e64 s[24:25], 0, v6
	v_cmp_ne_u32_e64 s[26:27], 0, v7
	s_bcnt1_i32_b64 s20, s[20:21]
	s_bcnt1_i32_b64 s21, s[22:23]
	s_bcnt1_i32_b64 s22, s[24:25]
	s_bcnt1_i32_b64 s23, s[26:27]
	s_add_u32 s0, s20, s0
	s_addc_u32 s1, 0, s1
	s_add_u32 s0, s0, s21
	s_addc_u32 s1, s1, 0
	s_add_u32 s0, s0, s22
	s_addc_u32 s1, s1, 0
	s_add_u32 s0, s0, s23
	s_addc_u32 s1, s1, 0
	s_and_b64 s[20:21], s[6:7], s[40:41]
	v_cndmask_b32_e64 v6, 0, 1, s[20:21]
	s_and_b64 s[20:21], s[16:17], s[42:43]
	v_cndmask_b32_e64 v7, 0, 1, s[20:21]
	s_and_b64 s[20:21], s[18:19], s[44:45]
	v_cndmask_b32_e64 v8, 0, 1, s[20:21]
	s_and_b64 s[20:21], s[14:15], s[46:47]
	;; [unrolled: 24-line block ×3, first 2 shown]
	v_cndmask_b32_e64 v23, 0, 1, s[6:7]
	v_cmp_ne_u32_e64 s[6:7], 0, v8
	v_cmp_ne_u32_e64 s[14:15], 0, v9
	;; [unrolled: 1-line block ×4, first 2 shown]
	s_bcnt1_i32_b64 s6, s[6:7]
	s_bcnt1_i32_b64 s7, s[14:15]
	;; [unrolled: 1-line block ×4, first 2 shown]
	s_add_u32 s6, s6, s84
	s_addc_u32 s16, 0, s85
	s_add_u32 s6, s6, s7
	s_addc_u32 s7, s16, 0
	;; [unrolled: 2-line block ×4, first 2 shown]
	s_add_u32 s78, s78, s95
	v_mov_b32_e32 v2, s88
	v_mov_b32_e32 v5, s1
	;; [unrolled: 1-line block ×3, first 2 shown]
	s_addc_u32 s79, s79, s82
	v_mov_b32_e32 v8, s84
	v_mov_b32_e32 v3, s89
	;; [unrolled: 1-line block ×4, first 2 shown]
	s_or_b64 s[4:5], vcc, s[4:5]
	v_mov_b32_e32 v9, s85
	s_andn2_b64 exec, exec, s[4:5]
	s_cbranch_execnz .LBB144_48
; %bb.49:                               ;   in Loop: Header=BB144_6 Depth=1
	s_or_b64 exec, exec, s[4:5]
.LBB144_50:                             ;   in Loop: Header=BB144_6 Depth=1
	s_or_b64 exec, exec, s[12:13]
	v_mov_b32_e32 v12, s87
	v_add_co_u32_e32 v27, vcc, s86, v0
	v_addc_co_u32_e32 v28, vcc, 0, v12, vcc
	v_cmp_gt_u64_e32 vcc, s[56:57], v[27:28]
	s_and_saveexec_b64 s[0:1], vcc
	s_mov_b64 s[94:95], s[30:31]
	s_mov_b32 s31, s69
	s_cbranch_execz .LBB144_56
; %bb.51:                               ;   in Loop: Header=BB144_6 Depth=1
	v_mul_lo_u32 v12, v28, s62
	v_mul_lo_u32 v23, v27, s63
	v_mad_u64_u32 v[43:44], s[4:5], v27, s62, 0
	s_mov_b64 s[4:5], 0
	v_add3_u32 v44, v44, v23, v12
	v_lshlrev_b64 v[43:44], 2, v[43:44]
	v_mov_b32_e32 v12, s81
	v_add_co_u32_e32 v43, vcc, s80, v43
	v_addc_co_u32_e32 v44, vcc, v12, v44, vcc
	global_load_dword v23, v[43:44], off
	s_branch .LBB144_53
.LBB144_52:                             ;   in Loop: Header=BB144_53 Depth=2
	s_or_b64 exec, exec, s[12:13]
	s_waitcnt vmcnt(0)
	v_xor_b32_e32 v23, 0x80000000, v23
	s_and_b64 s[6:7], exec, vcc
	v_and_b32_e32 v43, v23, v42
	v_bfe_u32 v23, v23, s61, 2
	s_or_b64 s[4:5], s[6:7], s[4:5]
	v_cmp_eq_u32_e32 vcc, v43, v36
	v_cmp_eq_u32_e64 s[6:7], 0, v23
	s_and_b64 s[6:7], vcc, s[6:7]
	v_cndmask_b32_e64 v43, 0, 1, s[6:7]
	v_cmp_ne_u32_e64 s[6:7], 0, v43
	s_bcnt1_i32_b64 s6, s[6:7]
	v_add_co_u32_e64 v2, s[6:7], s6, v2
	v_addc_co_u32_e64 v3, s[6:7], 0, v3, s[6:7]
	v_cmp_eq_u32_e64 s[6:7], 1, v23
	s_and_b64 s[6:7], vcc, s[6:7]
	v_cndmask_b32_e64 v43, 0, 1, s[6:7]
	v_cmp_ne_u32_e64 s[6:7], 0, v43
	s_bcnt1_i32_b64 s6, s[6:7]
	v_add_co_u32_e64 v4, s[6:7], s6, v4
	v_addc_co_u32_e64 v5, s[6:7], 0, v5, s[6:7]
	;; [unrolled: 7-line block ×3, first 2 shown]
	v_cmp_eq_u32_e64 s[6:7], 3, v23
	s_and_b64 s[6:7], vcc, s[6:7]
	v_cndmask_b32_e64 v23, 0, 1, s[6:7]
	v_cmp_ne_u32_e32 vcc, 0, v23
	s_bcnt1_i32_b64 s6, vcc
	v_add_co_u32_e32 v8, vcc, s6, v8
	v_addc_co_u32_e32 v9, vcc, 0, v9, vcc
	v_mov_b32_e32 v23, v12
	s_andn2_b64 exec, exec, s[4:5]
	s_cbranch_execz .LBB144_55
.LBB144_53:                             ;   Parent Loop BB144_6 Depth=1
                                        ; =>  This Inner Loop Header: Depth=2
	v_add_co_u32_e32 v27, vcc, s71, v27
	v_addc_co_u32_e32 v28, vcc, 0, v28, vcc
	v_cmp_gt_u64_e64 s[6:7], s[56:57], v[27:28]
	v_cmp_le_u64_e32 vcc, s[56:57], v[27:28]
	v_mov_b32_e32 v12, 0
	s_and_saveexec_b64 s[12:13], s[6:7]
	s_cbranch_execz .LBB144_52
; %bb.54:                               ;   in Loop: Header=BB144_53 Depth=2
	v_mul_lo_u32 v12, v28, s62
	v_mul_lo_u32 v45, v27, s63
	v_mad_u64_u32 v[43:44], s[6:7], v27, s62, 0
	v_add3_u32 v44, v44, v45, v12
	v_lshlrev_b64 v[43:44], 2, v[43:44]
	v_mov_b32_e32 v12, s81
	v_add_co_u32_e64 v43, s[6:7], s80, v43
	v_addc_co_u32_e64 v44, s[6:7], v12, v44, s[6:7]
	global_load_dword v12, v[43:44], off
	s_branch .LBB144_52
.LBB144_55:                             ;   in Loop: Header=BB144_6 Depth=1
	s_or_b64 exec, exec, s[4:5]
.LBB144_56:                             ;   in Loop: Header=BB144_6 Depth=1
	s_or_b64 exec, exec, s[0:1]
	s_branch .LBB144_35
.LBB144_57:                             ;   in Loop: Header=BB144_6 Depth=1
	v_readlane_b32 s0, v55, 33
	v_readlane_b32 s1, v55, 34
	v_mov_b32_e32 v6, 0
	v_mov_b32_e32 v7, 0
	s_nop 2
	global_load_ushort v12, v13, s[0:1]
	s_waitcnt vmcnt(0)
	v_readfirstlane_b32 s0, v12
	s_and_b32 s6, 0xffff, s0
	s_lshl_b32 s71, s6, 2
	v_cvt_f32_u32_e32 v2, s71
	s_sub_i32 s0, 0, s71
	v_rcp_iflag_f32_e32 v4, v2
	v_mov_b32_e32 v2, 0
	v_mov_b32_e32 v3, 0
	v_mul_f32_e32 v4, 0x4f7ffffe, v4
	v_cvt_u32_f32_e32 v8, v4
	v_mov_b32_e32 v4, 0
	v_mov_b32_e32 v5, 0
	v_readfirstlane_b32 s1, v8
	s_mul_i32 s0, s0, s1
	s_mul_hi_u32 s0, s1, s0
	s_add_i32 s1, s1, s0
	s_mul_hi_u32 s0, s70, s1
	s_mul_i32 s1, s0, s71
	s_sub_i32 s1, s70, s1
	s_add_i32 s4, s0, 1
	s_sub_i32 s5, s1, s71
	s_cmp_ge_u32 s1, s71
	s_cselect_b32 s0, s4, s0
	s_cselect_b32 s1, s5, s1
	s_add_i32 s4, s0, 1
	s_cmp_ge_u32 s1, s71
	s_cselect_b32 s0, s4, s0
	s_mul_hi_u32 s1, s6, s0
	s_mul_i32 s0, s6, s0
	s_lshl_b64 s[4:5], s[0:1], 2
	v_cmp_gt_u64_e32 vcc, s[4:5], v[14:15]
	v_mov_b32_e32 v8, 0
	v_mov_b32_e32 v9, 0
	s_and_saveexec_b64 s[12:13], vcc
	s_cbranch_execz .LBB144_61
; %bb.58:                               ;   in Loop: Header=BB144_6 Depth=1
	v_mov_b32_e32 v28, v15
	s_lshl_b32 s1, s6, 4
	s_mov_b64 s[78:79], 0
	v_mov_b32_e32 v23, v34
	s_mov_b64 s[84:85], 0
	s_mov_b64 s[86:87], 0
	;; [unrolled: 1-line block ×4, first 2 shown]
	v_mov_b32_e32 v27, v14
.LBB144_59:                             ;   Parent Loop BB144_6 Depth=1
                                        ; =>  This Inner Loop Header: Depth=2
	ds_read_b128 v[2:5], v23
	v_add_co_u32_e32 v27, vcc, s71, v27
	v_addc_co_u32_e32 v28, vcc, 0, v28, vcc
	s_waitcnt lgkmcnt(0)
	v_xor_b32_e32 v2, 0x80000000, v2
	v_xor_b32_e32 v3, 0x80000000, v3
	v_and_b32_e32 v6, v2, v42
	v_bfe_u32 v2, v2, s61, 2
	v_xor_b32_e32 v4, 0x80000000, v4
	v_and_b32_e32 v7, v3, v42
	v_bfe_u32 v3, v3, s61, 2
	v_cmp_eq_u32_e64 s[20:21], v6, v36
	v_cmp_eq_u32_e64 s[6:7], 0, v2
	v_xor_b32_e32 v5, 0x80000000, v5
	v_and_b32_e32 v8, v4, v42
	v_bfe_u32 v4, v4, s61, 2
	v_cmp_eq_u32_e64 s[18:19], v7, v36
	v_cmp_eq_u32_e64 s[34:35], 0, v3
	s_and_b64 s[6:7], s[20:21], s[6:7]
	v_and_b32_e32 v9, v5, v42
	v_bfe_u32 v5, v5, s61, 2
	v_cmp_eq_u32_e64 s[16:17], v8, v36
	v_cmp_eq_u32_e64 s[36:37], 0, v4
	;; [unrolled: 1-line block ×5, first 2 shown]
	v_cndmask_b32_e64 v2, 0, 1, s[6:7]
	s_and_b64 s[6:7], s[18:19], s[34:35]
	v_cmp_eq_u32_e64 s[14:15], v9, v36
	v_cmp_eq_u32_e64 s[38:39], 0, v5
	;; [unrolled: 1-line block ×5, first 2 shown]
	v_cndmask_b32_e64 v3, 0, 1, s[6:7]
	s_and_b64 s[6:7], s[16:17], s[36:37]
	v_cmp_eq_u32_e64 s[44:45], 1, v4
	v_cmp_eq_u32_e64 s[52:53], 2, v4
	;; [unrolled: 1-line block ×3, first 2 shown]
	v_cndmask_b32_e64 v4, 0, 1, s[6:7]
	s_and_b64 s[6:7], s[14:15], s[38:39]
	v_cmp_eq_u32_e64 s[46:47], 1, v5
	v_cmp_eq_u32_e64 s[54:55], 2, v5
	;; [unrolled: 1-line block ×3, first 2 shown]
	v_cndmask_b32_e64 v5, 0, 1, s[6:7]
	v_cmp_ne_u32_e64 s[6:7], 0, v2
	v_cmp_ne_u32_e64 s[34:35], 0, v3
	v_cmp_ne_u32_e64 s[36:37], 0, v4
	v_cmp_ne_u32_e64 s[38:39], 0, v5
	s_bcnt1_i32_b64 s6, s[6:7]
	s_bcnt1_i32_b64 s7, s[34:35]
	s_bcnt1_i32_b64 s34, s[36:37]
	s_bcnt1_i32_b64 s35, s[38:39]
	s_add_u32 s6, s6, s90
	s_addc_u32 s36, 0, s91
	s_add_u32 s6, s6, s7
	s_addc_u32 s7, s36, 0
	s_add_u32 s6, s6, s34
	s_addc_u32 s7, s7, 0
	s_add_u32 s90, s6, s35
	s_addc_u32 s91, s7, 0
	s_and_b64 s[6:7], s[20:21], s[40:41]
	v_cndmask_b32_e64 v4, 0, 1, s[6:7]
	s_and_b64 s[6:7], s[18:19], s[42:43]
	v_cndmask_b32_e64 v5, 0, 1, s[6:7]
	s_and_b64 s[6:7], s[16:17], s[44:45]
	v_cndmask_b32_e64 v6, 0, 1, s[6:7]
	s_and_b64 s[6:7], s[14:15], s[46:47]
	v_cndmask_b32_e64 v7, 0, 1, s[6:7]
	v_cmp_ne_u32_e64 s[6:7], 0, v4
	v_cmp_ne_u32_e64 s[34:35], 0, v5
	v_cmp_ne_u32_e64 s[36:37], 0, v6
	v_cmp_ne_u32_e64 s[38:39], 0, v7
	s_bcnt1_i32_b64 s6, s[6:7]
	s_bcnt1_i32_b64 s7, s[34:35]
	s_bcnt1_i32_b64 s34, s[36:37]
	s_bcnt1_i32_b64 s35, s[38:39]
	s_add_u32 s6, s6, s88
	s_addc_u32 s36, 0, s89
	s_add_u32 s6, s6, s7
	s_addc_u32 s7, s36, 0
	s_add_u32 s6, s6, s34
	s_addc_u32 s7, s7, 0
	s_add_u32 s88, s6, s35
	s_addc_u32 s89, s7, 0
	s_and_b64 s[6:7], s[20:21], s[48:49]
	v_cndmask_b32_e64 v6, 0, 1, s[6:7]
	s_and_b64 s[6:7], s[18:19], s[50:51]
	v_cndmask_b32_e64 v7, 0, 1, s[6:7]
	s_and_b64 s[6:7], s[16:17], s[52:53]
	v_cndmask_b32_e64 v8, 0, 1, s[6:7]
	s_and_b64 s[6:7], s[14:15], s[54:55]
	;; [unrolled: 24-line block ×3, first 2 shown]
	v_cndmask_b32_e64 v44, 0, 1, s[6:7]
	v_cmp_ne_u32_e64 s[6:7], 0, v8
	v_cmp_ne_u32_e64 s[14:15], 0, v9
	;; [unrolled: 1-line block ×4, first 2 shown]
	s_bcnt1_i32_b64 s6, s[6:7]
	s_bcnt1_i32_b64 s7, s[14:15]
	;; [unrolled: 1-line block ×4, first 2 shown]
	s_add_u32 s6, s6, s84
	s_addc_u32 s16, 0, s85
	s_add_u32 s6, s6, s7
	s_addc_u32 s7, s16, 0
	s_add_u32 s6, s6, s14
	s_addc_u32 s7, s7, 0
	v_cmp_le_u64_e32 vcc, s[4:5], v[27:28]
	s_add_u32 s84, s6, s15
	v_mov_b32_e32 v2, s90
	v_mov_b32_e32 v4, s88
	;; [unrolled: 1-line block ×3, first 2 shown]
	s_addc_u32 s85, s7, 0
	v_mov_b32_e32 v8, s84
	v_add_u32_e32 v23, s1, v23
	v_mov_b32_e32 v3, s91
	v_mov_b32_e32 v5, s89
	;; [unrolled: 1-line block ×3, first 2 shown]
	s_or_b64 s[78:79], vcc, s[78:79]
	v_mov_b32_e32 v9, s85
	s_andn2_b64 exec, exec, s[78:79]
	s_cbranch_execnz .LBB144_59
; %bb.60:                               ;   in Loop: Header=BB144_6 Depth=1
	s_or_b64 exec, exec, s[78:79]
.LBB144_61:                             ;   in Loop: Header=BB144_6 Depth=1
	s_or_b64 exec, exec, s[12:13]
	v_mov_b32_e32 v23, s5
	v_add_co_u32_e32 v27, vcc, s4, v0
	s_and_b32 s82, s70, 0x7fffffff
	v_addc_co_u32_e32 v28, vcc, 0, v23, vcc
	v_cmp_gt_u64_e32 vcc, s[82:83], v[27:28]
	s_and_saveexec_b64 s[4:5], vcc
	s_cbranch_execz .LBB144_65
; %bb.62:                               ;   in Loop: Header=BB144_6 Depth=1
	v_lshl_add_u32 v23, s0, 4, v14
	s_mov_b64 s[0:1], 0
.LBB144_63:                             ;   Parent Loop BB144_6 Depth=1
                                        ; =>  This Inner Loop Header: Depth=2
	ds_read_b32 v43, v23
	v_add_co_u32_sdwa v27, vcc, v27, v12 dst_sel:DWORD dst_unused:UNUSED_PAD src0_sel:DWORD src1_sel:WORD_0
	v_addc_co_u32_e32 v28, vcc, 0, v28, vcc
	s_waitcnt lgkmcnt(0)
	v_xor_b32_e32 v43, 0x80000000, v43
	v_and_b32_e32 v44, v43, v42
	v_bfe_u32 v43, v43, s61, 2
	v_cmp_eq_u32_e64 s[6:7], v44, v36
	v_cmp_eq_u32_e64 s[14:15], 0, v43
	;; [unrolled: 1-line block ×3, first 2 shown]
	s_and_b64 s[12:13], s[6:7], s[14:15]
	v_cmp_eq_u32_e64 s[18:19], 2, v43
	v_cmp_eq_u32_e64 s[20:21], 3, v43
	v_cndmask_b32_e64 v43, 0, 1, s[12:13]
	s_and_b64 s[12:13], s[6:7], s[16:17]
	v_cndmask_b32_e64 v44, 0, 1, s[12:13]
	s_and_b64 s[12:13], s[6:7], s[18:19]
	s_and_b64 s[6:7], s[6:7], s[20:21]
	v_cndmask_b32_e64 v45, 0, 1, s[12:13]
	v_cndmask_b32_e64 v46, 0, 1, s[6:7]
	v_cmp_le_u64_e32 vcc, s[82:83], v[27:28]
	v_cmp_ne_u32_e64 s[6:7], 0, v43
	v_cmp_ne_u32_e64 s[14:15], 0, v44
	;; [unrolled: 1-line block ×4, first 2 shown]
	s_bcnt1_i32_b64 s6, s[6:7]
	s_bcnt1_i32_b64 s7, s[14:15]
	;; [unrolled: 1-line block ×4, first 2 shown]
	s_or_b64 s[0:1], vcc, s[0:1]
	v_add_co_u32_e32 v2, vcc, s6, v2
	v_addc_co_u32_e32 v3, vcc, 0, v3, vcc
	v_add_co_u32_e32 v4, vcc, s7, v4
	v_addc_co_u32_e32 v5, vcc, 0, v5, vcc
	;; [unrolled: 2-line block ×3, first 2 shown]
	v_add_co_u32_e32 v8, vcc, s13, v8
	v_add_u32_e32 v23, s71, v23
	v_addc_co_u32_e32 v9, vcc, 0, v9, vcc
	s_andn2_b64 exec, exec, s[0:1]
	s_cbranch_execnz .LBB144_63
; %bb.64:                               ;   in Loop: Header=BB144_6 Depth=1
	s_or_b64 exec, exec, s[0:1]
.LBB144_65:                             ;   in Loop: Header=BB144_6 Depth=1
	s_or_b64 exec, exec, s[4:5]
	v_lshlrev_b32_e32 v12, 6, v41
	s_and_saveexec_b64 s[0:1], s[94:95]
	s_cbranch_execnz .LBB144_36
	s_branch .LBB144_37
.LBB144_66:                             ;   in Loop: Header=BB144_6 Depth=1
                                        ; implicit-def: $sgpr0_sgpr1
	s_branch .LBB144_45
.LBB144_67:                             ;   in Loop: Header=BB144_6 Depth=1
	v_mov_b32_e32 v2, 0
	v_mov_b32_e32 v3, 0
	s_mov_b32 s4, 0
.LBB144_68:                             ;   in Loop: Header=BB144_6 Depth=1
	v_readlane_b32 s6, v55, 37
	v_readlane_b32 s7, v55, 38
	s_andn2_b64 vcc, exec, s[6:7]
	s_cbranch_vccnz .LBB144_71
; %bb.69:                               ;   in Loop: Header=BB144_6 Depth=1
	v_lshlrev_b32_e32 v4, 9, v41
	s_lshl_b32 s4, s4, 5
	v_add_u32_e32 v4, s4, v4
	v_add_u32_e32 v4, v39, v4
	s_mov_b32 s4, s68
.LBB144_70:                             ;   Parent Loop BB144_6 Depth=1
                                        ; =>  This Inner Loop Header: Depth=2
	ds_read_b64 v[5:6], v4
	s_add_i32 s4, s4, -1
	v_add_u32_e32 v4, 32, v4
	s_cmp_lg_u32 s4, 0
	s_waitcnt lgkmcnt(0)
	v_add_co_u32_e32 v2, vcc, v5, v2
	v_addc_co_u32_e32 v3, vcc, v6, v3, vcc
	s_cbranch_scc1 .LBB144_70
.LBB144_71:                             ;   in Loop: Header=BB144_6 Depth=1
	v_add_lshl_u32 v4, v12, v32, 3
	ds_write_b64 v4, v[2:3] offset:3072
.LBB144_72:                             ;   in Loop: Header=BB144_6 Depth=1
	s_or_b64 exec, exec, s[0:1]
	v_lshlrev_b32_e32 v6, 3, v12
	s_waitcnt lgkmcnt(0)
	s_barrier
	ds_read_b128 v[2:5], v6 offset:3072
	ds_read_b128 v[6:9], v6 offset:3088
	v_readlane_b32 s0, v55, 18
	s_lshl_b32 s88, 3, s61
	v_cmp_eq_u64_e64 s[14:15], 1, v[25:26]
	v_readlane_b32 s1, v55, 19
	s_waitcnt lgkmcnt(1)
	v_readfirstlane_b32 s17, v3
	v_readfirstlane_b32 s16, v2
	;; [unrolled: 1-line block ×4, first 2 shown]
	s_waitcnt lgkmcnt(0)
	v_readfirstlane_b32 s23, v7
	v_readfirstlane_b32 s22, v6
	;; [unrolled: 1-line block ×4, first 2 shown]
	s_not_b32 s89, s88
	s_mov_b64 s[38:39], -1
	s_mov_b64 s[18:19], 0
	s_andn2_b64 vcc, exec, s[0:1]
	s_mov_b64 s[28:29], 0
	s_mov_b64 s[26:27], 0
                                        ; implicit-def: $sgpr34_sgpr35
                                        ; implicit-def: $sgpr36_sgpr37
                                        ; implicit-def: $vgpr2_vgpr3
                                        ; implicit-def: $vgpr12
                                        ; implicit-def: $vgpr28
                                        ; implicit-def: $vgpr27
                                        ; implicit-def: $vgpr5
	s_cbranch_vccnz .LBB144_268
; %bb.73:                               ;   in Loop: Header=BB144_6 Depth=1
	s_cmp_eq_u64 s[16:17], 1
	s_cselect_b64 s[0:1], -1, 0
	s_and_b64 s[6:7], s[0:1], s[14:15]
	s_mov_b64 s[0:1], -1
	v_mov_b32_e32 v28, v36
	v_mov_b32_e32 v27, v42
	;; [unrolled: 1-line block ×3, first 2 shown]
                                        ; implicit-def: $sgpr36_sgpr37
                                        ; implicit-def: $sgpr34_sgpr35
	s_and_saveexec_b64 s[26:27], s[6:7]
	s_cbranch_execz .LBB144_108
; %bb.74:                               ;   in Loop: Header=BB144_6 Depth=1
	ds_read_b64 v[2:3], v13 offset:5120
	s_waitcnt lgkmcnt(0)
	s_barrier
	v_readfirstlane_b32 s4, v2
	v_readfirstlane_b32 s5, v3
	s_mov_b64 s[0:1], exec
	v_readlane_b32 s12, v55, 26
	v_readlane_b32 s13, v55, 27
	s_and_b64 s[12:13], s[0:1], s[12:13]
	s_mov_b64 exec, s[12:13]
; %bb.75:                               ;   in Loop: Header=BB144_6 Depth=1
	ds_write_b32 v33, v13
; %bb.76:                               ;   in Loop: Header=BB144_6 Depth=1
	s_or_b64 exec, exec, s[0:1]
	v_and_b32_e32 v28, s89, v36
	v_or_b32_e32 v27, s88, v42
	s_mov_b64 s[34:35], -1
	s_mov_b64 s[36:37], 0
	s_cmp_eq_u64 s[4:5], 0
	s_mov_b64 s[0:1], 0
	s_mov_b64 s[12:13], -1
	s_waitcnt lgkmcnt(0)
	s_barrier
                                        ; implicit-def: $vgpr5
	s_cbranch_scc1 .LBB144_93
; %bb.77:                               ;   in Loop: Header=BB144_6 Depth=1
	v_readlane_b32 s0, v55, 30
	s_add_u32 s38, s4, s0
	v_readlane_b32 s0, v55, 32
	s_addc_u32 s1, s5, s0
	s_mov_b32 s0, s83
	s_cmp_lg_u64 s[0:1], 0
	s_cbranch_scc0 .LBB144_134
; %bb.78:                               ;   in Loop: Header=BB144_6 Depth=1
	v_cvt_f32_u32_e32 v2, s33
	s_sub_u32 s0, 0, s33
	s_subb_u32 s28, 0, 0
	v_mac_f32_e32 v2, 0, v40
	v_rcp_f32_e32 v2, v2
	v_mul_f32_e32 v2, 0x5f7ffffc, v2
	v_mul_f32_e32 v3, 0x2f800000, v2
	v_trunc_f32_e32 v3, v3
	v_mac_f32_e32 v2, 0xcf800000, v3
	v_cvt_u32_f32_e32 v3, v3
	v_cvt_u32_f32_e32 v2, v2
	v_readfirstlane_b32 s29, v3
	v_readfirstlane_b32 s12, v2
	s_mul_i32 s13, s0, s29
	s_mul_hi_u32 s40, s0, s12
	s_mul_i32 s39, s28, s12
	s_add_i32 s13, s40, s13
	s_mul_i32 s41, s0, s12
	s_add_i32 s13, s13, s39
	s_mul_hi_u32 s40, s12, s41
	s_mul_i32 s42, s12, s13
	s_mul_hi_u32 s39, s12, s13
	s_add_u32 s40, s40, s42
	s_addc_u32 s39, 0, s39
	s_mul_hi_u32 s43, s29, s41
	s_mul_i32 s41, s29, s41
	s_add_u32 s40, s40, s41
	s_mul_hi_u32 s42, s29, s13
	s_addc_u32 s39, s39, s43
	s_addc_u32 s40, s42, 0
	s_mul_i32 s13, s29, s13
	s_add_u32 s13, s39, s13
	s_addc_u32 s39, 0, s40
	s_add_u32 s40, s12, s13
	s_cselect_b64 s[12:13], -1, 0
	s_cmp_lg_u64 s[12:13], 0
	s_addc_u32 s29, s29, s39
	s_mul_i32 s12, s0, s29
	s_mul_hi_u32 s13, s0, s40
	s_add_i32 s12, s13, s12
	s_mul_i32 s28, s28, s40
	s_add_i32 s12, s12, s28
	s_mul_i32 s0, s0, s40
	s_mul_hi_u32 s28, s29, s0
	s_mul_i32 s39, s29, s0
	s_mul_i32 s42, s40, s12
	s_mul_hi_u32 s0, s40, s0
	s_mul_hi_u32 s41, s40, s12
	s_add_u32 s0, s0, s42
	s_addc_u32 s41, 0, s41
	s_add_u32 s0, s0, s39
	s_mul_hi_u32 s13, s29, s12
	s_addc_u32 s0, s41, s28
	s_addc_u32 s13, s13, 0
	s_mul_i32 s12, s29, s12
	s_add_u32 s0, s0, s12
	s_addc_u32 s28, 0, s13
	s_add_u32 s0, s40, s0
	s_cselect_b64 s[12:13], -1, 0
	s_cmp_lg_u64 s[12:13], 0
	s_addc_u32 s12, s29, s28
	s_mul_i32 s28, s38, s12
	s_mul_hi_u32 s29, s38, s0
	s_mul_hi_u32 s13, s38, s12
	s_add_u32 s28, s29, s28
	s_addc_u32 s13, 0, s13
	s_mul_hi_u32 s39, s1, s0
	s_mul_i32 s0, s1, s0
	s_add_u32 s0, s28, s0
	s_mul_hi_u32 s29, s1, s12
	s_addc_u32 s0, s13, s39
	s_addc_u32 s13, s29, 0
	s_mul_i32 s12, s1, s12
	s_add_u32 s0, s0, s12
	s_addc_u32 s12, 0, s13
	s_mul_i32 s12, s33, s12
	s_mul_hi_u32 s13, s33, s0
	s_add_i32 s28, s13, s12
	s_mul_i32 s0, s33, s0
	s_sub_u32 s0, s38, s0
	s_cselect_b64 s[12:13], -1, 0
	s_cmp_lg_u64 s[12:13], 0
	s_subb_u32 s28, s1, s28
	s_sub_u32 s29, s0, s33
	s_cselect_b64 s[12:13], -1, 0
	s_cmp_lg_u64 s[12:13], 0
	s_subb_u32 s39, s28, 0
	;; [unrolled: 4-line block ×3, first 2 shown]
	s_cmp_ge_u32 s29, s33
	s_cselect_b32 s13, -1, 0
	s_cmp_eq_u32 s39, 0
	s_cselect_b32 s13, s13, -1
	s_cmp_lg_u32 s13, 0
	s_cselect_b32 s12, s12, s39
	s_cselect_b32 s29, s40, s29
	s_cmp_ge_u32 s0, s33
	s_cselect_b32 s13, -1, 0
	s_cmp_eq_u32 s28, 0
	s_cselect_b32 s13, s13, -1
	s_cmp_lg_u32 s13, 0
	s_cselect_b32 s13, s12, s28
	s_cselect_b32 s12, s29, s0
	s_cbranch_execnz .LBB144_80
.LBB144_79:                             ;   in Loop: Header=BB144_6 Depth=1
	v_cvt_f32_u32_e32 v2, s33
	s_sub_i32 s0, 0, s33
	v_rcp_iflag_f32_e32 v2, v2
	v_mul_f32_e32 v2, 0x4f7ffffe, v2
	v_cvt_u32_f32_e32 v2, v2
	v_readfirstlane_b32 s12, v2
	s_mul_i32 s0, s0, s12
	s_mul_hi_u32 s0, s12, s0
	s_add_i32 s12, s12, s0
	s_mul_hi_u32 s0, s38, s12
	s_mul_i32 s0, s0, s33
	s_sub_i32 s0, s38, s0
	s_sub_i32 s12, s0, s33
	s_cmp_ge_u32 s0, s33
	s_cselect_b32 s0, s12, s0
	s_sub_i32 s12, s0, s33
	s_cmp_ge_u32 s0, s33
	s_cselect_b32 s82, s12, s0
	s_mov_b64 s[12:13], s[82:83]
.LBB144_80:                             ;   in Loop: Header=BB144_6 Depth=1
	s_sub_u32 s38, s38, s12
	s_subb_u32 s39, s1, s13
	v_cmp_gt_u64_e32 vcc, s[38:39], v[0:1]
	s_mov_b64 s[12:13], 0
	s_mov_b64 s[0:1], 0
                                        ; implicit-def: $vgpr5
	s_and_saveexec_b64 s[28:29], vcc
	s_cbranch_execz .LBB144_92
; %bb.81:                               ;   in Loop: Header=BB144_6 Depth=1
	v_mov_b32_e32 v3, v1
	v_mov_b32_e32 v6, v14
	;; [unrolled: 1-line block ×3, first 2 shown]
                                        ; implicit-def: $sgpr40_sgpr41
	s_branch .LBB144_84
.LBB144_82:                             ;   in Loop: Header=BB144_84 Depth=2
	s_or_b64 exec, exec, s[42:43]
	s_waitcnt lgkmcnt(0)
	s_barrier
	ds_read_b64 v[4:5], v13 offset:3072
	s_mov_b64 s[42:43], -1
	s_mov_b64 s[44:45], -1
	s_waitcnt lgkmcnt(0)
	s_barrier
	v_cmp_ne_u32_e32 vcc, 0, v4
	s_cbranch_vccz .LBB144_87
.LBB144_83:                             ;   in Loop: Header=BB144_84 Depth=2
	s_and_b64 s[42:43], exec, s[42:43]
	s_or_b64 s[0:1], s[42:43], s[0:1]
	s_andn2_b64 s[40:41], s[40:41], exec
	s_and_b64 s[42:43], s[44:45], exec
	s_or_b64 s[40:41], s[40:41], s[42:43]
	s_andn2_b64 exec, exec, s[0:1]
	s_cbranch_execz .LBB144_91
.LBB144_84:                             ;   Parent Loop BB144_6 Depth=1
                                        ; =>  This Inner Loop Header: Depth=2
	v_cmp_gt_u64_e32 vcc, s[4:5], v[2:3]
	s_and_saveexec_b64 s[42:43], vcc
	s_cbranch_execz .LBB144_82
; %bb.85:                               ;   in Loop: Header=BB144_84 Depth=2
	ds_read_b32 v23, v6
	s_waitcnt lgkmcnt(0)
	v_xor_b32_e32 v4, 0x80000000, v23
	v_and_b32_e32 v4, v4, v27
	v_cmp_eq_u32_e32 vcc, v4, v28
	s_and_b64 exec, exec, vcc
	s_cbranch_execz .LBB144_82
; %bb.86:                               ;   in Loop: Header=BB144_84 Depth=2
	ds_write_b64 v13, v[22:23] offset:3072
	s_branch .LBB144_82
.LBB144_87:                             ;   in Loop: Header=BB144_84 Depth=2
	v_add_co_u32_e32 v2, vcc, s33, v2
	v_addc_co_u32_e32 v3, vcc, 0, v3, vcc
	v_cmp_le_u64_e32 vcc, s[38:39], v[2:3]
	v_readlane_b32 s30, v55, 41
	v_add_u32_e32 v6, s30, v6
	s_mov_b64 s[44:45], 0
	s_orn2_b64 s[42:43], vcc, exec
	s_branch .LBB144_83
.LBB144_88:                             ;   in Loop: Header=BB144_6 Depth=1
	s_or_b64 exec, exec, s[4:5]
	s_waitcnt lgkmcnt(0)
	s_barrier
	s_mov_b64 s[4:5], exec
	v_readlane_b32 s6, v55, 8
	v_readlane_b32 s7, v55, 9
	s_and_b64 s[6:7], s[4:5], s[6:7]
	s_mov_b64 exec, s[6:7]
	s_cbranch_execz .LBB144_90
; %bb.89:                               ;   in Loop: Header=BB144_6 Depth=1
	ds_read_b32 v2, v13 offset:5144
	s_waitcnt lgkmcnt(0)
	v_ashrrev_i32_e32 v3, 31, v2
	ds_write_b64 v13, v[2:3] offset:5120
.LBB144_90:                             ;   in Loop: Header=BB144_6 Depth=1
	s_or_b64 exec, exec, s[4:5]
	s_waitcnt lgkmcnt(0)
	s_barrier
	s_mov_b64 s[4:5], -1
	s_and_b64 vcc, exec, s[0:1]
	s_cbranch_vccnz .LBB144_22
	s_branch .LBB144_31
.LBB144_91:                             ;   in Loop: Header=BB144_6 Depth=1
	s_or_b64 exec, exec, s[0:1]
	s_and_b64 s[0:1], s[40:41], exec
.LBB144_92:                             ;   in Loop: Header=BB144_6 Depth=1
	s_or_b64 exec, exec, s[28:29]
.LBB144_93:                             ;   in Loop: Header=BB144_6 Depth=1
	s_and_b64 vcc, exec, s[12:13]
	s_cbranch_vccz .LBB144_107
; %bb.94:                               ;   in Loop: Header=BB144_6 Depth=1
	s_mov_b32 s30, s83
	s_cmp_lg_u64 s[30:31], 0
	s_mov_b32 s41, s31
	s_cbranch_scc0 .LBB144_135
; %bb.95:                               ;   in Loop: Header=BB144_6 Depth=1
	v_cvt_f32_u32_e32 v2, s33
	s_sub_u32 s12, 0, s33
	s_subb_u32 s13, 0, 0
	v_readlane_b32 s30, v55, 31
	v_mac_f32_e32 v2, 0, v40
	v_rcp_f32_e32 v2, v2
	s_mov_b32 s31, s41
	v_mul_f32_e32 v2, 0x5f7ffffc, v2
	v_mul_f32_e32 v3, 0x2f800000, v2
	v_trunc_f32_e32 v3, v3
	v_mac_f32_e32 v2, 0xcf800000, v3
	v_cvt_u32_f32_e32 v3, v3
	v_cvt_u32_f32_e32 v2, v2
	v_readfirstlane_b32 s28, v3
	v_readfirstlane_b32 s4, v2
	s_mul_i32 s5, s12, s28
	s_mul_hi_u32 s34, s12, s4
	s_mul_i32 s29, s13, s4
	s_add_i32 s5, s34, s5
	s_mul_i32 s35, s12, s4
	s_add_i32 s5, s5, s29
	s_mul_hi_u32 s34, s4, s35
	s_mul_i32 s36, s4, s5
	s_mul_hi_u32 s29, s4, s5
	s_add_u32 s34, s34, s36
	s_addc_u32 s29, 0, s29
	s_mul_hi_u32 s37, s28, s35
	s_mul_i32 s35, s28, s35
	s_add_u32 s34, s34, s35
	s_mul_hi_u32 s36, s28, s5
	s_addc_u32 s29, s29, s37
	s_addc_u32 s34, s36, 0
	s_mul_i32 s5, s28, s5
	s_add_u32 s5, s29, s5
	s_addc_u32 s29, 0, s34
	s_add_u32 s34, s4, s5
	s_cselect_b64 s[4:5], -1, 0
	s_cmp_lg_u64 s[4:5], 0
	s_addc_u32 s28, s28, s29
	s_mul_i32 s4, s12, s28
	s_mul_hi_u32 s5, s12, s34
	s_add_i32 s4, s5, s4
	s_mul_i32 s13, s13, s34
	s_add_i32 s4, s4, s13
	s_mul_i32 s12, s12, s34
	s_mul_hi_u32 s13, s28, s12
	s_mul_i32 s29, s28, s12
	s_mul_i32 s36, s34, s4
	s_mul_hi_u32 s12, s34, s12
	s_mul_hi_u32 s35, s34, s4
	s_add_u32 s12, s12, s36
	s_addc_u32 s35, 0, s35
	s_add_u32 s12, s12, s29
	s_mul_hi_u32 s5, s28, s4
	s_addc_u32 s12, s35, s13
	s_addc_u32 s5, s5, 0
	s_mul_i32 s4, s28, s4
	s_add_u32 s4, s12, s4
	s_addc_u32 s12, 0, s5
	s_add_u32 s13, s34, s4
	s_cselect_b64 s[4:5], -1, 0
	s_cmp_lg_u64 s[4:5], 0
	s_addc_u32 s4, s28, s12
	s_mul_i32 s12, s30, s4
	s_mul_hi_u32 s28, s30, s13
	s_mul_hi_u32 s5, s30, s4
	s_add_u32 s12, s28, s12
	s_addc_u32 s5, 0, s5
	s_mul_hi_u32 s29, s41, s13
	s_mul_i32 s13, s41, s13
	s_add_u32 s12, s12, s13
	s_mul_hi_u32 s28, s41, s4
	s_addc_u32 s5, s5, s29
	s_addc_u32 s12, s28, 0
	s_mul_i32 s4, s41, s4
	s_add_u32 s4, s5, s4
	s_addc_u32 s5, 0, s12
	s_mul_i32 s5, s33, s5
	s_mul_hi_u32 s12, s33, s4
	s_add_i32 s12, s12, s5
	s_mul_i32 s4, s33, s4
	s_sub_u32 s13, s30, s4
	s_cselect_b64 s[4:5], -1, 0
	s_cmp_lg_u64 s[4:5], 0
	s_subb_u32 s12, s41, s12
	s_sub_u32 s28, s13, s33
	s_cselect_b64 s[4:5], -1, 0
	s_cmp_lg_u64 s[4:5], 0
	s_subb_u32 s29, s12, 0
	;; [unrolled: 4-line block ×3, first 2 shown]
	s_cmp_ge_u32 s28, s33
	s_cselect_b32 s5, -1, 0
	s_cmp_eq_u32 s29, 0
	s_cselect_b32 s5, s5, -1
	s_cmp_lg_u32 s5, 0
	s_cselect_b32 s4, s4, s29
	s_cselect_b32 s28, s34, s28
	s_cmp_ge_u32 s13, s33
	s_cselect_b32 s5, -1, 0
	s_cmp_eq_u32 s12, 0
	s_cselect_b32 s5, s5, -1
	s_cmp_lg_u32 s5, 0
	s_cselect_b32 s5, s4, s12
	s_cselect_b32 s4, s28, s13
	s_cbranch_execnz .LBB144_97
.LBB144_96:                             ;   in Loop: Header=BB144_6 Depth=1
	v_cvt_f32_u32_e32 v2, s33
	s_sub_i32 s4, 0, s33
	v_readlane_b32 s12, v55, 31
	v_rcp_iflag_f32_e32 v2, v2
	v_mul_f32_e32 v2, 0x4f7ffffe, v2
	v_cvt_u32_f32_e32 v2, v2
	v_readfirstlane_b32 s5, v2
	s_mul_i32 s4, s4, s5
	s_mul_hi_u32 s4, s5, s4
	s_add_i32 s5, s5, s4
	s_mul_hi_u32 s4, s12, s5
	s_mul_i32 s4, s4, s33
	s_sub_i32 s4, s12, s4
	s_sub_i32 s5, s4, s33
	s_cmp_ge_u32 s4, s33
	s_cselect_b32 s4, s5, s4
	s_sub_i32 s5, s4, s33
	s_cmp_ge_u32 s4, s33
	s_cselect_b32 s82, s5, s4
	s_mov_b64 s[4:5], s[82:83]
.LBB144_97:                             ;   in Loop: Header=BB144_6 Depth=1
	v_readlane_b32 s12, v55, 31
	s_sub_u32 s12, s12, s4
	s_subb_u32 s13, s31, s5
	v_cmp_gt_u64_e32 vcc, s[12:13], v[0:1]
                                        ; implicit-def: $vgpr5
	s_and_saveexec_b64 s[4:5], vcc
	s_cbranch_execz .LBB144_106
; %bb.98:                               ;   in Loop: Header=BB144_6 Depth=1
	v_mov_b32_e32 v2, v10
	v_mov_b32_e32 v7, v1
	s_mov_b64 s[28:29], 0
	v_mov_b32_e32 v3, v11
	v_mov_b32_e32 v6, v0
                                        ; implicit-def: $sgpr34_sgpr35
	s_branch .LBB144_101
.LBB144_99:                             ;   in Loop: Header=BB144_101 Depth=2
	s_or_b64 exec, exec, s[36:37]
	s_waitcnt lgkmcnt(0)
	s_barrier
	ds_read_b64 v[4:5], v13 offset:3072
	s_mov_b64 s[36:37], -1
	s_mov_b64 s[38:39], -1
	s_waitcnt lgkmcnt(0)
	s_barrier
	v_cmp_ne_u32_e32 vcc, 0, v4
	s_cbranch_vccz .LBB144_104
.LBB144_100:                            ;   in Loop: Header=BB144_101 Depth=2
	s_and_b64 s[36:37], exec, s[36:37]
	s_or_b64 s[28:29], s[36:37], s[28:29]
	s_andn2_b64 s[34:35], s[34:35], exec
	s_and_b64 s[36:37], s[38:39], exec
	s_or_b64 s[34:35], s[34:35], s[36:37]
	s_andn2_b64 exec, exec, s[28:29]
	s_cbranch_execz .LBB144_105
.LBB144_101:                            ;   Parent Loop BB144_6 Depth=1
                                        ; =>  This Inner Loop Header: Depth=2
	v_cmp_gt_u64_e32 vcc, s[56:57], v[6:7]
	s_and_saveexec_b64 s[36:37], vcc
	s_cbranch_execz .LBB144_99
; %bb.102:                              ;   in Loop: Header=BB144_101 Depth=2
	global_load_dword v23, v[2:3], off
	s_waitcnt vmcnt(0)
	v_xor_b32_e32 v4, 0x80000000, v23
	v_and_b32_e32 v4, v4, v27
	v_cmp_eq_u32_e32 vcc, v4, v28
	s_and_b64 exec, exec, vcc
	s_cbranch_execz .LBB144_99
; %bb.103:                              ;   in Loop: Header=BB144_101 Depth=2
	ds_write_b64 v13, v[22:23] offset:3072
	s_branch .LBB144_99
.LBB144_104:                            ;   in Loop: Header=BB144_101 Depth=2
	v_add_co_u32_e32 v6, vcc, s33, v6
	v_readlane_b32 s30, v55, 42
	v_addc_co_u32_e32 v7, vcc, 0, v7, vcc
	v_readlane_b32 s31, v55, 43
	v_mov_b32_e32 v4, s31
	v_add_co_u32_e32 v2, vcc, s30, v2
	v_addc_co_u32_e32 v3, vcc, v3, v4, vcc
	v_cmp_le_u64_e32 vcc, s[12:13], v[6:7]
	s_mov_b32 s31, s41
	s_mov_b64 s[38:39], 0
	s_orn2_b64 s[36:37], vcc, exec
	s_branch .LBB144_100
.LBB144_105:                            ;   in Loop: Header=BB144_6 Depth=1
	s_or_b64 exec, exec, s[28:29]
	s_andn2_b64 s[0:1], s[0:1], exec
	s_and_b64 s[12:13], s[34:35], exec
	s_or_b64 s[0:1], s[0:1], s[12:13]
.LBB144_106:                            ;   in Loop: Header=BB144_6 Depth=1
	s_or_b64 exec, exec, s[4:5]
	s_mov_b64 s[34:35], 0
	s_mov_b64 s[36:37], -1
.LBB144_107:                            ;   in Loop: Header=BB144_6 Depth=1
	s_orn2_b64 s[0:1], s[0:1], exec
.LBB144_108:                            ;   in Loop: Header=BB144_6 Depth=1
	s_or_b64 exec, exec, s[26:27]
	s_mov_b64 s[38:39], 0
	s_mov_b64 s[28:29], 0
	;; [unrolled: 1-line block ×3, first 2 shown]
                                        ; implicit-def: $vgpr2_vgpr3
                                        ; implicit-def: $vgpr12
	s_and_saveexec_b64 s[40:41], s[0:1]
	s_cbranch_execz .LBB144_267
; %bb.109:                              ;   in Loop: Header=BB144_6 Depth=1
	v_mov_b32_e32 v2, 1
	s_xor_b64 s[6:7], s[6:7], -1
	v_mov_b32_e32 v12, 1
	v_mov_b32_e32 v3, 0
	s_mov_b64 s[4:5], 0
	s_and_saveexec_b64 s[0:1], s[6:7]
	s_cbranch_execz .LBB144_118
; %bb.110:                              ;   in Loop: Header=BB144_6 Depth=1
	v_cmp_ge_u64_e32 vcc, s[16:17], v[25:26]
	s_and_saveexec_b64 s[4:5], vcc
	s_xor_b64 s[4:5], exec, s[4:5]
	s_cbranch_execz .LBB144_115
; %bb.111:                              ;   in Loop: Header=BB144_6 Depth=1
	ds_read_b64 v[2:3], v13 offset:5120
	v_and_b32_e32 v28, s89, v28
	v_or_b32_e32 v27, s88, v27
	s_waitcnt lgkmcnt(0)
	v_cmp_ne_u64_e32 vcc, 0, v[2:3]
	s_cbranch_vccnz .LBB144_115
; %bb.112:                              ;   in Loop: Header=BB144_6 Depth=1
	s_mov_b64 s[6:7], exec
	v_readlane_b32 s12, v55, 8
	v_readlane_b32 s13, v55, 9
	s_and_b64 s[12:13], s[6:7], s[12:13]
	s_mov_b64 exec, s[12:13]
; %bb.113:                              ;   in Loop: Header=BB144_6 Depth=1
	v_mov_b32_e32 v2, s16
	v_mov_b32_e32 v3, s17
	ds_write_b64 v13, v[2:3] offset:5128
; %bb.114:                              ;   in Loop: Header=BB144_6 Depth=1
	s_or_b64 exec, exec, s[6:7]
	s_waitcnt lgkmcnt(0)
	s_barrier
.LBB144_115:                            ;   in Loop: Header=BB144_6 Depth=1
	s_or_saveexec_b64 s[4:5], s[4:5]
	v_mov_b32_e32 v2, v25
	s_mov_b64 s[6:7], 0
	v_mov_b32_e32 v12, 8
	v_mov_b32_e32 v3, v26
	s_xor_b64 exec, exec, s[4:5]
; %bb.116:                              ;   in Loop: Header=BB144_6 Depth=1
	v_subrev_co_u32_e32 v2, vcc, s16, v25
	v_mov_b32_e32 v3, s17
	v_subb_co_u32_e32 v3, vcc, v26, v3, vcc
	v_mov_b32_e32 v12, 0
	s_mov_b64 s[6:7], exec
; %bb.117:                              ;   in Loop: Header=BB144_6 Depth=1
	s_or_b64 exec, exec, s[4:5]
	s_and_b64 s[4:5], s[6:7], exec
.LBB144_118:                            ;   in Loop: Header=BB144_6 Depth=1
	s_or_b64 exec, exec, s[0:1]
	s_mov_b64 s[0:1], -1
                                        ; implicit-def: $sgpr26_sgpr27
                                        ; implicit-def: $sgpr28_sgpr29
	s_and_saveexec_b64 s[6:7], s[4:5]
	s_xor_b64 s[6:7], exec, s[6:7]
	s_cbranch_execz .LBB144_264
; %bb.119:                              ;   in Loop: Header=BB144_6 Depth=1
	s_cmp_eq_u64 s[20:21], 1
	v_cmp_eq_u64_e32 vcc, 1, v[2:3]
	s_cselect_b64 s[0:1], -1, 0
	s_and_b64 s[44:45], s[0:1], vcc
	s_mov_b64 s[0:1], -1
                                        ; implicit-def: $sgpr28_sgpr29
                                        ; implicit-def: $sgpr26_sgpr27
	s_and_saveexec_b64 s[42:43], s[44:45]
	s_cbranch_execz .LBB144_153
; %bb.120:                              ;   in Loop: Header=BB144_6 Depth=1
	ds_read_b64 v[4:5], v13 offset:5120
	s_waitcnt lgkmcnt(0)
	s_barrier
	v_readfirstlane_b32 s4, v4
	v_readfirstlane_b32 s5, v5
	s_mov_b64 s[0:1], exec
	v_readlane_b32 s12, v55, 26
	v_readlane_b32 s13, v55, 27
	s_and_b64 s[12:13], s[0:1], s[12:13]
	s_mov_b64 exec, s[12:13]
; %bb.121:                              ;   in Loop: Header=BB144_6 Depth=1
	ds_write_b32 v33, v13
; %bb.122:                              ;   in Loop: Header=BB144_6 Depth=1
	s_or_b64 exec, exec, s[0:1]
	v_and_b32_e32 v4, s89, v28
	v_lshl_or_b32 v28, 1, s61, v4
	v_or_b32_e32 v27, s88, v27
	s_mov_b64 s[26:27], -1
	s_mov_b64 s[28:29], 0
	s_cmp_eq_u64 s[4:5], 0
	s_mov_b64 s[0:1], 0
	s_mov_b64 s[12:13], -1
	s_waitcnt lgkmcnt(0)
	s_barrier
                                        ; implicit-def: $vgpr5
	s_cbranch_scc1 .LBB144_138
; %bb.123:                              ;   in Loop: Header=BB144_6 Depth=1
	v_readlane_b32 s0, v55, 30
	s_add_u32 s48, s4, s0
	v_readlane_b32 s0, v55, 32
	s_addc_u32 s1, s5, s0
	s_mov_b32 s0, s83
	s_cmp_lg_u64 s[0:1], 0
	s_cbranch_scc0 .LBB144_179
; %bb.124:                              ;   in Loop: Header=BB144_6 Depth=1
	v_cvt_f32_u32_e32 v4, s33
	s_sub_u32 s0, 0, s33
	s_subb_u32 s46, 0, 0
	v_mac_f32_e32 v4, 0, v40
	v_rcp_f32_e32 v4, v4
	v_mul_f32_e32 v4, 0x5f7ffffc, v4
	v_mul_f32_e32 v5, 0x2f800000, v4
	v_trunc_f32_e32 v5, v5
	v_mac_f32_e32 v4, 0xcf800000, v5
	v_cvt_u32_f32_e32 v5, v5
	v_cvt_u32_f32_e32 v4, v4
	v_readfirstlane_b32 s47, v5
	v_readfirstlane_b32 s12, v4
	s_mul_i32 s13, s0, s47
	s_mul_hi_u32 s50, s0, s12
	s_mul_i32 s49, s46, s12
	s_add_i32 s13, s50, s13
	s_mul_i32 s51, s0, s12
	s_add_i32 s13, s13, s49
	s_mul_hi_u32 s50, s12, s51
	s_mul_i32 s52, s12, s13
	s_mul_hi_u32 s49, s12, s13
	s_add_u32 s50, s50, s52
	s_addc_u32 s49, 0, s49
	s_mul_hi_u32 s53, s47, s51
	s_mul_i32 s51, s47, s51
	s_add_u32 s50, s50, s51
	s_mul_hi_u32 s52, s47, s13
	s_addc_u32 s49, s49, s53
	s_addc_u32 s50, s52, 0
	s_mul_i32 s13, s47, s13
	s_add_u32 s13, s49, s13
	s_addc_u32 s49, 0, s50
	s_add_u32 s50, s12, s13
	s_cselect_b64 s[12:13], -1, 0
	s_cmp_lg_u64 s[12:13], 0
	s_addc_u32 s47, s47, s49
	s_mul_i32 s12, s0, s47
	s_mul_hi_u32 s13, s0, s50
	s_add_i32 s12, s13, s12
	s_mul_i32 s46, s46, s50
	s_add_i32 s12, s12, s46
	s_mul_i32 s0, s0, s50
	s_mul_hi_u32 s46, s47, s0
	s_mul_i32 s49, s47, s0
	s_mul_i32 s52, s50, s12
	s_mul_hi_u32 s0, s50, s0
	s_mul_hi_u32 s51, s50, s12
	s_add_u32 s0, s0, s52
	s_addc_u32 s51, 0, s51
	s_add_u32 s0, s0, s49
	s_mul_hi_u32 s13, s47, s12
	s_addc_u32 s0, s51, s46
	s_addc_u32 s13, s13, 0
	s_mul_i32 s12, s47, s12
	s_add_u32 s0, s0, s12
	s_addc_u32 s46, 0, s13
	s_add_u32 s0, s50, s0
	s_cselect_b64 s[12:13], -1, 0
	s_cmp_lg_u64 s[12:13], 0
	s_addc_u32 s12, s47, s46
	s_mul_i32 s46, s48, s12
	s_mul_hi_u32 s47, s48, s0
	s_mul_hi_u32 s13, s48, s12
	s_add_u32 s46, s47, s46
	s_addc_u32 s13, 0, s13
	s_mul_hi_u32 s49, s1, s0
	s_mul_i32 s0, s1, s0
	s_add_u32 s0, s46, s0
	s_mul_hi_u32 s47, s1, s12
	s_addc_u32 s0, s13, s49
	s_addc_u32 s13, s47, 0
	s_mul_i32 s12, s1, s12
	s_add_u32 s0, s0, s12
	s_addc_u32 s12, 0, s13
	s_mul_i32 s12, s33, s12
	s_mul_hi_u32 s13, s33, s0
	s_add_i32 s46, s13, s12
	s_mul_i32 s0, s33, s0
	s_sub_u32 s0, s48, s0
	s_cselect_b64 s[12:13], -1, 0
	s_cmp_lg_u64 s[12:13], 0
	s_subb_u32 s46, s1, s46
	s_sub_u32 s47, s0, s33
	s_cselect_b64 s[12:13], -1, 0
	s_cmp_lg_u64 s[12:13], 0
	s_subb_u32 s49, s46, 0
	;; [unrolled: 4-line block ×3, first 2 shown]
	s_cmp_ge_u32 s47, s33
	s_cselect_b32 s13, -1, 0
	s_cmp_eq_u32 s49, 0
	s_cselect_b32 s13, s13, -1
	s_cmp_lg_u32 s13, 0
	s_cselect_b32 s12, s12, s49
	s_cselect_b32 s47, s50, s47
	s_cmp_ge_u32 s0, s33
	s_cselect_b32 s13, -1, 0
	s_cmp_eq_u32 s46, 0
	s_cselect_b32 s13, s13, -1
	s_cmp_lg_u32 s13, 0
	s_cselect_b32 s13, s12, s46
	s_cselect_b32 s12, s47, s0
	s_cbranch_execnz .LBB144_126
.LBB144_125:                            ;   in Loop: Header=BB144_6 Depth=1
	v_cvt_f32_u32_e32 v4, s33
	s_sub_i32 s0, 0, s33
	v_rcp_iflag_f32_e32 v4, v4
	v_mul_f32_e32 v4, 0x4f7ffffe, v4
	v_cvt_u32_f32_e32 v4, v4
	v_readfirstlane_b32 s12, v4
	s_mul_i32 s0, s0, s12
	s_mul_hi_u32 s0, s12, s0
	s_add_i32 s12, s12, s0
	s_mul_hi_u32 s0, s48, s12
	s_mul_i32 s0, s0, s33
	s_sub_i32 s0, s48, s0
	s_sub_i32 s12, s0, s33
	s_cmp_ge_u32 s0, s33
	s_cselect_b32 s0, s12, s0
	s_sub_i32 s12, s0, s33
	s_cmp_ge_u32 s0, s33
	s_cselect_b32 s82, s12, s0
	s_mov_b64 s[12:13], s[82:83]
.LBB144_126:                            ;   in Loop: Header=BB144_6 Depth=1
	s_sub_u32 s48, s48, s12
	s_subb_u32 s49, s1, s13
	v_cmp_gt_u64_e32 vcc, s[48:49], v[0:1]
	s_mov_b64 s[12:13], 0
	s_mov_b64 s[0:1], 0
                                        ; implicit-def: $vgpr5
	s_and_saveexec_b64 s[46:47], vcc
	s_cbranch_execz .LBB144_137
; %bb.127:                              ;   in Loop: Header=BB144_6 Depth=1
	v_mov_b32_e32 v7, v1
	v_mov_b32_e32 v8, v14
	;; [unrolled: 1-line block ×3, first 2 shown]
                                        ; implicit-def: $sgpr50_sgpr51
	s_branch .LBB144_130
.LBB144_128:                            ;   in Loop: Header=BB144_130 Depth=2
	s_or_b64 exec, exec, s[52:53]
	s_waitcnt lgkmcnt(0)
	s_barrier
	ds_read_b64 v[4:5], v13 offset:3072
	s_mov_b64 s[52:53], -1
	s_mov_b64 s[54:55], -1
	s_waitcnt lgkmcnt(0)
	s_barrier
	v_cmp_ne_u32_e32 vcc, 0, v4
	s_cbranch_vccz .LBB144_133
.LBB144_129:                            ;   in Loop: Header=BB144_130 Depth=2
	s_and_b64 s[52:53], exec, s[52:53]
	s_or_b64 s[0:1], s[52:53], s[0:1]
	s_andn2_b64 s[50:51], s[50:51], exec
	s_and_b64 s[52:53], s[54:55], exec
	s_or_b64 s[50:51], s[50:51], s[52:53]
	s_andn2_b64 exec, exec, s[0:1]
	s_cbranch_execz .LBB144_136
.LBB144_130:                            ;   Parent Loop BB144_6 Depth=1
                                        ; =>  This Inner Loop Header: Depth=2
	v_cmp_gt_u64_e32 vcc, s[4:5], v[6:7]
	s_and_saveexec_b64 s[52:53], vcc
	s_cbranch_execz .LBB144_128
; %bb.131:                              ;   in Loop: Header=BB144_130 Depth=2
	ds_read_b32 v23, v8
	s_waitcnt lgkmcnt(0)
	v_xor_b32_e32 v4, 0x80000000, v23
	v_and_b32_e32 v4, v4, v27
	v_cmp_eq_u32_e32 vcc, v4, v28
	s_and_b64 exec, exec, vcc
	s_cbranch_execz .LBB144_128
; %bb.132:                              ;   in Loop: Header=BB144_130 Depth=2
	ds_write_b64 v13, v[22:23] offset:3072
	s_branch .LBB144_128
.LBB144_133:                            ;   in Loop: Header=BB144_130 Depth=2
	v_add_co_u32_e32 v6, vcc, s33, v6
	v_addc_co_u32_e32 v7, vcc, 0, v7, vcc
	v_cmp_le_u64_e32 vcc, s[48:49], v[6:7]
	v_readlane_b32 s30, v55, 41
	v_add_u32_e32 v8, s30, v8
	s_mov_b64 s[54:55], 0
	s_orn2_b64 s[52:53], vcc, exec
	s_branch .LBB144_129
.LBB144_134:                            ;   in Loop: Header=BB144_6 Depth=1
                                        ; implicit-def: $sgpr12_sgpr13
	s_branch .LBB144_79
.LBB144_135:                            ;   in Loop: Header=BB144_6 Depth=1
                                        ; implicit-def: $sgpr4_sgpr5
	s_branch .LBB144_96
.LBB144_136:                            ;   in Loop: Header=BB144_6 Depth=1
	s_or_b64 exec, exec, s[0:1]
	s_and_b64 s[0:1], s[50:51], exec
.LBB144_137:                            ;   in Loop: Header=BB144_6 Depth=1
	s_or_b64 exec, exec, s[46:47]
.LBB144_138:                            ;   in Loop: Header=BB144_6 Depth=1
	s_and_b64 vcc, exec, s[12:13]
	s_cbranch_vccz .LBB144_152
; %bb.139:                              ;   in Loop: Header=BB144_6 Depth=1
	s_mov_b32 s30, s83
	s_cmp_lg_u64 s[30:31], 0
	s_cbranch_scc0 .LBB144_180
; %bb.140:                              ;   in Loop: Header=BB144_6 Depth=1
	v_cvt_f32_u32_e32 v4, s33
	s_sub_u32 s12, 0, s33
	s_subb_u32 s13, 0, 0
	v_mac_f32_e32 v4, 0, v40
	v_rcp_f32_e32 v4, v4
	v_mul_f32_e32 v4, 0x5f7ffffc, v4
	v_mul_f32_e32 v5, 0x2f800000, v4
	v_trunc_f32_e32 v5, v5
	v_mac_f32_e32 v4, 0xcf800000, v5
	v_cvt_u32_f32_e32 v5, v5
	v_cvt_u32_f32_e32 v4, v4
	v_readfirstlane_b32 s26, v5
	v_readfirstlane_b32 s4, v4
	s_mul_i32 s5, s12, s26
	s_mul_hi_u32 s28, s12, s4
	s_mul_i32 s27, s13, s4
	s_add_i32 s5, s28, s5
	s_mul_i32 s29, s12, s4
	s_add_i32 s5, s5, s27
	s_mul_hi_u32 s28, s4, s29
	s_mul_i32 s46, s4, s5
	s_mul_hi_u32 s27, s4, s5
	s_add_u32 s28, s28, s46
	s_addc_u32 s27, 0, s27
	s_mul_hi_u32 s47, s26, s29
	s_mul_i32 s29, s26, s29
	s_add_u32 s28, s28, s29
	s_mul_hi_u32 s46, s26, s5
	s_addc_u32 s27, s27, s47
	s_addc_u32 s28, s46, 0
	s_mul_i32 s5, s26, s5
	s_add_u32 s5, s27, s5
	s_addc_u32 s27, 0, s28
	s_add_u32 s28, s4, s5
	s_cselect_b64 s[4:5], -1, 0
	s_cmp_lg_u64 s[4:5], 0
	s_addc_u32 s26, s26, s27
	s_mul_i32 s4, s12, s26
	s_mul_hi_u32 s5, s12, s28
	s_add_i32 s4, s5, s4
	s_mul_i32 s13, s13, s28
	s_add_i32 s4, s4, s13
	s_mul_i32 s12, s12, s28
	s_mul_hi_u32 s13, s26, s12
	s_mul_i32 s27, s26, s12
	s_mul_i32 s46, s28, s4
	s_mul_hi_u32 s12, s28, s12
	s_mul_hi_u32 s29, s28, s4
	s_add_u32 s12, s12, s46
	s_addc_u32 s29, 0, s29
	s_add_u32 s12, s12, s27
	s_mul_hi_u32 s5, s26, s4
	s_addc_u32 s12, s29, s13
	s_addc_u32 s5, s5, 0
	s_mul_i32 s4, s26, s4
	s_add_u32 s4, s12, s4
	s_addc_u32 s12, 0, s5
	s_add_u32 s13, s28, s4
	s_cselect_b64 s[4:5], -1, 0
	s_cmp_lg_u64 s[4:5], 0
	s_addc_u32 s4, s26, s12
	v_readlane_b32 s28, v55, 31
	s_mul_i32 s12, s28, s4
	s_mul_hi_u32 s26, s28, s13
	s_mul_hi_u32 s5, s28, s4
	s_add_u32 s12, s26, s12
	s_addc_u32 s5, 0, s5
	s_mul_hi_u32 s27, s31, s13
	s_mul_i32 s13, s31, s13
	s_add_u32 s12, s12, s13
	s_mul_hi_u32 s26, s31, s4
	s_addc_u32 s5, s5, s27
	s_addc_u32 s12, s26, 0
	s_mul_i32 s4, s31, s4
	s_add_u32 s4, s5, s4
	s_addc_u32 s5, 0, s12
	s_mul_i32 s5, s33, s5
	s_mul_hi_u32 s12, s33, s4
	s_add_i32 s12, s12, s5
	s_mul_i32 s4, s33, s4
	s_sub_u32 s13, s28, s4
	s_cselect_b64 s[4:5], -1, 0
	s_cmp_lg_u64 s[4:5], 0
	s_subb_u32 s12, s31, s12
	s_sub_u32 s26, s13, s33
	s_cselect_b64 s[4:5], -1, 0
	s_cmp_lg_u64 s[4:5], 0
	s_subb_u32 s27, s12, 0
	;; [unrolled: 4-line block ×3, first 2 shown]
	s_cmp_ge_u32 s26, s33
	s_cselect_b32 s5, -1, 0
	s_cmp_eq_u32 s27, 0
	s_cselect_b32 s5, s5, -1
	s_cmp_lg_u32 s5, 0
	s_cselect_b32 s4, s4, s27
	s_cselect_b32 s26, s28, s26
	s_cmp_ge_u32 s13, s33
	s_cselect_b32 s5, -1, 0
	s_cmp_eq_u32 s12, 0
	s_cselect_b32 s5, s5, -1
	s_cmp_lg_u32 s5, 0
	s_cselect_b32 s5, s4, s12
	s_cselect_b32 s4, s26, s13
	s_cbranch_execnz .LBB144_142
.LBB144_141:                            ;   in Loop: Header=BB144_6 Depth=1
	v_cvt_f32_u32_e32 v4, s33
	s_sub_i32 s4, 0, s33
	v_readlane_b32 s12, v55, 31
	v_rcp_iflag_f32_e32 v4, v4
	v_mul_f32_e32 v4, 0x4f7ffffe, v4
	v_cvt_u32_f32_e32 v4, v4
	v_readfirstlane_b32 s5, v4
	s_mul_i32 s4, s4, s5
	s_mul_hi_u32 s4, s5, s4
	s_add_i32 s5, s5, s4
	s_mul_hi_u32 s4, s12, s5
	s_mul_i32 s4, s4, s33
	s_sub_i32 s4, s12, s4
	s_sub_i32 s5, s4, s33
	s_cmp_ge_u32 s4, s33
	s_cselect_b32 s4, s5, s4
	s_sub_i32 s5, s4, s33
	s_cmp_ge_u32 s4, s33
	s_cselect_b32 s82, s5, s4
	s_mov_b64 s[4:5], s[82:83]
.LBB144_142:                            ;   in Loop: Header=BB144_6 Depth=1
	v_readlane_b32 s12, v55, 31
	s_sub_u32 s12, s12, s4
	s_subb_u32 s13, s31, s5
	v_cmp_gt_u64_e32 vcc, s[12:13], v[0:1]
                                        ; implicit-def: $vgpr5
	s_and_saveexec_b64 s[4:5], vcc
	s_cbranch_execz .LBB144_151
; %bb.143:                              ;   in Loop: Header=BB144_6 Depth=1
	v_mov_b32_e32 v6, v10
	v_mov_b32_e32 v9, v1
	s_mov_b64 s[26:27], 0
	v_mov_b32_e32 v7, v11
	v_mov_b32_e32 v8, v0
                                        ; implicit-def: $sgpr28_sgpr29
	s_branch .LBB144_146
.LBB144_144:                            ;   in Loop: Header=BB144_146 Depth=2
	s_or_b64 exec, exec, s[46:47]
	s_waitcnt lgkmcnt(0)
	s_barrier
	ds_read_b64 v[4:5], v13 offset:3072
	s_mov_b64 s[46:47], -1
	s_mov_b64 s[48:49], -1
	s_waitcnt lgkmcnt(0)
	s_barrier
	v_cmp_eq_u32_e32 vcc, 0, v4
	s_cbranch_vccnz .LBB144_149
.LBB144_145:                            ;   in Loop: Header=BB144_146 Depth=2
	s_and_b64 s[46:47], exec, s[46:47]
	s_or_b64 s[26:27], s[46:47], s[26:27]
	s_andn2_b64 s[28:29], s[28:29], exec
	s_and_b64 s[46:47], s[48:49], exec
	s_or_b64 s[28:29], s[28:29], s[46:47]
	s_andn2_b64 exec, exec, s[26:27]
	s_cbranch_execz .LBB144_150
.LBB144_146:                            ;   Parent Loop BB144_6 Depth=1
                                        ; =>  This Inner Loop Header: Depth=2
	v_cmp_gt_u64_e32 vcc, s[56:57], v[8:9]
	s_and_saveexec_b64 s[46:47], vcc
	s_cbranch_execz .LBB144_144
; %bb.147:                              ;   in Loop: Header=BB144_146 Depth=2
	global_load_dword v23, v[6:7], off
	s_waitcnt vmcnt(0)
	v_xor_b32_e32 v4, 0x80000000, v23
	v_and_b32_e32 v4, v4, v27
	v_cmp_eq_u32_e32 vcc, v4, v28
	s_and_b64 exec, exec, vcc
	s_cbranch_execz .LBB144_144
; %bb.148:                              ;   in Loop: Header=BB144_146 Depth=2
	ds_write_b64 v13, v[22:23] offset:3072
	s_branch .LBB144_144
.LBB144_149:                            ;   in Loop: Header=BB144_146 Depth=2
	v_add_co_u32_e32 v8, vcc, s33, v8
	s_mov_b32 s47, s31
	v_readlane_b32 s30, v55, 42
	v_addc_co_u32_e32 v9, vcc, 0, v9, vcc
	v_readlane_b32 s31, v55, 43
	v_mov_b32_e32 v4, s31
	v_add_co_u32_e32 v6, vcc, s30, v6
	v_addc_co_u32_e32 v7, vcc, v7, v4, vcc
	v_cmp_le_u64_e32 vcc, s[12:13], v[8:9]
	s_mov_b32 s31, s47
	s_mov_b64 s[48:49], 0
	s_orn2_b64 s[46:47], vcc, exec
	s_branch .LBB144_145
.LBB144_150:                            ;   in Loop: Header=BB144_6 Depth=1
	s_or_b64 exec, exec, s[26:27]
	s_andn2_b64 s[0:1], s[0:1], exec
	s_and_b64 s[12:13], s[28:29], exec
	s_or_b64 s[0:1], s[0:1], s[12:13]
.LBB144_151:                            ;   in Loop: Header=BB144_6 Depth=1
	s_or_b64 exec, exec, s[4:5]
	s_mov_b64 s[26:27], 0
	s_mov_b64 s[28:29], -1
.LBB144_152:                            ;   in Loop: Header=BB144_6 Depth=1
	s_orn2_b64 s[0:1], s[0:1], exec
.LBB144_153:                            ;   in Loop: Header=BB144_6 Depth=1
	s_or_b64 exec, exec, s[42:43]
	s_mov_b64 s[4:5], 0
	s_and_saveexec_b64 s[42:43], s[0:1]
	s_cbranch_execz .LBB144_263
; %bb.154:                              ;   in Loop: Header=BB144_6 Depth=1
	v_mov_b32_e32 v6, 1
	s_xor_b64 s[12:13], s[44:45], -1
	v_mov_b32_e32 v12, 1
	v_mov_b32_e32 v7, 0
	s_and_saveexec_b64 s[0:1], s[12:13]
	s_cbranch_execz .LBB144_163
; %bb.155:                              ;   in Loop: Header=BB144_6 Depth=1
	v_cmp_ge_u64_e32 vcc, s[20:21], v[2:3]
	s_and_saveexec_b64 s[4:5], vcc
	s_xor_b64 s[4:5], exec, s[4:5]
	s_cbranch_execz .LBB144_160
; %bb.156:                              ;   in Loop: Header=BB144_6 Depth=1
	ds_read_b64 v[6:7], v13 offset:5120
	v_and_b32_e32 v4, s89, v28
	v_lshl_or_b32 v28, 1, s61, v4
	v_or_b32_e32 v27, s88, v27
	s_waitcnt lgkmcnt(0)
	v_cmp_ne_u64_e32 vcc, 0, v[6:7]
	s_cbranch_vccnz .LBB144_160
; %bb.157:                              ;   in Loop: Header=BB144_6 Depth=1
	s_mov_b32 s47, s31
	v_readlane_b32 s30, v55, 8
	v_readlane_b32 s31, v55, 9
	s_and_saveexec_b64 s[12:13], s[30:31]
; %bb.158:                              ;   in Loop: Header=BB144_6 Depth=1
	v_mov_b32_e32 v6, s20
	v_mov_b32_e32 v7, s21
	ds_write_b64 v13, v[6:7] offset:5128
; %bb.159:                              ;   in Loop: Header=BB144_6 Depth=1
	s_or_b64 exec, exec, s[12:13]
	s_mov_b32 s31, s47
	s_waitcnt lgkmcnt(0)
	s_barrier
.LBB144_160:                            ;   in Loop: Header=BB144_6 Depth=1
	s_or_saveexec_b64 s[4:5], s[4:5]
	s_mov_b64 s[12:13], 0
	v_mov_b32_e32 v12, 8
	s_xor_b64 exec, exec, s[4:5]
; %bb.161:                              ;   in Loop: Header=BB144_6 Depth=1
	v_subrev_co_u32_e32 v2, vcc, s20, v2
	v_mov_b32_e32 v4, s21
	v_subb_co_u32_e32 v3, vcc, v3, v4, vcc
	v_mov_b32_e32 v12, 0
	s_mov_b64 s[12:13], exec
; %bb.162:                              ;   in Loop: Header=BB144_6 Depth=1
	s_or_b64 exec, exec, s[4:5]
	v_mov_b32_e32 v7, v3
	s_and_b64 s[4:5], s[12:13], exec
	v_mov_b32_e32 v6, v2
.LBB144_163:                            ;   in Loop: Header=BB144_6 Depth=1
	s_or_b64 exec, exec, s[0:1]
	s_mov_b64 s[0:1], -1
                                        ; implicit-def: $sgpr46_sgpr47
                                        ; implicit-def: $sgpr48_sgpr49
	s_and_saveexec_b64 s[44:45], s[4:5]
	s_cbranch_execz .LBB144_262
; %bb.164:                              ;   in Loop: Header=BB144_6 Depth=1
	s_cmp_eq_u64 s[22:23], 1
	v_cmp_eq_u64_e32 vcc, 1, v[6:7]
	s_cselect_b64 s[0:1], -1, 0
	s_and_b64 s[52:53], s[0:1], vcc
	s_mov_b64 s[0:1], -1
                                        ; implicit-def: $sgpr48_sgpr49
                                        ; implicit-def: $sgpr46_sgpr47
	s_and_saveexec_b64 s[50:51], s[52:53]
	s_cbranch_execz .LBB144_198
; %bb.165:                              ;   in Loop: Header=BB144_6 Depth=1
	ds_read_b64 v[2:3], v13 offset:5120
	s_waitcnt lgkmcnt(0)
	s_barrier
	v_readfirstlane_b32 s4, v2
	v_readfirstlane_b32 s5, v3
	s_mov_b64 s[0:1], exec
	v_readlane_b32 s12, v55, 26
	v_readlane_b32 s13, v55, 27
	s_and_b64 s[12:13], s[0:1], s[12:13]
	s_mov_b64 exec, s[12:13]
; %bb.166:                              ;   in Loop: Header=BB144_6 Depth=1
	ds_write_b32 v33, v13
; %bb.167:                              ;   in Loop: Header=BB144_6 Depth=1
	s_or_b64 exec, exec, s[0:1]
	v_and_b32_e32 v2, s89, v28
	v_lshl_or_b32 v28, 2, s61, v2
	v_or_b32_e32 v27, s88, v27
	s_mov_b64 s[46:47], -1
	s_mov_b64 s[48:49], 0
	s_cmp_eq_u64 s[4:5], 0
	s_mov_b64 s[0:1], 0
	s_mov_b64 s[12:13], -1
	s_waitcnt lgkmcnt(0)
	s_barrier
                                        ; implicit-def: $vgpr5
	s_cbranch_scc1 .LBB144_183
; %bb.168:                              ;   in Loop: Header=BB144_6 Depth=1
	v_readlane_b32 s0, v55, 30
	s_add_u32 s70, s4, s0
	v_readlane_b32 s0, v55, 32
	s_addc_u32 s1, s5, s0
	s_mov_b32 s0, s83
	s_cmp_lg_u64 s[0:1], 0
	s_cbranch_scc0 .LBB144_215
; %bb.169:                              ;   in Loop: Header=BB144_6 Depth=1
	v_cvt_f32_u32_e32 v2, s33
	s_sub_u32 s0, 0, s33
	s_subb_u32 s54, 0, 0
	v_mac_f32_e32 v2, 0, v40
	v_rcp_f32_e32 v2, v2
	v_mul_f32_e32 v2, 0x5f7ffffc, v2
	v_mul_f32_e32 v3, 0x2f800000, v2
	v_trunc_f32_e32 v3, v3
	v_mac_f32_e32 v2, 0xcf800000, v3
	v_cvt_u32_f32_e32 v3, v3
	v_cvt_u32_f32_e32 v2, v2
	v_readfirstlane_b32 s55, v3
	v_readfirstlane_b32 s12, v2
	s_mul_i32 s13, s0, s55
	s_mul_hi_u32 s78, s0, s12
	s_mul_i32 s71, s54, s12
	s_add_i32 s13, s78, s13
	s_mul_i32 s79, s0, s12
	s_add_i32 s13, s13, s71
	s_mul_hi_u32 s78, s12, s79
	s_mul_i32 s82, s12, s13
	s_mul_hi_u32 s71, s12, s13
	s_add_u32 s78, s78, s82
	s_addc_u32 s71, 0, s71
	s_mul_hi_u32 s84, s55, s79
	s_mul_i32 s79, s55, s79
	s_add_u32 s78, s78, s79
	s_mul_hi_u32 s82, s55, s13
	s_addc_u32 s71, s71, s84
	s_addc_u32 s78, s82, 0
	s_mul_i32 s13, s55, s13
	s_add_u32 s13, s71, s13
	s_addc_u32 s71, 0, s78
	s_add_u32 s78, s12, s13
	s_cselect_b64 s[12:13], -1, 0
	s_cmp_lg_u64 s[12:13], 0
	s_addc_u32 s55, s55, s71
	s_mul_i32 s12, s0, s55
	s_mul_hi_u32 s13, s0, s78
	s_add_i32 s12, s13, s12
	s_mul_i32 s54, s54, s78
	s_add_i32 s12, s12, s54
	s_mul_i32 s0, s0, s78
	s_mul_hi_u32 s54, s55, s0
	s_mul_i32 s71, s55, s0
	s_mul_i32 s82, s78, s12
	s_mul_hi_u32 s0, s78, s0
	s_mul_hi_u32 s79, s78, s12
	s_add_u32 s0, s0, s82
	s_addc_u32 s79, 0, s79
	s_add_u32 s0, s0, s71
	s_mul_hi_u32 s13, s55, s12
	s_addc_u32 s0, s79, s54
	s_addc_u32 s13, s13, 0
	s_mul_i32 s12, s55, s12
	s_add_u32 s0, s0, s12
	s_addc_u32 s54, 0, s13
	s_add_u32 s0, s78, s0
	s_cselect_b64 s[12:13], -1, 0
	s_cmp_lg_u64 s[12:13], 0
	s_addc_u32 s12, s55, s54
	s_mul_i32 s54, s70, s12
	s_mul_hi_u32 s55, s70, s0
	s_mul_hi_u32 s13, s70, s12
	s_add_u32 s54, s55, s54
	s_addc_u32 s13, 0, s13
	s_mul_hi_u32 s71, s1, s0
	s_mul_i32 s0, s1, s0
	s_add_u32 s0, s54, s0
	s_mul_hi_u32 s55, s1, s12
	s_addc_u32 s0, s13, s71
	s_addc_u32 s13, s55, 0
	s_mul_i32 s12, s1, s12
	s_add_u32 s0, s0, s12
	s_addc_u32 s12, 0, s13
	s_mul_i32 s12, s33, s12
	s_mul_hi_u32 s13, s33, s0
	s_add_i32 s54, s13, s12
	s_mul_i32 s0, s33, s0
	s_sub_u32 s0, s70, s0
	s_cselect_b64 s[12:13], -1, 0
	s_cmp_lg_u64 s[12:13], 0
	s_subb_u32 s54, s1, s54
	s_sub_u32 s55, s0, s33
	s_cselect_b64 s[12:13], -1, 0
	s_cmp_lg_u64 s[12:13], 0
	s_subb_u32 s71, s54, 0
	;; [unrolled: 4-line block ×3, first 2 shown]
	s_cmp_ge_u32 s55, s33
	s_cselect_b32 s13, -1, 0
	s_cmp_eq_u32 s71, 0
	s_cselect_b32 s13, s13, -1
	s_cmp_lg_u32 s13, 0
	s_cselect_b32 s12, s12, s71
	s_cselect_b32 s55, s78, s55
	s_cmp_ge_u32 s0, s33
	s_cselect_b32 s13, -1, 0
	s_cmp_eq_u32 s54, 0
	s_cselect_b32 s13, s13, -1
	s_cmp_lg_u32 s13, 0
	s_cselect_b32 s13, s12, s54
	s_cselect_b32 s12, s55, s0
	s_cbranch_execnz .LBB144_171
.LBB144_170:                            ;   in Loop: Header=BB144_6 Depth=1
	v_cvt_f32_u32_e32 v2, s33
	s_sub_i32 s0, 0, s33
	v_rcp_iflag_f32_e32 v2, v2
	v_mul_f32_e32 v2, 0x4f7ffffe, v2
	v_cvt_u32_f32_e32 v2, v2
	v_readfirstlane_b32 s12, v2
	s_mul_i32 s0, s0, s12
	s_mul_hi_u32 s0, s12, s0
	s_add_i32 s12, s12, s0
	s_mul_hi_u32 s0, s70, s12
	s_mul_i32 s0, s0, s33
	s_sub_i32 s0, s70, s0
	s_sub_i32 s12, s0, s33
	s_cmp_ge_u32 s0, s33
	s_cselect_b32 s0, s12, s0
	s_sub_i32 s12, s0, s33
	s_cmp_ge_u32 s0, s33
	s_cselect_b32 s82, s12, s0
	s_mov_b64 s[12:13], s[82:83]
.LBB144_171:                            ;   in Loop: Header=BB144_6 Depth=1
	s_sub_u32 s70, s70, s12
	s_subb_u32 s71, s1, s13
	v_cmp_gt_u64_e32 vcc, s[70:71], v[0:1]
	s_mov_b64 s[12:13], 0
	s_mov_b64 s[0:1], 0
                                        ; implicit-def: $vgpr5
	s_and_saveexec_b64 s[54:55], vcc
	s_cbranch_execz .LBB144_182
; %bb.172:                              ;   in Loop: Header=BB144_6 Depth=1
	v_mov_b32_e32 v3, v1
	v_mov_b32_e32 v8, v14
	;; [unrolled: 1-line block ×3, first 2 shown]
                                        ; implicit-def: $sgpr78_sgpr79
	s_branch .LBB144_175
.LBB144_173:                            ;   in Loop: Header=BB144_175 Depth=2
	s_or_b64 exec, exec, s[84:85]
	s_waitcnt lgkmcnt(0)
	s_barrier
	ds_read_b64 v[4:5], v13 offset:3072
	s_mov_b64 s[84:85], -1
	s_mov_b64 s[86:87], -1
	s_waitcnt lgkmcnt(0)
	s_barrier
	v_cmp_ne_u32_e32 vcc, 0, v4
	s_cbranch_vccz .LBB144_178
.LBB144_174:                            ;   in Loop: Header=BB144_175 Depth=2
	s_and_b64 s[84:85], exec, s[84:85]
	s_or_b64 s[0:1], s[84:85], s[0:1]
	s_andn2_b64 s[78:79], s[78:79], exec
	s_and_b64 s[84:85], s[86:87], exec
	s_or_b64 s[78:79], s[78:79], s[84:85]
	s_andn2_b64 exec, exec, s[0:1]
	s_cbranch_execz .LBB144_181
.LBB144_175:                            ;   Parent Loop BB144_6 Depth=1
                                        ; =>  This Inner Loop Header: Depth=2
	v_cmp_gt_u64_e32 vcc, s[4:5], v[2:3]
	s_and_saveexec_b64 s[84:85], vcc
	s_cbranch_execz .LBB144_173
; %bb.176:                              ;   in Loop: Header=BB144_175 Depth=2
	ds_read_b32 v23, v8
	s_waitcnt lgkmcnt(0)
	v_xor_b32_e32 v4, 0x80000000, v23
	v_and_b32_e32 v4, v4, v27
	v_cmp_eq_u32_e32 vcc, v4, v28
	s_and_b64 exec, exec, vcc
	s_cbranch_execz .LBB144_173
; %bb.177:                              ;   in Loop: Header=BB144_175 Depth=2
	ds_write_b64 v13, v[22:23] offset:3072
	s_branch .LBB144_173
.LBB144_178:                            ;   in Loop: Header=BB144_175 Depth=2
	v_add_co_u32_e32 v2, vcc, s33, v2
	v_addc_co_u32_e32 v3, vcc, 0, v3, vcc
	v_cmp_le_u64_e32 vcc, s[70:71], v[2:3]
	v_readlane_b32 s30, v55, 41
	v_add_u32_e32 v8, s30, v8
	s_mov_b64 s[86:87], 0
	s_orn2_b64 s[84:85], vcc, exec
	s_branch .LBB144_174
.LBB144_179:                            ;   in Loop: Header=BB144_6 Depth=1
                                        ; implicit-def: $sgpr12_sgpr13
	s_branch .LBB144_125
.LBB144_180:                            ;   in Loop: Header=BB144_6 Depth=1
                                        ; implicit-def: $sgpr4_sgpr5
	s_branch .LBB144_141
.LBB144_181:                            ;   in Loop: Header=BB144_6 Depth=1
	s_or_b64 exec, exec, s[0:1]
	s_and_b64 s[0:1], s[78:79], exec
.LBB144_182:                            ;   in Loop: Header=BB144_6 Depth=1
	s_or_b64 exec, exec, s[54:55]
.LBB144_183:                            ;   in Loop: Header=BB144_6 Depth=1
	s_and_b64 vcc, exec, s[12:13]
	s_cbranch_vccz .LBB144_197
; %bb.184:                              ;   in Loop: Header=BB144_6 Depth=1
	s_mov_b32 s30, s83
	s_cmp_lg_u64 s[30:31], 0
	s_mov_b32 s69, s31
	s_cbranch_scc0 .LBB144_216
; %bb.185:                              ;   in Loop: Header=BB144_6 Depth=1
	v_cvt_f32_u32_e32 v2, s33
	s_sub_u32 s12, 0, s33
	s_subb_u32 s13, 0, 0
	v_readlane_b32 s30, v55, 31
	v_mac_f32_e32 v2, 0, v40
	v_rcp_f32_e32 v2, v2
	s_mov_b32 s31, s69
	v_mul_f32_e32 v2, 0x5f7ffffc, v2
	v_mul_f32_e32 v3, 0x2f800000, v2
	v_trunc_f32_e32 v3, v3
	v_mac_f32_e32 v2, 0xcf800000, v3
	v_cvt_u32_f32_e32 v3, v3
	v_cvt_u32_f32_e32 v2, v2
	v_readfirstlane_b32 s46, v3
	v_readfirstlane_b32 s4, v2
	s_mul_i32 s5, s12, s46
	s_mul_hi_u32 s48, s12, s4
	s_mul_i32 s47, s13, s4
	s_add_i32 s5, s48, s5
	s_mul_i32 s49, s12, s4
	s_add_i32 s5, s5, s47
	s_mul_hi_u32 s48, s4, s49
	s_mul_i32 s54, s4, s5
	s_mul_hi_u32 s47, s4, s5
	s_add_u32 s48, s48, s54
	s_addc_u32 s47, 0, s47
	s_mul_hi_u32 s55, s46, s49
	s_mul_i32 s49, s46, s49
	s_add_u32 s48, s48, s49
	s_mul_hi_u32 s54, s46, s5
	s_addc_u32 s47, s47, s55
	s_addc_u32 s48, s54, 0
	s_mul_i32 s5, s46, s5
	s_add_u32 s5, s47, s5
	s_addc_u32 s47, 0, s48
	s_add_u32 s48, s4, s5
	s_cselect_b64 s[4:5], -1, 0
	s_cmp_lg_u64 s[4:5], 0
	s_addc_u32 s46, s46, s47
	s_mul_i32 s4, s12, s46
	s_mul_hi_u32 s5, s12, s48
	s_add_i32 s4, s5, s4
	s_mul_i32 s13, s13, s48
	s_add_i32 s4, s4, s13
	s_mul_i32 s12, s12, s48
	s_mul_hi_u32 s13, s46, s12
	s_mul_i32 s47, s46, s12
	s_mul_i32 s54, s48, s4
	s_mul_hi_u32 s12, s48, s12
	s_mul_hi_u32 s49, s48, s4
	s_add_u32 s12, s12, s54
	s_addc_u32 s49, 0, s49
	s_add_u32 s12, s12, s47
	s_mul_hi_u32 s5, s46, s4
	s_addc_u32 s12, s49, s13
	s_addc_u32 s5, s5, 0
	s_mul_i32 s4, s46, s4
	s_add_u32 s4, s12, s4
	s_addc_u32 s12, 0, s5
	s_add_u32 s13, s48, s4
	s_cselect_b64 s[4:5], -1, 0
	s_cmp_lg_u64 s[4:5], 0
	s_addc_u32 s4, s46, s12
	s_mul_i32 s12, s30, s4
	s_mul_hi_u32 s46, s30, s13
	s_mul_hi_u32 s5, s30, s4
	s_add_u32 s12, s46, s12
	s_addc_u32 s5, 0, s5
	s_mul_hi_u32 s47, s69, s13
	s_mul_i32 s13, s69, s13
	s_add_u32 s12, s12, s13
	s_mul_hi_u32 s46, s69, s4
	s_addc_u32 s5, s5, s47
	s_addc_u32 s12, s46, 0
	s_mul_i32 s4, s69, s4
	s_add_u32 s4, s5, s4
	s_addc_u32 s5, 0, s12
	s_mul_i32 s5, s33, s5
	s_mul_hi_u32 s12, s33, s4
	s_add_i32 s12, s12, s5
	s_mul_i32 s4, s33, s4
	s_sub_u32 s13, s30, s4
	s_cselect_b64 s[4:5], -1, 0
	s_cmp_lg_u64 s[4:5], 0
	s_subb_u32 s12, s69, s12
	s_sub_u32 s46, s13, s33
	s_cselect_b64 s[4:5], -1, 0
	s_cmp_lg_u64 s[4:5], 0
	s_subb_u32 s47, s12, 0
	;; [unrolled: 4-line block ×3, first 2 shown]
	s_cmp_ge_u32 s46, s33
	s_cselect_b32 s5, -1, 0
	s_cmp_eq_u32 s47, 0
	s_cselect_b32 s5, s5, -1
	s_cmp_lg_u32 s5, 0
	s_cselect_b32 s4, s4, s47
	s_cselect_b32 s46, s48, s46
	s_cmp_ge_u32 s13, s33
	s_cselect_b32 s5, -1, 0
	s_cmp_eq_u32 s12, 0
	s_cselect_b32 s5, s5, -1
	s_cmp_lg_u32 s5, 0
	s_cselect_b32 s5, s4, s12
	s_cselect_b32 s4, s46, s13
	s_cbranch_execnz .LBB144_187
.LBB144_186:                            ;   in Loop: Header=BB144_6 Depth=1
	v_cvt_f32_u32_e32 v2, s33
	s_sub_i32 s4, 0, s33
	v_readlane_b32 s12, v55, 31
	v_rcp_iflag_f32_e32 v2, v2
	v_mul_f32_e32 v2, 0x4f7ffffe, v2
	v_cvt_u32_f32_e32 v2, v2
	v_readfirstlane_b32 s5, v2
	s_mul_i32 s4, s4, s5
	s_mul_hi_u32 s4, s5, s4
	s_add_i32 s5, s5, s4
	s_mul_hi_u32 s4, s12, s5
	s_mul_i32 s4, s4, s33
	s_sub_i32 s4, s12, s4
	s_sub_i32 s5, s4, s33
	s_cmp_ge_u32 s4, s33
	s_cselect_b32 s4, s5, s4
	s_sub_i32 s5, s4, s33
	s_cmp_ge_u32 s4, s33
	s_cselect_b32 s82, s5, s4
	s_mov_b64 s[4:5], s[82:83]
.LBB144_187:                            ;   in Loop: Header=BB144_6 Depth=1
	v_readlane_b32 s12, v55, 31
	s_sub_u32 s12, s12, s4
	s_subb_u32 s13, s31, s5
	v_cmp_gt_u64_e32 vcc, s[12:13], v[0:1]
                                        ; implicit-def: $vgpr5
	s_and_saveexec_b64 s[4:5], vcc
	s_cbranch_execz .LBB144_196
; %bb.188:                              ;   in Loop: Header=BB144_6 Depth=1
	v_mov_b32_e32 v2, v10
	v_mov_b32_e32 v9, v1
	s_mov_b64 s[46:47], 0
	v_mov_b32_e32 v3, v11
	v_mov_b32_e32 v8, v0
                                        ; implicit-def: $sgpr48_sgpr49
	s_branch .LBB144_191
.LBB144_189:                            ;   in Loop: Header=BB144_191 Depth=2
	s_or_b64 exec, exec, s[54:55]
	s_waitcnt lgkmcnt(0)
	s_barrier
	ds_read_b64 v[4:5], v13 offset:3072
	s_mov_b64 s[54:55], -1
	s_mov_b64 s[70:71], -1
	s_waitcnt lgkmcnt(0)
	s_barrier
	v_cmp_eq_u32_e32 vcc, 0, v4
	s_cbranch_vccnz .LBB144_194
.LBB144_190:                            ;   in Loop: Header=BB144_191 Depth=2
	s_and_b64 s[54:55], exec, s[54:55]
	s_or_b64 s[46:47], s[54:55], s[46:47]
	s_andn2_b64 s[48:49], s[48:49], exec
	s_and_b64 s[54:55], s[70:71], exec
	s_or_b64 s[48:49], s[48:49], s[54:55]
	s_andn2_b64 exec, exec, s[46:47]
	s_cbranch_execz .LBB144_195
.LBB144_191:                            ;   Parent Loop BB144_6 Depth=1
                                        ; =>  This Inner Loop Header: Depth=2
	v_cmp_gt_u64_e32 vcc, s[56:57], v[8:9]
	s_and_saveexec_b64 s[54:55], vcc
	s_cbranch_execz .LBB144_189
; %bb.192:                              ;   in Loop: Header=BB144_191 Depth=2
	global_load_dword v23, v[2:3], off
	s_waitcnt vmcnt(0)
	v_xor_b32_e32 v4, 0x80000000, v23
	v_and_b32_e32 v4, v4, v27
	v_cmp_eq_u32_e32 vcc, v4, v28
	s_and_b64 exec, exec, vcc
	s_cbranch_execz .LBB144_189
; %bb.193:                              ;   in Loop: Header=BB144_191 Depth=2
	ds_write_b64 v13, v[22:23] offset:3072
	s_branch .LBB144_189
.LBB144_194:                            ;   in Loop: Header=BB144_191 Depth=2
	v_add_co_u32_e32 v8, vcc, s33, v8
	v_readlane_b32 s30, v55, 42
	v_addc_co_u32_e32 v9, vcc, 0, v9, vcc
	v_readlane_b32 s31, v55, 43
	v_mov_b32_e32 v4, s31
	v_add_co_u32_e32 v2, vcc, s30, v2
	v_addc_co_u32_e32 v3, vcc, v3, v4, vcc
	v_cmp_le_u64_e32 vcc, s[12:13], v[8:9]
	s_mov_b32 s31, s69
	s_mov_b64 s[70:71], 0
	s_orn2_b64 s[54:55], vcc, exec
	s_branch .LBB144_190
.LBB144_195:                            ;   in Loop: Header=BB144_6 Depth=1
	s_or_b64 exec, exec, s[46:47]
	s_andn2_b64 s[0:1], s[0:1], exec
	s_and_b64 s[12:13], s[48:49], exec
	s_or_b64 s[0:1], s[0:1], s[12:13]
.LBB144_196:                            ;   in Loop: Header=BB144_6 Depth=1
	s_or_b64 exec, exec, s[4:5]
	s_mov_b64 s[46:47], 0
	s_mov_b64 s[48:49], -1
.LBB144_197:                            ;   in Loop: Header=BB144_6 Depth=1
	s_orn2_b64 s[0:1], s[0:1], exec
.LBB144_198:                            ;   in Loop: Header=BB144_6 Depth=1
	s_or_b64 exec, exec, s[50:51]
	s_mov_b64 s[4:5], 0
	s_and_saveexec_b64 s[50:51], s[0:1]
	s_cbranch_execz .LBB144_261
; %bb.199:                              ;   in Loop: Header=BB144_6 Depth=1
	v_mov_b32_e32 v2, 1
	s_xor_b64 s[4:5], s[52:53], -1
	v_mov_b32_e32 v12, 1
	v_mov_b32_e32 v3, 0
	s_mov_b64 s[54:55], 0
	s_and_saveexec_b64 s[0:1], s[4:5]
	s_cbranch_execz .LBB144_208
; %bb.200:                              ;   in Loop: Header=BB144_6 Depth=1
	v_cmp_ge_u64_e32 vcc, s[22:23], v[6:7]
	s_and_saveexec_b64 s[4:5], vcc
	s_xor_b64 s[4:5], exec, s[4:5]
	s_cbranch_execz .LBB144_205
; %bb.201:                              ;   in Loop: Header=BB144_6 Depth=1
	v_and_b32_e32 v2, s89, v28
	v_lshl_or_b32 v28, 2, s61, v2
	ds_read_b64 v[2:3], v13 offset:5120
	v_or_b32_e32 v27, s88, v27
	s_waitcnt lgkmcnt(0)
	v_cmp_ne_u64_e32 vcc, 0, v[2:3]
	s_cbranch_vccnz .LBB144_205
; %bb.202:                              ;   in Loop: Header=BB144_6 Depth=1
	s_mov_b32 s55, s31
	v_readlane_b32 s30, v55, 8
	v_readlane_b32 s31, v55, 9
	s_and_saveexec_b64 s[12:13], s[30:31]
; %bb.203:                              ;   in Loop: Header=BB144_6 Depth=1
	v_mov_b32_e32 v2, s22
	v_mov_b32_e32 v3, s23
	ds_write_b64 v13, v[2:3] offset:5128
; %bb.204:                              ;   in Loop: Header=BB144_6 Depth=1
	s_or_b64 exec, exec, s[12:13]
	s_mov_b32 s31, s55
	s_waitcnt lgkmcnt(0)
	s_barrier
.LBB144_205:                            ;   in Loop: Header=BB144_6 Depth=1
	s_or_saveexec_b64 s[4:5], s[4:5]
	s_mov_b64 s[12:13], 0
	v_mov_b32_e32 v12, 8
	s_xor_b64 exec, exec, s[4:5]
; %bb.206:                              ;   in Loop: Header=BB144_6 Depth=1
	v_subrev_co_u32_e32 v6, vcc, s22, v6
	v_mov_b32_e32 v2, s23
	v_subb_co_u32_e32 v7, vcc, v7, v2, vcc
	v_mov_b32_e32 v12, 0
	s_mov_b64 s[12:13], exec
; %bb.207:                              ;   in Loop: Header=BB144_6 Depth=1
	s_or_b64 exec, exec, s[4:5]
	v_mov_b32_e32 v2, v6
	s_and_b64 s[54:55], s[12:13], exec
	v_mov_b32_e32 v3, v7
.LBB144_208:                            ;   in Loop: Header=BB144_6 Depth=1
	s_or_b64 exec, exec, s[0:1]
	s_mov_b64 s[12:13], -1
                                        ; implicit-def: $sgpr4_sgpr5
                                        ; implicit-def: $sgpr84_sgpr85
	s_and_saveexec_b64 s[52:53], s[54:55]
	s_cbranch_execz .LBB144_260
; %bb.209:                              ;   in Loop: Header=BB144_6 Depth=1
	s_cmp_eq_u64 s[24:25], 1
	v_cmp_eq_u64_e32 vcc, 1, v[2:3]
	s_cselect_b64 s[0:1], -1, 0
	s_mov_b64 s[78:79], -1
	s_and_b64 s[0:1], s[0:1], vcc
                                        ; implicit-def: $sgpr4_sgpr5
                                        ; implicit-def: $sgpr84_sgpr85
	s_mov_b64 s[70:71], exec
	v_writelane_b32 v55, s0, 50
	v_writelane_b32 v55, s1, 51
	s_and_b64 s[0:1], s[70:71], s[0:1]
	s_mov_b64 exec, s[0:1]
	s_cbranch_execz .LBB144_248
; %bb.210:                              ;   in Loop: Header=BB144_6 Depth=1
	ds_read_b64 v[4:5], v13 offset:5120
	s_waitcnt lgkmcnt(0)
	s_barrier
	v_readfirstlane_b32 s78, v4
	v_readfirstlane_b32 s79, v5
	s_mov_b64 s[0:1], exec
	v_readlane_b32 s4, v55, 26
	v_readlane_b32 s5, v55, 27
	s_and_b64 s[4:5], s[0:1], s[4:5]
	s_mov_b64 exec, s[4:5]
; %bb.211:                              ;   in Loop: Header=BB144_6 Depth=1
	ds_write_b32 v33, v13
; %bb.212:                              ;   in Loop: Header=BB144_6 Depth=1
	s_or_b64 exec, exec, s[0:1]
	v_or_b32_e32 v28, s88, v28
	v_or_b32_e32 v27, s88, v27
	s_mov_b64 s[4:5], 0
	s_cmp_eq_u64 s[78:79], 0
	s_mov_b64 s[12:13], 0
	s_mov_b64 s[84:85], -1
	s_waitcnt lgkmcnt(0)
	s_barrier
                                        ; implicit-def: $vgpr5
	s_cbranch_scc1 .LBB144_230
; %bb.213:                              ;   in Loop: Header=BB144_6 Depth=1
	v_writelane_b32 v55, s70, 52
	v_writelane_b32 v55, s71, 53
	v_readlane_b32 s0, v55, 30
	s_add_u32 s0, s78, s0
	v_readlane_b32 s1, v55, 32
	s_addc_u32 s13, s79, s1
	s_mov_b32 s12, s83
	s_cmp_lg_u64 s[12:13], 0
	s_cbranch_scc0 .LBB144_217
; %bb.214:                              ;   in Loop: Header=BB144_6 Depth=1
	v_cvt_f32_u32_e32 v4, s33
	s_sub_u32 s1, 0, s33
	s_subb_u32 s12, 0, 0
	v_mac_f32_e32 v4, 0, v40
	v_rcp_f32_e32 v4, v4
	v_mul_f32_e32 v4, 0x5f7ffffc, v4
	v_mul_f32_e32 v5, 0x2f800000, v4
	v_trunc_f32_e32 v5, v5
	v_mac_f32_e32 v4, 0xcf800000, v5
	v_cvt_u32_f32_e32 v5, v5
	v_cvt_u32_f32_e32 v4, v4
	v_readfirstlane_b32 s70, v5
	v_readfirstlane_b32 s54, v4
	s_mul_i32 s55, s1, s70
	s_mul_hi_u32 s82, s1, s54
	s_mul_i32 s71, s12, s54
	s_add_i32 s55, s82, s55
	s_mul_i32 s84, s1, s54
	s_add_i32 s55, s55, s71
	s_mul_hi_u32 s82, s54, s84
	s_mul_i32 s85, s54, s55
	s_mul_hi_u32 s71, s54, s55
	s_add_u32 s82, s82, s85
	s_addc_u32 s71, 0, s71
	s_mul_hi_u32 s86, s70, s84
	s_mul_i32 s84, s70, s84
	s_add_u32 s82, s82, s84
	s_mul_hi_u32 s85, s70, s55
	s_addc_u32 s71, s71, s86
	s_addc_u32 s82, s85, 0
	s_mul_i32 s55, s70, s55
	s_add_u32 s55, s71, s55
	s_addc_u32 s71, 0, s82
	s_add_u32 s82, s54, s55
	s_cselect_b64 s[54:55], -1, 0
	s_cmp_lg_u64 s[54:55], 0
	s_addc_u32 s70, s70, s71
	s_mul_i32 s54, s1, s70
	s_mul_hi_u32 s55, s1, s82
	s_add_i32 s54, s55, s54
	s_mul_i32 s12, s12, s82
	s_add_i32 s54, s54, s12
	s_mul_i32 s1, s1, s82
	s_mul_hi_u32 s55, s70, s1
	s_mul_i32 s71, s70, s1
	s_mul_i32 s85, s82, s54
	s_mul_hi_u32 s1, s82, s1
	s_mul_hi_u32 s84, s82, s54
	s_add_u32 s1, s1, s85
	s_addc_u32 s84, 0, s84
	s_add_u32 s1, s1, s71
	s_mul_hi_u32 s12, s70, s54
	s_addc_u32 s1, s84, s55
	s_addc_u32 s12, s12, 0
	s_mul_i32 s54, s70, s54
	s_add_u32 s1, s1, s54
	s_addc_u32 s12, 0, s12
	s_add_u32 s1, s82, s1
	s_cselect_b64 s[54:55], -1, 0
	s_cmp_lg_u64 s[54:55], 0
	s_addc_u32 s12, s70, s12
	s_mul_i32 s55, s0, s12
	s_mul_hi_u32 s70, s0, s1
	s_mul_hi_u32 s54, s0, s12
	s_add_u32 s55, s70, s55
	s_addc_u32 s54, 0, s54
	s_mul_hi_u32 s71, s13, s1
	s_mul_i32 s1, s13, s1
	s_add_u32 s1, s55, s1
	s_mul_hi_u32 s70, s13, s12
	s_addc_u32 s1, s54, s71
	s_addc_u32 s54, s70, 0
	s_mul_i32 s12, s13, s12
	s_add_u32 s1, s1, s12
	s_addc_u32 s12, 0, s54
	s_mul_i32 s12, s33, s12
	s_mul_hi_u32 s54, s33, s1
	s_add_i32 s12, s54, s12
	s_mul_i32 s1, s33, s1
	s_sub_u32 s1, s0, s1
	s_cselect_b64 s[54:55], -1, 0
	s_cmp_lg_u64 s[54:55], 0
	s_subb_u32 s12, s13, s12
	s_sub_u32 s70, s1, s33
	s_cselect_b64 s[54:55], -1, 0
	s_cmp_lg_u64 s[54:55], 0
	s_subb_u32 s71, s12, 0
	;; [unrolled: 4-line block ×3, first 2 shown]
	s_cmp_ge_u32 s70, s33
	s_cselect_b32 s55, -1, 0
	s_cmp_eq_u32 s71, 0
	s_cselect_b32 s55, s55, -1
	s_cmp_lg_u32 s55, 0
	s_cselect_b32 s54, s54, s71
	s_cselect_b32 s55, s82, s70
	s_cmp_ge_u32 s1, s33
	s_cselect_b32 s70, -1, 0
	s_cmp_eq_u32 s12, 0
	s_cselect_b32 s70, s70, -1
	s_cmp_lg_u32 s70, 0
	s_cselect_b32 s85, s54, s12
	s_cselect_b32 s84, s55, s1
	s_mov_b64 s[54:55], 0
	s_branch .LBB144_218
.LBB144_215:                            ;   in Loop: Header=BB144_6 Depth=1
                                        ; implicit-def: $sgpr12_sgpr13
	s_branch .LBB144_170
.LBB144_216:                            ;   in Loop: Header=BB144_6 Depth=1
                                        ; implicit-def: $sgpr4_sgpr5
	s_branch .LBB144_186
.LBB144_217:                            ;   in Loop: Header=BB144_6 Depth=1
	s_mov_b64 s[54:55], -1
                                        ; implicit-def: $sgpr84_sgpr85
.LBB144_218:                            ;   in Loop: Header=BB144_6 Depth=1
	s_andn2_b64 vcc, exec, s[54:55]
	s_cbranch_vccnz .LBB144_220
; %bb.219:                              ;   in Loop: Header=BB144_6 Depth=1
	v_cvt_f32_u32_e32 v4, s33
	s_sub_i32 s1, 0, s33
	v_rcp_iflag_f32_e32 v4, v4
	v_mul_f32_e32 v4, 0x4f7ffffe, v4
	v_cvt_u32_f32_e32 v4, v4
	v_readfirstlane_b32 s12, v4
	s_mul_i32 s1, s1, s12
	s_mul_hi_u32 s1, s12, s1
	s_add_i32 s12, s12, s1
	s_mul_hi_u32 s1, s0, s12
	s_mul_i32 s1, s1, s33
	s_sub_i32 s1, s0, s1
	s_sub_i32 s12, s1, s33
	s_cmp_ge_u32 s1, s33
	s_cselect_b32 s1, s12, s1
	s_sub_i32 s12, s1, s33
	s_cmp_ge_u32 s1, s33
	s_cselect_b32 s82, s12, s1
	s_mov_b64 s[84:85], s[82:83]
.LBB144_220:                            ;   in Loop: Header=BB144_6 Depth=1
	s_sub_u32 s0, s0, s84
	s_subb_u32 s1, s13, s85
	v_cmp_gt_u64_e32 vcc, s[0:1], v[0:1]
	s_mov_b64 s[84:85], 0
	s_mov_b64 s[12:13], 0
                                        ; implicit-def: $vgpr5
	s_and_saveexec_b64 s[86:87], vcc
	s_cbranch_execz .LBB144_229
; %bb.221:                              ;   in Loop: Header=BB144_6 Depth=1
	v_mov_b32_e32 v7, v1
	v_mov_b32_e32 v8, v14
	;; [unrolled: 1-line block ×3, first 2 shown]
                                        ; implicit-def: $sgpr90_sgpr91
	s_branch .LBB144_224
.LBB144_222:                            ;   in Loop: Header=BB144_224 Depth=2
	s_or_b64 exec, exec, s[54:55]
	s_waitcnt lgkmcnt(0)
	s_barrier
	ds_read_b64 v[4:5], v13 offset:3072
	s_mov_b64 s[54:55], -1
	s_mov_b64 s[70:71], -1
	s_waitcnt lgkmcnt(0)
	s_barrier
	v_cmp_ne_u32_e32 vcc, 0, v4
	s_cbranch_vccz .LBB144_227
.LBB144_223:                            ;   in Loop: Header=BB144_224 Depth=2
	s_and_b64 s[54:55], exec, s[54:55]
	s_or_b64 s[12:13], s[54:55], s[12:13]
	s_andn2_b64 s[54:55], s[90:91], exec
	s_and_b64 s[70:71], s[70:71], exec
	s_or_b64 s[90:91], s[54:55], s[70:71]
	s_andn2_b64 exec, exec, s[12:13]
	s_cbranch_execz .LBB144_228
.LBB144_224:                            ;   Parent Loop BB144_6 Depth=1
                                        ; =>  This Inner Loop Header: Depth=2
	v_cmp_gt_u64_e32 vcc, s[78:79], v[6:7]
	s_and_saveexec_b64 s[54:55], vcc
	s_cbranch_execz .LBB144_222
; %bb.225:                              ;   in Loop: Header=BB144_224 Depth=2
	ds_read_b32 v23, v8
	s_waitcnt lgkmcnt(0)
	v_xor_b32_e32 v4, 0x80000000, v23
	v_and_b32_e32 v4, v4, v27
	v_cmp_eq_u32_e32 vcc, v4, v28
	s_and_b64 exec, exec, vcc
	s_cbranch_execz .LBB144_222
; %bb.226:                              ;   in Loop: Header=BB144_224 Depth=2
	ds_write_b64 v13, v[22:23] offset:3072
	s_branch .LBB144_222
.LBB144_227:                            ;   in Loop: Header=BB144_224 Depth=2
	v_add_co_u32_e32 v6, vcc, s33, v6
	v_addc_co_u32_e32 v7, vcc, 0, v7, vcc
	v_cmp_le_u64_e32 vcc, s[0:1], v[6:7]
	v_readlane_b32 s30, v55, 41
	v_add_u32_e32 v8, s30, v8
	s_mov_b64 s[70:71], 0
	s_orn2_b64 s[54:55], vcc, exec
	s_branch .LBB144_223
.LBB144_228:                            ;   in Loop: Header=BB144_6 Depth=1
	s_or_b64 exec, exec, s[12:13]
	s_and_b64 s[12:13], s[90:91], exec
.LBB144_229:                            ;   in Loop: Header=BB144_6 Depth=1
	s_or_b64 exec, exec, s[86:87]
	v_readlane_b32 s70, v55, 52
	v_readlane_b32 s71, v55, 53
.LBB144_230:                            ;   in Loop: Header=BB144_6 Depth=1
	s_and_b64 vcc, exec, s[84:85]
	s_cbranch_vccz .LBB144_233
; %bb.231:                              ;   in Loop: Header=BB144_6 Depth=1
	s_mov_b32 s30, s83
	s_cmp_lg_u64 s[30:31], 0
	s_mov_b32 s69, s31
	s_cbranch_scc0 .LBB144_234
; %bb.232:                              ;   in Loop: Header=BB144_6 Depth=1
	v_cvt_f32_u32_e32 v4, s33
	s_sub_u32 s4, 0, s33
	s_subb_u32 s5, 0, 0
	s_mov_b64 s[84:85], s[70:71]
	v_mac_f32_e32 v4, 0, v40
	v_rcp_f32_e32 v4, v4
	v_readlane_b32 s30, v55, 31
	s_mov_b32 s31, s69
	v_mul_f32_e32 v4, 0x5f7ffffc, v4
	v_mul_f32_e32 v5, 0x2f800000, v4
	v_trunc_f32_e32 v5, v5
	v_mac_f32_e32 v4, 0xcf800000, v5
	v_cvt_u32_f32_e32 v5, v5
	v_cvt_u32_f32_e32 v4, v4
	v_readfirstlane_b32 s54, v5
	v_readfirstlane_b32 s0, v4
	s_mul_i32 s1, s4, s54
	s_mul_hi_u32 s70, s4, s0
	s_mul_i32 s55, s5, s0
	s_add_i32 s1, s70, s1
	s_mul_i32 s71, s4, s0
	s_add_i32 s1, s1, s55
	s_mul_hi_u32 s70, s0, s71
	s_mul_i32 s78, s0, s1
	s_mul_hi_u32 s55, s0, s1
	s_add_u32 s70, s70, s78
	s_addc_u32 s55, 0, s55
	s_mul_hi_u32 s79, s54, s71
	s_mul_i32 s71, s54, s71
	s_add_u32 s70, s70, s71
	s_mul_hi_u32 s78, s54, s1
	s_addc_u32 s55, s55, s79
	s_addc_u32 s70, s78, 0
	s_mul_i32 s1, s54, s1
	s_add_u32 s1, s55, s1
	s_addc_u32 s55, 0, s70
	s_add_u32 s70, s0, s1
	s_cselect_b64 s[0:1], -1, 0
	s_cmp_lg_u64 s[0:1], 0
	s_addc_u32 s54, s54, s55
	s_mul_i32 s0, s4, s54
	s_mul_hi_u32 s1, s4, s70
	s_add_i32 s0, s1, s0
	s_mul_i32 s5, s5, s70
	s_add_i32 s0, s0, s5
	s_mul_i32 s4, s4, s70
	s_mul_hi_u32 s5, s54, s4
	s_mul_i32 s55, s54, s4
	s_mul_i32 s78, s70, s0
	s_mul_hi_u32 s4, s70, s4
	s_mul_hi_u32 s71, s70, s0
	s_add_u32 s4, s4, s78
	s_addc_u32 s71, 0, s71
	s_add_u32 s4, s4, s55
	s_mul_hi_u32 s1, s54, s0
	s_addc_u32 s4, s71, s5
	s_addc_u32 s1, s1, 0
	s_mul_i32 s0, s54, s0
	s_add_u32 s0, s4, s0
	s_addc_u32 s4, 0, s1
	s_add_u32 s5, s70, s0
	s_cselect_b64 s[0:1], -1, 0
	s_cmp_lg_u64 s[0:1], 0
	s_addc_u32 s0, s54, s4
	s_mul_i32 s4, s30, s0
	s_mul_hi_u32 s54, s30, s5
	s_mul_hi_u32 s1, s30, s0
	s_add_u32 s4, s54, s4
	s_addc_u32 s1, 0, s1
	s_mul_hi_u32 s55, s69, s5
	s_mul_i32 s5, s69, s5
	s_add_u32 s4, s4, s5
	s_mul_hi_u32 s54, s69, s0
	s_addc_u32 s1, s1, s55
	s_addc_u32 s4, s54, 0
	s_mul_i32 s0, s69, s0
	s_add_u32 s0, s1, s0
	s_addc_u32 s1, 0, s4
	s_mul_i32 s1, s33, s1
	s_mul_hi_u32 s4, s33, s0
	s_add_i32 s4, s4, s1
	s_mul_i32 s0, s33, s0
	s_sub_u32 s5, s30, s0
	s_cselect_b64 s[0:1], -1, 0
	s_cmp_lg_u64 s[0:1], 0
	s_subb_u32 s4, s69, s4
	s_sub_u32 s54, s5, s33
	s_cselect_b64 s[0:1], -1, 0
	s_cmp_lg_u64 s[0:1], 0
	s_subb_u32 s55, s4, 0
	;; [unrolled: 4-line block ×3, first 2 shown]
	s_cmp_ge_u32 s54, s33
	s_cselect_b32 s1, -1, 0
	s_cmp_eq_u32 s55, 0
	s_cselect_b32 s1, s1, -1
	s_cmp_lg_u32 s1, 0
	s_cselect_b32 s0, s0, s55
	s_cselect_b32 s54, s70, s54
	s_cmp_ge_u32 s5, s33
	s_cselect_b32 s1, -1, 0
	s_cmp_eq_u32 s4, 0
	s_cselect_b32 s1, s1, -1
	s_cmp_lg_u32 s1, 0
	s_mov_b64 s[70:71], s[84:85]
	s_cselect_b32 s1, s0, s4
	s_cselect_b32 s0, s54, s5
	s_mov_b64 s[4:5], 0
	s_branch .LBB144_235
.LBB144_233:                            ;   in Loop: Header=BB144_6 Depth=1
	s_mov_b64 s[84:85], -1
	s_branch .LBB144_247
.LBB144_234:                            ;   in Loop: Header=BB144_6 Depth=1
	s_mov_b64 s[4:5], -1
                                        ; implicit-def: $sgpr0_sgpr1
.LBB144_235:                            ;   in Loop: Header=BB144_6 Depth=1
	s_andn2_b64 vcc, exec, s[4:5]
	s_cbranch_vccnz .LBB144_237
; %bb.236:                              ;   in Loop: Header=BB144_6 Depth=1
	v_cvt_f32_u32_e32 v4, s33
	s_sub_i32 s0, 0, s33
	v_readlane_b32 s4, v55, 31
	v_rcp_iflag_f32_e32 v4, v4
	v_mul_f32_e32 v4, 0x4f7ffffe, v4
	v_cvt_u32_f32_e32 v4, v4
	v_readfirstlane_b32 s1, v4
	s_mul_i32 s0, s0, s1
	s_mul_hi_u32 s0, s1, s0
	s_add_i32 s1, s1, s0
	s_mul_hi_u32 s0, s4, s1
	s_mul_i32 s0, s0, s33
	s_sub_i32 s0, s4, s0
	s_sub_i32 s1, s0, s33
	s_cmp_ge_u32 s0, s33
	s_cselect_b32 s0, s1, s0
	s_sub_i32 s1, s0, s33
	s_cmp_ge_u32 s0, s33
	s_cselect_b32 s82, s1, s0
	s_mov_b64 s[0:1], s[82:83]
.LBB144_237:                            ;   in Loop: Header=BB144_6 Depth=1
	v_readlane_b32 s4, v55, 31
	s_sub_u32 s4, s4, s0
	s_subb_u32 s5, s31, s1
	v_cmp_gt_u64_e32 vcc, s[4:5], v[0:1]
                                        ; implicit-def: $vgpr5
	s_and_saveexec_b64 s[0:1], vcc
	s_cbranch_execz .LBB144_246
; %bb.238:                              ;   in Loop: Header=BB144_6 Depth=1
	v_mov_b32_e32 v6, v10
	v_mov_b32_e32 v9, v1
	s_mov_b64 s[86:87], s[70:71]
	s_mov_b64 s[78:79], 0
	v_mov_b32_e32 v7, v11
	v_mov_b32_e32 v8, v0
                                        ; implicit-def: $sgpr84_sgpr85
	s_branch .LBB144_241
.LBB144_239:                            ;   in Loop: Header=BB144_241 Depth=2
	s_or_b64 exec, exec, s[54:55]
	s_waitcnt lgkmcnt(0)
	s_barrier
	ds_read_b64 v[4:5], v13 offset:3072
	s_mov_b64 s[54:55], -1
	s_mov_b64 s[70:71], -1
	s_waitcnt lgkmcnt(0)
	s_barrier
	v_cmp_eq_u32_e32 vcc, 0, v4
	s_cbranch_vccnz .LBB144_244
.LBB144_240:                            ;   in Loop: Header=BB144_241 Depth=2
	s_and_b64 s[54:55], exec, s[54:55]
	s_or_b64 s[78:79], s[54:55], s[78:79]
	s_andn2_b64 s[54:55], s[84:85], exec
	s_and_b64 s[70:71], s[70:71], exec
	s_or_b64 s[84:85], s[54:55], s[70:71]
	s_andn2_b64 exec, exec, s[78:79]
	s_cbranch_execz .LBB144_245
.LBB144_241:                            ;   Parent Loop BB144_6 Depth=1
                                        ; =>  This Inner Loop Header: Depth=2
	v_cmp_gt_u64_e32 vcc, s[56:57], v[8:9]
	s_and_saveexec_b64 s[54:55], vcc
	s_cbranch_execz .LBB144_239
; %bb.242:                              ;   in Loop: Header=BB144_241 Depth=2
	global_load_dword v23, v[6:7], off
	s_waitcnt vmcnt(0)
	v_xor_b32_e32 v4, 0x80000000, v23
	v_and_b32_e32 v4, v4, v27
	v_cmp_eq_u32_e32 vcc, v4, v28
	s_and_b64 exec, exec, vcc
	s_cbranch_execz .LBB144_239
; %bb.243:                              ;   in Loop: Header=BB144_241 Depth=2
	ds_write_b64 v13, v[22:23] offset:3072
	s_branch .LBB144_239
.LBB144_244:                            ;   in Loop: Header=BB144_241 Depth=2
	v_add_co_u32_e32 v8, vcc, s33, v8
	v_readlane_b32 s30, v55, 42
	v_addc_co_u32_e32 v9, vcc, 0, v9, vcc
	v_readlane_b32 s31, v55, 43
	v_mov_b32_e32 v4, s31
	v_add_co_u32_e32 v6, vcc, s30, v6
	v_addc_co_u32_e32 v7, vcc, v7, v4, vcc
	v_cmp_le_u64_e32 vcc, s[4:5], v[8:9]
	s_mov_b32 s31, s69
	s_mov_b64 s[70:71], 0
	s_orn2_b64 s[54:55], vcc, exec
	s_branch .LBB144_240
.LBB144_245:                            ;   in Loop: Header=BB144_6 Depth=1
	s_or_b64 exec, exec, s[78:79]
	s_andn2_b64 s[4:5], s[12:13], exec
	s_and_b64 s[12:13], s[84:85], exec
	s_or_b64 s[12:13], s[4:5], s[12:13]
	s_mov_b64 s[70:71], s[86:87]
.LBB144_246:                            ;   in Loop: Header=BB144_6 Depth=1
	s_or_b64 exec, exec, s[0:1]
	s_mov_b64 s[84:85], 0
	s_mov_b64 s[4:5], -1
.LBB144_247:                            ;   in Loop: Header=BB144_6 Depth=1
	s_orn2_b64 s[78:79], s[12:13], exec
.LBB144_248:                            ;   in Loop: Header=BB144_6 Depth=1
	s_or_b64 exec, exec, s[70:71]
	s_mov_b64 s[70:71], 0
	s_and_saveexec_b64 s[12:13], s[78:79]
	s_cbranch_execz .LBB144_259
; %bb.249:                              ;   in Loop: Header=BB144_6 Depth=1
	v_readlane_b32 s0, v55, 50
	v_readlane_b32 s1, v55, 51
	v_mov_b32_e32 v6, 1
	s_xor_b64 s[0:1], s[0:1], -1
	v_mov_b32_e32 v7, 0
	v_mov_b32_e32 v12, 1
	s_and_saveexec_b64 s[54:55], s[0:1]
	s_cbranch_execz .LBB144_258
; %bb.250:                              ;   in Loop: Header=BB144_6 Depth=1
	v_cmp_ge_u64_e32 vcc, s[24:25], v[2:3]
	s_and_saveexec_b64 s[0:1], vcc
	s_xor_b64 s[70:71], exec, s[0:1]
	s_cbranch_execz .LBB144_255
; %bb.251:                              ;   in Loop: Header=BB144_6 Depth=1
	ds_read_b64 v[6:7], v13 offset:5120
	v_or_b32_e32 v28, s88, v28
	v_or_b32_e32 v27, s88, v27
	s_waitcnt lgkmcnt(0)
	v_cmp_ne_u64_e32 vcc, 0, v[6:7]
	s_cbranch_vccnz .LBB144_255
; %bb.252:                              ;   in Loop: Header=BB144_6 Depth=1
	s_mov_b64 s[78:79], exec
	v_readlane_b32 s0, v55, 8
	v_readlane_b32 s1, v55, 9
	s_and_b64 s[0:1], s[78:79], s[0:1]
	s_mov_b64 exec, s[0:1]
; %bb.253:                              ;   in Loop: Header=BB144_6 Depth=1
	v_mov_b32_e32 v6, s24
	v_mov_b32_e32 v7, s25
	ds_write_b64 v13, v[6:7] offset:5128
; %bb.254:                              ;   in Loop: Header=BB144_6 Depth=1
	s_or_b64 exec, exec, s[78:79]
	s_waitcnt lgkmcnt(0)
	s_barrier
.LBB144_255:                            ;   in Loop: Header=BB144_6 Depth=1
	s_andn2_saveexec_b64 s[70:71], s[70:71]
; %bb.256:                              ;   in Loop: Header=BB144_6 Depth=1
	v_mov_b32_e32 v4, s25
	v_subrev_co_u32_e32 v2, vcc, s24, v2
	v_subb_co_u32_e32 v3, vcc, v3, v4, vcc
; %bb.257:                              ;   in Loop: Header=BB144_6 Depth=1
	s_or_b64 exec, exec, s[70:71]
	v_mov_b32_e32 v7, v3
	v_mov_b32_e32 v12, 8
	;; [unrolled: 1-line block ×3, first 2 shown]
.LBB144_258:                            ;   in Loop: Header=BB144_6 Depth=1
	s_or_b64 exec, exec, s[54:55]
	v_mov_b32_e32 v2, v6
	s_mov_b64 s[70:71], exec
	v_mov_b32_e32 v3, v7
.LBB144_259:                            ;   in Loop: Header=BB144_6 Depth=1
	s_or_b64 exec, exec, s[12:13]
	s_orn2_b64 s[12:13], s[70:71], exec
.LBB144_260:                            ;   in Loop: Header=BB144_6 Depth=1
	s_or_b64 exec, exec, s[52:53]
	s_andn2_b64 s[0:1], s[48:49], exec
	s_and_b64 s[4:5], s[4:5], exec
	s_or_b64 s[48:49], s[0:1], s[4:5]
	s_andn2_b64 s[0:1], s[46:47], exec
	s_and_b64 s[4:5], s[84:85], exec
	v_mov_b32_e32 v7, v3
	s_or_b64 s[46:47], s[0:1], s[4:5]
	s_and_b64 s[4:5], s[12:13], exec
	v_mov_b32_e32 v6, v2
.LBB144_261:                            ;   in Loop: Header=BB144_6 Depth=1
	s_or_b64 exec, exec, s[50:51]
	s_orn2_b64 s[0:1], s[4:5], exec
.LBB144_262:                            ;   in Loop: Header=BB144_6 Depth=1
	s_or_b64 exec, exec, s[44:45]
	s_andn2_b64 s[4:5], s[28:29], exec
	s_and_b64 s[12:13], s[48:49], exec
	s_or_b64 s[28:29], s[4:5], s[12:13]
	s_andn2_b64 s[4:5], s[26:27], exec
	s_and_b64 s[12:13], s[46:47], exec
	v_mov_b32_e32 v2, v6
	s_or_b64 s[26:27], s[4:5], s[12:13]
	s_and_b64 s[4:5], s[0:1], exec
	v_mov_b32_e32 v3, v7
.LBB144_263:                            ;   in Loop: Header=BB144_6 Depth=1
	s_or_b64 exec, exec, s[42:43]
	s_orn2_b64 s[0:1], s[4:5], exec
.LBB144_264:                            ;   in Loop: Header=BB144_6 Depth=1
	s_or_b64 exec, exec, s[6:7]
	s_mov_b64 s[4:5], 0
	s_mov_b64 s[6:7], 0
	s_and_saveexec_b64 s[12:13], s[0:1]
	s_xor_b64 s[0:1], exec, s[12:13]
; %bb.265:                              ;   in Loop: Header=BB144_6 Depth=1
	v_cmp_eq_u32_e32 vcc, 8, v12
	v_cmp_ne_u32_e64 s[6:7], 8, v12
	s_and_b64 s[6:7], s[6:7], exec
	s_and_b64 s[4:5], vcc, exec
; %bb.266:                              ;   in Loop: Header=BB144_6 Depth=1
	s_or_b64 exec, exec, s[0:1]
	s_andn2_b64 s[0:1], s[36:37], exec
	s_and_b64 s[12:13], s[28:29], exec
	s_or_b64 s[36:37], s[0:1], s[12:13]
	s_andn2_b64 s[0:1], s[34:35], exec
	s_and_b64 s[12:13], s[26:27], exec
	s_or_b64 s[34:35], s[0:1], s[12:13]
	s_and_b64 s[26:27], s[6:7], exec
	s_and_b64 s[28:29], s[4:5], exec
.LBB144_267:                            ;   in Loop: Header=BB144_6 Depth=1
	s_or_b64 exec, exec, s[40:41]
.LBB144_268:                            ;   in Loop: Header=BB144_6 Depth=1
	s_and_b64 vcc, exec, s[38:39]
	s_cbranch_vccz .LBB144_284
; %bb.269:                              ;   in Loop: Header=BB144_6 Depth=1
	s_cmp_eq_u64 s[24:25], 1
	s_cselect_b64 s[0:1], -1, 0
	s_and_b64 s[6:7], s[0:1], s[14:15]
	s_mov_b64 s[0:1], -1
                                        ; implicit-def: $sgpr14_sgpr15
                                        ; implicit-def: $sgpr18_sgpr19
	s_and_saveexec_b64 s[34:35], s[6:7]
	s_cbranch_execz .LBB144_302
; %bb.270:                              ;   in Loop: Header=BB144_6 Depth=1
	ds_read_b64 v[2:3], v13 offset:5120
	s_waitcnt lgkmcnt(0)
	s_barrier
	v_readfirstlane_b32 s4, v2
	v_readfirstlane_b32 s5, v3
	s_mov_b64 s[0:1], exec
	v_readlane_b32 s12, v55, 26
	v_readlane_b32 s13, v55, 27
	s_and_b64 s[12:13], s[0:1], s[12:13]
	s_mov_b64 exec, s[12:13]
; %bb.271:                              ;   in Loop: Header=BB144_6 Depth=1
	ds_write_b32 v33, v13
; %bb.272:                              ;   in Loop: Header=BB144_6 Depth=1
	s_or_b64 exec, exec, s[0:1]
	v_or_b32_e32 v36, s88, v36
	v_or_b32_e32 v42, s88, v42
	s_mov_b64 s[18:19], -1
	s_mov_b64 s[14:15], 0
	s_cmp_eq_u64 s[4:5], 0
	s_mov_b64 s[0:1], 0
	s_mov_b64 s[12:13], -1
	s_waitcnt lgkmcnt(0)
	s_barrier
                                        ; implicit-def: $vgpr24
	s_cbranch_scc1 .LBB144_287
; %bb.273:                              ;   in Loop: Header=BB144_6 Depth=1
	v_readlane_b32 s0, v55, 30
	s_add_u32 s38, s4, s0
	v_readlane_b32 s0, v55, 32
	s_addc_u32 s1, s5, s0
	s_mov_b32 s0, s83
	s_cmp_lg_u64 s[0:1], 0
	s_cbranch_scc0 .LBB144_328
; %bb.274:                              ;   in Loop: Header=BB144_6 Depth=1
	v_cvt_f32_u32_e32 v2, s33
	s_sub_u32 s0, 0, s33
	s_subb_u32 s36, 0, 0
	v_mac_f32_e32 v2, 0, v40
	v_rcp_f32_e32 v2, v2
	v_mul_f32_e32 v2, 0x5f7ffffc, v2
	v_mul_f32_e32 v3, 0x2f800000, v2
	v_trunc_f32_e32 v3, v3
	v_mac_f32_e32 v2, 0xcf800000, v3
	v_cvt_u32_f32_e32 v3, v3
	v_cvt_u32_f32_e32 v2, v2
	v_readfirstlane_b32 s37, v3
	v_readfirstlane_b32 s12, v2
	s_mul_i32 s13, s0, s37
	s_mul_hi_u32 s40, s0, s12
	s_mul_i32 s39, s36, s12
	s_add_i32 s13, s40, s13
	s_mul_i32 s41, s0, s12
	s_add_i32 s13, s13, s39
	s_mul_hi_u32 s40, s12, s41
	s_mul_i32 s42, s12, s13
	s_mul_hi_u32 s39, s12, s13
	s_add_u32 s40, s40, s42
	s_addc_u32 s39, 0, s39
	s_mul_hi_u32 s43, s37, s41
	s_mul_i32 s41, s37, s41
	s_add_u32 s40, s40, s41
	s_mul_hi_u32 s42, s37, s13
	s_addc_u32 s39, s39, s43
	s_addc_u32 s40, s42, 0
	s_mul_i32 s13, s37, s13
	s_add_u32 s13, s39, s13
	s_addc_u32 s39, 0, s40
	s_add_u32 s40, s12, s13
	s_cselect_b64 s[12:13], -1, 0
	s_cmp_lg_u64 s[12:13], 0
	s_addc_u32 s37, s37, s39
	s_mul_i32 s12, s0, s37
	s_mul_hi_u32 s13, s0, s40
	s_add_i32 s12, s13, s12
	s_mul_i32 s36, s36, s40
	s_add_i32 s12, s12, s36
	s_mul_i32 s0, s0, s40
	s_mul_hi_u32 s36, s37, s0
	s_mul_i32 s39, s37, s0
	s_mul_i32 s42, s40, s12
	s_mul_hi_u32 s0, s40, s0
	s_mul_hi_u32 s41, s40, s12
	s_add_u32 s0, s0, s42
	s_addc_u32 s41, 0, s41
	s_add_u32 s0, s0, s39
	s_mul_hi_u32 s13, s37, s12
	s_addc_u32 s0, s41, s36
	s_addc_u32 s13, s13, 0
	s_mul_i32 s12, s37, s12
	s_add_u32 s0, s0, s12
	s_addc_u32 s36, 0, s13
	s_add_u32 s0, s40, s0
	s_cselect_b64 s[12:13], -1, 0
	s_cmp_lg_u64 s[12:13], 0
	s_addc_u32 s12, s37, s36
	s_mul_i32 s36, s38, s12
	s_mul_hi_u32 s37, s38, s0
	s_mul_hi_u32 s13, s38, s12
	s_add_u32 s36, s37, s36
	s_addc_u32 s13, 0, s13
	s_mul_hi_u32 s39, s1, s0
	s_mul_i32 s0, s1, s0
	s_add_u32 s0, s36, s0
	s_mul_hi_u32 s37, s1, s12
	s_addc_u32 s0, s13, s39
	s_addc_u32 s13, s37, 0
	s_mul_i32 s12, s1, s12
	s_add_u32 s0, s0, s12
	s_addc_u32 s12, 0, s13
	s_mul_i32 s12, s33, s12
	s_mul_hi_u32 s13, s33, s0
	s_add_i32 s36, s13, s12
	s_mul_i32 s0, s33, s0
	s_sub_u32 s0, s38, s0
	s_cselect_b64 s[12:13], -1, 0
	s_cmp_lg_u64 s[12:13], 0
	s_subb_u32 s36, s1, s36
	s_sub_u32 s37, s0, s33
	s_cselect_b64 s[12:13], -1, 0
	s_cmp_lg_u64 s[12:13], 0
	s_subb_u32 s39, s36, 0
	;; [unrolled: 4-line block ×3, first 2 shown]
	s_cmp_ge_u32 s37, s33
	s_cselect_b32 s13, -1, 0
	s_cmp_eq_u32 s39, 0
	s_cselect_b32 s13, s13, -1
	s_cmp_lg_u32 s13, 0
	s_cselect_b32 s12, s12, s39
	s_cselect_b32 s37, s40, s37
	s_cmp_ge_u32 s0, s33
	s_cselect_b32 s13, -1, 0
	s_cmp_eq_u32 s36, 0
	s_cselect_b32 s13, s13, -1
	s_cmp_lg_u32 s13, 0
	s_cselect_b32 s13, s12, s36
	s_cselect_b32 s12, s37, s0
	s_cbranch_execnz .LBB144_276
.LBB144_275:                            ;   in Loop: Header=BB144_6 Depth=1
	v_cvt_f32_u32_e32 v2, s33
	s_sub_i32 s0, 0, s33
	v_rcp_iflag_f32_e32 v2, v2
	v_mul_f32_e32 v2, 0x4f7ffffe, v2
	v_cvt_u32_f32_e32 v2, v2
	v_readfirstlane_b32 s12, v2
	s_mul_i32 s0, s0, s12
	s_mul_hi_u32 s0, s12, s0
	s_add_i32 s12, s12, s0
	s_mul_hi_u32 s0, s38, s12
	s_mul_i32 s0, s0, s33
	s_sub_i32 s0, s38, s0
	s_sub_i32 s12, s0, s33
	s_cmp_ge_u32 s0, s33
	s_cselect_b32 s0, s12, s0
	s_sub_i32 s12, s0, s33
	s_cmp_ge_u32 s0, s33
	s_cselect_b32 s82, s12, s0
	s_mov_b64 s[12:13], s[82:83]
.LBB144_276:                            ;   in Loop: Header=BB144_6 Depth=1
	s_sub_u32 s38, s38, s12
	s_subb_u32 s39, s1, s13
	v_cmp_gt_u64_e32 vcc, s[38:39], v[0:1]
	s_mov_b64 s[12:13], 0
	s_mov_b64 s[0:1], 0
                                        ; implicit-def: $vgpr24
	s_and_saveexec_b64 s[36:37], vcc
	s_cbranch_execz .LBB144_286
; %bb.277:                              ;   in Loop: Header=BB144_6 Depth=1
	v_mov_b32_e32 v3, v1
	v_mov_b32_e32 v4, v14
	;; [unrolled: 1-line block ×3, first 2 shown]
                                        ; implicit-def: $sgpr40_sgpr41
	s_branch .LBB144_280
.LBB144_278:                            ;   in Loop: Header=BB144_280 Depth=2
	s_or_b64 exec, exec, s[42:43]
	s_waitcnt lgkmcnt(0)
	s_barrier
	ds_read_b64 v[23:24], v13 offset:3072
	s_mov_b64 s[42:43], -1
	s_mov_b64 s[44:45], -1
	s_waitcnt lgkmcnt(0)
	s_barrier
	v_cmp_ne_u32_e32 vcc, 0, v23
	s_cbranch_vccz .LBB144_283
.LBB144_279:                            ;   in Loop: Header=BB144_280 Depth=2
	s_and_b64 s[42:43], exec, s[42:43]
	s_or_b64 s[0:1], s[42:43], s[0:1]
	s_andn2_b64 s[40:41], s[40:41], exec
	s_and_b64 s[42:43], s[44:45], exec
	s_or_b64 s[40:41], s[40:41], s[42:43]
	s_andn2_b64 exec, exec, s[0:1]
	s_cbranch_execz .LBB144_285
.LBB144_280:                            ;   Parent Loop BB144_6 Depth=1
                                        ; =>  This Inner Loop Header: Depth=2
	v_cmp_gt_u64_e32 vcc, s[4:5], v[2:3]
	s_and_saveexec_b64 s[42:43], vcc
	s_cbranch_execz .LBB144_278
; %bb.281:                              ;   in Loop: Header=BB144_280 Depth=2
	ds_read_b32 v23, v4
	s_waitcnt lgkmcnt(0)
	v_xor_b32_e32 v5, 0x80000000, v23
	v_and_b32_e32 v5, v5, v42
	v_cmp_eq_u32_e32 vcc, v5, v36
	s_and_b64 exec, exec, vcc
	s_cbranch_execz .LBB144_278
; %bb.282:                              ;   in Loop: Header=BB144_280 Depth=2
	ds_write_b64 v13, v[22:23] offset:3072
	s_branch .LBB144_278
.LBB144_283:                            ;   in Loop: Header=BB144_280 Depth=2
	v_add_co_u32_e32 v2, vcc, s33, v2
	v_addc_co_u32_e32 v3, vcc, 0, v3, vcc
	v_cmp_le_u64_e32 vcc, s[38:39], v[2:3]
	v_readlane_b32 s30, v55, 41
	v_add_u32_e32 v4, s30, v4
	s_mov_b64 s[44:45], 0
	s_orn2_b64 s[42:43], vcc, exec
	s_branch .LBB144_279
.LBB144_284:                            ;   in Loop: Header=BB144_6 Depth=1
	s_mov_b64 s[14:15], 0
	v_mov_b32_e32 v36, v28
	v_mov_b32_e32 v42, v27
	;; [unrolled: 1-line block ×3, first 2 shown]
	s_and_saveexec_b64 s[0:1], s[28:29]
	s_cbranch_execnz .LBB144_461
	s_branch .LBB144_462
.LBB144_285:                            ;   in Loop: Header=BB144_6 Depth=1
	s_or_b64 exec, exec, s[0:1]
	s_and_b64 s[0:1], s[40:41], exec
.LBB144_286:                            ;   in Loop: Header=BB144_6 Depth=1
	s_or_b64 exec, exec, s[36:37]
.LBB144_287:                            ;   in Loop: Header=BB144_6 Depth=1
	s_and_b64 vcc, exec, s[12:13]
	s_cbranch_vccz .LBB144_301
; %bb.288:                              ;   in Loop: Header=BB144_6 Depth=1
	s_mov_b32 s30, s83
	s_cmp_lg_u64 s[30:31], 0
	s_cbranch_scc0 .LBB144_329
; %bb.289:                              ;   in Loop: Header=BB144_6 Depth=1
	v_cvt_f32_u32_e32 v2, s33
	s_sub_u32 s12, 0, s33
	s_subb_u32 s13, 0, 0
	v_mac_f32_e32 v2, 0, v40
	v_rcp_f32_e32 v2, v2
	v_mul_f32_e32 v2, 0x5f7ffffc, v2
	v_mul_f32_e32 v3, 0x2f800000, v2
	v_trunc_f32_e32 v3, v3
	v_mac_f32_e32 v2, 0xcf800000, v3
	v_cvt_u32_f32_e32 v3, v3
	v_cvt_u32_f32_e32 v2, v2
	v_readfirstlane_b32 s14, v3
	v_readfirstlane_b32 s4, v2
	s_mul_i32 s5, s12, s14
	s_mul_hi_u32 s18, s12, s4
	s_mul_i32 s15, s13, s4
	s_add_i32 s5, s18, s5
	s_mul_i32 s19, s12, s4
	s_add_i32 s5, s5, s15
	s_mul_hi_u32 s18, s4, s19
	s_mul_i32 s36, s4, s5
	s_mul_hi_u32 s15, s4, s5
	s_add_u32 s18, s18, s36
	s_addc_u32 s15, 0, s15
	s_mul_hi_u32 s37, s14, s19
	s_mul_i32 s19, s14, s19
	s_add_u32 s18, s18, s19
	s_mul_hi_u32 s36, s14, s5
	s_addc_u32 s15, s15, s37
	s_addc_u32 s18, s36, 0
	s_mul_i32 s5, s14, s5
	s_add_u32 s5, s15, s5
	s_addc_u32 s15, 0, s18
	s_add_u32 s18, s4, s5
	s_cselect_b64 s[4:5], -1, 0
	s_cmp_lg_u64 s[4:5], 0
	s_addc_u32 s14, s14, s15
	s_mul_i32 s4, s12, s14
	s_mul_hi_u32 s5, s12, s18
	s_add_i32 s4, s5, s4
	s_mul_i32 s13, s13, s18
	s_add_i32 s4, s4, s13
	s_mul_i32 s12, s12, s18
	s_mul_hi_u32 s13, s14, s12
	s_mul_i32 s15, s14, s12
	s_mul_i32 s36, s18, s4
	s_mul_hi_u32 s12, s18, s12
	s_mul_hi_u32 s19, s18, s4
	s_add_u32 s12, s12, s36
	s_addc_u32 s19, 0, s19
	s_add_u32 s12, s12, s15
	s_mul_hi_u32 s5, s14, s4
	s_addc_u32 s12, s19, s13
	s_addc_u32 s5, s5, 0
	s_mul_i32 s4, s14, s4
	s_add_u32 s4, s12, s4
	s_addc_u32 s12, 0, s5
	s_add_u32 s13, s18, s4
	s_cselect_b64 s[4:5], -1, 0
	s_cmp_lg_u64 s[4:5], 0
	s_addc_u32 s4, s14, s12
	v_readlane_b32 s18, v55, 31
	s_mul_i32 s12, s18, s4
	s_mul_hi_u32 s14, s18, s13
	s_mul_hi_u32 s5, s18, s4
	s_add_u32 s12, s14, s12
	s_addc_u32 s5, 0, s5
	s_mul_hi_u32 s15, s31, s13
	s_mul_i32 s13, s31, s13
	s_add_u32 s12, s12, s13
	s_mul_hi_u32 s14, s31, s4
	s_addc_u32 s5, s5, s15
	s_addc_u32 s12, s14, 0
	s_mul_i32 s4, s31, s4
	s_add_u32 s4, s5, s4
	s_addc_u32 s5, 0, s12
	s_mul_i32 s5, s33, s5
	s_mul_hi_u32 s12, s33, s4
	s_add_i32 s12, s12, s5
	s_mul_i32 s4, s33, s4
	s_sub_u32 s13, s18, s4
	s_cselect_b64 s[4:5], -1, 0
	s_cmp_lg_u64 s[4:5], 0
	s_subb_u32 s12, s31, s12
	s_sub_u32 s14, s13, s33
	s_cselect_b64 s[4:5], -1, 0
	s_cmp_lg_u64 s[4:5], 0
	s_subb_u32 s15, s12, 0
	;; [unrolled: 4-line block ×3, first 2 shown]
	s_cmp_ge_u32 s14, s33
	s_cselect_b32 s5, -1, 0
	s_cmp_eq_u32 s15, 0
	s_cselect_b32 s5, s5, -1
	s_cmp_lg_u32 s5, 0
	s_cselect_b32 s4, s4, s15
	s_cselect_b32 s14, s18, s14
	s_cmp_ge_u32 s13, s33
	s_cselect_b32 s5, -1, 0
	s_cmp_eq_u32 s12, 0
	s_cselect_b32 s5, s5, -1
	s_cmp_lg_u32 s5, 0
	s_cselect_b32 s5, s4, s12
	s_cselect_b32 s4, s14, s13
	s_cbranch_execnz .LBB144_291
.LBB144_290:                            ;   in Loop: Header=BB144_6 Depth=1
	v_cvt_f32_u32_e32 v2, s33
	s_sub_i32 s4, 0, s33
	v_readlane_b32 s12, v55, 31
	v_rcp_iflag_f32_e32 v2, v2
	v_mul_f32_e32 v2, 0x4f7ffffe, v2
	v_cvt_u32_f32_e32 v2, v2
	v_readfirstlane_b32 s5, v2
	s_mul_i32 s4, s4, s5
	s_mul_hi_u32 s4, s5, s4
	s_add_i32 s5, s5, s4
	s_mul_hi_u32 s4, s12, s5
	s_mul_i32 s4, s4, s33
	s_sub_i32 s4, s12, s4
	s_sub_i32 s5, s4, s33
	s_cmp_ge_u32 s4, s33
	s_cselect_b32 s4, s5, s4
	s_sub_i32 s5, s4, s33
	s_cmp_ge_u32 s4, s33
	s_cselect_b32 s82, s5, s4
	s_mov_b64 s[4:5], s[82:83]
.LBB144_291:                            ;   in Loop: Header=BB144_6 Depth=1
	v_readlane_b32 s12, v55, 31
	s_sub_u32 s12, s12, s4
	s_subb_u32 s13, s31, s5
	v_cmp_gt_u64_e32 vcc, s[12:13], v[0:1]
                                        ; implicit-def: $vgpr24
	s_and_saveexec_b64 s[4:5], vcc
	s_cbranch_execz .LBB144_300
; %bb.292:                              ;   in Loop: Header=BB144_6 Depth=1
	v_mov_b32_e32 v2, v10
	v_mov_b32_e32 v5, v1
	s_mov_b64 s[14:15], 0
	v_mov_b32_e32 v3, v11
	v_mov_b32_e32 v4, v0
                                        ; implicit-def: $sgpr18_sgpr19
	s_branch .LBB144_295
.LBB144_293:                            ;   in Loop: Header=BB144_295 Depth=2
	s_or_b64 exec, exec, s[36:37]
	s_waitcnt lgkmcnt(0)
	s_barrier
	ds_read_b64 v[23:24], v13 offset:3072
	s_mov_b64 s[36:37], -1
	s_mov_b64 s[38:39], -1
	s_waitcnt lgkmcnt(0)
	s_barrier
	v_cmp_ne_u32_e32 vcc, 0, v23
	s_cbranch_vccz .LBB144_298
.LBB144_294:                            ;   in Loop: Header=BB144_295 Depth=2
	s_and_b64 s[36:37], exec, s[36:37]
	s_or_b64 s[14:15], s[36:37], s[14:15]
	s_andn2_b64 s[18:19], s[18:19], exec
	s_and_b64 s[36:37], s[38:39], exec
	s_or_b64 s[18:19], s[18:19], s[36:37]
	s_andn2_b64 exec, exec, s[14:15]
	s_cbranch_execz .LBB144_299
.LBB144_295:                            ;   Parent Loop BB144_6 Depth=1
                                        ; =>  This Inner Loop Header: Depth=2
	v_cmp_gt_u64_e32 vcc, s[56:57], v[4:5]
	s_and_saveexec_b64 s[36:37], vcc
	s_cbranch_execz .LBB144_293
; %bb.296:                              ;   in Loop: Header=BB144_295 Depth=2
	global_load_dword v23, v[2:3], off
	s_waitcnt vmcnt(0)
	v_xor_b32_e32 v6, 0x80000000, v23
	v_and_b32_e32 v6, v6, v42
	v_cmp_eq_u32_e32 vcc, v6, v36
	s_and_b64 exec, exec, vcc
	s_cbranch_execz .LBB144_293
; %bb.297:                              ;   in Loop: Header=BB144_295 Depth=2
	ds_write_b64 v13, v[22:23] offset:3072
	s_branch .LBB144_293
.LBB144_298:                            ;   in Loop: Header=BB144_295 Depth=2
	v_add_co_u32_e32 v4, vcc, s33, v4
	s_mov_b32 s37, s31
	v_readlane_b32 s30, v55, 42
	v_addc_co_u32_e32 v5, vcc, 0, v5, vcc
	v_readlane_b32 s31, v55, 43
	v_mov_b32_e32 v6, s31
	v_add_co_u32_e32 v2, vcc, s30, v2
	v_addc_co_u32_e32 v3, vcc, v3, v6, vcc
	v_cmp_le_u64_e32 vcc, s[12:13], v[4:5]
	s_mov_b32 s31, s37
	s_mov_b64 s[38:39], 0
	s_orn2_b64 s[36:37], vcc, exec
	s_branch .LBB144_294
.LBB144_299:                            ;   in Loop: Header=BB144_6 Depth=1
	s_or_b64 exec, exec, s[14:15]
	s_andn2_b64 s[0:1], s[0:1], exec
	s_and_b64 s[12:13], s[18:19], exec
	s_or_b64 s[0:1], s[0:1], s[12:13]
.LBB144_300:                            ;   in Loop: Header=BB144_6 Depth=1
	s_or_b64 exec, exec, s[4:5]
	s_mov_b64 s[18:19], 0
	s_mov_b64 s[14:15], -1
.LBB144_301:                            ;   in Loop: Header=BB144_6 Depth=1
	s_orn2_b64 s[0:1], s[0:1], exec
.LBB144_302:                            ;   in Loop: Header=BB144_6 Depth=1
	s_or_b64 exec, exec, s[34:35]
                                        ; implicit-def: $vgpr2_vgpr3
                                        ; implicit-def: $vgpr12
	s_and_saveexec_b64 s[34:35], s[0:1]
	s_cbranch_execz .LBB144_460
; %bb.303:                              ;   in Loop: Header=BB144_6 Depth=1
	v_mov_b32_e32 v2, 1
	s_xor_b64 s[6:7], s[6:7], -1
	v_mov_b32_e32 v12, 1
	v_mov_b32_e32 v3, 0
	s_mov_b64 s[4:5], 0
	s_and_saveexec_b64 s[0:1], s[6:7]
	s_cbranch_execz .LBB144_312
; %bb.304:                              ;   in Loop: Header=BB144_6 Depth=1
	v_cmp_ge_u64_e32 vcc, s[24:25], v[25:26]
	s_and_saveexec_b64 s[4:5], vcc
	s_xor_b64 s[4:5], exec, s[4:5]
	s_cbranch_execz .LBB144_309
; %bb.305:                              ;   in Loop: Header=BB144_6 Depth=1
	ds_read_b64 v[2:3], v13 offset:5120
	v_or_b32_e32 v36, s88, v36
	v_or_b32_e32 v42, s88, v42
	s_waitcnt lgkmcnt(0)
	v_cmp_ne_u64_e32 vcc, 0, v[2:3]
	s_cbranch_vccnz .LBB144_309
; %bb.306:                              ;   in Loop: Header=BB144_6 Depth=1
	s_mov_b64 s[6:7], exec
	v_readlane_b32 s12, v55, 8
	v_readlane_b32 s13, v55, 9
	s_and_b64 s[12:13], s[6:7], s[12:13]
	s_mov_b64 exec, s[12:13]
; %bb.307:                              ;   in Loop: Header=BB144_6 Depth=1
	v_mov_b32_e32 v2, s24
	v_mov_b32_e32 v3, s25
	ds_write_b64 v13, v[2:3] offset:5128
; %bb.308:                              ;   in Loop: Header=BB144_6 Depth=1
	s_or_b64 exec, exec, s[6:7]
	s_waitcnt lgkmcnt(0)
	s_barrier
.LBB144_309:                            ;   in Loop: Header=BB144_6 Depth=1
	s_or_saveexec_b64 s[4:5], s[4:5]
	s_mov_b64 s[6:7], 0
	v_mov_b32_e32 v12, 5
	s_xor_b64 exec, exec, s[4:5]
; %bb.310:                              ;   in Loop: Header=BB144_6 Depth=1
	v_subrev_co_u32_e32 v25, vcc, s24, v25
	v_mov_b32_e32 v2, s25
	v_subb_co_u32_e32 v26, vcc, v26, v2, vcc
	v_mov_b32_e32 v12, 0
	s_mov_b64 s[6:7], exec
; %bb.311:                              ;   in Loop: Header=BB144_6 Depth=1
	s_or_b64 exec, exec, s[4:5]
	v_mov_b32_e32 v2, v25
	s_and_b64 s[4:5], s[6:7], exec
	v_mov_b32_e32 v3, v26
.LBB144_312:                            ;   in Loop: Header=BB144_6 Depth=1
	s_or_b64 exec, exec, s[0:1]
	s_mov_b64 s[0:1], -1
                                        ; implicit-def: $sgpr24_sgpr25
                                        ; implicit-def: $sgpr36_sgpr37
	s_and_saveexec_b64 s[6:7], s[4:5]
	s_xor_b64 s[6:7], exec, s[6:7]
	s_cbranch_execz .LBB144_457
; %bb.313:                              ;   in Loop: Header=BB144_6 Depth=1
	s_cmp_eq_u64 s[22:23], 1
	v_cmp_eq_u64_e32 vcc, 1, v[2:3]
	s_cselect_b64 s[0:1], -1, 0
	s_and_b64 s[40:41], s[0:1], vcc
	s_mov_b64 s[0:1], -1
                                        ; implicit-def: $sgpr36_sgpr37
                                        ; implicit-def: $sgpr24_sgpr25
	s_and_saveexec_b64 s[38:39], s[40:41]
	s_cbranch_execz .LBB144_347
; %bb.314:                              ;   in Loop: Header=BB144_6 Depth=1
	ds_read_b64 v[4:5], v13 offset:5120
	s_waitcnt lgkmcnt(0)
	s_barrier
	v_readfirstlane_b32 s4, v4
	v_readfirstlane_b32 s5, v5
	s_mov_b64 s[0:1], exec
	v_readlane_b32 s12, v55, 26
	v_readlane_b32 s13, v55, 27
	s_and_b64 s[12:13], s[0:1], s[12:13]
	s_mov_b64 exec, s[12:13]
; %bb.315:                              ;   in Loop: Header=BB144_6 Depth=1
	ds_write_b32 v33, v13
; %bb.316:                              ;   in Loop: Header=BB144_6 Depth=1
	s_or_b64 exec, exec, s[0:1]
	v_and_b32_e32 v4, s89, v36
	v_lshl_or_b32 v36, 2, s61, v4
	v_or_b32_e32 v42, s88, v42
	s_mov_b64 s[24:25], -1
	s_mov_b64 s[36:37], 0
	s_cmp_eq_u64 s[4:5], 0
	s_mov_b64 s[0:1], 0
	s_mov_b64 s[12:13], -1
	s_waitcnt lgkmcnt(0)
	s_barrier
                                        ; implicit-def: $vgpr24
	s_cbranch_scc1 .LBB144_332
; %bb.317:                              ;   in Loop: Header=BB144_6 Depth=1
	v_readlane_b32 s0, v55, 30
	s_add_u32 s44, s4, s0
	v_readlane_b32 s0, v55, 32
	s_addc_u32 s1, s5, s0
	s_mov_b32 s0, s83
	s_cmp_lg_u64 s[0:1], 0
	s_cbranch_scc0 .LBB144_373
; %bb.318:                              ;   in Loop: Header=BB144_6 Depth=1
	v_cvt_f32_u32_e32 v4, s33
	s_sub_u32 s0, 0, s33
	s_subb_u32 s42, 0, 0
	v_mac_f32_e32 v4, 0, v40
	v_rcp_f32_e32 v4, v4
	v_mul_f32_e32 v4, 0x5f7ffffc, v4
	v_mul_f32_e32 v5, 0x2f800000, v4
	v_trunc_f32_e32 v5, v5
	v_mac_f32_e32 v4, 0xcf800000, v5
	v_cvt_u32_f32_e32 v5, v5
	v_cvt_u32_f32_e32 v4, v4
	v_readfirstlane_b32 s43, v5
	v_readfirstlane_b32 s12, v4
	s_mul_i32 s13, s0, s43
	s_mul_hi_u32 s46, s0, s12
	s_mul_i32 s45, s42, s12
	s_add_i32 s13, s46, s13
	s_mul_i32 s47, s0, s12
	s_add_i32 s13, s13, s45
	s_mul_hi_u32 s46, s12, s47
	s_mul_i32 s48, s12, s13
	s_mul_hi_u32 s45, s12, s13
	s_add_u32 s46, s46, s48
	s_addc_u32 s45, 0, s45
	s_mul_hi_u32 s49, s43, s47
	s_mul_i32 s47, s43, s47
	s_add_u32 s46, s46, s47
	s_mul_hi_u32 s48, s43, s13
	s_addc_u32 s45, s45, s49
	s_addc_u32 s46, s48, 0
	s_mul_i32 s13, s43, s13
	s_add_u32 s13, s45, s13
	s_addc_u32 s45, 0, s46
	s_add_u32 s46, s12, s13
	s_cselect_b64 s[12:13], -1, 0
	s_cmp_lg_u64 s[12:13], 0
	s_addc_u32 s43, s43, s45
	s_mul_i32 s12, s0, s43
	s_mul_hi_u32 s13, s0, s46
	s_add_i32 s12, s13, s12
	s_mul_i32 s42, s42, s46
	s_add_i32 s12, s12, s42
	s_mul_i32 s0, s0, s46
	s_mul_hi_u32 s42, s43, s0
	s_mul_i32 s45, s43, s0
	s_mul_i32 s48, s46, s12
	s_mul_hi_u32 s0, s46, s0
	s_mul_hi_u32 s47, s46, s12
	s_add_u32 s0, s0, s48
	s_addc_u32 s47, 0, s47
	s_add_u32 s0, s0, s45
	s_mul_hi_u32 s13, s43, s12
	s_addc_u32 s0, s47, s42
	s_addc_u32 s13, s13, 0
	s_mul_i32 s12, s43, s12
	s_add_u32 s0, s0, s12
	s_addc_u32 s42, 0, s13
	s_add_u32 s0, s46, s0
	s_cselect_b64 s[12:13], -1, 0
	s_cmp_lg_u64 s[12:13], 0
	s_addc_u32 s12, s43, s42
	s_mul_i32 s42, s44, s12
	s_mul_hi_u32 s43, s44, s0
	s_mul_hi_u32 s13, s44, s12
	s_add_u32 s42, s43, s42
	s_addc_u32 s13, 0, s13
	s_mul_hi_u32 s45, s1, s0
	s_mul_i32 s0, s1, s0
	s_add_u32 s0, s42, s0
	s_mul_hi_u32 s43, s1, s12
	s_addc_u32 s0, s13, s45
	s_addc_u32 s13, s43, 0
	s_mul_i32 s12, s1, s12
	s_add_u32 s0, s0, s12
	s_addc_u32 s12, 0, s13
	s_mul_i32 s12, s33, s12
	s_mul_hi_u32 s13, s33, s0
	s_add_i32 s42, s13, s12
	s_mul_i32 s0, s33, s0
	s_sub_u32 s0, s44, s0
	s_cselect_b64 s[12:13], -1, 0
	s_cmp_lg_u64 s[12:13], 0
	s_subb_u32 s42, s1, s42
	s_sub_u32 s43, s0, s33
	s_cselect_b64 s[12:13], -1, 0
	s_cmp_lg_u64 s[12:13], 0
	s_subb_u32 s45, s42, 0
	;; [unrolled: 4-line block ×3, first 2 shown]
	s_cmp_ge_u32 s43, s33
	s_cselect_b32 s13, -1, 0
	s_cmp_eq_u32 s45, 0
	s_cselect_b32 s13, s13, -1
	s_cmp_lg_u32 s13, 0
	s_cselect_b32 s12, s12, s45
	s_cselect_b32 s43, s46, s43
	s_cmp_ge_u32 s0, s33
	s_cselect_b32 s13, -1, 0
	s_cmp_eq_u32 s42, 0
	s_cselect_b32 s13, s13, -1
	s_cmp_lg_u32 s13, 0
	s_cselect_b32 s13, s12, s42
	s_cselect_b32 s12, s43, s0
	s_cbranch_execnz .LBB144_320
.LBB144_319:                            ;   in Loop: Header=BB144_6 Depth=1
	v_cvt_f32_u32_e32 v4, s33
	s_sub_i32 s0, 0, s33
	v_rcp_iflag_f32_e32 v4, v4
	v_mul_f32_e32 v4, 0x4f7ffffe, v4
	v_cvt_u32_f32_e32 v4, v4
	v_readfirstlane_b32 s12, v4
	s_mul_i32 s0, s0, s12
	s_mul_hi_u32 s0, s12, s0
	s_add_i32 s12, s12, s0
	s_mul_hi_u32 s0, s44, s12
	s_mul_i32 s0, s0, s33
	s_sub_i32 s0, s44, s0
	s_sub_i32 s12, s0, s33
	s_cmp_ge_u32 s0, s33
	s_cselect_b32 s0, s12, s0
	s_sub_i32 s12, s0, s33
	s_cmp_ge_u32 s0, s33
	s_cselect_b32 s82, s12, s0
	s_mov_b64 s[12:13], s[82:83]
.LBB144_320:                            ;   in Loop: Header=BB144_6 Depth=1
	s_sub_u32 s44, s44, s12
	s_subb_u32 s45, s1, s13
	v_cmp_gt_u64_e32 vcc, s[44:45], v[0:1]
	s_mov_b64 s[12:13], 0
	s_mov_b64 s[0:1], 0
                                        ; implicit-def: $vgpr24
	s_and_saveexec_b64 s[42:43], vcc
	s_cbranch_execz .LBB144_331
; %bb.321:                              ;   in Loop: Header=BB144_6 Depth=1
	v_mov_b32_e32 v5, v1
	v_mov_b32_e32 v6, v14
	;; [unrolled: 1-line block ×3, first 2 shown]
                                        ; implicit-def: $sgpr46_sgpr47
	s_branch .LBB144_324
.LBB144_322:                            ;   in Loop: Header=BB144_324 Depth=2
	s_or_b64 exec, exec, s[48:49]
	s_waitcnt lgkmcnt(0)
	s_barrier
	ds_read_b64 v[23:24], v13 offset:3072
	s_mov_b64 s[48:49], -1
	s_mov_b64 s[50:51], -1
	s_waitcnt lgkmcnt(0)
	s_barrier
	v_cmp_ne_u32_e32 vcc, 0, v23
	s_cbranch_vccz .LBB144_327
.LBB144_323:                            ;   in Loop: Header=BB144_324 Depth=2
	s_and_b64 s[48:49], exec, s[48:49]
	s_or_b64 s[0:1], s[48:49], s[0:1]
	s_andn2_b64 s[46:47], s[46:47], exec
	s_and_b64 s[48:49], s[50:51], exec
	s_or_b64 s[46:47], s[46:47], s[48:49]
	s_andn2_b64 exec, exec, s[0:1]
	s_cbranch_execz .LBB144_330
.LBB144_324:                            ;   Parent Loop BB144_6 Depth=1
                                        ; =>  This Inner Loop Header: Depth=2
	v_cmp_gt_u64_e32 vcc, s[4:5], v[4:5]
	s_and_saveexec_b64 s[48:49], vcc
	s_cbranch_execz .LBB144_322
; %bb.325:                              ;   in Loop: Header=BB144_324 Depth=2
	ds_read_b32 v23, v6
	s_waitcnt lgkmcnt(0)
	v_xor_b32_e32 v7, 0x80000000, v23
	v_and_b32_e32 v7, v7, v42
	v_cmp_eq_u32_e32 vcc, v7, v36
	s_and_b64 exec, exec, vcc
	s_cbranch_execz .LBB144_322
; %bb.326:                              ;   in Loop: Header=BB144_324 Depth=2
	ds_write_b64 v13, v[22:23] offset:3072
	s_branch .LBB144_322
.LBB144_327:                            ;   in Loop: Header=BB144_324 Depth=2
	v_add_co_u32_e32 v4, vcc, s33, v4
	v_addc_co_u32_e32 v5, vcc, 0, v5, vcc
	v_cmp_le_u64_e32 vcc, s[44:45], v[4:5]
	v_readlane_b32 s30, v55, 41
	v_add_u32_e32 v6, s30, v6
	s_mov_b64 s[50:51], 0
	s_orn2_b64 s[48:49], vcc, exec
	s_branch .LBB144_323
.LBB144_328:                            ;   in Loop: Header=BB144_6 Depth=1
                                        ; implicit-def: $sgpr12_sgpr13
	s_branch .LBB144_275
.LBB144_329:                            ;   in Loop: Header=BB144_6 Depth=1
                                        ; implicit-def: $sgpr4_sgpr5
	s_branch .LBB144_290
.LBB144_330:                            ;   in Loop: Header=BB144_6 Depth=1
	s_or_b64 exec, exec, s[0:1]
	s_and_b64 s[0:1], s[46:47], exec
.LBB144_331:                            ;   in Loop: Header=BB144_6 Depth=1
	s_or_b64 exec, exec, s[42:43]
.LBB144_332:                            ;   in Loop: Header=BB144_6 Depth=1
	s_and_b64 vcc, exec, s[12:13]
	s_cbranch_vccz .LBB144_346
; %bb.333:                              ;   in Loop: Header=BB144_6 Depth=1
	s_mov_b32 s30, s83
	s_cmp_lg_u64 s[30:31], 0
	s_mov_b32 s47, s31
	s_cbranch_scc0 .LBB144_374
; %bb.334:                              ;   in Loop: Header=BB144_6 Depth=1
	v_cvt_f32_u32_e32 v4, s33
	s_sub_u32 s12, 0, s33
	s_subb_u32 s13, 0, 0
	v_readlane_b32 s30, v55, 31
	v_mac_f32_e32 v4, 0, v40
	v_rcp_f32_e32 v4, v4
	s_mov_b32 s31, s47
	v_mul_f32_e32 v4, 0x5f7ffffc, v4
	v_mul_f32_e32 v5, 0x2f800000, v4
	v_trunc_f32_e32 v5, v5
	v_mac_f32_e32 v4, 0xcf800000, v5
	v_cvt_u32_f32_e32 v5, v5
	v_cvt_u32_f32_e32 v4, v4
	v_readfirstlane_b32 s24, v5
	v_readfirstlane_b32 s4, v4
	s_mul_i32 s5, s12, s24
	s_mul_hi_u32 s36, s12, s4
	s_mul_i32 s25, s13, s4
	s_add_i32 s5, s36, s5
	s_mul_i32 s37, s12, s4
	s_add_i32 s5, s5, s25
	s_mul_hi_u32 s36, s4, s37
	s_mul_i32 s42, s4, s5
	s_mul_hi_u32 s25, s4, s5
	s_add_u32 s36, s36, s42
	s_addc_u32 s25, 0, s25
	s_mul_hi_u32 s43, s24, s37
	s_mul_i32 s37, s24, s37
	s_add_u32 s36, s36, s37
	s_mul_hi_u32 s42, s24, s5
	s_addc_u32 s25, s25, s43
	s_addc_u32 s36, s42, 0
	s_mul_i32 s5, s24, s5
	s_add_u32 s5, s25, s5
	s_addc_u32 s25, 0, s36
	s_add_u32 s36, s4, s5
	s_cselect_b64 s[4:5], -1, 0
	s_cmp_lg_u64 s[4:5], 0
	s_addc_u32 s24, s24, s25
	s_mul_i32 s4, s12, s24
	s_mul_hi_u32 s5, s12, s36
	s_add_i32 s4, s5, s4
	s_mul_i32 s13, s13, s36
	s_add_i32 s4, s4, s13
	s_mul_i32 s12, s12, s36
	s_mul_hi_u32 s13, s24, s12
	s_mul_i32 s25, s24, s12
	s_mul_i32 s42, s36, s4
	s_mul_hi_u32 s12, s36, s12
	s_mul_hi_u32 s37, s36, s4
	s_add_u32 s12, s12, s42
	s_addc_u32 s37, 0, s37
	s_add_u32 s12, s12, s25
	s_mul_hi_u32 s5, s24, s4
	s_addc_u32 s12, s37, s13
	s_addc_u32 s5, s5, 0
	s_mul_i32 s4, s24, s4
	s_add_u32 s4, s12, s4
	s_addc_u32 s12, 0, s5
	s_add_u32 s13, s36, s4
	s_cselect_b64 s[4:5], -1, 0
	s_cmp_lg_u64 s[4:5], 0
	s_addc_u32 s4, s24, s12
	s_mul_i32 s12, s30, s4
	s_mul_hi_u32 s24, s30, s13
	s_mul_hi_u32 s5, s30, s4
	s_add_u32 s12, s24, s12
	s_addc_u32 s5, 0, s5
	s_mul_hi_u32 s25, s47, s13
	s_mul_i32 s13, s47, s13
	s_add_u32 s12, s12, s13
	s_mul_hi_u32 s24, s47, s4
	s_addc_u32 s5, s5, s25
	s_addc_u32 s12, s24, 0
	s_mul_i32 s4, s47, s4
	s_add_u32 s4, s5, s4
	s_addc_u32 s5, 0, s12
	s_mul_i32 s5, s33, s5
	s_mul_hi_u32 s12, s33, s4
	s_add_i32 s12, s12, s5
	s_mul_i32 s4, s33, s4
	s_sub_u32 s13, s30, s4
	s_cselect_b64 s[4:5], -1, 0
	s_cmp_lg_u64 s[4:5], 0
	s_subb_u32 s12, s47, s12
	s_sub_u32 s24, s13, s33
	s_cselect_b64 s[4:5], -1, 0
	s_cmp_lg_u64 s[4:5], 0
	s_subb_u32 s25, s12, 0
	;; [unrolled: 4-line block ×3, first 2 shown]
	s_cmp_ge_u32 s24, s33
	s_cselect_b32 s5, -1, 0
	s_cmp_eq_u32 s25, 0
	s_cselect_b32 s5, s5, -1
	s_cmp_lg_u32 s5, 0
	s_cselect_b32 s4, s4, s25
	s_cselect_b32 s24, s36, s24
	s_cmp_ge_u32 s13, s33
	s_cselect_b32 s5, -1, 0
	s_cmp_eq_u32 s12, 0
	s_cselect_b32 s5, s5, -1
	s_cmp_lg_u32 s5, 0
	s_cselect_b32 s5, s4, s12
	s_cselect_b32 s4, s24, s13
	s_cbranch_execnz .LBB144_336
.LBB144_335:                            ;   in Loop: Header=BB144_6 Depth=1
	v_cvt_f32_u32_e32 v4, s33
	s_sub_i32 s4, 0, s33
	v_readlane_b32 s12, v55, 31
	v_rcp_iflag_f32_e32 v4, v4
	v_mul_f32_e32 v4, 0x4f7ffffe, v4
	v_cvt_u32_f32_e32 v4, v4
	v_readfirstlane_b32 s5, v4
	s_mul_i32 s4, s4, s5
	s_mul_hi_u32 s4, s5, s4
	s_add_i32 s5, s5, s4
	s_mul_hi_u32 s4, s12, s5
	s_mul_i32 s4, s4, s33
	s_sub_i32 s4, s12, s4
	s_sub_i32 s5, s4, s33
	s_cmp_ge_u32 s4, s33
	s_cselect_b32 s4, s5, s4
	s_sub_i32 s5, s4, s33
	s_cmp_ge_u32 s4, s33
	s_cselect_b32 s82, s5, s4
	s_mov_b64 s[4:5], s[82:83]
.LBB144_336:                            ;   in Loop: Header=BB144_6 Depth=1
	v_readlane_b32 s12, v55, 31
	s_sub_u32 s12, s12, s4
	s_subb_u32 s13, s31, s5
	v_cmp_gt_u64_e32 vcc, s[12:13], v[0:1]
                                        ; implicit-def: $vgpr24
	s_and_saveexec_b64 s[4:5], vcc
	s_cbranch_execz .LBB144_345
; %bb.337:                              ;   in Loop: Header=BB144_6 Depth=1
	v_mov_b32_e32 v4, v10
	v_mov_b32_e32 v7, v1
	s_mov_b64 s[24:25], 0
	v_mov_b32_e32 v5, v11
	v_mov_b32_e32 v6, v0
                                        ; implicit-def: $sgpr36_sgpr37
	s_branch .LBB144_340
.LBB144_338:                            ;   in Loop: Header=BB144_340 Depth=2
	s_or_b64 exec, exec, s[42:43]
	s_waitcnt lgkmcnt(0)
	s_barrier
	ds_read_b64 v[23:24], v13 offset:3072
	s_mov_b64 s[42:43], -1
	s_mov_b64 s[44:45], -1
	s_waitcnt lgkmcnt(0)
	s_barrier
	v_cmp_eq_u32_e32 vcc, 0, v23
	s_cbranch_vccnz .LBB144_343
.LBB144_339:                            ;   in Loop: Header=BB144_340 Depth=2
	s_and_b64 s[42:43], exec, s[42:43]
	s_or_b64 s[24:25], s[42:43], s[24:25]
	s_andn2_b64 s[36:37], s[36:37], exec
	s_and_b64 s[42:43], s[44:45], exec
	s_or_b64 s[36:37], s[36:37], s[42:43]
	s_andn2_b64 exec, exec, s[24:25]
	s_cbranch_execz .LBB144_344
.LBB144_340:                            ;   Parent Loop BB144_6 Depth=1
                                        ; =>  This Inner Loop Header: Depth=2
	v_cmp_gt_u64_e32 vcc, s[56:57], v[6:7]
	s_and_saveexec_b64 s[42:43], vcc
	s_cbranch_execz .LBB144_338
; %bb.341:                              ;   in Loop: Header=BB144_340 Depth=2
	global_load_dword v23, v[4:5], off
	s_waitcnt vmcnt(0)
	v_xor_b32_e32 v8, 0x80000000, v23
	v_and_b32_e32 v8, v8, v42
	v_cmp_eq_u32_e32 vcc, v8, v36
	s_and_b64 exec, exec, vcc
	s_cbranch_execz .LBB144_338
; %bb.342:                              ;   in Loop: Header=BB144_340 Depth=2
	ds_write_b64 v13, v[22:23] offset:3072
	s_branch .LBB144_338
.LBB144_343:                            ;   in Loop: Header=BB144_340 Depth=2
	v_add_co_u32_e32 v6, vcc, s33, v6
	v_readlane_b32 s30, v55, 42
	v_addc_co_u32_e32 v7, vcc, 0, v7, vcc
	v_readlane_b32 s31, v55, 43
	v_mov_b32_e32 v8, s31
	v_add_co_u32_e32 v4, vcc, s30, v4
	v_addc_co_u32_e32 v5, vcc, v5, v8, vcc
	v_cmp_le_u64_e32 vcc, s[12:13], v[6:7]
	s_mov_b32 s31, s47
	s_mov_b64 s[44:45], 0
	s_orn2_b64 s[42:43], vcc, exec
	s_branch .LBB144_339
.LBB144_344:                            ;   in Loop: Header=BB144_6 Depth=1
	s_or_b64 exec, exec, s[24:25]
	s_andn2_b64 s[0:1], s[0:1], exec
	s_and_b64 s[12:13], s[36:37], exec
	s_or_b64 s[0:1], s[0:1], s[12:13]
.LBB144_345:                            ;   in Loop: Header=BB144_6 Depth=1
	s_or_b64 exec, exec, s[4:5]
	s_mov_b64 s[24:25], 0
	s_mov_b64 s[36:37], -1
.LBB144_346:                            ;   in Loop: Header=BB144_6 Depth=1
	s_orn2_b64 s[0:1], s[0:1], exec
.LBB144_347:                            ;   in Loop: Header=BB144_6 Depth=1
	s_or_b64 exec, exec, s[38:39]
	s_mov_b64 s[4:5], 0
	s_and_saveexec_b64 s[38:39], s[0:1]
	s_cbranch_execz .LBB144_456
; %bb.348:                              ;   in Loop: Header=BB144_6 Depth=1
	v_mov_b32_e32 v4, 1
	s_xor_b64 s[12:13], s[40:41], -1
	v_mov_b32_e32 v12, 1
	v_mov_b32_e32 v5, 0
	s_and_saveexec_b64 s[0:1], s[12:13]
	s_cbranch_execz .LBB144_357
; %bb.349:                              ;   in Loop: Header=BB144_6 Depth=1
	v_cmp_ge_u64_e32 vcc, s[22:23], v[2:3]
	s_and_saveexec_b64 s[4:5], vcc
	s_xor_b64 s[4:5], exec, s[4:5]
	s_cbranch_execz .LBB144_354
; %bb.350:                              ;   in Loop: Header=BB144_6 Depth=1
	v_and_b32_e32 v4, s89, v36
	v_lshl_or_b32 v36, 2, s61, v4
	ds_read_b64 v[4:5], v13 offset:5120
	v_or_b32_e32 v42, s88, v42
	s_waitcnt lgkmcnt(0)
	v_cmp_ne_u64_e32 vcc, 0, v[4:5]
	s_cbranch_vccnz .LBB144_354
; %bb.351:                              ;   in Loop: Header=BB144_6 Depth=1
	s_mov_b32 s43, s31
	v_readlane_b32 s30, v55, 8
	v_readlane_b32 s31, v55, 9
	s_and_saveexec_b64 s[12:13], s[30:31]
; %bb.352:                              ;   in Loop: Header=BB144_6 Depth=1
	v_mov_b32_e32 v4, s22
	v_mov_b32_e32 v5, s23
	ds_write_b64 v13, v[4:5] offset:5128
; %bb.353:                              ;   in Loop: Header=BB144_6 Depth=1
	s_or_b64 exec, exec, s[12:13]
	s_mov_b32 s31, s43
	s_waitcnt lgkmcnt(0)
	s_barrier
.LBB144_354:                            ;   in Loop: Header=BB144_6 Depth=1
	s_or_saveexec_b64 s[4:5], s[4:5]
	s_mov_b64 s[12:13], 0
	v_mov_b32_e32 v12, 5
	s_xor_b64 exec, exec, s[4:5]
; %bb.355:                              ;   in Loop: Header=BB144_6 Depth=1
	v_subrev_co_u32_e32 v2, vcc, s22, v2
	v_mov_b32_e32 v4, s23
	v_subb_co_u32_e32 v3, vcc, v3, v4, vcc
	v_mov_b32_e32 v12, 0
	s_mov_b64 s[12:13], exec
; %bb.356:                              ;   in Loop: Header=BB144_6 Depth=1
	s_or_b64 exec, exec, s[4:5]
	v_mov_b32_e32 v5, v3
	s_and_b64 s[4:5], s[12:13], exec
	v_mov_b32_e32 v4, v2
.LBB144_357:                            ;   in Loop: Header=BB144_6 Depth=1
	s_or_b64 exec, exec, s[0:1]
	s_mov_b64 s[0:1], -1
                                        ; implicit-def: $sgpr40_sgpr41
                                        ; implicit-def: $sgpr42_sgpr43
	s_and_saveexec_b64 s[22:23], s[4:5]
	s_cbranch_execz .LBB144_455
; %bb.358:                              ;   in Loop: Header=BB144_6 Depth=1
	s_cmp_eq_u64 s[20:21], 1
	v_cmp_eq_u64_e32 vcc, 1, v[4:5]
	s_cselect_b64 s[0:1], -1, 0
	s_and_b64 s[46:47], s[0:1], vcc
	s_mov_b64 s[0:1], -1
                                        ; implicit-def: $sgpr42_sgpr43
                                        ; implicit-def: $sgpr40_sgpr41
	s_and_saveexec_b64 s[44:45], s[46:47]
	s_cbranch_execz .LBB144_392
; %bb.359:                              ;   in Loop: Header=BB144_6 Depth=1
	ds_read_b64 v[2:3], v13 offset:5120
	s_waitcnt lgkmcnt(0)
	s_barrier
	v_readfirstlane_b32 s4, v2
	v_readfirstlane_b32 s5, v3
	s_mov_b64 s[0:1], exec
	v_readlane_b32 s12, v55, 26
	v_readlane_b32 s13, v55, 27
	s_and_b64 s[12:13], s[0:1], s[12:13]
	s_mov_b64 exec, s[12:13]
; %bb.360:                              ;   in Loop: Header=BB144_6 Depth=1
	ds_write_b32 v33, v13
; %bb.361:                              ;   in Loop: Header=BB144_6 Depth=1
	s_or_b64 exec, exec, s[0:1]
	v_and_b32_e32 v2, s89, v36
	v_lshl_or_b32 v36, 1, s61, v2
	v_or_b32_e32 v42, s88, v42
	s_mov_b64 s[40:41], -1
	s_mov_b64 s[42:43], 0
	s_cmp_eq_u64 s[4:5], 0
	s_mov_b64 s[0:1], 0
	s_mov_b64 s[12:13], -1
	s_waitcnt lgkmcnt(0)
	s_barrier
                                        ; implicit-def: $vgpr24
	s_cbranch_scc1 .LBB144_377
; %bb.362:                              ;   in Loop: Header=BB144_6 Depth=1
	v_readlane_b32 s0, v55, 30
	s_add_u32 s50, s4, s0
	v_readlane_b32 s0, v55, 32
	s_addc_u32 s1, s5, s0
	s_mov_b32 s0, s83
	s_cmp_lg_u64 s[0:1], 0
	s_cbranch_scc0 .LBB144_409
; %bb.363:                              ;   in Loop: Header=BB144_6 Depth=1
	v_cvt_f32_u32_e32 v2, s33
	s_sub_u32 s0, 0, s33
	s_subb_u32 s48, 0, 0
	v_mac_f32_e32 v2, 0, v40
	v_rcp_f32_e32 v2, v2
	v_mul_f32_e32 v2, 0x5f7ffffc, v2
	v_mul_f32_e32 v3, 0x2f800000, v2
	v_trunc_f32_e32 v3, v3
	v_mac_f32_e32 v2, 0xcf800000, v3
	v_cvt_u32_f32_e32 v3, v3
	v_cvt_u32_f32_e32 v2, v2
	v_readfirstlane_b32 s49, v3
	v_readfirstlane_b32 s12, v2
	s_mul_i32 s13, s0, s49
	s_mul_hi_u32 s52, s0, s12
	s_mul_i32 s51, s48, s12
	s_add_i32 s13, s52, s13
	s_mul_i32 s53, s0, s12
	s_add_i32 s13, s13, s51
	s_mul_hi_u32 s52, s12, s53
	s_mul_i32 s54, s12, s13
	s_mul_hi_u32 s51, s12, s13
	s_add_u32 s52, s52, s54
	s_addc_u32 s51, 0, s51
	s_mul_hi_u32 s55, s49, s53
	s_mul_i32 s53, s49, s53
	s_add_u32 s52, s52, s53
	s_mul_hi_u32 s54, s49, s13
	s_addc_u32 s51, s51, s55
	s_addc_u32 s52, s54, 0
	s_mul_i32 s13, s49, s13
	s_add_u32 s13, s51, s13
	s_addc_u32 s51, 0, s52
	s_add_u32 s52, s12, s13
	s_cselect_b64 s[12:13], -1, 0
	s_cmp_lg_u64 s[12:13], 0
	s_addc_u32 s49, s49, s51
	s_mul_i32 s12, s0, s49
	s_mul_hi_u32 s13, s0, s52
	s_add_i32 s12, s13, s12
	s_mul_i32 s48, s48, s52
	s_add_i32 s12, s12, s48
	s_mul_i32 s0, s0, s52
	s_mul_hi_u32 s48, s49, s0
	s_mul_i32 s51, s49, s0
	s_mul_i32 s54, s52, s12
	s_mul_hi_u32 s0, s52, s0
	s_mul_hi_u32 s53, s52, s12
	s_add_u32 s0, s0, s54
	s_addc_u32 s53, 0, s53
	s_add_u32 s0, s0, s51
	s_mul_hi_u32 s13, s49, s12
	s_addc_u32 s0, s53, s48
	s_addc_u32 s13, s13, 0
	s_mul_i32 s12, s49, s12
	s_add_u32 s0, s0, s12
	s_addc_u32 s48, 0, s13
	s_add_u32 s0, s52, s0
	s_cselect_b64 s[12:13], -1, 0
	s_cmp_lg_u64 s[12:13], 0
	s_addc_u32 s12, s49, s48
	s_mul_i32 s48, s50, s12
	s_mul_hi_u32 s49, s50, s0
	s_mul_hi_u32 s13, s50, s12
	s_add_u32 s48, s49, s48
	s_addc_u32 s13, 0, s13
	s_mul_hi_u32 s51, s1, s0
	s_mul_i32 s0, s1, s0
	s_add_u32 s0, s48, s0
	s_mul_hi_u32 s49, s1, s12
	s_addc_u32 s0, s13, s51
	s_addc_u32 s13, s49, 0
	s_mul_i32 s12, s1, s12
	s_add_u32 s0, s0, s12
	s_addc_u32 s12, 0, s13
	s_mul_i32 s12, s33, s12
	s_mul_hi_u32 s13, s33, s0
	s_add_i32 s48, s13, s12
	s_mul_i32 s0, s33, s0
	s_sub_u32 s0, s50, s0
	s_cselect_b64 s[12:13], -1, 0
	s_cmp_lg_u64 s[12:13], 0
	s_subb_u32 s48, s1, s48
	s_sub_u32 s49, s0, s33
	s_cselect_b64 s[12:13], -1, 0
	s_cmp_lg_u64 s[12:13], 0
	s_subb_u32 s51, s48, 0
	;; [unrolled: 4-line block ×3, first 2 shown]
	s_cmp_ge_u32 s49, s33
	s_cselect_b32 s13, -1, 0
	s_cmp_eq_u32 s51, 0
	s_cselect_b32 s13, s13, -1
	s_cmp_lg_u32 s13, 0
	s_cselect_b32 s12, s12, s51
	s_cselect_b32 s49, s52, s49
	s_cmp_ge_u32 s0, s33
	s_cselect_b32 s13, -1, 0
	s_cmp_eq_u32 s48, 0
	s_cselect_b32 s13, s13, -1
	s_cmp_lg_u32 s13, 0
	s_cselect_b32 s13, s12, s48
	s_cselect_b32 s12, s49, s0
	s_cbranch_execnz .LBB144_365
.LBB144_364:                            ;   in Loop: Header=BB144_6 Depth=1
	v_cvt_f32_u32_e32 v2, s33
	s_sub_i32 s0, 0, s33
	v_rcp_iflag_f32_e32 v2, v2
	v_mul_f32_e32 v2, 0x4f7ffffe, v2
	v_cvt_u32_f32_e32 v2, v2
	v_readfirstlane_b32 s12, v2
	s_mul_i32 s0, s0, s12
	s_mul_hi_u32 s0, s12, s0
	s_add_i32 s12, s12, s0
	s_mul_hi_u32 s0, s50, s12
	s_mul_i32 s0, s0, s33
	s_sub_i32 s0, s50, s0
	s_sub_i32 s12, s0, s33
	s_cmp_ge_u32 s0, s33
	s_cselect_b32 s0, s12, s0
	s_sub_i32 s12, s0, s33
	s_cmp_ge_u32 s0, s33
	s_cselect_b32 s82, s12, s0
	s_mov_b64 s[12:13], s[82:83]
.LBB144_365:                            ;   in Loop: Header=BB144_6 Depth=1
	s_sub_u32 s50, s50, s12
	s_subb_u32 s51, s1, s13
	v_cmp_gt_u64_e32 vcc, s[50:51], v[0:1]
	s_mov_b64 s[12:13], 0
	s_mov_b64 s[0:1], 0
                                        ; implicit-def: $vgpr24
	s_and_saveexec_b64 s[48:49], vcc
	s_cbranch_execz .LBB144_376
; %bb.366:                              ;   in Loop: Header=BB144_6 Depth=1
	v_mov_b32_e32 v3, v1
	v_mov_b32_e32 v6, v14
	v_mov_b32_e32 v2, v0
                                        ; implicit-def: $sgpr52_sgpr53
	s_branch .LBB144_369
.LBB144_367:                            ;   in Loop: Header=BB144_369 Depth=2
	s_or_b64 exec, exec, s[54:55]
	s_waitcnt lgkmcnt(0)
	s_barrier
	ds_read_b64 v[23:24], v13 offset:3072
	s_mov_b64 s[54:55], -1
	s_mov_b64 s[70:71], -1
	s_waitcnt lgkmcnt(0)
	s_barrier
	v_cmp_ne_u32_e32 vcc, 0, v23
	s_cbranch_vccz .LBB144_372
.LBB144_368:                            ;   in Loop: Header=BB144_369 Depth=2
	s_and_b64 s[54:55], exec, s[54:55]
	s_or_b64 s[0:1], s[54:55], s[0:1]
	s_andn2_b64 s[52:53], s[52:53], exec
	s_and_b64 s[54:55], s[70:71], exec
	s_or_b64 s[52:53], s[52:53], s[54:55]
	s_andn2_b64 exec, exec, s[0:1]
	s_cbranch_execz .LBB144_375
.LBB144_369:                            ;   Parent Loop BB144_6 Depth=1
                                        ; =>  This Inner Loop Header: Depth=2
	v_cmp_gt_u64_e32 vcc, s[4:5], v[2:3]
	s_and_saveexec_b64 s[54:55], vcc
	s_cbranch_execz .LBB144_367
; %bb.370:                              ;   in Loop: Header=BB144_369 Depth=2
	ds_read_b32 v23, v6
	s_waitcnt lgkmcnt(0)
	v_xor_b32_e32 v7, 0x80000000, v23
	v_and_b32_e32 v7, v7, v42
	v_cmp_eq_u32_e32 vcc, v7, v36
	s_and_b64 exec, exec, vcc
	s_cbranch_execz .LBB144_367
; %bb.371:                              ;   in Loop: Header=BB144_369 Depth=2
	ds_write_b64 v13, v[22:23] offset:3072
	s_branch .LBB144_367
.LBB144_372:                            ;   in Loop: Header=BB144_369 Depth=2
	v_add_co_u32_e32 v2, vcc, s33, v2
	v_addc_co_u32_e32 v3, vcc, 0, v3, vcc
	v_cmp_le_u64_e32 vcc, s[50:51], v[2:3]
	v_readlane_b32 s30, v55, 41
	v_add_u32_e32 v6, s30, v6
	s_mov_b64 s[70:71], 0
	s_orn2_b64 s[54:55], vcc, exec
	s_branch .LBB144_368
.LBB144_373:                            ;   in Loop: Header=BB144_6 Depth=1
                                        ; implicit-def: $sgpr12_sgpr13
	s_branch .LBB144_319
.LBB144_374:                            ;   in Loop: Header=BB144_6 Depth=1
                                        ; implicit-def: $sgpr4_sgpr5
	s_branch .LBB144_335
.LBB144_375:                            ;   in Loop: Header=BB144_6 Depth=1
	s_or_b64 exec, exec, s[0:1]
	s_and_b64 s[0:1], s[52:53], exec
.LBB144_376:                            ;   in Loop: Header=BB144_6 Depth=1
	s_or_b64 exec, exec, s[48:49]
.LBB144_377:                            ;   in Loop: Header=BB144_6 Depth=1
	s_and_b64 vcc, exec, s[12:13]
	s_cbranch_vccz .LBB144_391
; %bb.378:                              ;   in Loop: Header=BB144_6 Depth=1
	s_mov_b32 s30, s83
	s_cmp_lg_u64 s[30:31], 0
	s_mov_b32 s53, s31
	s_cbranch_scc0 .LBB144_410
; %bb.379:                              ;   in Loop: Header=BB144_6 Depth=1
	v_cvt_f32_u32_e32 v2, s33
	s_sub_u32 s12, 0, s33
	s_subb_u32 s13, 0, 0
	v_readlane_b32 s30, v55, 31
	v_mac_f32_e32 v2, 0, v40
	v_rcp_f32_e32 v2, v2
	s_mov_b32 s31, s53
	v_mul_f32_e32 v2, 0x5f7ffffc, v2
	v_mul_f32_e32 v3, 0x2f800000, v2
	v_trunc_f32_e32 v3, v3
	v_mac_f32_e32 v2, 0xcf800000, v3
	v_cvt_u32_f32_e32 v3, v3
	v_cvt_u32_f32_e32 v2, v2
	v_readfirstlane_b32 s40, v3
	v_readfirstlane_b32 s4, v2
	s_mul_i32 s5, s12, s40
	s_mul_hi_u32 s42, s12, s4
	s_mul_i32 s41, s13, s4
	s_add_i32 s5, s42, s5
	s_mul_i32 s43, s12, s4
	s_add_i32 s5, s5, s41
	s_mul_hi_u32 s42, s4, s43
	s_mul_i32 s48, s4, s5
	s_mul_hi_u32 s41, s4, s5
	s_add_u32 s42, s42, s48
	s_addc_u32 s41, 0, s41
	s_mul_hi_u32 s49, s40, s43
	s_mul_i32 s43, s40, s43
	s_add_u32 s42, s42, s43
	s_mul_hi_u32 s48, s40, s5
	s_addc_u32 s41, s41, s49
	s_addc_u32 s42, s48, 0
	s_mul_i32 s5, s40, s5
	s_add_u32 s5, s41, s5
	s_addc_u32 s41, 0, s42
	s_add_u32 s42, s4, s5
	s_cselect_b64 s[4:5], -1, 0
	s_cmp_lg_u64 s[4:5], 0
	s_addc_u32 s40, s40, s41
	s_mul_i32 s4, s12, s40
	s_mul_hi_u32 s5, s12, s42
	s_add_i32 s4, s5, s4
	s_mul_i32 s13, s13, s42
	s_add_i32 s4, s4, s13
	s_mul_i32 s12, s12, s42
	s_mul_hi_u32 s13, s40, s12
	s_mul_i32 s41, s40, s12
	s_mul_i32 s48, s42, s4
	s_mul_hi_u32 s12, s42, s12
	s_mul_hi_u32 s43, s42, s4
	s_add_u32 s12, s12, s48
	s_addc_u32 s43, 0, s43
	s_add_u32 s12, s12, s41
	s_mul_hi_u32 s5, s40, s4
	s_addc_u32 s12, s43, s13
	s_addc_u32 s5, s5, 0
	s_mul_i32 s4, s40, s4
	s_add_u32 s4, s12, s4
	s_addc_u32 s12, 0, s5
	s_add_u32 s13, s42, s4
	s_cselect_b64 s[4:5], -1, 0
	s_cmp_lg_u64 s[4:5], 0
	s_addc_u32 s4, s40, s12
	s_mul_i32 s12, s30, s4
	s_mul_hi_u32 s40, s30, s13
	s_mul_hi_u32 s5, s30, s4
	s_add_u32 s12, s40, s12
	s_addc_u32 s5, 0, s5
	s_mul_hi_u32 s41, s53, s13
	s_mul_i32 s13, s53, s13
	s_add_u32 s12, s12, s13
	s_mul_hi_u32 s40, s53, s4
	s_addc_u32 s5, s5, s41
	s_addc_u32 s12, s40, 0
	s_mul_i32 s4, s53, s4
	s_add_u32 s4, s5, s4
	s_addc_u32 s5, 0, s12
	s_mul_i32 s5, s33, s5
	s_mul_hi_u32 s12, s33, s4
	s_add_i32 s12, s12, s5
	s_mul_i32 s4, s33, s4
	s_sub_u32 s13, s30, s4
	s_cselect_b64 s[4:5], -1, 0
	s_cmp_lg_u64 s[4:5], 0
	s_subb_u32 s12, s53, s12
	s_sub_u32 s40, s13, s33
	s_cselect_b64 s[4:5], -1, 0
	s_cmp_lg_u64 s[4:5], 0
	s_subb_u32 s41, s12, 0
	;; [unrolled: 4-line block ×3, first 2 shown]
	s_cmp_ge_u32 s40, s33
	s_cselect_b32 s5, -1, 0
	s_cmp_eq_u32 s41, 0
	s_cselect_b32 s5, s5, -1
	s_cmp_lg_u32 s5, 0
	s_cselect_b32 s4, s4, s41
	s_cselect_b32 s40, s42, s40
	s_cmp_ge_u32 s13, s33
	s_cselect_b32 s5, -1, 0
	s_cmp_eq_u32 s12, 0
	s_cselect_b32 s5, s5, -1
	s_cmp_lg_u32 s5, 0
	s_cselect_b32 s5, s4, s12
	s_cselect_b32 s4, s40, s13
	s_cbranch_execnz .LBB144_381
.LBB144_380:                            ;   in Loop: Header=BB144_6 Depth=1
	v_cvt_f32_u32_e32 v2, s33
	s_sub_i32 s4, 0, s33
	v_readlane_b32 s12, v55, 31
	v_rcp_iflag_f32_e32 v2, v2
	v_mul_f32_e32 v2, 0x4f7ffffe, v2
	v_cvt_u32_f32_e32 v2, v2
	v_readfirstlane_b32 s5, v2
	s_mul_i32 s4, s4, s5
	s_mul_hi_u32 s4, s5, s4
	s_add_i32 s5, s5, s4
	s_mul_hi_u32 s4, s12, s5
	s_mul_i32 s4, s4, s33
	s_sub_i32 s4, s12, s4
	s_sub_i32 s5, s4, s33
	s_cmp_ge_u32 s4, s33
	s_cselect_b32 s4, s5, s4
	s_sub_i32 s5, s4, s33
	s_cmp_ge_u32 s4, s33
	s_cselect_b32 s82, s5, s4
	s_mov_b64 s[4:5], s[82:83]
.LBB144_381:                            ;   in Loop: Header=BB144_6 Depth=1
	v_readlane_b32 s12, v55, 31
	s_sub_u32 s12, s12, s4
	s_subb_u32 s13, s31, s5
	v_cmp_gt_u64_e32 vcc, s[12:13], v[0:1]
                                        ; implicit-def: $vgpr24
	s_and_saveexec_b64 s[4:5], vcc
	s_cbranch_execz .LBB144_390
; %bb.382:                              ;   in Loop: Header=BB144_6 Depth=1
	v_mov_b32_e32 v2, v10
	v_mov_b32_e32 v7, v1
	s_mov_b64 s[40:41], 0
	v_mov_b32_e32 v3, v11
	v_mov_b32_e32 v6, v0
                                        ; implicit-def: $sgpr42_sgpr43
	s_branch .LBB144_385
.LBB144_383:                            ;   in Loop: Header=BB144_385 Depth=2
	s_or_b64 exec, exec, s[48:49]
	s_waitcnt lgkmcnt(0)
	s_barrier
	ds_read_b64 v[23:24], v13 offset:3072
	s_mov_b64 s[48:49], -1
	s_mov_b64 s[50:51], -1
	s_waitcnt lgkmcnt(0)
	s_barrier
	v_cmp_eq_u32_e32 vcc, 0, v23
	s_cbranch_vccnz .LBB144_388
.LBB144_384:                            ;   in Loop: Header=BB144_385 Depth=2
	s_and_b64 s[48:49], exec, s[48:49]
	s_or_b64 s[40:41], s[48:49], s[40:41]
	s_andn2_b64 s[42:43], s[42:43], exec
	s_and_b64 s[48:49], s[50:51], exec
	s_or_b64 s[42:43], s[42:43], s[48:49]
	s_andn2_b64 exec, exec, s[40:41]
	s_cbranch_execz .LBB144_389
.LBB144_385:                            ;   Parent Loop BB144_6 Depth=1
                                        ; =>  This Inner Loop Header: Depth=2
	v_cmp_gt_u64_e32 vcc, s[56:57], v[6:7]
	s_and_saveexec_b64 s[48:49], vcc
	s_cbranch_execz .LBB144_383
; %bb.386:                              ;   in Loop: Header=BB144_385 Depth=2
	global_load_dword v23, v[2:3], off
	s_waitcnt vmcnt(0)
	v_xor_b32_e32 v8, 0x80000000, v23
	v_and_b32_e32 v8, v8, v42
	v_cmp_eq_u32_e32 vcc, v8, v36
	s_and_b64 exec, exec, vcc
	s_cbranch_execz .LBB144_383
; %bb.387:                              ;   in Loop: Header=BB144_385 Depth=2
	ds_write_b64 v13, v[22:23] offset:3072
	s_branch .LBB144_383
.LBB144_388:                            ;   in Loop: Header=BB144_385 Depth=2
	v_add_co_u32_e32 v6, vcc, s33, v6
	v_readlane_b32 s30, v55, 42
	v_addc_co_u32_e32 v7, vcc, 0, v7, vcc
	v_readlane_b32 s31, v55, 43
	v_mov_b32_e32 v8, s31
	v_add_co_u32_e32 v2, vcc, s30, v2
	v_addc_co_u32_e32 v3, vcc, v3, v8, vcc
	v_cmp_le_u64_e32 vcc, s[12:13], v[6:7]
	s_mov_b32 s31, s53
	s_mov_b64 s[50:51], 0
	s_orn2_b64 s[48:49], vcc, exec
	s_branch .LBB144_384
.LBB144_389:                            ;   in Loop: Header=BB144_6 Depth=1
	s_or_b64 exec, exec, s[40:41]
	s_andn2_b64 s[0:1], s[0:1], exec
	s_and_b64 s[12:13], s[42:43], exec
	s_or_b64 s[0:1], s[0:1], s[12:13]
.LBB144_390:                            ;   in Loop: Header=BB144_6 Depth=1
	s_or_b64 exec, exec, s[4:5]
	s_mov_b64 s[40:41], 0
	s_mov_b64 s[42:43], -1
.LBB144_391:                            ;   in Loop: Header=BB144_6 Depth=1
	s_orn2_b64 s[0:1], s[0:1], exec
.LBB144_392:                            ;   in Loop: Header=BB144_6 Depth=1
	s_or_b64 exec, exec, s[44:45]
	s_mov_b64 s[4:5], 0
	s_and_saveexec_b64 s[44:45], s[0:1]
	s_cbranch_execz .LBB144_454
; %bb.393:                              ;   in Loop: Header=BB144_6 Depth=1
	v_mov_b32_e32 v2, 1
	s_xor_b64 s[4:5], s[46:47], -1
	v_mov_b32_e32 v12, 1
	v_mov_b32_e32 v3, 0
	s_mov_b64 s[46:47], 0
	s_and_saveexec_b64 s[0:1], s[4:5]
	s_cbranch_execz .LBB144_402
; %bb.394:                              ;   in Loop: Header=BB144_6 Depth=1
	v_cmp_ge_u64_e32 vcc, s[20:21], v[4:5]
	s_and_saveexec_b64 s[4:5], vcc
	s_xor_b64 s[4:5], exec, s[4:5]
	s_cbranch_execz .LBB144_399
; %bb.395:                              ;   in Loop: Header=BB144_6 Depth=1
	v_and_b32_e32 v2, s89, v36
	v_lshl_or_b32 v36, 1, s61, v2
	ds_read_b64 v[2:3], v13 offset:5120
	v_or_b32_e32 v42, s88, v42
	s_waitcnt lgkmcnt(0)
	v_cmp_ne_u64_e32 vcc, 0, v[2:3]
	s_cbranch_vccnz .LBB144_399
; %bb.396:                              ;   in Loop: Header=BB144_6 Depth=1
	s_mov_b32 s49, s31
	v_readlane_b32 s30, v55, 8
	v_readlane_b32 s31, v55, 9
	s_and_saveexec_b64 s[12:13], s[30:31]
; %bb.397:                              ;   in Loop: Header=BB144_6 Depth=1
	v_mov_b32_e32 v2, s20
	v_mov_b32_e32 v3, s21
	ds_write_b64 v13, v[2:3] offset:5128
; %bb.398:                              ;   in Loop: Header=BB144_6 Depth=1
	s_or_b64 exec, exec, s[12:13]
	s_mov_b32 s31, s49
	s_waitcnt lgkmcnt(0)
	s_barrier
.LBB144_399:                            ;   in Loop: Header=BB144_6 Depth=1
	s_or_saveexec_b64 s[4:5], s[4:5]
	s_mov_b64 s[12:13], 0
	v_mov_b32_e32 v12, 5
	s_xor_b64 exec, exec, s[4:5]
; %bb.400:                              ;   in Loop: Header=BB144_6 Depth=1
	v_subrev_co_u32_e32 v4, vcc, s20, v4
	v_mov_b32_e32 v2, s21
	v_subb_co_u32_e32 v5, vcc, v5, v2, vcc
	v_mov_b32_e32 v12, 0
	s_mov_b64 s[12:13], exec
; %bb.401:                              ;   in Loop: Header=BB144_6 Depth=1
	s_or_b64 exec, exec, s[4:5]
	v_mov_b32_e32 v2, v4
	s_and_b64 s[46:47], s[12:13], exec
	v_mov_b32_e32 v3, v5
.LBB144_402:                            ;   in Loop: Header=BB144_6 Depth=1
	s_or_b64 exec, exec, s[0:1]
	s_mov_b64 s[12:13], -1
                                        ; implicit-def: $sgpr4_sgpr5
                                        ; implicit-def: $sgpr0_sgpr1
	s_and_saveexec_b64 s[20:21], s[46:47]
	s_cbranch_execz .LBB144_453
; %bb.403:                              ;   in Loop: Header=BB144_6 Depth=1
	s_cmp_eq_u64 s[16:17], 1
	v_cmp_eq_u64_e32 vcc, 1, v[2:3]
	s_cselect_b64 s[0:1], -1, 0
	s_and_b64 s[46:47], s[0:1], vcc
	s_mov_b64 s[50:51], -1
                                        ; implicit-def: $sgpr4_sgpr5
                                        ; implicit-def: $sgpr0_sgpr1
	s_and_saveexec_b64 s[48:49], s[46:47]
	s_cbranch_execz .LBB144_441
; %bb.404:                              ;   in Loop: Header=BB144_6 Depth=1
	ds_read_b64 v[4:5], v13 offset:5120
	s_waitcnt lgkmcnt(0)
	s_barrier
	v_readfirstlane_b32 s50, v4
	v_readfirstlane_b32 s51, v5
	s_mov_b64 s[0:1], exec
	v_readlane_b32 s4, v55, 26
	v_readlane_b32 s5, v55, 27
	s_and_b64 s[4:5], s[0:1], s[4:5]
	s_mov_b64 exec, s[4:5]
; %bb.405:                              ;   in Loop: Header=BB144_6 Depth=1
	ds_write_b32 v33, v13
; %bb.406:                              ;   in Loop: Header=BB144_6 Depth=1
	s_or_b64 exec, exec, s[0:1]
	v_and_b32_e32 v36, s89, v36
	v_or_b32_e32 v42, s88, v42
	s_mov_b64 s[0:1], -1
	s_mov_b64 s[4:5], 0
	s_cmp_eq_u64 s[50:51], 0
	s_mov_b64 s[12:13], 0
	s_mov_b64 s[52:53], -1
	s_waitcnt lgkmcnt(0)
	s_barrier
                                        ; implicit-def: $vgpr24
	s_cbranch_scc1 .LBB144_424
; %bb.407:                              ;   in Loop: Header=BB144_6 Depth=1
	v_readlane_b32 s12, v55, 30
	s_add_u32 s70, s50, s12
	v_readlane_b32 s12, v55, 32
	s_addc_u32 s13, s51, s12
	s_mov_b32 s12, s83
	s_cmp_lg_u64 s[12:13], 0
	s_cbranch_scc0 .LBB144_411
; %bb.408:                              ;   in Loop: Header=BB144_6 Depth=1
	v_cvt_f32_u32_e32 v4, s33
	s_sub_u32 s12, 0, s33
	s_subb_u32 s54, 0, 0
	v_mac_f32_e32 v4, 0, v40
	v_rcp_f32_e32 v4, v4
	v_mul_f32_e32 v4, 0x5f7ffffc, v4
	v_mul_f32_e32 v5, 0x2f800000, v4
	v_trunc_f32_e32 v5, v5
	v_mac_f32_e32 v4, 0xcf800000, v5
	v_cvt_u32_f32_e32 v5, v5
	v_cvt_u32_f32_e32 v4, v4
	v_readfirstlane_b32 s55, v5
	v_readfirstlane_b32 s52, v4
	s_mul_i32 s53, s12, s55
	s_mul_hi_u32 s78, s12, s52
	s_mul_i32 s71, s54, s52
	s_add_i32 s53, s78, s53
	s_mul_i32 s79, s12, s52
	s_add_i32 s53, s53, s71
	s_mul_hi_u32 s78, s52, s79
	s_mul_i32 s82, s52, s53
	s_mul_hi_u32 s71, s52, s53
	s_add_u32 s78, s78, s82
	s_addc_u32 s71, 0, s71
	s_mul_hi_u32 s84, s55, s79
	s_mul_i32 s79, s55, s79
	s_add_u32 s78, s78, s79
	s_mul_hi_u32 s82, s55, s53
	s_addc_u32 s71, s71, s84
	s_addc_u32 s78, s82, 0
	s_mul_i32 s53, s55, s53
	s_add_u32 s53, s71, s53
	s_addc_u32 s71, 0, s78
	s_add_u32 s78, s52, s53
	s_cselect_b64 s[52:53], -1, 0
	s_cmp_lg_u64 s[52:53], 0
	s_addc_u32 s55, s55, s71
	s_mul_i32 s52, s12, s55
	s_mul_hi_u32 s53, s12, s78
	s_add_i32 s52, s53, s52
	s_mul_i32 s54, s54, s78
	s_add_i32 s52, s52, s54
	s_mul_i32 s12, s12, s78
	s_mul_hi_u32 s54, s55, s12
	s_mul_i32 s71, s55, s12
	s_mul_i32 s82, s78, s52
	s_mul_hi_u32 s12, s78, s12
	s_mul_hi_u32 s79, s78, s52
	s_add_u32 s12, s12, s82
	s_addc_u32 s79, 0, s79
	s_add_u32 s12, s12, s71
	s_mul_hi_u32 s53, s55, s52
	s_addc_u32 s12, s79, s54
	s_addc_u32 s53, s53, 0
	s_mul_i32 s52, s55, s52
	s_add_u32 s12, s12, s52
	s_addc_u32 s54, 0, s53
	s_add_u32 s12, s78, s12
	s_cselect_b64 s[52:53], -1, 0
	s_cmp_lg_u64 s[52:53], 0
	s_addc_u32 s52, s55, s54
	s_mul_i32 s54, s70, s52
	s_mul_hi_u32 s55, s70, s12
	s_mul_hi_u32 s53, s70, s52
	s_add_u32 s54, s55, s54
	s_addc_u32 s53, 0, s53
	s_mul_hi_u32 s71, s13, s12
	s_mul_i32 s12, s13, s12
	s_add_u32 s12, s54, s12
	s_mul_hi_u32 s55, s13, s52
	s_addc_u32 s12, s53, s71
	s_addc_u32 s53, s55, 0
	s_mul_i32 s52, s13, s52
	s_add_u32 s12, s12, s52
	s_addc_u32 s52, 0, s53
	s_mul_i32 s52, s33, s52
	s_mul_hi_u32 s53, s33, s12
	s_add_i32 s54, s53, s52
	s_mul_i32 s12, s33, s12
	s_sub_u32 s12, s70, s12
	s_cselect_b64 s[52:53], -1, 0
	s_cmp_lg_u64 s[52:53], 0
	s_subb_u32 s54, s13, s54
	s_sub_u32 s55, s12, s33
	s_cselect_b64 s[52:53], -1, 0
	s_cmp_lg_u64 s[52:53], 0
	s_subb_u32 s71, s54, 0
	;; [unrolled: 4-line block ×3, first 2 shown]
	s_cmp_ge_u32 s55, s33
	s_cselect_b32 s53, -1, 0
	s_cmp_eq_u32 s71, 0
	s_cselect_b32 s53, s53, -1
	s_cmp_lg_u32 s53, 0
	s_cselect_b32 s52, s52, s71
	s_cselect_b32 s55, s78, s55
	s_cmp_ge_u32 s12, s33
	s_cselect_b32 s53, -1, 0
	s_cmp_eq_u32 s54, 0
	s_cselect_b32 s53, s53, -1
	s_cmp_lg_u32 s53, 0
	s_cselect_b32 s53, s52, s54
	s_cselect_b32 s52, s55, s12
	s_mov_b64 s[54:55], 0
	s_branch .LBB144_412
.LBB144_409:                            ;   in Loop: Header=BB144_6 Depth=1
                                        ; implicit-def: $sgpr12_sgpr13
	s_branch .LBB144_364
.LBB144_410:                            ;   in Loop: Header=BB144_6 Depth=1
                                        ; implicit-def: $sgpr4_sgpr5
	s_branch .LBB144_380
.LBB144_411:                            ;   in Loop: Header=BB144_6 Depth=1
	s_mov_b64 s[54:55], -1
                                        ; implicit-def: $sgpr52_sgpr53
.LBB144_412:                            ;   in Loop: Header=BB144_6 Depth=1
	s_andn2_b64 vcc, exec, s[54:55]
	s_cbranch_vccnz .LBB144_414
; %bb.413:                              ;   in Loop: Header=BB144_6 Depth=1
	v_cvt_f32_u32_e32 v4, s33
	s_sub_i32 s12, 0, s33
	v_rcp_iflag_f32_e32 v4, v4
	v_mul_f32_e32 v4, 0x4f7ffffe, v4
	v_cvt_u32_f32_e32 v4, v4
	v_readfirstlane_b32 s52, v4
	s_mul_i32 s12, s12, s52
	s_mul_hi_u32 s12, s52, s12
	s_add_i32 s52, s52, s12
	s_mul_hi_u32 s12, s70, s52
	s_mul_i32 s12, s12, s33
	s_sub_i32 s12, s70, s12
	s_sub_i32 s52, s12, s33
	s_cmp_ge_u32 s12, s33
	s_cselect_b32 s12, s52, s12
	s_sub_i32 s52, s12, s33
	s_cmp_ge_u32 s12, s33
	s_cselect_b32 s82, s52, s12
	s_mov_b64 s[52:53], s[82:83]
.LBB144_414:                            ;   in Loop: Header=BB144_6 Depth=1
	s_sub_u32 s70, s70, s52
	s_subb_u32 s71, s13, s53
	v_cmp_gt_u64_e32 vcc, s[70:71], v[0:1]
	s_mov_b64 s[52:53], 0
	s_mov_b64 s[12:13], 0
                                        ; implicit-def: $vgpr24
	s_and_saveexec_b64 s[54:55], vcc
	s_cbranch_execz .LBB144_423
; %bb.415:                              ;   in Loop: Header=BB144_6 Depth=1
	v_mov_b32_e32 v5, v1
	v_mov_b32_e32 v6, v14
	;; [unrolled: 1-line block ×3, first 2 shown]
                                        ; implicit-def: $sgpr78_sgpr79
	s_branch .LBB144_418
.LBB144_416:                            ;   in Loop: Header=BB144_418 Depth=2
	s_or_b64 exec, exec, s[84:85]
	s_waitcnt lgkmcnt(0)
	s_barrier
	ds_read_b64 v[23:24], v13 offset:3072
	s_mov_b64 s[84:85], -1
	s_mov_b64 s[86:87], -1
	s_waitcnt lgkmcnt(0)
	s_barrier
	v_cmp_ne_u32_e32 vcc, 0, v23
	s_cbranch_vccz .LBB144_421
.LBB144_417:                            ;   in Loop: Header=BB144_418 Depth=2
	s_and_b64 s[84:85], exec, s[84:85]
	s_or_b64 s[12:13], s[84:85], s[12:13]
	s_andn2_b64 s[78:79], s[78:79], exec
	s_and_b64 s[84:85], s[86:87], exec
	s_or_b64 s[78:79], s[78:79], s[84:85]
	s_andn2_b64 exec, exec, s[12:13]
	s_cbranch_execz .LBB144_422
.LBB144_418:                            ;   Parent Loop BB144_6 Depth=1
                                        ; =>  This Inner Loop Header: Depth=2
	v_cmp_gt_u64_e32 vcc, s[50:51], v[4:5]
	s_and_saveexec_b64 s[84:85], vcc
	s_cbranch_execz .LBB144_416
; %bb.419:                              ;   in Loop: Header=BB144_418 Depth=2
	ds_read_b32 v23, v6
	s_waitcnt lgkmcnt(0)
	v_xor_b32_e32 v7, 0x80000000, v23
	v_and_b32_e32 v7, v7, v42
	v_cmp_eq_u32_e32 vcc, v7, v36
	s_and_b64 exec, exec, vcc
	s_cbranch_execz .LBB144_416
; %bb.420:                              ;   in Loop: Header=BB144_418 Depth=2
	ds_write_b64 v13, v[22:23] offset:3072
	s_branch .LBB144_416
.LBB144_421:                            ;   in Loop: Header=BB144_418 Depth=2
	v_add_co_u32_e32 v4, vcc, s33, v4
	v_addc_co_u32_e32 v5, vcc, 0, v5, vcc
	v_cmp_le_u64_e32 vcc, s[70:71], v[4:5]
	v_readlane_b32 s30, v55, 41
	v_add_u32_e32 v6, s30, v6
	s_mov_b64 s[86:87], 0
	s_orn2_b64 s[84:85], vcc, exec
	s_branch .LBB144_417
.LBB144_422:                            ;   in Loop: Header=BB144_6 Depth=1
	s_or_b64 exec, exec, s[12:13]
	s_and_b64 s[12:13], s[78:79], exec
.LBB144_423:                            ;   in Loop: Header=BB144_6 Depth=1
	s_or_b64 exec, exec, s[54:55]
.LBB144_424:                            ;   in Loop: Header=BB144_6 Depth=1
	s_and_b64 vcc, exec, s[52:53]
	s_cbranch_vccz .LBB144_440
; %bb.425:                              ;   in Loop: Header=BB144_6 Depth=1
	s_mov_b32 s30, s83
	s_cmp_lg_u64 s[30:31], 0
	s_mov_b32 s69, s31
	s_cbranch_scc0 .LBB144_427
; %bb.426:                              ;   in Loop: Header=BB144_6 Depth=1
	v_cvt_f32_u32_e32 v4, s33
	s_sub_u32 s4, 0, s33
	s_subb_u32 s5, 0, 0
	v_readlane_b32 s30, v55, 31
	v_mac_f32_e32 v4, 0, v40
	v_rcp_f32_e32 v4, v4
	s_mov_b32 s31, s69
	v_mul_f32_e32 v4, 0x5f7ffffc, v4
	v_mul_f32_e32 v5, 0x2f800000, v4
	v_trunc_f32_e32 v5, v5
	v_mac_f32_e32 v4, 0xcf800000, v5
	v_cvt_u32_f32_e32 v5, v5
	v_cvt_u32_f32_e32 v4, v4
	v_readfirstlane_b32 s50, v5
	v_readfirstlane_b32 s0, v4
	s_mul_i32 s1, s4, s50
	s_mul_hi_u32 s52, s4, s0
	s_mul_i32 s51, s5, s0
	s_add_i32 s1, s52, s1
	s_mul_i32 s53, s4, s0
	s_add_i32 s1, s1, s51
	s_mul_hi_u32 s52, s0, s53
	s_mul_i32 s54, s0, s1
	s_mul_hi_u32 s51, s0, s1
	s_add_u32 s52, s52, s54
	s_addc_u32 s51, 0, s51
	s_mul_hi_u32 s55, s50, s53
	s_mul_i32 s53, s50, s53
	s_add_u32 s52, s52, s53
	s_mul_hi_u32 s54, s50, s1
	s_addc_u32 s51, s51, s55
	s_addc_u32 s52, s54, 0
	s_mul_i32 s1, s50, s1
	s_add_u32 s1, s51, s1
	s_addc_u32 s51, 0, s52
	s_add_u32 s52, s0, s1
	s_cselect_b64 s[0:1], -1, 0
	s_cmp_lg_u64 s[0:1], 0
	s_addc_u32 s50, s50, s51
	s_mul_i32 s0, s4, s50
	s_mul_hi_u32 s1, s4, s52
	s_add_i32 s0, s1, s0
	s_mul_i32 s5, s5, s52
	s_add_i32 s0, s0, s5
	s_mul_i32 s4, s4, s52
	s_mul_hi_u32 s5, s50, s4
	s_mul_i32 s51, s50, s4
	s_mul_i32 s54, s52, s0
	s_mul_hi_u32 s4, s52, s4
	s_mul_hi_u32 s53, s52, s0
	s_add_u32 s4, s4, s54
	s_addc_u32 s53, 0, s53
	s_add_u32 s4, s4, s51
	s_mul_hi_u32 s1, s50, s0
	s_addc_u32 s4, s53, s5
	s_addc_u32 s1, s1, 0
	s_mul_i32 s0, s50, s0
	s_add_u32 s0, s4, s0
	s_addc_u32 s4, 0, s1
	s_add_u32 s5, s52, s0
	s_cselect_b64 s[0:1], -1, 0
	s_cmp_lg_u64 s[0:1], 0
	s_addc_u32 s0, s50, s4
	s_mul_i32 s4, s30, s0
	s_mul_hi_u32 s50, s30, s5
	s_mul_hi_u32 s1, s30, s0
	s_add_u32 s4, s50, s4
	s_addc_u32 s1, 0, s1
	s_mul_hi_u32 s51, s69, s5
	s_mul_i32 s5, s69, s5
	s_add_u32 s4, s4, s5
	s_mul_hi_u32 s50, s69, s0
	s_addc_u32 s1, s1, s51
	s_addc_u32 s4, s50, 0
	s_mul_i32 s0, s69, s0
	s_add_u32 s0, s1, s0
	s_addc_u32 s1, 0, s4
	s_mul_i32 s1, s33, s1
	s_mul_hi_u32 s4, s33, s0
	s_add_i32 s4, s4, s1
	s_mul_i32 s0, s33, s0
	s_sub_u32 s5, s30, s0
	s_cselect_b64 s[0:1], -1, 0
	s_cmp_lg_u64 s[0:1], 0
	s_subb_u32 s4, s69, s4
	s_sub_u32 s50, s5, s33
	s_cselect_b64 s[0:1], -1, 0
	s_cmp_lg_u64 s[0:1], 0
	s_subb_u32 s51, s4, 0
	;; [unrolled: 4-line block ×3, first 2 shown]
	s_cmp_ge_u32 s50, s33
	s_cselect_b32 s1, -1, 0
	s_cmp_eq_u32 s51, 0
	s_cselect_b32 s1, s1, -1
	s_cmp_lg_u32 s1, 0
	s_cselect_b32 s0, s0, s51
	s_cselect_b32 s50, s52, s50
	s_cmp_ge_u32 s5, s33
	s_cselect_b32 s1, -1, 0
	s_cmp_eq_u32 s4, 0
	s_cselect_b32 s1, s1, -1
	s_cmp_lg_u32 s1, 0
	s_cselect_b32 s1, s0, s4
	s_cselect_b32 s0, s50, s5
	s_mov_b64 s[4:5], 0
	s_branch .LBB144_428
.LBB144_427:                            ;   in Loop: Header=BB144_6 Depth=1
	s_mov_b64 s[4:5], -1
                                        ; implicit-def: $sgpr0_sgpr1
.LBB144_428:                            ;   in Loop: Header=BB144_6 Depth=1
	s_andn2_b64 vcc, exec, s[4:5]
	s_cbranch_vccnz .LBB144_430
; %bb.429:                              ;   in Loop: Header=BB144_6 Depth=1
	v_cvt_f32_u32_e32 v4, s33
	s_sub_i32 s0, 0, s33
	v_readlane_b32 s4, v55, 31
	v_rcp_iflag_f32_e32 v4, v4
	v_mul_f32_e32 v4, 0x4f7ffffe, v4
	v_cvt_u32_f32_e32 v4, v4
	v_readfirstlane_b32 s1, v4
	s_mul_i32 s0, s0, s1
	s_mul_hi_u32 s0, s1, s0
	s_add_i32 s1, s1, s0
	s_mul_hi_u32 s0, s4, s1
	s_mul_i32 s0, s0, s33
	s_sub_i32 s0, s4, s0
	s_sub_i32 s1, s0, s33
	s_cmp_ge_u32 s0, s33
	s_cselect_b32 s0, s1, s0
	s_sub_i32 s1, s0, s33
	s_cmp_ge_u32 s0, s33
	s_cselect_b32 s82, s1, s0
	s_mov_b64 s[0:1], s[82:83]
.LBB144_430:                            ;   in Loop: Header=BB144_6 Depth=1
	v_readlane_b32 s4, v55, 31
	s_sub_u32 s4, s4, s0
	s_subb_u32 s5, s31, s1
	v_cmp_gt_u64_e32 vcc, s[4:5], v[0:1]
                                        ; implicit-def: $vgpr24
	s_and_saveexec_b64 s[0:1], vcc
	s_cbranch_execz .LBB144_439
; %bb.431:                              ;   in Loop: Header=BB144_6 Depth=1
	v_mov_b32_e32 v4, v10
	v_mov_b32_e32 v7, v1
	s_mov_b64 s[50:51], 0
	v_mov_b32_e32 v5, v11
	v_mov_b32_e32 v6, v0
                                        ; implicit-def: $sgpr52_sgpr53
	s_branch .LBB144_434
.LBB144_432:                            ;   in Loop: Header=BB144_434 Depth=2
	s_or_b64 exec, exec, s[54:55]
	s_waitcnt lgkmcnt(0)
	s_barrier
	ds_read_b64 v[23:24], v13 offset:3072
	s_mov_b64 s[54:55], -1
	s_mov_b64 s[70:71], -1
	s_waitcnt lgkmcnt(0)
	s_barrier
	v_cmp_eq_u32_e32 vcc, 0, v23
	s_cbranch_vccnz .LBB144_437
.LBB144_433:                            ;   in Loop: Header=BB144_434 Depth=2
	s_and_b64 s[54:55], exec, s[54:55]
	s_or_b64 s[50:51], s[54:55], s[50:51]
	s_andn2_b64 s[52:53], s[52:53], exec
	s_and_b64 s[54:55], s[70:71], exec
	s_or_b64 s[52:53], s[52:53], s[54:55]
	s_andn2_b64 exec, exec, s[50:51]
	s_cbranch_execz .LBB144_438
.LBB144_434:                            ;   Parent Loop BB144_6 Depth=1
                                        ; =>  This Inner Loop Header: Depth=2
	v_cmp_gt_u64_e32 vcc, s[56:57], v[6:7]
	s_and_saveexec_b64 s[54:55], vcc
	s_cbranch_execz .LBB144_432
; %bb.435:                              ;   in Loop: Header=BB144_434 Depth=2
	global_load_dword v23, v[4:5], off
	s_waitcnt vmcnt(0)
	v_xor_b32_e32 v8, 0x80000000, v23
	v_and_b32_e32 v8, v8, v42
	v_cmp_eq_u32_e32 vcc, v8, v36
	s_and_b64 exec, exec, vcc
	s_cbranch_execz .LBB144_432
; %bb.436:                              ;   in Loop: Header=BB144_434 Depth=2
	ds_write_b64 v13, v[22:23] offset:3072
	s_branch .LBB144_432
.LBB144_437:                            ;   in Loop: Header=BB144_434 Depth=2
	v_add_co_u32_e32 v6, vcc, s33, v6
	v_readlane_b32 s30, v55, 42
	v_addc_co_u32_e32 v7, vcc, 0, v7, vcc
	v_readlane_b32 s31, v55, 43
	v_mov_b32_e32 v8, s31
	v_add_co_u32_e32 v4, vcc, s30, v4
	v_addc_co_u32_e32 v5, vcc, v5, v8, vcc
	v_cmp_le_u64_e32 vcc, s[4:5], v[6:7]
	s_mov_b32 s31, s69
	s_mov_b64 s[70:71], 0
	s_orn2_b64 s[54:55], vcc, exec
	s_branch .LBB144_433
.LBB144_438:                            ;   in Loop: Header=BB144_6 Depth=1
	s_or_b64 exec, exec, s[50:51]
	s_andn2_b64 s[4:5], s[12:13], exec
	s_and_b64 s[12:13], s[52:53], exec
	s_or_b64 s[12:13], s[4:5], s[12:13]
.LBB144_439:                            ;   in Loop: Header=BB144_6 Depth=1
	s_or_b64 exec, exec, s[0:1]
	s_mov_b64 s[0:1], 0
	s_mov_b64 s[4:5], -1
.LBB144_440:                            ;   in Loop: Header=BB144_6 Depth=1
	s_orn2_b64 s[50:51], s[12:13], exec
.LBB144_441:                            ;   in Loop: Header=BB144_6 Depth=1
	s_or_b64 exec, exec, s[48:49]
	s_mov_b64 s[48:49], 0
	s_and_saveexec_b64 s[12:13], s[50:51]
	s_cbranch_execz .LBB144_452
; %bb.442:                              ;   in Loop: Header=BB144_6 Depth=1
	v_mov_b32_e32 v4, 1
	s_xor_b64 s[48:49], s[46:47], -1
	v_mov_b32_e32 v5, 0
	v_mov_b32_e32 v12, 1
	s_and_saveexec_b64 s[46:47], s[48:49]
	s_cbranch_execz .LBB144_451
; %bb.443:                              ;   in Loop: Header=BB144_6 Depth=1
	v_cmp_ge_u64_e32 vcc, s[16:17], v[2:3]
	s_and_saveexec_b64 s[48:49], vcc
	s_xor_b64 s[48:49], exec, s[48:49]
	s_cbranch_execz .LBB144_448
; %bb.444:                              ;   in Loop: Header=BB144_6 Depth=1
	ds_read_b64 v[4:5], v13 offset:5120
	v_and_b32_e32 v36, s89, v36
	v_or_b32_e32 v42, s88, v42
	s_waitcnt lgkmcnt(0)
	v_cmp_ne_u64_e32 vcc, 0, v[4:5]
	s_cbranch_vccnz .LBB144_448
; %bb.445:                              ;   in Loop: Header=BB144_6 Depth=1
	s_mov_b32 s55, s31
	v_readlane_b32 s30, v55, 8
	v_readlane_b32 s31, v55, 9
	s_and_saveexec_b64 s[50:51], s[30:31]
; %bb.446:                              ;   in Loop: Header=BB144_6 Depth=1
	v_mov_b32_e32 v4, s16
	v_mov_b32_e32 v5, s17
	ds_write_b64 v13, v[4:5] offset:5128
; %bb.447:                              ;   in Loop: Header=BB144_6 Depth=1
	s_or_b64 exec, exec, s[50:51]
	s_mov_b32 s31, s55
	s_waitcnt lgkmcnt(0)
	s_barrier
.LBB144_448:                            ;   in Loop: Header=BB144_6 Depth=1
	s_andn2_saveexec_b64 s[48:49], s[48:49]
; %bb.449:                              ;   in Loop: Header=BB144_6 Depth=1
	v_mov_b32_e32 v4, s17
	v_subrev_co_u32_e32 v2, vcc, s16, v2
	v_subb_co_u32_e32 v3, vcc, v3, v4, vcc
; %bb.450:                              ;   in Loop: Header=BB144_6 Depth=1
	s_or_b64 exec, exec, s[48:49]
	v_mov_b32_e32 v5, v3
	v_mov_b32_e32 v12, 5
	;; [unrolled: 1-line block ×3, first 2 shown]
.LBB144_451:                            ;   in Loop: Header=BB144_6 Depth=1
	s_or_b64 exec, exec, s[46:47]
	v_mov_b32_e32 v2, v4
	s_mov_b64 s[48:49], exec
	v_mov_b32_e32 v3, v5
.LBB144_452:                            ;   in Loop: Header=BB144_6 Depth=1
	s_or_b64 exec, exec, s[12:13]
	s_orn2_b64 s[12:13], s[48:49], exec
.LBB144_453:                            ;   in Loop: Header=BB144_6 Depth=1
	s_or_b64 exec, exec, s[20:21]
	s_andn2_b64 s[16:17], s[42:43], exec
	s_and_b64 s[4:5], s[4:5], exec
	s_or_b64 s[42:43], s[16:17], s[4:5]
	s_andn2_b64 s[4:5], s[40:41], exec
	s_and_b64 s[0:1], s[0:1], exec
	v_mov_b32_e32 v5, v3
	s_or_b64 s[40:41], s[4:5], s[0:1]
	s_and_b64 s[4:5], s[12:13], exec
	v_mov_b32_e32 v4, v2
.LBB144_454:                            ;   in Loop: Header=BB144_6 Depth=1
	s_or_b64 exec, exec, s[44:45]
	s_orn2_b64 s[0:1], s[4:5], exec
.LBB144_455:                            ;   in Loop: Header=BB144_6 Depth=1
	s_or_b64 exec, exec, s[22:23]
	s_andn2_b64 s[4:5], s[36:37], exec
	s_and_b64 s[12:13], s[42:43], exec
	s_or_b64 s[36:37], s[4:5], s[12:13]
	s_andn2_b64 s[4:5], s[24:25], exec
	s_and_b64 s[12:13], s[40:41], exec
	v_mov_b32_e32 v2, v4
	s_or_b64 s[24:25], s[4:5], s[12:13]
	s_and_b64 s[4:5], s[0:1], exec
	v_mov_b32_e32 v3, v5
.LBB144_456:                            ;   in Loop: Header=BB144_6 Depth=1
	s_or_b64 exec, exec, s[38:39]
	s_orn2_b64 s[0:1], s[4:5], exec
.LBB144_457:                            ;   in Loop: Header=BB144_6 Depth=1
	s_or_b64 exec, exec, s[6:7]
	s_mov_b64 s[4:5], s[28:29]
	s_mov_b64 s[6:7], s[26:27]
	s_and_saveexec_b64 s[12:13], s[0:1]
; %bb.458:                              ;   in Loop: Header=BB144_6 Depth=1
	v_cmp_ne_u32_e64 s[6:7], 5, v12
	v_cmp_eq_u32_e32 vcc, 5, v12
	s_andn2_b64 s[0:1], s[26:27], exec
	s_and_b64 s[4:5], s[6:7], exec
	s_or_b64 s[6:7], s[0:1], s[4:5]
	s_andn2_b64 s[0:1], s[28:29], exec
	s_and_b64 s[4:5], vcc, exec
	s_or_b64 s[4:5], s[0:1], s[4:5]
; %bb.459:                              ;   in Loop: Header=BB144_6 Depth=1
	s_or_b64 exec, exec, s[12:13]
	s_andn2_b64 s[0:1], s[14:15], exec
	s_and_b64 s[12:13], s[36:37], exec
	s_or_b64 s[14:15], s[0:1], s[12:13]
	s_andn2_b64 s[0:1], s[18:19], exec
	s_and_b64 s[12:13], s[24:25], exec
	s_or_b64 s[18:19], s[0:1], s[12:13]
	;; [unrolled: 3-line block ×4, first 2 shown]
.LBB144_460:                            ;   in Loop: Header=BB144_6 Depth=1
	s_or_b64 exec, exec, s[34:35]
	s_mov_b64 s[34:35], 0
	s_mov_b64 s[36:37], 0
	s_and_saveexec_b64 s[0:1], s[28:29]
.LBB144_461:                            ;   in Loop: Header=BB144_6 Depth=1
	v_mov_b32_e32 v12, 0
	s_or_b64 s[26:27], s[26:27], exec
.LBB144_462:                            ;   in Loop: Header=BB144_6 Depth=1
	s_or_b64 exec, exec, s[0:1]
	s_andn2_b64 s[0:1], s[8:9], exec
	s_and_b64 s[6:7], s[14:15], exec
	s_or_b64 s[8:9], s[0:1], s[6:7]
	v_readlane_b32 s0, v55, 48
	v_readlane_b32 s1, v55, 49
	s_andn2_b64 s[0:1], s[0:1], exec
	s_and_b64 s[6:7], s[18:19], exec
	s_or_b64 s[12:13], s[0:1], s[6:7]
	v_readlane_b32 s0, v55, 46
	v_readlane_b32 s1, v55, 47
	;; [unrolled: 5-line block ×3, first 2 shown]
	s_andn2_b64 s[0:1], s[0:1], exec
	s_and_b64 s[6:7], s[34:35], exec
	v_mov_b32_e32 v26, v3
	s_mov_b64 s[4:5], -1
	s_andn2_b64 s[10:11], s[10:11], exec
	s_or_b64 s[28:29], s[0:1], s[6:7]
	v_mov_b32_e32 v25, v2
	s_and_saveexec_b64 s[0:1], s[26:27]
	s_mov_b64 s[26:27], s[12:13]
	s_xor_b64 s[0:1], exec, s[0:1]
	s_cbranch_execz .LBB144_5
; %bb.463:                              ;   in Loop: Header=BB144_6 Depth=1
	v_cmp_eq_u32_e32 vcc, 0, v12
	s_mov_b64 s[6:7], -1
	s_and_saveexec_b64 s[12:13], vcc
	s_cbranch_execz .LBB144_4
; %bb.464:                              ;   in Loop: Header=BB144_6 Depth=1
	s_add_i32 s14, s61, -2
	s_cmp_eq_u32 s61, 0
	s_cselect_b64 s[4:5], -1, 0
	v_xor_b32_e32 v41, 1, v41
	s_xor_b64 s[6:7], exec, -1
	s_orn2_b64 s[4:5], s[4:5], exec
	s_mov_b32 s61, s14
	s_branch .LBB144_4
.LBB144_465:
	s_or_b64 exec, exec, s[74:75]
	s_xor_b64 s[4:5], s[92:93], -1
	s_xor_b64 s[6:7], s[66:67], -1
	;; [unrolled: 1-line block ×5, first 2 shown]
	s_mov_b64 s[2:3], 0
	s_and_saveexec_b64 s[12:13], s[8:9]
	s_xor_b64 s[8:9], exec, s[12:13]
	s_cbranch_execnz .LBB144_470
; %bb.466:
	s_andn2_saveexec_b64 s[0:1], s[8:9]
	s_cbranch_execnz .LBB144_489
.LBB144_467:
	s_or_b64 exec, exec, s[0:1]
	s_and_saveexec_b64 s[0:1], s[2:3]
.LBB144_468:
	; divergent unreachable
.LBB144_469:
	s_endpgm
.LBB144_470:
	s_and_saveexec_b64 s[12:13], s[10:11]
	s_xor_b64 s[10:11], exec, s[12:13]
	s_cbranch_execz .LBB144_487
; %bb.471:
	s_and_saveexec_b64 s[12:13], s[6:7]
	s_xor_b64 s[12:13], exec, s[12:13]
	s_cbranch_execz .LBB144_485
; %bb.472:
	;; [unrolled: 4-line block ×3, first 2 shown]
	s_and_saveexec_b64 s[2:3], s[0:1]
	s_xor_b64 s[0:1], exec, s[2:3]
; %bb.474:
	v_xor_b32_e32 v24, 0x80000000, v36
; %bb.475:
	s_or_b64 exec, exec, s[0:1]
	s_mov_b64 s[0:1], exec
	v_readlane_b32 s4, v55, 10
	v_readlane_b32 s5, v55, 11
	s_load_dwordx2 s[42:43], s[4:5], 0x0
	v_readlane_b32 s2, v55, 8
	v_readlane_b32 s3, v55, 9
	;; [unrolled: 1-line block ×3, first 2 shown]
	s_and_b64 s[2:3], s[0:1], s[2:3]
	v_readlane_b32 s45, v55, 17
	v_readlane_b32 s6, v55, 12
	;; [unrolled: 1-line block ×3, first 2 shown]
	s_mov_b64 exec, s[2:3]
; %bb.476:
	v_mov_b32_e32 v2, 0
	v_mov_b32_e32 v3, v2
	ds_write_b64 v2, v[2:3] offset:5136
; %bb.477:
	s_or_b64 exec, exec, s[0:1]
	v_mov_b32_e32 v16, 0
	s_waitcnt lgkmcnt(0)
	s_barrier
	s_mov_b64 s[0:1], exec
	v_readlane_b32 s2, v55, 24
	v_readlane_b32 s3, v55, 25
	s_and_b64 s[2:3], s[0:1], s[2:3]
	s_mov_b64 exec, s[2:3]
	s_cbranch_execz .LBB144_479
; %bb.478:
	global_load_dword v16, v[10:11], off
.LBB144_479:
	s_or_b64 exec, exec, s[0:1]
	v_readlane_b32 s2, v55, 4
	s_add_u32 s0, s56, 63
	v_readlane_b32 s3, v55, 5
	v_readlane_b32 s18, v55, 0
	s_addc_u32 s17, s57, 0
	s_and_b32 s16, s0, 0xffffffc0
	s_mul_i32 s0, s3, s6
	s_mul_hi_u32 s1, s2, s6
	v_readlane_b32 s19, v55, 1
	s_add_i32 s1, s1, s0
	s_mul_i32 s0, s2, s6
	s_mul_i32 s2, s19, s6
	s_mul_hi_u32 s3, s18, s6
	s_add_i32 s3, s3, s2
	s_mul_i32 s2, s18, s6
	s_lshl_b64 s[0:1], s[0:1], 2
	v_readlane_b32 s6, v55, 6
	s_load_dwordx2 s[18:19], s[4:5], 0x368
	s_load_dwordx2 s[20:21], s[4:5], 0x510
	v_readlane_b32 s7, v55, 7
	s_add_u32 s36, s6, s0
	s_addc_u32 s37, s7, s1
	s_lshl_b64 s[0:1], s[2:3], 3
	v_readlane_b32 s2, v55, 2
	v_readlane_b32 s3, v55, 3
	s_add_u32 s38, s2, s0
	v_cmp_gt_u64_e32 vcc, s[16:17], v[0:1]
	s_addc_u32 s39, s3, s1
	s_mov_b64 s[6:7], -1
	s_mov_b64 s[2:3], 0
	s_mov_b64 s[0:1], 0
	s_and_saveexec_b64 s[22:23], vcc
	s_cbranch_execnz .LBB144_490
; %bb.480:
	s_or_b64 exec, exec, s[22:23]
	s_and_saveexec_b64 s[4:5], s[6:7]
	s_cbranch_execnz .LBB144_505
.LBB144_481:
	s_or_b64 exec, exec, s[4:5]
	s_and_saveexec_b64 s[4:5], s[0:1]
	s_xor_b64 s[0:1], exec, s[4:5]
	s_cbranch_execnz .LBB144_528
.LBB144_482:
	s_or_b64 exec, exec, s[0:1]
	s_and_b64 s[2:3], s[2:3], exec
.LBB144_483:
	s_andn2_saveexec_b64 s[0:1], s[14:15]
	s_cbranch_execnz .LBB144_530
.LBB144_484:
	s_or_b64 exec, exec, s[0:1]
	s_and_b64 s[2:3], s[2:3], exec
.LBB144_485:
	s_andn2_saveexec_b64 s[0:1], s[12:13]
	s_cbranch_execnz .LBB144_529
.LBB144_486:
	s_or_b64 exec, exec, s[0:1]
	s_and_b64 s[2:3], s[2:3], exec
.LBB144_487:
	s_andn2_saveexec_b64 s[0:1], s[10:11]
	s_cbranch_execnz .LBB144_524
.LBB144_488:
	s_or_b64 exec, exec, s[0:1]
	s_and_b64 s[2:3], s[2:3], exec
	s_andn2_saveexec_b64 s[0:1], s[8:9]
	s_cbranch_execz .LBB144_467
.LBB144_489:
	s_or_b64 s[2:3], s[2:3], exec
	s_trap 2
	s_or_b64 exec, exec, s[0:1]
	s_and_saveexec_b64 s[0:1], s[2:3]
	s_cbranch_execnz .LBB144_468
	s_branch .LBB144_469
.LBB144_490:
	v_add_u32_e32 v4, s33, v0
	v_mad_u64_u32 v[2:3], s[0:1], s62, v4, 0
	v_mov_b32_e32 v13, v1
	v_xor_b32_e32 v17, 0x80000000, v24
	v_mad_u64_u32 v[3:4], s[0:1], s63, v4, v[3:4]
	v_readlane_b32 s0, v55, 14
	v_readlane_b32 s1, v55, 15
	s_add_u32 s0, s42, s0
	v_lshlrev_b64 v[2:3], 2, v[2:3]
	s_addc_u32 s1, s43, s1
	v_mov_b32_e32 v4, s1
	v_add_co_u32_e64 v2, s[4:5], s0, v2
	v_addc_co_u32_e64 v3, s[4:5], v4, v3, s[4:5]
	s_mov_b64 s[0:1], 0
	v_mov_b32_e32 v5, 0
	v_mov_b32_e32 v12, v0
                                        ; implicit-def: $sgpr24_sgpr25
                                        ; implicit-def: $vgpr8_vgpr9
	s_branch .LBB144_492
.LBB144_491:                            ;   in Loop: Header=BB144_492 Depth=1
	s_or_b64 exec, exec, s[26:27]
	s_xor_b64 s[4:5], s[28:29], -1
	s_and_b64 s[6:7], exec, s[6:7]
	s_or_b64 s[0:1], s[6:7], s[0:1]
	s_andn2_b64 s[6:7], s[24:25], exec
	s_and_b64 s[4:5], s[4:5], exec
	v_mov_b32_e32 v13, v7
	s_or_b64 s[24:25], s[6:7], s[4:5]
	v_mov_b32_e32 v16, v18
	v_mov_b32_e32 v12, v6
	s_andn2_b64 exec, exec, s[0:1]
	s_cbranch_execz .LBB144_504
.LBB144_492:                            ; =>This Inner Loop Header: Depth=1
	v_add_co_u32_e64 v6, s[4:5], s33, v12
	v_addc_co_u32_e64 v7, s[4:5], 0, v13, s[4:5]
	v_cmp_gt_u64_e64 s[4:5], s[56:57], v[6:7]
	v_mov_b32_e32 v18, 0
	s_and_saveexec_b64 s[6:7], s[4:5]
	s_cbranch_execz .LBB144_494
; %bb.493:                              ;   in Loop: Header=BB144_492 Depth=1
	global_load_dword v18, v[2:3], off
.LBB144_494:                            ;   in Loop: Header=BB144_492 Depth=1
	s_or_b64 exec, exec, s[6:7]
	s_waitcnt vmcnt(0)
	v_xor_b32_e32 v4, 0x80000000, v16
	v_cmp_gt_u32_e64 s[6:7], v4, v17
	v_cndmask_b32_e64 v14, 0, 1, s[6:7]
	v_cmp_lt_u32_e64 s[6:7], v4, v17
	v_cndmask_b32_e64 v4, 0, 1, s[6:7]
	v_cndmask_b32_e64 v4, v4, v14, s[44:45]
	v_cmp_gt_u64_e64 s[4:5], s[56:57], v[12:13]
	v_and_b32_e32 v4, 1, v4
	v_cmp_eq_u32_e64 s[6:7], 1, v4
	s_and_b64 s[28:29], s[4:5], s[6:7]
	v_cndmask_b32_e64 v4, 0, 1, s[28:29]
	v_cmp_ne_u32_e64 s[4:5], 0, v4
	s_cmp_lg_u64 s[4:5], 0
	s_cselect_b64 s[6:7], -1, 0
	s_and_b64 s[6:7], s[94:95], s[6:7]
	s_and_saveexec_b64 s[26:27], s[6:7]
	s_cbranch_execz .LBB144_498
; %bb.495:                              ;   in Loop: Header=BB144_492 Depth=1
	s_mov_b64 s[34:35], exec
	v_mbcnt_lo_u32_b32 v4, s34, 0
	v_mbcnt_hi_u32_b32 v14, s35, v4
	s_bcnt1_i32_b64 s40, s[4:5]
	v_cmp_eq_u32_e64 s[6:7], 0, v14
                                        ; implicit-def: $vgpr8_vgpr9
	s_and_saveexec_b64 s[30:31], s[6:7]
	s_cbranch_execz .LBB144_497
; %bb.496:                              ;   in Loop: Header=BB144_492 Depth=1
	s_bcnt1_i32_b64 s6, s[34:35]
	s_mul_i32 s6, s40, s6
	v_mov_b32_e32 v4, s6
	s_waitcnt lgkmcnt(0)
	ds_add_rtn_u64 v[8:9], v5, v[4:5] offset:5136
.LBB144_497:                            ;   in Loop: Header=BB144_492 Depth=1
	s_or_b64 exec, exec, s[30:31]
	s_waitcnt lgkmcnt(0)
	v_readfirstlane_b32 s6, v9
	v_readfirstlane_b32 s7, v8
	v_mov_b32_e32 v8, s7
	v_mov_b32_e32 v9, s6
	v_mad_u64_u32 v[8:9], s[6:7], s40, v14, v[8:9]
.LBB144_498:                            ;   in Loop: Header=BB144_492 Depth=1
	s_or_b64 exec, exec, s[26:27]
	s_waitcnt lgkmcnt(0)
	ds_bpermute_b32 v8, v29, v8
	ds_bpermute_b32 v9, v29, v9
	s_mov_b64 s[6:7], -1
	s_mov_b64 s[30:31], -1
	s_and_saveexec_b64 s[26:27], s[28:29]
	s_cbranch_execz .LBB144_502
; %bb.499:                              ;   in Loop: Header=BB144_492 Depth=1
	v_and_b32_e32 v14, s4, v31
	v_and_b32_e32 v4, s5, v30
	v_bcnt_u32_b32 v14, v14, 0
	v_bcnt_u32_b32 v4, v4, v14
	s_waitcnt lgkmcnt(0)
	v_add_co_u32_e64 v14, s[4:5], v8, v4
	v_addc_co_u32_e64 v15, s[4:5], 0, v9, s[4:5]
	v_cmp_gt_u64_e64 s[4:5], s[58:59], v[14:15]
	s_mov_b64 s[28:29], 0
	s_and_saveexec_b64 s[30:31], s[4:5]
; %bb.500:                              ;   in Loop: Header=BB144_492 Depth=1
	v_mul_lo_u32 v4, v15, s18
	v_mul_lo_u32 v21, v14, s19
	v_mad_u64_u32 v[19:20], s[4:5], v14, s18, 0
	v_mul_lo_u32 v22, v15, s20
	v_mul_lo_u32 v23, v14, s21
	v_mad_u64_u32 v[14:15], s[4:5], v14, s20, 0
	v_add3_u32 v20, v20, v21, v4
	v_lshlrev_b64 v[19:20], 2, v[19:20]
	v_add3_u32 v15, v15, v23, v22
	v_mov_b32_e32 v4, s37
	v_add_co_u32_e64 v19, s[4:5], s36, v19
	v_lshlrev_b64 v[14:15], 3, v[14:15]
	v_addc_co_u32_e64 v20, s[4:5], v4, v20, s[4:5]
	v_mov_b32_e32 v4, s39
	v_add_co_u32_e64 v14, s[4:5], s38, v14
	s_mov_b64 s[28:29], exec
	v_addc_co_u32_e64 v15, s[4:5], v4, v15, s[4:5]
	global_store_dword v[19:20], v16, off
	global_store_dwordx2 v[14:15], v[12:13], off
; %bb.501:                              ;   in Loop: Header=BB144_492 Depth=1
	s_or_b64 exec, exec, s[30:31]
	s_orn2_b64 s[30:31], s[28:29], exec
.LBB144_502:                            ;   in Loop: Header=BB144_492 Depth=1
	s_or_b64 exec, exec, s[26:27]
	s_mov_b64 s[28:29], -1
	s_and_saveexec_b64 s[26:27], s[30:31]
	s_cbranch_execz .LBB144_491
; %bb.503:                              ;   in Loop: Header=BB144_492 Depth=1
	v_readlane_b32 s4, v55, 42
	v_readlane_b32 s5, v55, 43
	v_mov_b32_e32 v4, s5
	v_add_co_u32_e64 v2, s[4:5], s4, v2
	v_addc_co_u32_e64 v3, s[4:5], v3, v4, s[4:5]
	v_cmp_le_u64_e64 s[4:5], s[16:17], v[6:7]
	s_xor_b64 s[28:29], exec, -1
	s_orn2_b64 s[6:7], s[4:5], exec
	s_branch .LBB144_491
.LBB144_504:
	s_or_b64 exec, exec, s[0:1]
	s_mov_b64 s[0:1], exec
	s_orn2_b64 s[6:7], s[24:25], exec
	s_or_b64 exec, exec, s[22:23]
	s_and_saveexec_b64 s[4:5], s[6:7]
	s_cbranch_execz .LBB144_481
.LBB144_505:
	v_mov_b32_e32 v4, 0
	s_waitcnt vmcnt(0) lgkmcnt(0)
	s_barrier
	s_mov_b64 s[2:3], exec
	v_readlane_b32 s6, v55, 24
	v_readlane_b32 s7, v55, 25
	s_and_b64 s[6:7], s[2:3], s[6:7]
	s_mov_b64 exec, s[6:7]
	s_cbranch_execz .LBB144_507
; %bb.506:
	global_load_dword v4, v[10:11], off
.LBB144_507:
	s_or_b64 exec, exec, s[2:3]
	s_mov_b64 s[2:3], 0
	s_and_saveexec_b64 s[6:7], vcc
	s_cbranch_execz .LBB144_527
; %bb.508:
	v_add_u32_e32 v5, s33, v0
	v_mad_u64_u32 v[2:3], s[2:3], s62, v5, 0
	s_mov_b64 s[22:23], 0
                                        ; implicit-def: $sgpr24_sgpr25
                                        ; implicit-def: $vgpr8_vgpr9
	s_waitcnt vmcnt(0)
	v_mad_u64_u32 v[5:6], s[2:3], s63, v5, v[3:4]
	v_readlane_b32 s2, v55, 14
	v_readlane_b32 s3, v55, 15
	v_mov_b32_e32 v3, v5
	s_add_u32 s2, s42, s2
	v_lshlrev_b64 v[2:3], 2, v[2:3]
	s_addc_u32 s3, s43, s3
	v_mov_b32_e32 v6, s3
	v_add_co_u32_e32 v2, vcc, s2, v2
	v_addc_co_u32_e32 v3, vcc, v6, v3, vcc
	v_mov_b32_e32 v5, 0
	s_branch .LBB144_511
.LBB144_509:                            ;   in Loop: Header=BB144_511 Depth=1
	s_or_b64 exec, exec, s[28:29]
	s_orn2_b64 s[30:31], s[34:35], exec
	s_orn2_b64 s[28:29], s[26:27], exec
.LBB144_510:                            ;   in Loop: Header=BB144_511 Depth=1
	s_or_b64 exec, exec, s[2:3]
	s_xor_b64 s[2:3], s[30:31], -1
	s_and_b64 s[26:27], exec, s[28:29]
	s_or_b64 s[22:23], s[26:27], s[22:23]
	s_andn2_b64 s[24:25], s[24:25], exec
	s_and_b64 s[2:3], s[2:3], exec
	v_mov_b32_e32 v0, v6
	s_or_b64 s[24:25], s[24:25], s[2:3]
	v_mov_b32_e32 v1, v7
	s_waitcnt vmcnt(0)
	v_mov_b32_e32 v4, v12
	s_andn2_b64 exec, exec, s[22:23]
	s_cbranch_execz .LBB144_525
.LBB144_511:                            ; =>This Inner Loop Header: Depth=1
	v_add_co_u32_e32 v6, vcc, s33, v0
	v_addc_co_u32_e32 v7, vcc, 0, v1, vcc
	v_cmp_gt_u64_e32 vcc, s[56:57], v[6:7]
	v_mov_b32_e32 v12, 0
	s_and_saveexec_b64 s[2:3], vcc
	s_cbranch_execz .LBB144_513
; %bb.512:                              ;   in Loop: Header=BB144_511 Depth=1
	global_load_dword v12, v[2:3], off
.LBB144_513:                            ;   in Loop: Header=BB144_511 Depth=1
	s_or_b64 exec, exec, s[2:3]
	v_cmp_gt_u64_e32 vcc, s[56:57], v[0:1]
	v_cmp_eq_u32_e64 s[2:3], v4, v24
	s_and_b64 s[26:27], vcc, s[2:3]
	v_cndmask_b32_e64 v4, 0, 1, s[26:27]
	v_cmp_ne_u32_e32 vcc, 0, v4
	s_cmp_lg_u64 vcc, 0
	s_cselect_b64 s[2:3], -1, 0
	s_and_b64 s[2:3], s[94:95], s[2:3]
	s_and_saveexec_b64 s[28:29], s[2:3]
	s_cbranch_execz .LBB144_517
; %bb.514:                              ;   in Loop: Header=BB144_511 Depth=1
	s_mov_b64 s[34:35], exec
	v_mbcnt_lo_u32_b32 v4, s34, 0
	v_mbcnt_hi_u32_b32 v10, s35, v4
	s_bcnt1_i32_b64 s40, vcc
	v_cmp_eq_u32_e64 s[2:3], 0, v10
                                        ; implicit-def: $vgpr8_vgpr9
	s_and_saveexec_b64 s[30:31], s[2:3]
; %bb.515:                              ;   in Loop: Header=BB144_511 Depth=1
	s_bcnt1_i32_b64 s2, s[34:35]
	s_mul_i32 s2, s40, s2
	v_mov_b32_e32 v4, s2
	ds_add_rtn_u64 v[8:9], v5, v[4:5] offset:5136
; %bb.516:                              ;   in Loop: Header=BB144_511 Depth=1
	s_or_b64 exec, exec, s[30:31]
	s_waitcnt lgkmcnt(0)
	v_readfirstlane_b32 s2, v9
	v_readfirstlane_b32 s3, v8
	v_mov_b32_e32 v8, s3
	v_mov_b32_e32 v9, s2
	v_mad_u64_u32 v[8:9], s[2:3], s40, v10, v[8:9]
.LBB144_517:                            ;   in Loop: Header=BB144_511 Depth=1
	s_or_b64 exec, exec, s[28:29]
	ds_bpermute_b32 v8, v29, v8
	ds_bpermute_b32 v9, v29, v9
	s_cmp_eq_u64 vcc, 0
	s_cselect_b64 s[30:31], -1, 0
	s_mov_b64 s[28:29], -1
	s_waitcnt lgkmcnt(0)
	v_cmp_gt_u64_e64 s[2:3], s[58:59], v[8:9]
	s_or_b64 s[34:35], s[30:31], s[2:3]
	s_mov_b64 s[30:31], -1
	s_and_saveexec_b64 s[2:3], s[34:35]
	s_cbranch_execz .LBB144_510
; %bb.518:                              ;   in Loop: Header=BB144_511 Depth=1
	v_and_b32_e32 v10, vcc_lo, v31
	v_and_b32_e32 v4, vcc_hi, v30
	v_bcnt_u32_b32 v10, v10, 0
	v_bcnt_u32_b32 v4, v4, v10
	v_mov_b32_e32 v11, s59
	v_sub_co_u32_e32 v10, vcc, s58, v8
	v_subb_co_u32_e32 v11, vcc, v11, v9, vcc
	v_cmp_gt_u64_e32 vcc, v[10:11], v[4:5]
	s_mov_b64 s[34:35], -1
	s_and_b64 s[40:41], s[26:27], vcc
	s_mov_b64 s[26:27], -1
	s_and_saveexec_b64 s[28:29], s[40:41]
	s_cbranch_execz .LBB144_522
; %bb.519:                              ;   in Loop: Header=BB144_511 Depth=1
	v_add_co_u32_e32 v10, vcc, v8, v4
	v_addc_co_u32_e32 v11, vcc, 0, v9, vcc
	v_cmp_gt_u64_e32 vcc, s[58:59], v[10:11]
	s_mov_b64 s[30:31], 0
	s_and_saveexec_b64 s[34:35], vcc
; %bb.520:                              ;   in Loop: Header=BB144_511 Depth=1
	v_mul_lo_u32 v4, v11, s18
	v_mul_lo_u32 v15, v10, s19
	v_mad_u64_u32 v[13:14], s[40:41], v10, s18, 0
	v_mul_lo_u32 v16, v11, s20
	v_mul_lo_u32 v17, v10, s21
	v_mad_u64_u32 v[10:11], s[40:41], v10, s20, 0
	v_add3_u32 v14, v14, v15, v4
	v_lshlrev_b64 v[13:14], 2, v[13:14]
	v_add3_u32 v11, v11, v17, v16
	v_mov_b32_e32 v4, s37
	v_add_co_u32_e32 v13, vcc, s36, v13
	v_lshlrev_b64 v[10:11], 3, v[10:11]
	v_addc_co_u32_e32 v14, vcc, v4, v14, vcc
	v_mov_b32_e32 v4, s39
	v_add_co_u32_e32 v10, vcc, s38, v10
	s_mov_b64 s[30:31], exec
	v_addc_co_u32_e32 v11, vcc, v4, v11, vcc
	global_store_dword v[13:14], v24, off
	global_store_dwordx2 v[10:11], v[0:1], off
; %bb.521:                              ;   in Loop: Header=BB144_511 Depth=1
	s_or_b64 exec, exec, s[34:35]
	s_xor_b64 s[34:35], exec, -1
	s_orn2_b64 s[30:31], s[30:31], exec
.LBB144_522:                            ;   in Loop: Header=BB144_511 Depth=1
	s_or_b64 exec, exec, s[28:29]
	s_and_saveexec_b64 s[28:29], s[30:31]
	s_cbranch_execz .LBB144_509
; %bb.523:                              ;   in Loop: Header=BB144_511 Depth=1
	v_readlane_b32 s26, v55, 42
	v_readlane_b32 s27, v55, 43
	v_mov_b32_e32 v0, s27
	v_add_co_u32_e32 v2, vcc, s26, v2
	v_addc_co_u32_e32 v3, vcc, v3, v0, vcc
	v_cmp_le_u64_e32 vcc, s[16:17], v[6:7]
	s_or_b64 s[34:35], s[34:35], exec
	s_orn2_b64 s[26:27], vcc, exec
	s_branch .LBB144_509
.LBB144_524:
	s_or_b64 s[2:3], s[2:3], exec
	s_trap 2
	s_branch .LBB144_488
.LBB144_525:
	s_or_b64 exec, exec, s[22:23]
	s_mov_b64 s[2:3], 0
	s_and_saveexec_b64 s[16:17], s[24:25]
	s_xor_b64 s[16:17], exec, s[16:17]
	s_cbranch_execnz .LBB144_531
.LBB144_526:
	s_or_b64 exec, exec, s[16:17]
	s_and_b64 s[2:3], s[2:3], exec
.LBB144_527:
	s_or_b64 exec, exec, s[6:7]
	s_and_b64 s[2:3], s[2:3], exec
	s_andn2_b64 s[0:1], s[0:1], exec
	s_or_b64 exec, exec, s[4:5]
	s_and_saveexec_b64 s[4:5], s[0:1]
	s_xor_b64 s[0:1], exec, s[4:5]
	s_cbranch_execz .LBB144_482
.LBB144_528:
	s_trap 2
	s_or_b64 s[2:3], s[2:3], exec
	s_branch .LBB144_482
.LBB144_529:
	s_or_b64 s[2:3], s[2:3], exec
	s_trap 2
	s_branch .LBB144_486
.LBB144_530:
	s_trap 2
	s_or_b64 s[2:3], s[2:3], exec
	s_branch .LBB144_484
.LBB144_531:
	s_mov_b64 s[2:3], exec
	s_trap 2
	s_branch .LBB144_526
	.section	.rodata,"a",@progbits
	.p2align	6, 0x0
	.amdhsa_kernel _ZN2at6native6sbtopk10gatherTopKIimLi1ELb0EEEvNS_4cuda6detail10TensorInfoIKT_T0_EES8_S8_bS8_S8_NS5_IS6_S8_EES8_NS5_IlS8_EES8_PS6_
		.amdhsa_group_segment_fixed_size 5152
		.amdhsa_private_segment_fixed_size 0
		.amdhsa_kernarg_size 1568
		.amdhsa_user_sgpr_count 6
		.amdhsa_user_sgpr_private_segment_buffer 1
		.amdhsa_user_sgpr_dispatch_ptr 0
		.amdhsa_user_sgpr_queue_ptr 0
		.amdhsa_user_sgpr_kernarg_segment_ptr 1
		.amdhsa_user_sgpr_dispatch_id 0
		.amdhsa_user_sgpr_flat_scratch_init 0
		.amdhsa_user_sgpr_private_segment_size 0
		.amdhsa_uses_dynamic_stack 0
		.amdhsa_system_sgpr_private_segment_wavefront_offset 0
		.amdhsa_system_sgpr_workgroup_id_x 1
		.amdhsa_system_sgpr_workgroup_id_y 1
		.amdhsa_system_sgpr_workgroup_id_z 1
		.amdhsa_system_sgpr_workgroup_info 0
		.amdhsa_system_vgpr_workitem_id 0
		.amdhsa_next_free_vgpr 56
		.amdhsa_next_free_sgpr 96
		.amdhsa_reserve_vcc 1
		.amdhsa_reserve_flat_scratch 0
		.amdhsa_float_round_mode_32 0
		.amdhsa_float_round_mode_16_64 0
		.amdhsa_float_denorm_mode_32 3
		.amdhsa_float_denorm_mode_16_64 3
		.amdhsa_dx10_clamp 1
		.amdhsa_ieee_mode 1
		.amdhsa_fp16_overflow 0
		.amdhsa_exception_fp_ieee_invalid_op 0
		.amdhsa_exception_fp_denorm_src 0
		.amdhsa_exception_fp_ieee_div_zero 0
		.amdhsa_exception_fp_ieee_overflow 0
		.amdhsa_exception_fp_ieee_underflow 0
		.amdhsa_exception_fp_ieee_inexact 0
		.amdhsa_exception_int_div_zero 0
	.end_amdhsa_kernel
	.section	.text._ZN2at6native6sbtopk10gatherTopKIimLi1ELb0EEEvNS_4cuda6detail10TensorInfoIKT_T0_EES8_S8_bS8_S8_NS5_IS6_S8_EES8_NS5_IlS8_EES8_PS6_,"axG",@progbits,_ZN2at6native6sbtopk10gatherTopKIimLi1ELb0EEEvNS_4cuda6detail10TensorInfoIKT_T0_EES8_S8_bS8_S8_NS5_IS6_S8_EES8_NS5_IlS8_EES8_PS6_,comdat
.Lfunc_end144:
	.size	_ZN2at6native6sbtopk10gatherTopKIimLi1ELb0EEEvNS_4cuda6detail10TensorInfoIKT_T0_EES8_S8_bS8_S8_NS5_IS6_S8_EES8_NS5_IlS8_EES8_PS6_, .Lfunc_end144-_ZN2at6native6sbtopk10gatherTopKIimLi1ELb0EEEvNS_4cuda6detail10TensorInfoIKT_T0_EES8_S8_bS8_S8_NS5_IS6_S8_EES8_NS5_IlS8_EES8_PS6_
                                        ; -- End function
	.set _ZN2at6native6sbtopk10gatherTopKIimLi1ELb0EEEvNS_4cuda6detail10TensorInfoIKT_T0_EES8_S8_bS8_S8_NS5_IS6_S8_EES8_NS5_IlS8_EES8_PS6_.num_vgpr, 56
	.set _ZN2at6native6sbtopk10gatherTopKIimLi1ELb0EEEvNS_4cuda6detail10TensorInfoIKT_T0_EES8_S8_bS8_S8_NS5_IS6_S8_EES8_NS5_IlS8_EES8_PS6_.num_agpr, 0
	.set _ZN2at6native6sbtopk10gatherTopKIimLi1ELb0EEEvNS_4cuda6detail10TensorInfoIKT_T0_EES8_S8_bS8_S8_NS5_IS6_S8_EES8_NS5_IlS8_EES8_PS6_.numbered_sgpr, 96
	.set _ZN2at6native6sbtopk10gatherTopKIimLi1ELb0EEEvNS_4cuda6detail10TensorInfoIKT_T0_EES8_S8_bS8_S8_NS5_IS6_S8_EES8_NS5_IlS8_EES8_PS6_.num_named_barrier, 0
	.set _ZN2at6native6sbtopk10gatherTopKIimLi1ELb0EEEvNS_4cuda6detail10TensorInfoIKT_T0_EES8_S8_bS8_S8_NS5_IS6_S8_EES8_NS5_IlS8_EES8_PS6_.private_seg_size, 0
	.set _ZN2at6native6sbtopk10gatherTopKIimLi1ELb0EEEvNS_4cuda6detail10TensorInfoIKT_T0_EES8_S8_bS8_S8_NS5_IS6_S8_EES8_NS5_IlS8_EES8_PS6_.uses_vcc, 1
	.set _ZN2at6native6sbtopk10gatherTopKIimLi1ELb0EEEvNS_4cuda6detail10TensorInfoIKT_T0_EES8_S8_bS8_S8_NS5_IS6_S8_EES8_NS5_IlS8_EES8_PS6_.uses_flat_scratch, 0
	.set _ZN2at6native6sbtopk10gatherTopKIimLi1ELb0EEEvNS_4cuda6detail10TensorInfoIKT_T0_EES8_S8_bS8_S8_NS5_IS6_S8_EES8_NS5_IlS8_EES8_PS6_.has_dyn_sized_stack, 0
	.set _ZN2at6native6sbtopk10gatherTopKIimLi1ELb0EEEvNS_4cuda6detail10TensorInfoIKT_T0_EES8_S8_bS8_S8_NS5_IS6_S8_EES8_NS5_IlS8_EES8_PS6_.has_recursion, 0
	.set _ZN2at6native6sbtopk10gatherTopKIimLi1ELb0EEEvNS_4cuda6detail10TensorInfoIKT_T0_EES8_S8_bS8_S8_NS5_IS6_S8_EES8_NS5_IlS8_EES8_PS6_.has_indirect_call, 0
	.section	.AMDGPU.csdata,"",@progbits
; Kernel info:
; codeLenInByte = 24944
; TotalNumSgprs: 100
; NumVgprs: 56
; ScratchSize: 0
; MemoryBound: 0
; FloatMode: 240
; IeeeMode: 1
; LDSByteSize: 5152 bytes/workgroup (compile time only)
; SGPRBlocks: 12
; VGPRBlocks: 13
; NumSGPRsForWavesPerEU: 100
; NumVGPRsForWavesPerEU: 56
; Occupancy: 4
; WaveLimiterHint : 1
; COMPUTE_PGM_RSRC2:SCRATCH_EN: 0
; COMPUTE_PGM_RSRC2:USER_SGPR: 6
; COMPUTE_PGM_RSRC2:TRAP_HANDLER: 0
; COMPUTE_PGM_RSRC2:TGID_X_EN: 1
; COMPUTE_PGM_RSRC2:TGID_Y_EN: 1
; COMPUTE_PGM_RSRC2:TGID_Z_EN: 1
; COMPUTE_PGM_RSRC2:TIDIG_COMP_CNT: 0
	.section	.text._ZN2at6native6mbtopk23computeBlockDigitCountsIimjLi2EEEvNS_4cuda6detail10TensorInfoIKT_T0_EEjPjjS8_iijT1_PSB_Ps,"axG",@progbits,_ZN2at6native6mbtopk23computeBlockDigitCountsIimjLi2EEEvNS_4cuda6detail10TensorInfoIKT_T0_EEjPjjS8_iijT1_PSB_Ps,comdat
	.protected	_ZN2at6native6mbtopk23computeBlockDigitCountsIimjLi2EEEvNS_4cuda6detail10TensorInfoIKT_T0_EEjPjjS8_iijT1_PSB_Ps ; -- Begin function _ZN2at6native6mbtopk23computeBlockDigitCountsIimjLi2EEEvNS_4cuda6detail10TensorInfoIKT_T0_EEjPjjS8_iijT1_PSB_Ps
	.globl	_ZN2at6native6mbtopk23computeBlockDigitCountsIimjLi2EEEvNS_4cuda6detail10TensorInfoIKT_T0_EEjPjjS8_iijT1_PSB_Ps
	.p2align	8
	.type	_ZN2at6native6mbtopk23computeBlockDigitCountsIimjLi2EEEvNS_4cuda6detail10TensorInfoIKT_T0_EEjPjjS8_iijT1_PSB_Ps,@function
_ZN2at6native6mbtopk23computeBlockDigitCountsIimjLi2EEEvNS_4cuda6detail10TensorInfoIKT_T0_EEjPjjS8_iijT1_PSB_Ps: ; @_ZN2at6native6mbtopk23computeBlockDigitCountsIimjLi2EEEvNS_4cuda6detail10TensorInfoIKT_T0_EEjPjjS8_iijT1_PSB_Ps
; %bb.0:
	s_load_dwordx4 s[0:3], s[4:5], 0x1c0
	s_load_dword s9, s[4:5], 0x1b0
	s_load_dwordx2 s[10:11], s[4:5], 0x1e0
	s_waitcnt lgkmcnt(0)
	v_cvt_f32_u32_e32 v1, s2
	s_mul_i32 s8, s11, s8
	s_add_i32 s7, s8, s7
	v_rcp_iflag_f32_e32 v1, v1
	s_mul_i32 s18, s7, s10
	s_sub_i32 s11, 0, s2
	s_add_i32 s18, s18, s6
	v_mul_f32_e32 v1, 0x4f7ffffe, v1
	v_cvt_u32_f32_e32 v1, v1
	v_readfirstlane_b32 s6, v1
	s_mul_i32 s11, s11, s6
	s_mul_hi_u32 s7, s6, s11
	s_add_i32 s6, s6, s7
	s_mul_hi_u32 s6, s18, s6
	s_mul_i32 s7, s6, s2
	s_sub_i32 s7, s18, s7
	s_add_i32 s8, s6, 1
	s_sub_i32 s10, s7, s2
	s_cmp_ge_u32 s7, s2
	s_cselect_b32 s6, s8, s6
	s_cselect_b32 s7, s10, s7
	s_add_i32 s8, s6, 1
	s_cmp_ge_u32 s7, s2
	s_cselect_b32 s6, s8, s6
	s_cmp_ge_u32 s6, s9
	s_mov_b32 s7, 0
	s_cbranch_scc1 .LBB145_23
; %bb.1:
	s_load_dwordx4 s[8:11], s[4:5], 0x1d0
	s_load_dwordx2 s[12:13], s[4:5], 0x10
	s_lshl_b64 s[14:15], s[6:7], 2
	s_waitcnt lgkmcnt(0)
	s_add_u32 s8, s8, s14
	v_mov_b32_e32 v1, s12
	v_mov_b32_e32 v2, s13
	v_cmp_lt_u64_e32 vcc, s[6:7], v[1:2]
	s_addc_u32 s9, s9, s15
	s_mov_b64 s[14:15], 0
	s_cbranch_vccnz .LBB145_3
; %bb.2:
	v_cvt_f32_u32_e32 v1, s12
	s_sub_i32 s7, 0, s12
	v_rcp_iflag_f32_e32 v1, v1
	v_mul_f32_e32 v1, 0x4f7ffffe, v1
	v_cvt_u32_f32_e32 v1, v1
	v_readfirstlane_b32 s14, v1
	s_mul_i32 s7, s7, s14
	s_mul_hi_u32 s7, s14, s7
	s_add_i32 s14, s14, s7
	s_mul_hi_u32 s7, s6, s14
	s_mul_i32 s15, s7, s12
	s_sub_i32 s15, s6, s15
	s_add_i32 s14, s7, 1
	s_sub_i32 s16, s15, s12
	s_cmp_ge_u32 s15, s12
	s_cselect_b32 s7, s14, s7
	s_cselect_b32 s15, s16, s15
	s_add_i32 s14, s7, 1
	s_cmp_ge_u32 s15, s12
	s_cselect_b32 s14, s14, s7
.LBB145_3:
	s_movk_i32 s7, 0x100
	v_cmp_gt_u32_e32 vcc, s7, v0
	v_lshlrev_b32_e32 v1, 2, v0
	s_and_saveexec_b64 s[16:17], vcc
; %bb.4:
	v_mov_b32_e32 v2, 0
	ds_write_b32 v1, v2
; %bb.5:
	s_or_b64 exec, exec, s[16:17]
	s_load_dword s15, s[4:5], 0x1a0
	s_mul_i32 s7, s6, s2
	s_sub_i32 s7, s18, s7
	s_add_i32 s19, s7, 1
	s_mul_i32 s7, s1, s7
	s_lshl_b32 s7, s7, 8
	s_waitcnt lgkmcnt(0)
	s_sub_i32 s16, s15, s7
	s_add_u32 s16, s16, 0xff
	s_addc_u32 s17, 0, 0
	s_lshr_b64 s[16:17], s[16:17], 8
	s_cmp_lt_u32 s19, s2
	s_cselect_b32 s16, s1, s16
	s_cmp_lt_i32 s16, 1
	s_mov_b32 s1, 0
	s_barrier
	s_cbranch_scc1 .LBB145_21
; %bb.6:
	s_load_dwordx2 s[24:25], s[4:5], 0x0
	s_load_dwordx4 s[20:23], s[4:5], 0xd0
	s_load_dword s2, s[8:9], 0x0
	s_mul_i32 s8, s14, s13
	s_mul_hi_u32 s9, s14, s12
	s_add_i32 s9, s9, s8
	s_mul_i32 s8, s14, s12
	s_sub_u32 s6, s6, s8
	s_subb_u32 s8, 0, s9
	s_waitcnt lgkmcnt(0)
	s_mul_i32 s9, s6, s23
	s_mul_hi_u32 s12, s6, s22
	s_add_i32 s9, s12, s9
	s_mul_i32 s8, s8, s22
	s_add_i32 s9, s9, s8
	s_mul_i32 s8, s6, s22
	s_mul_i32 s6, s14, s21
	s_mul_hi_u32 s12, s14, s20
	s_add_i32 s13, s12, s6
	s_mul_i32 s12, s14, s20
	s_lshl_b64 s[12:13], s[12:13], 2
	s_add_u32 s6, s24, s12
	s_load_dwordx2 s[4:5], s[4:5], 0x1b8
	s_addc_u32 s14, s25, s13
	s_lshl_b64 s[12:13], s[8:9], 2
	s_add_u32 s9, s6, s12
	s_addc_u32 s12, s14, s13
	s_and_b32 s8, s0, 0xff
	s_cmp_eq_u32 s16, 1
	v_add_u32_e32 v2, s7, v0
	s_cbranch_scc1 .LBB145_16
; %bb.7:
	s_and_b32 s13, s16, 0x7ffffffe
	s_mov_b32 s14, 0
	v_mov_b32_e32 v3, 1
	v_mov_b32_e32 v4, v2
	s_branch .LBB145_9
.LBB145_8:                              ;   in Loop: Header=BB145_9 Depth=1
	s_or_b64 exec, exec, s[6:7]
	s_add_i32 s14, s14, 2
	s_cmp_eq_u32 s13, s14
	v_add_u32_e32 v4, 0x200, v4
	s_cbranch_scc1 .LBB145_15
.LBB145_9:                              ; =>This Inner Loop Header: Depth=1
	v_cmp_gt_u32_e64 s[0:1], s15, v4
	s_and_saveexec_b64 s[6:7], s[0:1]
	s_cbranch_execz .LBB145_12
; %bb.10:                               ;   in Loop: Header=BB145_9 Depth=1
	s_waitcnt lgkmcnt(0)
	v_mad_u64_u32 v[5:6], s[0:1], s4, v4, 0
	v_mad_u64_u32 v[6:7], s[0:1], s5, v4, v[6:7]
	v_mov_b32_e32 v7, s12
	v_lshlrev_b64 v[5:6], 2, v[5:6]
	v_add_co_u32_e64 v5, s[0:1], s9, v5
	v_addc_co_u32_e64 v6, s[0:1], v7, v6, s[0:1]
	global_load_dword v5, v[5:6], off
	s_waitcnt vmcnt(0)
	v_xor_b32_e32 v5, 0x80000000, v5
	v_xor_b32_e32 v6, s2, v5
	v_and_b32_e32 v6, s3, v6
	v_cmp_eq_u32_e64 s[0:1], 0, v6
	s_and_b64 exec, exec, s[0:1]
; %bb.11:                               ;   in Loop: Header=BB145_9 Depth=1
	v_bfe_u32 v5, v5, s8, 8
	v_lshlrev_b32_e32 v5, 2, v5
	ds_add_u32 v5, v3
.LBB145_12:                             ;   in Loop: Header=BB145_9 Depth=1
	s_or_b64 exec, exec, s[6:7]
	v_add_u32_e32 v5, 0x100, v4
	v_cmp_gt_u32_e64 s[0:1], s15, v5
	s_and_saveexec_b64 s[6:7], s[0:1]
	s_cbranch_execz .LBB145_8
; %bb.13:                               ;   in Loop: Header=BB145_9 Depth=1
	s_waitcnt lgkmcnt(0)
	v_mad_u64_u32 v[6:7], s[0:1], s4, v5, 0
	v_mad_u64_u32 v[7:8], s[0:1], s5, v5, v[7:8]
	v_mov_b32_e32 v8, s12
	v_lshlrev_b64 v[5:6], 2, v[6:7]
	v_add_co_u32_e64 v5, s[0:1], s9, v5
	v_addc_co_u32_e64 v6, s[0:1], v8, v6, s[0:1]
	global_load_dword v5, v[5:6], off
	s_waitcnt vmcnt(0)
	v_xor_b32_e32 v5, 0x80000000, v5
	v_xor_b32_e32 v6, s2, v5
	v_and_b32_e32 v6, s3, v6
	v_cmp_eq_u32_e64 s[0:1], 0, v6
	s_and_b64 exec, exec, s[0:1]
	s_cbranch_execz .LBB145_8
; %bb.14:                               ;   in Loop: Header=BB145_9 Depth=1
	v_bfe_u32 v5, v5, s8, 8
	v_lshlrev_b32_e32 v5, 2, v5
	ds_add_u32 v5, v3
	s_branch .LBB145_8
.LBB145_15:
	s_lshl_b32 s1, s13, 8
.LBB145_16:
	s_bitcmp0_b32 s16, 0
	s_cbranch_scc1 .LBB145_21
; %bb.17:
	v_add_u32_e32 v2, s1, v2
	v_cmp_gt_u32_e64 s[0:1], s15, v2
	s_and_saveexec_b64 s[6:7], s[0:1]
	s_cbranch_execz .LBB145_20
; %bb.18:
	s_waitcnt lgkmcnt(0)
	v_mad_u64_u32 v[3:4], s[0:1], s4, v2, 0
	v_mad_u64_u32 v[4:5], s[0:1], s5, v2, v[4:5]
	v_mov_b32_e32 v5, s12
	v_lshlrev_b64 v[2:3], 2, v[3:4]
	v_add_co_u32_e64 v2, s[0:1], s9, v2
	v_addc_co_u32_e64 v3, s[0:1], v5, v3, s[0:1]
	global_load_dword v2, v[2:3], off
	s_waitcnt vmcnt(0)
	v_xor_b32_e32 v2, 0x80000000, v2
	v_xor_b32_e32 v3, s2, v2
	v_and_b32_e32 v3, s3, v3
	v_cmp_eq_u32_e64 s[0:1], 0, v3
	s_and_b64 exec, exec, s[0:1]
; %bb.19:
	v_bfe_u32 v2, v2, s8, 8
	v_lshlrev_b32_e32 v2, 2, v2
	v_mov_b32_e32 v3, 1
	ds_add_u32 v2, v3
.LBB145_20:
	s_or_b64 exec, exec, s[6:7]
.LBB145_21:
	s_waitcnt lgkmcnt(0)
	s_barrier
	s_and_saveexec_b64 s[0:1], vcc
	s_cbranch_execz .LBB145_23
; %bb.22:
	v_lshl_or_b32 v2, s18, 8, v0
	v_mov_b32_e32 v3, 0
	ds_read_b32 v5, v1
	v_lshlrev_b64 v[2:3], 1, v[2:3]
	v_mov_b32_e32 v4, s11
	v_add_co_u32_e32 v0, vcc, s10, v2
	v_addc_co_u32_e32 v1, vcc, v4, v3, vcc
	s_waitcnt lgkmcnt(0)
	global_store_short v[0:1], v5, off
.LBB145_23:
	s_endpgm
	.section	.rodata,"a",@progbits
	.p2align	6, 0x0
	.amdhsa_kernel _ZN2at6native6mbtopk23computeBlockDigitCountsIimjLi2EEEvNS_4cuda6detail10TensorInfoIKT_T0_EEjPjjS8_iijT1_PSB_Ps
		.amdhsa_group_segment_fixed_size 1024
		.amdhsa_private_segment_fixed_size 0
		.amdhsa_kernarg_size 736
		.amdhsa_user_sgpr_count 6
		.amdhsa_user_sgpr_private_segment_buffer 1
		.amdhsa_user_sgpr_dispatch_ptr 0
		.amdhsa_user_sgpr_queue_ptr 0
		.amdhsa_user_sgpr_kernarg_segment_ptr 1
		.amdhsa_user_sgpr_dispatch_id 0
		.amdhsa_user_sgpr_flat_scratch_init 0
		.amdhsa_user_sgpr_private_segment_size 0
		.amdhsa_uses_dynamic_stack 0
		.amdhsa_system_sgpr_private_segment_wavefront_offset 0
		.amdhsa_system_sgpr_workgroup_id_x 1
		.amdhsa_system_sgpr_workgroup_id_y 1
		.amdhsa_system_sgpr_workgroup_id_z 1
		.amdhsa_system_sgpr_workgroup_info 0
		.amdhsa_system_vgpr_workitem_id 0
		.amdhsa_next_free_vgpr 9
		.amdhsa_next_free_sgpr 26
		.amdhsa_reserve_vcc 1
		.amdhsa_reserve_flat_scratch 0
		.amdhsa_float_round_mode_32 0
		.amdhsa_float_round_mode_16_64 0
		.amdhsa_float_denorm_mode_32 3
		.amdhsa_float_denorm_mode_16_64 3
		.amdhsa_dx10_clamp 1
		.amdhsa_ieee_mode 1
		.amdhsa_fp16_overflow 0
		.amdhsa_exception_fp_ieee_invalid_op 0
		.amdhsa_exception_fp_denorm_src 0
		.amdhsa_exception_fp_ieee_div_zero 0
		.amdhsa_exception_fp_ieee_overflow 0
		.amdhsa_exception_fp_ieee_underflow 0
		.amdhsa_exception_fp_ieee_inexact 0
		.amdhsa_exception_int_div_zero 0
	.end_amdhsa_kernel
	.section	.text._ZN2at6native6mbtopk23computeBlockDigitCountsIimjLi2EEEvNS_4cuda6detail10TensorInfoIKT_T0_EEjPjjS8_iijT1_PSB_Ps,"axG",@progbits,_ZN2at6native6mbtopk23computeBlockDigitCountsIimjLi2EEEvNS_4cuda6detail10TensorInfoIKT_T0_EEjPjjS8_iijT1_PSB_Ps,comdat
.Lfunc_end145:
	.size	_ZN2at6native6mbtopk23computeBlockDigitCountsIimjLi2EEEvNS_4cuda6detail10TensorInfoIKT_T0_EEjPjjS8_iijT1_PSB_Ps, .Lfunc_end145-_ZN2at6native6mbtopk23computeBlockDigitCountsIimjLi2EEEvNS_4cuda6detail10TensorInfoIKT_T0_EEjPjjS8_iijT1_PSB_Ps
                                        ; -- End function
	.set _ZN2at6native6mbtopk23computeBlockDigitCountsIimjLi2EEEvNS_4cuda6detail10TensorInfoIKT_T0_EEjPjjS8_iijT1_PSB_Ps.num_vgpr, 9
	.set _ZN2at6native6mbtopk23computeBlockDigitCountsIimjLi2EEEvNS_4cuda6detail10TensorInfoIKT_T0_EEjPjjS8_iijT1_PSB_Ps.num_agpr, 0
	.set _ZN2at6native6mbtopk23computeBlockDigitCountsIimjLi2EEEvNS_4cuda6detail10TensorInfoIKT_T0_EEjPjjS8_iijT1_PSB_Ps.numbered_sgpr, 26
	.set _ZN2at6native6mbtopk23computeBlockDigitCountsIimjLi2EEEvNS_4cuda6detail10TensorInfoIKT_T0_EEjPjjS8_iijT1_PSB_Ps.num_named_barrier, 0
	.set _ZN2at6native6mbtopk23computeBlockDigitCountsIimjLi2EEEvNS_4cuda6detail10TensorInfoIKT_T0_EEjPjjS8_iijT1_PSB_Ps.private_seg_size, 0
	.set _ZN2at6native6mbtopk23computeBlockDigitCountsIimjLi2EEEvNS_4cuda6detail10TensorInfoIKT_T0_EEjPjjS8_iijT1_PSB_Ps.uses_vcc, 1
	.set _ZN2at6native6mbtopk23computeBlockDigitCountsIimjLi2EEEvNS_4cuda6detail10TensorInfoIKT_T0_EEjPjjS8_iijT1_PSB_Ps.uses_flat_scratch, 0
	.set _ZN2at6native6mbtopk23computeBlockDigitCountsIimjLi2EEEvNS_4cuda6detail10TensorInfoIKT_T0_EEjPjjS8_iijT1_PSB_Ps.has_dyn_sized_stack, 0
	.set _ZN2at6native6mbtopk23computeBlockDigitCountsIimjLi2EEEvNS_4cuda6detail10TensorInfoIKT_T0_EEjPjjS8_iijT1_PSB_Ps.has_recursion, 0
	.set _ZN2at6native6mbtopk23computeBlockDigitCountsIimjLi2EEEvNS_4cuda6detail10TensorInfoIKT_T0_EEjPjjS8_iijT1_PSB_Ps.has_indirect_call, 0
	.section	.AMDGPU.csdata,"",@progbits
; Kernel info:
; codeLenInByte = 1064
; TotalNumSgprs: 30
; NumVgprs: 9
; ScratchSize: 0
; MemoryBound: 0
; FloatMode: 240
; IeeeMode: 1
; LDSByteSize: 1024 bytes/workgroup (compile time only)
; SGPRBlocks: 3
; VGPRBlocks: 2
; NumSGPRsForWavesPerEU: 30
; NumVGPRsForWavesPerEU: 9
; Occupancy: 10
; WaveLimiterHint : 1
; COMPUTE_PGM_RSRC2:SCRATCH_EN: 0
; COMPUTE_PGM_RSRC2:USER_SGPR: 6
; COMPUTE_PGM_RSRC2:TRAP_HANDLER: 0
; COMPUTE_PGM_RSRC2:TGID_X_EN: 1
; COMPUTE_PGM_RSRC2:TGID_Y_EN: 1
; COMPUTE_PGM_RSRC2:TGID_Z_EN: 1
; COMPUTE_PGM_RSRC2:TIDIG_COMP_CNT: 0
	.section	.text._ZN2at6native6mbtopk10gatherTopKIimLi2EEEvNS_4cuda6detail10TensorInfoIKT_T0_EES8_S8_bjS8_NS5_IS6_S8_EES8_NS5_IlS8_EES8_jjPS6_PjSD_j,"axG",@progbits,_ZN2at6native6mbtopk10gatherTopKIimLi2EEEvNS_4cuda6detail10TensorInfoIKT_T0_EES8_S8_bjS8_NS5_IS6_S8_EES8_NS5_IlS8_EES8_jjPS6_PjSD_j,comdat
	.protected	_ZN2at6native6mbtopk10gatherTopKIimLi2EEEvNS_4cuda6detail10TensorInfoIKT_T0_EES8_S8_bjS8_NS5_IS6_S8_EES8_NS5_IlS8_EES8_jjPS6_PjSD_j ; -- Begin function _ZN2at6native6mbtopk10gatherTopKIimLi2EEEvNS_4cuda6detail10TensorInfoIKT_T0_EES8_S8_bjS8_NS5_IS6_S8_EES8_NS5_IlS8_EES8_jjPS6_PjSD_j
	.globl	_ZN2at6native6mbtopk10gatherTopKIimLi2EEEvNS_4cuda6detail10TensorInfoIKT_T0_EES8_S8_bjS8_NS5_IS6_S8_EES8_NS5_IlS8_EES8_jjPS6_PjSD_j
	.p2align	8
	.type	_ZN2at6native6mbtopk10gatherTopKIimLi2EEEvNS_4cuda6detail10TensorInfoIKT_T0_EES8_S8_bjS8_NS5_IS6_S8_EES8_NS5_IlS8_EES8_jjPS6_PjSD_j,@function
_ZN2at6native6mbtopk10gatherTopKIimLi2EEEvNS_4cuda6detail10TensorInfoIKT_T0_EES8_S8_bjS8_NS5_IS6_S8_EES8_NS5_IlS8_EES8_jjPS6_PjSD_j: ; @_ZN2at6native6mbtopk10gatherTopKIimLi2EEEvNS_4cuda6detail10TensorInfoIKT_T0_EES8_S8_bjS8_NS5_IS6_S8_EES8_NS5_IlS8_EES8_jjPS6_PjSD_j
; %bb.0:
	s_load_dwordx2 s[0:1], s[4:5], 0x538
	s_load_dword s2, s[4:5], 0x530
	s_waitcnt lgkmcnt(0)
	s_mul_i32 s1, s1, s8
	s_add_i32 s1, s1, s7
	s_mul_i32 s0, s1, s0
	s_add_i32 s0, s0, s6
	s_cmp_ge_u32 s0, s2
	s_cbranch_scc1 .LBB146_48
; %bb.1:
	s_load_dwordx2 s[34:35], s[4:5], 0x510
	s_load_dwordx2 s[38:39], s[4:5], 0x1d0
	s_load_dwordx4 s[8:11], s[4:5], 0x1a0
	s_load_dwordx2 s[36:37], s[4:5], 0x10
	s_mov_b32 s7, 0
	s_waitcnt lgkmcnt(0)
	v_cvt_f32_u32_e32 v1, s35
	s_sub_i32 s2, 0, s35
	s_lshl_b32 s1, s34, 8
	v_rcp_iflag_f32_e32 v1, v1
	v_mul_f32_e32 v1, 0x4f7ffffe, v1
	v_cvt_u32_f32_e32 v1, v1
	v_readfirstlane_b32 s3, v1
	s_mul_i32 s2, s2, s3
	s_mul_hi_u32 s2, s3, s2
	s_add_i32 s3, s3, s2
	s_mul_hi_u32 s2, s0, s3
	s_mul_i32 s3, s2, s35
	s_sub_i32 s3, s0, s3
	s_add_i32 s6, s2, 1
	s_sub_i32 s12, s3, s35
	s_cmp_ge_u32 s3, s35
	s_cselect_b32 s2, s6, s2
	s_cselect_b32 s3, s12, s3
	s_add_i32 s6, s2, 1
	s_cmp_ge_u32 s3, s35
	s_cselect_b32 s6, s6, s2
	s_mul_i32 s20, s6, s35
	s_sub_i32 s28, s0, s20
	s_add_i32 s0, s28, 1
	s_cmp_lt_u32 s0, s35
	s_mul_i32 s50, s28, s1
	s_cbranch_scc1 .LBB146_3
; %bb.2:
	s_sub_u32 s0, s8, s50
	s_subb_u32 s1, s9, 0
	s_add_u32 s0, s0, 0xff
	s_addc_u32 s1, s1, 0
	s_ashr_i32 s2, s1, 31
	s_lshr_b32 s2, s2, 24
	s_add_u32 s0, s0, s2
	s_addc_u32 s1, s1, 0
	s_lshr_b64 s[0:1], s[0:1], 8
	s_mov_b32 s34, s0
.LBB146_3:
	s_load_dwordx2 s[40:41], s[4:5], 0x378
	v_mov_b32_e32 v1, s36
	v_mov_b32_e32 v2, s37
	v_cmp_lt_u64_e32 vcc, s[6:7], v[1:2]
	s_mov_b64 s[44:45], 0
	s_mov_b64 s[42:43], 0
	s_cbranch_vccnz .LBB146_5
; %bb.4:
	v_cvt_f32_u32_e32 v1, s36
	s_sub_i32 s0, 0, s36
	v_rcp_iflag_f32_e32 v1, v1
	v_mul_f32_e32 v1, 0x4f7ffffe, v1
	v_cvt_u32_f32_e32 v1, v1
	v_readfirstlane_b32 s1, v1
	s_mul_i32 s0, s0, s1
	s_mul_hi_u32 s0, s1, s0
	s_add_i32 s1, s1, s0
	s_mul_hi_u32 s0, s6, s1
	s_mul_i32 s2, s0, s36
	s_sub_i32 s2, s6, s2
	s_add_i32 s1, s0, 1
	s_sub_i32 s3, s2, s36
	s_cmp_ge_u32 s2, s36
	s_cselect_b32 s0, s1, s0
	s_cselect_b32 s2, s3, s2
	s_add_i32 s1, s0, 1
	s_cmp_ge_u32 s2, s36
	s_cselect_b32 s42, s1, s0
.LBB146_5:
	v_mov_b32_e32 v1, s38
	v_mov_b32_e32 v2, s39
	v_cmp_lt_u64_e32 vcc, s[6:7], v[1:2]
	s_cbranch_vccnz .LBB146_7
; %bb.6:
	v_cvt_f32_u32_e32 v1, s38
	s_sub_i32 s0, 0, s38
	v_rcp_iflag_f32_e32 v1, v1
	v_mul_f32_e32 v1, 0x4f7ffffe, v1
	v_cvt_u32_f32_e32 v1, v1
	v_readfirstlane_b32 s1, v1
	s_mul_i32 s0, s0, s1
	s_mul_hi_u32 s0, s1, s0
	s_add_i32 s1, s1, s0
	s_mul_hi_u32 s0, s6, s1
	s_mul_i32 s2, s0, s38
	s_sub_i32 s2, s6, s2
	s_add_i32 s1, s0, 1
	s_sub_i32 s3, s2, s38
	s_cmp_ge_u32 s2, s38
	s_cselect_b32 s0, s1, s0
	s_cselect_b32 s2, s3, s2
	s_add_i32 s1, s0, 1
	s_cmp_ge_u32 s2, s38
	s_cselect_b32 s44, s1, s0
.LBB146_7:
	s_waitcnt lgkmcnt(0)
	v_mov_b32_e32 v1, s40
	v_mov_b32_e32 v2, s41
	v_cmp_lt_u64_e32 vcc, s[6:7], v[1:2]
	s_mov_b64 s[46:47], 0
	s_cbranch_vccnz .LBB146_9
; %bb.8:
	v_cvt_f32_u32_e32 v1, s40
	s_sub_i32 s0, 0, s40
	v_rcp_iflag_f32_e32 v1, v1
	v_mul_f32_e32 v1, 0x4f7ffffe, v1
	v_cvt_u32_f32_e32 v1, v1
	v_readfirstlane_b32 s1, v1
	s_mul_i32 s0, s0, s1
	s_mul_hi_u32 s0, s1, s0
	s_add_i32 s1, s1, s0
	s_mul_hi_u32 s0, s6, s1
	s_mul_i32 s2, s0, s40
	s_sub_i32 s2, s6, s2
	s_add_i32 s1, s0, 1
	s_sub_i32 s3, s2, s40
	s_cmp_ge_u32 s2, s40
	s_cselect_b32 s0, s1, s0
	s_cselect_b32 s2, s3, s2
	s_add_i32 s1, s0, 1
	s_cmp_ge_u32 s2, s40
	s_cselect_b32 s46, s1, s0
.LBB146_9:
	s_load_dwordx4 s[12:15], s[4:5], 0x518
	s_load_dwordx2 s[48:49], s[4:5], 0x0
	s_lshl_b64 s[0:1], s[6:7], 2
	s_mov_b32 s21, 0
	v_cmp_eq_u32_e64 s[2:3], 0, v0
	s_waitcnt lgkmcnt(0)
	s_add_u32 s0, s12, s0
	s_addc_u32 s1, s13, s1
	s_load_dword s33, s[0:1], 0x0
	v_cmp_ne_u32_e64 s[0:1], 0, v0
	s_and_saveexec_b64 s[12:13], s[2:3]
	s_cbranch_execz .LBB146_25
; %bb.10:
	s_load_dwordx2 s[22:23], s[4:5], 0x528
	s_lshl_b64 s[24:25], s[20:21], 2
	s_add_u32 s16, s14, s24
	s_addc_u32 s17, s15, s25
	s_mov_b32 s20, 0
	s_waitcnt lgkmcnt(0)
	s_add_u32 s18, s22, s24
	s_addc_u32 s19, s23, s25
	s_cmp_lt_u32 s35, 4
	s_cbranch_scc1 .LBB146_22
; %bb.11:
	s_mov_b32 s29, 0
.LBB146_12:                             ; =>This Inner Loop Header: Depth=1
	s_add_u32 s26, s14, s24
	s_addc_u32 s27, s15, s25
	s_load_dwordx4 s[16:19], s[26:27], 0x0
	s_add_u32 s26, s22, s24
	s_addc_u32 s27, s23, s25
	s_cmp_ge_u32 s29, s28
	s_cbranch_scc0 .LBB146_19
; %bb.13:                               ;   in Loop: Header=BB146_12 Depth=1
	s_add_i32 s30, s29, 1
	s_cmp_ge_u32 s30, s28
	s_cbranch_scc0 .LBB146_20
.LBB146_14:                             ;   in Loop: Header=BB146_12 Depth=1
	s_add_i32 s30, s30, 1
	s_cmp_ge_u32 s30, s28
	s_cbranch_scc0 .LBB146_21
.LBB146_15:                             ;   in Loop: Header=BB146_12 Depth=1
	s_add_i32 s30, s30, 1
	s_cmp_ge_u32 s30, s28
	s_cbranch_scc1 .LBB146_17
.LBB146_16:                             ;   in Loop: Header=BB146_12 Depth=1
	s_load_dword s26, s[26:27], 0xc
	s_waitcnt lgkmcnt(0)
	s_add_i32 s21, s21, s19
	s_add_i32 s7, s26, s7
.LBB146_17:                             ;   in Loop: Header=BB146_12 Depth=1
	s_waitcnt lgkmcnt(0)
	s_add_i32 s16, s16, s20
	s_add_i32 s16, s16, s17
	;; [unrolled: 1-line block ×4, first 2 shown]
	s_add_u32 s14, s14, 16
	s_addc_u32 s15, s15, 0
	s_add_u32 s22, s22, 16
	s_addc_u32 s23, s23, 0
	s_add_i32 s27, s30, 4
	s_add_u32 s18, s22, s24
	s_addc_u32 s19, s23, s25
	s_add_u32 s16, s14, s24
	s_addc_u32 s17, s15, s25
	s_add_i32 s26, s30, 1
	s_cmp_ge_u32 s27, s35
	s_cbranch_scc1 .LBB146_23
; %bb.18:                               ;   in Loop: Header=BB146_12 Depth=1
	s_mov_b32 s29, s26
	s_branch .LBB146_12
.LBB146_19:                             ;   in Loop: Header=BB146_12 Depth=1
	s_load_dword s30, s[26:27], 0x0
	s_waitcnt lgkmcnt(0)
	s_add_i32 s21, s16, s21
	s_add_i32 s7, s30, s7
	;; [unrolled: 1-line block ×3, first 2 shown]
	s_cmp_ge_u32 s30, s28
	s_cbranch_scc1 .LBB146_14
.LBB146_20:                             ;   in Loop: Header=BB146_12 Depth=1
	s_load_dword s31, s[26:27], 0x4
	s_waitcnt lgkmcnt(0)
	s_add_i32 s21, s21, s17
	s_add_i32 s7, s31, s7
	;; [unrolled: 1-line block ×3, first 2 shown]
	s_cmp_ge_u32 s30, s28
	s_cbranch_scc1 .LBB146_15
.LBB146_21:                             ;   in Loop: Header=BB146_12 Depth=1
	s_load_dword s31, s[26:27], 0x8
	s_waitcnt lgkmcnt(0)
	s_add_i32 s21, s21, s18
	s_add_i32 s7, s31, s7
	s_add_i32 s30, s30, 1
	s_cmp_ge_u32 s30, s28
	s_cbranch_scc0 .LBB146_16
	s_branch .LBB146_17
.LBB146_22:
	s_mov_b32 s14, 0
	s_cmp_ge_u32 s14, s35
	s_cbranch_scc0 .LBB146_46
	s_branch .LBB146_24
.LBB146_23:
	s_add_i32 s14, s29, 4
	s_cmp_ge_u32 s14, s35
	s_cbranch_scc0 .LBB146_46
.LBB146_24:
	v_mov_b32_e32 v1, s7
	v_mov_b32_e32 v2, s20
	;; [unrolled: 1-line block ×4, first 2 shown]
	ds_write_b96 v4, v[1:3] offset:1056
.LBB146_25:
	s_or_b64 exec, exec, s[12:13]
	s_load_dwordx4 s[12:15], s[4:5], 0x1b8
	s_load_dwordx4 s[24:27], s[4:5], 0xd0
	s_load_dwordx4 s[16:19], s[4:5], 0x360
	s_load_dwordx4 s[28:31], s[4:5], 0x290
	s_load_dwordx4 s[20:23], s[4:5], 0x438
	s_cmp_eq_u32 s34, 0
	s_waitcnt lgkmcnt(0)
	s_barrier
	s_cbranch_scc1 .LBB146_48
; %bb.26:
	s_mul_i32 s7, s44, s39
	s_mul_hi_u32 s35, s44, s38
	s_add_i32 s35, s35, s7
	s_mul_i32 s7, s44, s38
	s_sub_u32 s7, s6, s7
	s_subb_u32 s35, 0, s35
	s_mul_i32 s31, s7, s31
	s_mul_hi_u32 s38, s7, s30
	s_add_i32 s31, s38, s31
	s_mul_i32 s35, s35, s30
	s_mul_i32 s30, s7, s30
	;; [unrolled: 1-line block ×3, first 2 shown]
	s_mul_hi_u32 s29, s44, s28
	s_add_i32 s31, s31, s35
	s_add_i32 s29, s29, s7
	s_mul_i32 s7, s42, s37
	s_mul_hi_u32 s35, s42, s36
	s_add_i32 s35, s35, s7
	s_mul_i32 s7, s42, s36
	s_sub_u32 s7, s6, s7
	s_subb_u32 s35, 0, s35
	s_mul_i32 s27, s7, s27
	s_mul_hi_u32 s36, s7, s26
	s_add_i32 s27, s36, s27
	s_mul_i32 s35, s35, s26
	s_mul_i32 s26, s7, s26
	;; [unrolled: 1-line block ×3, first 2 shown]
	s_mul_hi_u32 s25, s42, s24
	s_add_i32 s27, s27, s35
	s_add_i32 s25, s25, s7
	s_mul_i32 s7, s46, s41
	s_mul_hi_u32 s35, s46, s40
	s_add_i32 s35, s35, s7
	s_mul_i32 s7, s46, s40
	s_sub_u32 s6, s6, s7
	s_subb_u32 s7, 0, s35
	s_mul_i32 s23, s6, s23
	s_mul_hi_u32 s35, s6, s22
	s_mul_i32 s24, s42, s24
	s_add_i32 s23, s35, s23
	s_mul_i32 s7, s7, s22
	s_mul_i32 s6, s6, s22
	;; [unrolled: 1-line block ×3, first 2 shown]
	s_mul_hi_u32 s22, s46, s20
	s_add_i32 s7, s23, s7
	s_add_i32 s37, s22, s21
	s_mul_i32 s36, s46, s20
	s_lshl_b64 s[20:21], s[24:25], 2
	s_add_u32 s22, s48, s20
	s_addc_u32 s23, s49, s21
	s_lshl_b64 s[20:21], s[26:27], 2
	s_mul_i32 s28, s44, s28
	s_add_u32 s20, s22, s20
	s_addc_u32 s21, s23, s21
	s_lshl_b64 s[22:23], s[28:29], 2
	v_mov_b32_e32 v5, 0
	s_add_u32 s22, s14, s22
	ds_read_b96 v[1:3], v5 offset:1056
	s_addc_u32 s23, s15, s23
	s_lshl_b64 s[14:15], s[30:31], 2
	s_add_u32 s22, s22, s14
	s_addc_u32 s23, s23, s15
	s_lshl_b64 s[14:15], s[36:37], 3
	s_add_u32 s14, s18, s14
	s_addc_u32 s15, s19, s15
	s_lshl_b64 s[6:7], s[6:7], 3
	s_waitcnt lgkmcnt(0)
	v_add_u32_e32 v1, v1, v2
	v_lshrrev_b32_e32 v2, 3, v0
	s_add_u32 s24, s14, s6
	s_load_dword s6, s[4:5], 0x1b0
	v_and_b32_e32 v2, 28, v2
	v_lshl_add_u32 v8, v0, 2, v2
	v_lshrrev_b32_e32 v2, 1, v0
	s_addc_u32 s25, s15, s7
	s_load_dwordx2 s[14:15], s[4:5], 0x508
	v_and_b32_e32 v9, 0x7c, v2
	v_add_u32_e32 v2, -1, v0
	v_lshrrev_b32_e32 v4, 3, v2
	s_xor_b32 s26, s33, 0x80000000
	v_and_b32_e32 v4, 0x1ffffffc, v4
	s_waitcnt lgkmcnt(0)
	s_bitcmp1_b32 s6, 0
	v_cmp_gt_u32_e64 s[6:7], 64, v0
	v_lshlrev_b32_e32 v10, 4, v0
	v_lshl_add_u32 v11, v2, 2, v4
	v_add_u32_e32 v4, s50, v0
	v_mbcnt_lo_u32_b32 v0, -1, 0
	s_cselect_b64 s[4:5], -1, 0
	v_mbcnt_hi_u32_b32 v0, -1, v0
                                        ; implicit-def: $vgpr12
	s_branch .LBB146_29
.LBB146_27:                             ;   in Loop: Header=BB146_29 Depth=1
	s_or_b64 exec, exec, s[18:19]
	v_add_u32_e32 v1, v2, v1
.LBB146_28:                             ;   in Loop: Header=BB146_29 Depth=1
	s_add_i32 s34, s34, -1
	v_add_u32_e32 v3, v13, v3
	s_cmp_lg_u32 s34, 0
	v_add_u32_e32 v4, 0x100, v4
	s_cbranch_scc0 .LBB146_48
.LBB146_29:                             ; =>This Inner Loop Header: Depth=1
	v_cmp_gt_u64_e32 vcc, s[8:9], v[4:5]
	v_mov_b32_e32 v2, v5
	v_mov_b32_e32 v6, v5
	s_and_saveexec_b64 s[18:19], vcc
	s_cbranch_execz .LBB146_31
; %bb.30:                               ;   in Loop: Header=BB146_29 Depth=1
	v_mad_u64_u32 v[6:7], s[28:29], s12, v4, 0
	v_mov_b32_e32 v2, v7
	v_mad_u64_u32 v[12:13], s[28:29], s13, v4, v[2:3]
	v_mov_b32_e32 v2, s21
	v_mov_b32_e32 v7, v12
	v_lshlrev_b64 v[6:7], 2, v[6:7]
	v_add_co_u32_e32 v6, vcc, s20, v6
	v_addc_co_u32_e32 v7, vcc, v2, v7, vcc
	global_load_dword v12, v[6:7], off
	s_waitcnt vmcnt(0)
	v_xor_b32_e32 v2, 0x80000000, v12
	v_cmp_lt_u32_e32 vcc, s26, v2
	v_cndmask_b32_e64 v6, 0, 1, vcc
	v_cmp_gt_u32_e32 vcc, s26, v2
	v_cndmask_b32_e64 v2, 0, 1, vcc
	v_cndmask_b32_e64 v2, v2, v6, s[4:5]
	v_cmp_eq_u32_e32 vcc, s33, v12
	v_and_b32_e32 v2, 1, v2
	v_cndmask_b32_e64 v6, 0, 1, vcc
.LBB146_31:                             ;   in Loop: Header=BB146_29 Depth=1
	s_or_b64 exec, exec, s[18:19]
	ds_write_b32 v8, v2
	s_waitcnt vmcnt(0) lgkmcnt(0)
	s_barrier
	s_and_saveexec_b64 s[18:19], s[6:7]
	s_cbranch_execz .LBB146_33
; %bb.32:                               ;   in Loop: Header=BB146_29 Depth=1
	v_add_u32_e32 v7, v9, v10
	ds_read2_b32 v[13:14], v7 offset1:1
	ds_read2_b32 v[15:16], v7 offset0:2 offset1:3
	v_and_b32_e32 v17, 15, v0
	v_cmp_ne_u32_e32 vcc, 0, v17
	s_waitcnt lgkmcnt(1)
	v_add_u32_e32 v14, v14, v13
	s_waitcnt lgkmcnt(0)
	v_add3_u32 v14, v14, v15, v16
	v_bfe_i32 v16, v0, 4, 1
	; wave barrier
	s_nop 0
	v_mov_b32_dpp v15, v14 row_shr:1 row_mask:0xf bank_mask:0xf
	v_cndmask_b32_e32 v15, 0, v15, vcc
	v_add_u32_e32 v14, v15, v14
	v_cmp_lt_u32_e32 vcc, 1, v17
	s_nop 0
	v_mov_b32_dpp v15, v14 row_shr:2 row_mask:0xf bank_mask:0xf
	v_cndmask_b32_e32 v15, 0, v15, vcc
	v_add_u32_e32 v14, v14, v15
	v_cmp_lt_u32_e32 vcc, 3, v17
	;; [unrolled: 5-line block ×4, first 2 shown]
	s_nop 0
	v_mov_b32_dpp v15, v14 row_bcast:15 row_mask:0xf bank_mask:0xf
	v_and_b32_e32 v15, v16, v15
	v_add_u32_e32 v14, v14, v15
	v_and_b32_e32 v16, 64, v0
	s_nop 0
	v_mov_b32_dpp v15, v14 row_bcast:31 row_mask:0xf bank_mask:0xf
	v_cndmask_b32_e32 v15, 0, v15, vcc
	v_add_u32_e32 v14, v14, v15
	v_add_u32_e32 v15, -1, v0
	v_cmp_lt_i32_e32 vcc, v15, v16
	v_cndmask_b32_e32 v15, v15, v0, vcc
	v_lshlrev_b32_e32 v15, 2, v15
	ds_bpermute_b32 v14, v15, v14
	s_waitcnt lgkmcnt(0)
	v_add_u32_e32 v13, v14, v13
	v_cndmask_b32_e64 v15, v13, v2, s[2:3]
	ds_write_b32 v7, v15
	; wave barrier
	ds_read2_b32 v[13:14], v7 offset0:1 offset1:2
	ds_read_b32 v16, v7 offset:12
	s_waitcnt lgkmcnt(1)
	v_add_u32_e32 v13, v13, v15
	v_add_u32_e32 v14, v14, v13
	ds_write2_b32 v7, v13, v14 offset0:1 offset1:2
	s_waitcnt lgkmcnt(1)
	v_add_u32_e32 v13, v16, v14
	ds_write_b32 v7, v13 offset:12
.LBB146_33:                             ;   in Loop: Header=BB146_29 Depth=1
	s_or_b64 exec, exec, s[18:19]
	v_mov_b32_e32 v7, 0
	s_waitcnt lgkmcnt(0)
	s_barrier
	s_and_saveexec_b64 s[18:19], s[0:1]
; %bb.34:                               ;   in Loop: Header=BB146_29 Depth=1
	ds_read_b32 v7, v11
; %bb.35:                               ;   in Loop: Header=BB146_29 Depth=1
	s_or_b64 exec, exec, s[18:19]
	ds_read_b32 v13, v5 offset:1048
	v_cmp_ne_u32_e32 vcc, 0, v2
	s_waitcnt lgkmcnt(0)
	s_barrier
	s_and_saveexec_b64 s[18:19], vcc
	s_cbranch_execz .LBB146_37
; %bb.36:                               ;   in Loop: Header=BB146_29 Depth=1
	v_add_u32_e32 v7, v7, v3
	v_mad_u64_u32 v[14:15], s[28:29], s16, v7, 0
	v_mad_u64_u32 v[16:17], s[28:29], s14, v7, 0
	v_mov_b32_e32 v2, v15
	v_mad_u64_u32 v[18:19], s[28:29], s17, v7, v[2:3]
	v_mov_b32_e32 v2, v17
	v_mov_b32_e32 v19, s23
	;; [unrolled: 1-line block ×3, first 2 shown]
	v_lshlrev_b64 v[14:15], 2, v[14:15]
	v_mad_u64_u32 v[17:18], s[28:29], s15, v7, v[2:3]
	v_add_co_u32_e32 v14, vcc, s22, v14
	v_addc_co_u32_e32 v15, vcc, v19, v15, vcc
	global_store_dword v[14:15], v12, off
	v_lshlrev_b64 v[14:15], 3, v[16:17]
	v_mov_b32_e32 v2, s25
	v_add_co_u32_e32 v14, vcc, s24, v14
	v_addc_co_u32_e32 v15, vcc, v2, v15, vcc
	global_store_dwordx2 v[14:15], v[4:5], off
.LBB146_37:                             ;   in Loop: Header=BB146_29 Depth=1
	s_or_b64 exec, exec, s[18:19]
	v_mov_b32_e32 v2, v5
	v_cmp_le_u64_e32 vcc, s[10:11], v[1:2]
	s_cbranch_vccnz .LBB146_28
; %bb.38:                               ;   in Loop: Header=BB146_29 Depth=1
	ds_write_b32 v8, v6
	s_waitcnt vmcnt(0) lgkmcnt(0)
	s_barrier
	s_and_saveexec_b64 s[18:19], s[6:7]
	s_cbranch_execz .LBB146_40
; %bb.39:                               ;   in Loop: Header=BB146_29 Depth=1
	v_add_u32_e32 v2, v9, v10
	ds_read2_b32 v[14:15], v2 offset1:1
	ds_read2_b32 v[16:17], v2 offset0:2 offset1:3
	v_and_b32_e32 v7, 15, v0
	v_cmp_ne_u32_e32 vcc, 0, v7
	s_waitcnt lgkmcnt(1)
	v_add_u32_e32 v15, v15, v14
	s_waitcnt lgkmcnt(0)
	v_add3_u32 v15, v15, v16, v17
	; wave barrier
	s_nop 1
	v_mov_b32_dpp v16, v15 row_shr:1 row_mask:0xf bank_mask:0xf
	v_cndmask_b32_e32 v16, 0, v16, vcc
	v_add_u32_e32 v15, v16, v15
	v_cmp_lt_u32_e32 vcc, 1, v7
	s_nop 0
	v_mov_b32_dpp v16, v15 row_shr:2 row_mask:0xf bank_mask:0xf
	v_cndmask_b32_e32 v16, 0, v16, vcc
	v_add_u32_e32 v15, v15, v16
	v_cmp_lt_u32_e32 vcc, 3, v7
	;; [unrolled: 5-line block ×3, first 2 shown]
	s_nop 0
	v_mov_b32_dpp v16, v15 row_shr:8 row_mask:0xf bank_mask:0xf
	v_cndmask_b32_e32 v7, 0, v16, vcc
	v_add_u32_e32 v7, v15, v7
	v_bfe_i32 v16, v0, 4, 1
	v_cmp_lt_u32_e32 vcc, 31, v0
	v_mov_b32_dpp v15, v7 row_bcast:15 row_mask:0xf bank_mask:0xf
	v_and_b32_e32 v15, v16, v15
	v_add_u32_e32 v7, v7, v15
	v_and_b32_e32 v16, 64, v0
	s_nop 0
	v_mov_b32_dpp v15, v7 row_bcast:31 row_mask:0xf bank_mask:0xf
	v_cndmask_b32_e32 v15, 0, v15, vcc
	v_add_u32_e32 v7, v7, v15
	v_add_u32_e32 v15, -1, v0
	v_cmp_lt_i32_e32 vcc, v15, v16
	v_cndmask_b32_e32 v15, v15, v0, vcc
	v_lshlrev_b32_e32 v15, 2, v15
	ds_bpermute_b32 v7, v15, v7
	s_waitcnt lgkmcnt(0)
	v_add_u32_e32 v7, v7, v14
	v_cndmask_b32_e64 v7, v7, v6, s[2:3]
	ds_write_b32 v2, v7
	; wave barrier
	ds_read2_b32 v[14:15], v2 offset0:1 offset1:2
	ds_read_b32 v16, v2 offset:12
	s_waitcnt lgkmcnt(1)
	v_add_u32_e32 v7, v14, v7
	v_add_u32_e32 v14, v15, v7
	ds_write2_b32 v2, v7, v14 offset0:1 offset1:2
	s_waitcnt lgkmcnt(1)
	v_add_u32_e32 v7, v16, v14
	ds_write_b32 v2, v7 offset:12
.LBB146_40:                             ;   in Loop: Header=BB146_29 Depth=1
	s_or_b64 exec, exec, s[18:19]
	v_mov_b32_e32 v7, 0
	s_waitcnt lgkmcnt(0)
	s_barrier
	s_and_saveexec_b64 s[18:19], s[0:1]
; %bb.41:                               ;   in Loop: Header=BB146_29 Depth=1
	ds_read_b32 v7, v11
; %bb.42:                               ;   in Loop: Header=BB146_29 Depth=1
	s_or_b64 exec, exec, s[18:19]
	ds_read_b32 v2, v5 offset:1048
	v_cmp_ne_u32_e32 vcc, 0, v6
	s_waitcnt lgkmcnt(0)
	s_barrier
	s_and_saveexec_b64 s[18:19], vcc
	s_cbranch_execz .LBB146_27
; %bb.43:                               ;   in Loop: Header=BB146_29 Depth=1
	v_add_u32_e32 v6, v7, v1
	v_mov_b32_e32 v7, v5
	v_cmp_gt_u64_e32 vcc, s[10:11], v[6:7]
	s_and_b64 exec, exec, vcc
	s_cbranch_execz .LBB146_27
; %bb.44:                               ;   in Loop: Header=BB146_29 Depth=1
	v_mad_u64_u32 v[14:15], s[28:29], s16, v6, 0
	v_mad_u64_u32 v[16:17], s[28:29], s14, v6, 0
	v_mov_b32_e32 v7, v15
	v_mad_u64_u32 v[18:19], s[28:29], s17, v6, v[7:8]
	v_mov_b32_e32 v7, v17
	;; [unrolled: 2-line block ×3, first 2 shown]
	v_lshlrev_b64 v[14:15], 2, v[14:15]
	v_mov_b32_e32 v17, v6
	v_mov_b32_e32 v19, s23
	v_add_co_u32_e32 v14, vcc, s22, v14
	v_lshlrev_b64 v[6:7], 3, v[16:17]
	v_addc_co_u32_e32 v15, vcc, v19, v15, vcc
	global_store_dword v[14:15], v12, off
	v_mov_b32_e32 v14, s25
	v_add_co_u32_e32 v6, vcc, s24, v6
	v_addc_co_u32_e32 v7, vcc, v14, v7, vcc
	global_store_dwordx2 v[6:7], v[4:5], off
	s_branch .LBB146_27
.LBB146_45:                             ;   in Loop: Header=BB146_46 Depth=1
	s_add_u32 s16, s16, 4
	s_addc_u32 s17, s17, 0
	s_waitcnt lgkmcnt(0)
	s_add_i32 s20, s15, s20
	s_add_u32 s18, s18, 4
	s_addc_u32 s19, s19, 0
	s_add_i32 s14, s14, 1
	s_cmp_lt_u32 s14, s35
	s_cbranch_scc0 .LBB146_24
.LBB146_46:                             ; =>This Inner Loop Header: Depth=1
	s_load_dword s15, s[16:17], 0x0
	s_cmp_ge_u32 s14, s28
	s_cbranch_scc1 .LBB146_45
; %bb.47:                               ;   in Loop: Header=BB146_46 Depth=1
	s_load_dword s22, s[18:19], 0x0
	s_waitcnt lgkmcnt(0)
	s_add_i32 s21, s15, s21
	s_add_i32 s7, s22, s7
	s_branch .LBB146_45
.LBB146_48:
	s_endpgm
	.section	.rodata,"a",@progbits
	.p2align	6, 0x0
	.amdhsa_kernel _ZN2at6native6mbtopk10gatherTopKIimLi2EEEvNS_4cuda6detail10TensorInfoIKT_T0_EES8_S8_bjS8_NS5_IS6_S8_EES8_NS5_IlS8_EES8_jjPS6_PjSD_j
		.amdhsa_group_segment_fixed_size 1068
		.amdhsa_private_segment_fixed_size 0
		.amdhsa_kernarg_size 1592
		.amdhsa_user_sgpr_count 6
		.amdhsa_user_sgpr_private_segment_buffer 1
		.amdhsa_user_sgpr_dispatch_ptr 0
		.amdhsa_user_sgpr_queue_ptr 0
		.amdhsa_user_sgpr_kernarg_segment_ptr 1
		.amdhsa_user_sgpr_dispatch_id 0
		.amdhsa_user_sgpr_flat_scratch_init 0
		.amdhsa_user_sgpr_private_segment_size 0
		.amdhsa_uses_dynamic_stack 0
		.amdhsa_system_sgpr_private_segment_wavefront_offset 0
		.amdhsa_system_sgpr_workgroup_id_x 1
		.amdhsa_system_sgpr_workgroup_id_y 1
		.amdhsa_system_sgpr_workgroup_id_z 1
		.amdhsa_system_sgpr_workgroup_info 0
		.amdhsa_system_vgpr_workitem_id 0
		.amdhsa_next_free_vgpr 20
		.amdhsa_next_free_sgpr 51
		.amdhsa_reserve_vcc 1
		.amdhsa_reserve_flat_scratch 0
		.amdhsa_float_round_mode_32 0
		.amdhsa_float_round_mode_16_64 0
		.amdhsa_float_denorm_mode_32 3
		.amdhsa_float_denorm_mode_16_64 3
		.amdhsa_dx10_clamp 1
		.amdhsa_ieee_mode 1
		.amdhsa_fp16_overflow 0
		.amdhsa_exception_fp_ieee_invalid_op 0
		.amdhsa_exception_fp_denorm_src 0
		.amdhsa_exception_fp_ieee_div_zero 0
		.amdhsa_exception_fp_ieee_overflow 0
		.amdhsa_exception_fp_ieee_underflow 0
		.amdhsa_exception_fp_ieee_inexact 0
		.amdhsa_exception_int_div_zero 0
	.end_amdhsa_kernel
	.section	.text._ZN2at6native6mbtopk10gatherTopKIimLi2EEEvNS_4cuda6detail10TensorInfoIKT_T0_EES8_S8_bjS8_NS5_IS6_S8_EES8_NS5_IlS8_EES8_jjPS6_PjSD_j,"axG",@progbits,_ZN2at6native6mbtopk10gatherTopKIimLi2EEEvNS_4cuda6detail10TensorInfoIKT_T0_EES8_S8_bjS8_NS5_IS6_S8_EES8_NS5_IlS8_EES8_jjPS6_PjSD_j,comdat
.Lfunc_end146:
	.size	_ZN2at6native6mbtopk10gatherTopKIimLi2EEEvNS_4cuda6detail10TensorInfoIKT_T0_EES8_S8_bjS8_NS5_IS6_S8_EES8_NS5_IlS8_EES8_jjPS6_PjSD_j, .Lfunc_end146-_ZN2at6native6mbtopk10gatherTopKIimLi2EEEvNS_4cuda6detail10TensorInfoIKT_T0_EES8_S8_bjS8_NS5_IS6_S8_EES8_NS5_IlS8_EES8_jjPS6_PjSD_j
                                        ; -- End function
	.set _ZN2at6native6mbtopk10gatherTopKIimLi2EEEvNS_4cuda6detail10TensorInfoIKT_T0_EES8_S8_bjS8_NS5_IS6_S8_EES8_NS5_IlS8_EES8_jjPS6_PjSD_j.num_vgpr, 20
	.set _ZN2at6native6mbtopk10gatherTopKIimLi2EEEvNS_4cuda6detail10TensorInfoIKT_T0_EES8_S8_bjS8_NS5_IS6_S8_EES8_NS5_IlS8_EES8_jjPS6_PjSD_j.num_agpr, 0
	.set _ZN2at6native6mbtopk10gatherTopKIimLi2EEEvNS_4cuda6detail10TensorInfoIKT_T0_EES8_S8_bjS8_NS5_IS6_S8_EES8_NS5_IlS8_EES8_jjPS6_PjSD_j.numbered_sgpr, 51
	.set _ZN2at6native6mbtopk10gatherTopKIimLi2EEEvNS_4cuda6detail10TensorInfoIKT_T0_EES8_S8_bjS8_NS5_IS6_S8_EES8_NS5_IlS8_EES8_jjPS6_PjSD_j.num_named_barrier, 0
	.set _ZN2at6native6mbtopk10gatherTopKIimLi2EEEvNS_4cuda6detail10TensorInfoIKT_T0_EES8_S8_bjS8_NS5_IS6_S8_EES8_NS5_IlS8_EES8_jjPS6_PjSD_j.private_seg_size, 0
	.set _ZN2at6native6mbtopk10gatherTopKIimLi2EEEvNS_4cuda6detail10TensorInfoIKT_T0_EES8_S8_bjS8_NS5_IS6_S8_EES8_NS5_IlS8_EES8_jjPS6_PjSD_j.uses_vcc, 1
	.set _ZN2at6native6mbtopk10gatherTopKIimLi2EEEvNS_4cuda6detail10TensorInfoIKT_T0_EES8_S8_bjS8_NS5_IS6_S8_EES8_NS5_IlS8_EES8_jjPS6_PjSD_j.uses_flat_scratch, 0
	.set _ZN2at6native6mbtopk10gatherTopKIimLi2EEEvNS_4cuda6detail10TensorInfoIKT_T0_EES8_S8_bjS8_NS5_IS6_S8_EES8_NS5_IlS8_EES8_jjPS6_PjSD_j.has_dyn_sized_stack, 0
	.set _ZN2at6native6mbtopk10gatherTopKIimLi2EEEvNS_4cuda6detail10TensorInfoIKT_T0_EES8_S8_bjS8_NS5_IS6_S8_EES8_NS5_IlS8_EES8_jjPS6_PjSD_j.has_recursion, 0
	.set _ZN2at6native6mbtopk10gatherTopKIimLi2EEEvNS_4cuda6detail10TensorInfoIKT_T0_EES8_S8_bjS8_NS5_IS6_S8_EES8_NS5_IlS8_EES8_jjPS6_PjSD_j.has_indirect_call, 0
	.section	.AMDGPU.csdata,"",@progbits
; Kernel info:
; codeLenInByte = 2716
; TotalNumSgprs: 55
; NumVgprs: 20
; ScratchSize: 0
; MemoryBound: 0
; FloatMode: 240
; IeeeMode: 1
; LDSByteSize: 1068 bytes/workgroup (compile time only)
; SGPRBlocks: 6
; VGPRBlocks: 4
; NumSGPRsForWavesPerEU: 55
; NumVGPRsForWavesPerEU: 20
; Occupancy: 10
; WaveLimiterHint : 1
; COMPUTE_PGM_RSRC2:SCRATCH_EN: 0
; COMPUTE_PGM_RSRC2:USER_SGPR: 6
; COMPUTE_PGM_RSRC2:TRAP_HANDLER: 0
; COMPUTE_PGM_RSRC2:TGID_X_EN: 1
; COMPUTE_PGM_RSRC2:TGID_Y_EN: 1
; COMPUTE_PGM_RSRC2:TGID_Z_EN: 1
; COMPUTE_PGM_RSRC2:TIDIG_COMP_CNT: 0
	.section	.text._ZN2at6native6sbtopk10gatherTopKIimLi2ELb0EEEvNS_4cuda6detail10TensorInfoIKT_T0_EES8_S8_bS8_S8_NS5_IS6_S8_EES8_NS5_IlS8_EES8_PS6_,"axG",@progbits,_ZN2at6native6sbtopk10gatherTopKIimLi2ELb0EEEvNS_4cuda6detail10TensorInfoIKT_T0_EES8_S8_bS8_S8_NS5_IS6_S8_EES8_NS5_IlS8_EES8_PS6_,comdat
	.protected	_ZN2at6native6sbtopk10gatherTopKIimLi2ELb0EEEvNS_4cuda6detail10TensorInfoIKT_T0_EES8_S8_bS8_S8_NS5_IS6_S8_EES8_NS5_IlS8_EES8_PS6_ ; -- Begin function _ZN2at6native6sbtopk10gatherTopKIimLi2ELb0EEEvNS_4cuda6detail10TensorInfoIKT_T0_EES8_S8_bS8_S8_NS5_IS6_S8_EES8_NS5_IlS8_EES8_PS6_
	.globl	_ZN2at6native6sbtopk10gatherTopKIimLi2ELb0EEEvNS_4cuda6detail10TensorInfoIKT_T0_EES8_S8_bS8_S8_NS5_IS6_S8_EES8_NS5_IlS8_EES8_PS6_
	.p2align	8
	.type	_ZN2at6native6sbtopk10gatherTopKIimLi2ELb0EEEvNS_4cuda6detail10TensorInfoIKT_T0_EES8_S8_bS8_S8_NS5_IS6_S8_EES8_NS5_IlS8_EES8_PS6_,@function
_ZN2at6native6sbtopk10gatherTopKIimLi2ELb0EEEvNS_4cuda6detail10TensorInfoIKT_T0_EES8_S8_bS8_S8_NS5_IS6_S8_EES8_NS5_IlS8_EES8_PS6_: ; @_ZN2at6native6sbtopk10gatherTopKIimLi2ELb0EEEvNS_4cuda6detail10TensorInfoIKT_T0_EES8_S8_bS8_S8_NS5_IS6_S8_EES8_NS5_IlS8_EES8_PS6_
; %bb.0:
	s_load_dwordx2 s[12:13], s[4:5], 0x520
	s_load_dwordx4 s[56:59], s[4:5], 0x1b8
	s_add_u32 s20, s4, 0x520
	s_addc_u32 s21, s5, 0
	s_mov_b32 s23, 0
	s_waitcnt lgkmcnt(0)
	s_mul_i32 s0, s13, s8
	s_add_i32 s0, s0, s7
	s_mul_i32 s0, s0, s12
	s_add_i32 s22, s0, s6
	v_mov_b32_e32 v1, s22
	v_mov_b32_e32 v2, s23
	v_cmp_le_u64_e32 vcc, s[56:57], v[1:2]
	s_cbranch_vccnz .LBB147_474
; %bb.1:
	s_load_dwordx2 s[8:9], s[4:5], 0x10
	s_load_dwordx2 s[16:17], s[4:5], 0x380
	;; [unrolled: 1-line block ×3, first 2 shown]
	s_mov_b64 s[0:1], 0
                                        ; implicit-def: $vgpr48 : SGPR spill to VGPR lane
	s_mov_b64 s[10:11], 0
	s_waitcnt lgkmcnt(0)
	v_mov_b32_e32 v1, s8
	v_mov_b32_e32 v2, s9
	v_cmp_lt_u64_e32 vcc, s[22:23], v[1:2]
	v_writelane_b32 v48, s0, 0
	v_writelane_b32 v48, s1, 1
	s_cbranch_vccnz .LBB147_3
; %bb.2:
	v_cvt_f32_u32_e32 v1, s8
	s_sub_i32 s0, 0, s8
	v_rcp_iflag_f32_e32 v1, v1
	v_mul_f32_e32 v1, 0x4f7ffffe, v1
	v_cvt_u32_f32_e32 v1, v1
	v_readfirstlane_b32 s1, v1
	s_mul_i32 s0, s0, s1
	s_mul_hi_u32 s0, s1, s0
	s_add_i32 s1, s1, s0
	s_mul_hi_u32 s0, s22, s1
	s_mul_i32 s2, s0, s8
	s_sub_i32 s2, s22, s2
	s_add_i32 s1, s0, 1
	s_sub_i32 s3, s2, s8
	s_cmp_ge_u32 s2, s8
	s_cselect_b32 s0, s1, s0
	s_cselect_b32 s2, s3, s2
	s_add_i32 s1, s0, 1
	s_cmp_ge_u32 s2, s8
	s_cselect_b32 s10, s1, s0
.LBB147_3:
	v_mov_b32_e32 v1, s14
	v_mov_b32_e32 v2, s15
	v_cmp_lt_u64_e32 vcc, s[22:23], v[1:2]
	s_cbranch_vccnz .LBB147_5
; %bb.4:
	v_cvt_f32_u32_e32 v1, s14
	s_sub_i32 s0, 0, s14
	v_rcp_iflag_f32_e32 v1, v1
	v_mul_f32_e32 v1, 0x4f7ffffe, v1
	v_cvt_u32_f32_e32 v1, v1
	v_readfirstlane_b32 s1, v1
	s_mul_i32 s0, s0, s1
	s_mul_hi_u32 s0, s1, s0
	s_add_i32 s1, s1, s0
	s_mul_hi_u32 s0, s22, s1
	s_mul_i32 s2, s0, s14
	s_sub_i32 s2, s22, s2
	s_add_i32 s1, s0, 1
	s_sub_i32 s3, s2, s14
	s_cmp_ge_u32 s2, s14
	s_cselect_b32 s0, s1, s0
	s_cselect_b32 s2, s3, s2
	s_add_i32 s1, s0, 1
	s_cmp_ge_u32 s2, s14
	s_cselect_b32 s0, s1, s0
	v_writelane_b32 v48, s0, 0
	v_writelane_b32 v48, s1, 1
.LBB147_5:
	v_writelane_b32 v48, s14, 2
	v_writelane_b32 v48, s15, 3
	s_load_dwordx2 s[14:15], s[4:5], 0x0
	v_mov_b32_e32 v1, s16
	v_mov_b32_e32 v2, s17
	v_cmp_lt_u64_e32 vcc, s[22:23], v[1:2]
	s_mov_b64 s[0:1], 0
	v_writelane_b32 v48, s0, 4
	v_writelane_b32 v48, s1, 5
	s_cbranch_vccnz .LBB147_7
; %bb.6:
	v_cvt_f32_u32_e32 v1, s16
	s_sub_i32 s0, 0, s16
	v_rcp_iflag_f32_e32 v1, v1
	v_mul_f32_e32 v1, 0x4f7ffffe, v1
	v_cvt_u32_f32_e32 v1, v1
	v_readfirstlane_b32 s1, v1
	s_mul_i32 s0, s0, s1
	s_mul_hi_u32 s0, s1, s0
	s_add_i32 s1, s1, s0
	s_mul_hi_u32 s0, s22, s1
	s_mul_i32 s2, s0, s16
	s_sub_i32 s2, s22, s2
	s_add_i32 s1, s0, 1
	s_sub_i32 s3, s2, s16
	s_cmp_ge_u32 s2, s16
	s_cselect_b32 s0, s1, s0
	s_cselect_b32 s2, s3, s2
	s_add_i32 s1, s0, 1
	s_cmp_ge_u32 s2, s16
	s_cselect_b32 s0, s1, s0
	v_writelane_b32 v48, s0, 4
	v_writelane_b32 v48, s1, 5
.LBB147_7:
	s_load_dwordx2 s[0:1], s[4:5], 0x370
	v_writelane_b32 v48, s16, 6
	v_writelane_b32 v48, s17, 7
	s_mov_b32 s85, 0
	v_cmp_eq_u32_e64 s[18:19], 0, v0
	s_waitcnt lgkmcnt(0)
	v_writelane_b32 v48, s0, 8
	v_writelane_b32 v48, s1, 9
	s_load_dwordx2 s[0:1], s[4:5], 0x1c8
	s_waitcnt lgkmcnt(0)
	v_writelane_b32 v48, s0, 10
	v_writelane_b32 v48, s1, 11
	s_load_dwordx4 s[0:3], s[4:5], 0xd0
	s_load_dwordx4 s[60:63], s[4:5], 0x1a0
	s_mov_b64 s[16:17], exec
	v_writelane_b32 v48, s18, 12
	v_writelane_b32 v48, s19, 13
	s_and_b64 s[18:19], s[16:17], s[18:19]
	s_mov_b64 exec, s[18:19]
	s_cbranch_execz .LBB147_9
; %bb.8:
	v_mov_b32_e32 v1, 0
	s_waitcnt lgkmcnt(0)
	v_mov_b32_e32 v3, s60
	v_mov_b32_e32 v4, s61
	;; [unrolled: 1-line block ×3, first 2 shown]
	ds_write_b32 v1, v1 offset:5144
	ds_write_b128 v1, v[1:4] offset:5120
.LBB147_9:
	s_or_b64 exec, exec, s[16:17]
	s_load_dwordx4 s[16:19], s[4:5], 0x440
	s_mul_i32 s7, s10, s9
	s_mul_hi_u32 s9, s10, s8
	s_add_i32 s9, s9, s7
	s_mul_i32 s7, s10, s8
	s_waitcnt lgkmcnt(0)
	v_writelane_b32 v48, s16, 14
	v_writelane_b32 v48, s17, 15
	;; [unrolled: 1-line block ×4, first 2 shown]
	s_mov_b32 s8, s22
	v_writelane_b32 v48, s8, 18
	s_sub_u32 s7, s22, s7
	v_writelane_b32 v48, s9, 19
	s_subb_u32 s8, 0, s9
	s_mul_i32 s3, s7, s3
	s_mul_hi_u32 s9, s7, s2
	s_add_i32 s3, s9, s3
	s_mul_i32 s8, s8, s2
	s_add_i32 s3, s3, s8
	s_mul_i32 s2, s7, s2
	s_mul_i32 s1, s10, s1
	s_mul_hi_u32 s7, s10, s0
	s_mul_i32 s0, s10, s0
	s_load_dwordx4 s[8:11], s[4:5], 0x298
	s_add_i32 s1, s7, s1
	s_lshl_b64 s[0:1], s[0:1], 2
	s_add_u32 s7, s14, s0
	v_mbcnt_lo_u32_b32 v1, -1, 0
	s_waitcnt lgkmcnt(0)
	v_writelane_b32 v48, s8, 20
	v_writelane_b32 v48, s9, 21
	;; [unrolled: 1-line block ×5, first 2 shown]
	s_load_dword s8, s[4:5], 0x1b0
	s_addc_u32 s9, s15, s1
	s_lshl_b64 s[0:1], s[2:3], 2
	s_add_u32 s33, s7, s0
	s_addc_u32 s94, s9, s1
	s_waitcnt lgkmcnt(0)
	s_bitcmp1_b32 s8, 0
	v_writelane_b32 v48, s5, 25
	s_cselect_b64 s[0:1], -1, 0
	v_writelane_b32 v48, s0, 26
	v_mbcnt_hi_u32_b32 v26, -1, v1
	v_writelane_b32 v48, s1, 27
	s_xor_b64 s[90:91], s[0:1], -1
	v_cmp_gt_u32_e32 vcc, 64, v0
	v_cmp_gt_i32_e64 s[10:11], 4, v26
	v_mad_u64_u32 v[2:3], s[0:1], s58, v0, 0
	v_mov_b32_e32 v4, 0x300
	s_and_b64 s[0:1], vcc, s[10:11]
	v_mov_b32_e32 v5, 0
	v_writelane_b32 v48, s0, 28
	v_writelane_b32 v48, s1, 29
	v_cmp_gt_u64_e64 s[0:1], s[60:61], v[4:5]
	v_mov_b32_e32 v1, v3
	v_writelane_b32 v48, s0, 30
	v_mov_b32_e32 v13, 0
	v_writelane_b32 v48, s1, 31
	v_mad_u64_u32 v[3:4], s[0:1], s59, v0, v[1:2]
	v_mov_b32_e32 v1, v13
	v_cmp_gt_u64_e64 s[0:1], s[60:61], v[0:1]
	v_writelane_b32 v48, s0, 32
	v_writelane_b32 v48, s1, 33
	v_cmp_gt_u32_e64 s[0:1], 2, v0
	v_writelane_b32 v48, s0, 34
	s_barrier
	v_writelane_b32 v48, s1, 35
	s_load_dword s0, s[20:21], 0xc
	v_lshlrev_b64 v[2:3], 2, v[2:3]
	v_mov_b32_e32 v27, s94
	v_add_co_u32_e32 v10, vcc, s33, v2
	s_waitcnt lgkmcnt(0)
	s_and_b32 s95, s0, 0xffff
	s_bfe_u32 s0, s0, 0xa0006
	s_cmp_gt_u32 s95, 63
	s_cselect_b64 s[2:3], -1, 0
	v_writelane_b32 v48, s2, 36
	s_add_u32 s1, s95, -1
	v_writelane_b32 v48, s3, 37
	s_addc_u32 s2, 0, -1
	v_writelane_b32 v48, s1, 38
	s_add_u32 s1, s1, s60
	s_addc_u32 s57, s2, s61
	s_cmp_lt_u32 s6, s12
	v_writelane_b32 v48, s1, 39
	s_cselect_b32 s1, 12, 18
	s_add_u32 s72, s20, s1
	s_addc_u32 s73, s21, 0
	s_add_i32 s1, s0, -1
	v_writelane_b32 v48, s2, 40
	s_bfe_u32 s2, s95, 0x30006
	s_and_b32 s1, s1, 0xffff
	s_cmp_gt_u32 s1, 6
	s_cselect_b64 s[4:5], -1, 0
	v_writelane_b32 v48, s4, 41
	s_and_b32 s0, s0, 0x3f8
	v_writelane_b32 v48, s5, 42
	s_cmp_lg_u32 s2, 0
	v_addc_co_u32_e32 v11, vcc, v27, v3, vcc
	v_lshlrev_b64 v[2:3], v26, -1
	v_writelane_b32 v48, s2, 43
	s_cselect_b64 s[2:3], -1, 0
	v_writelane_b32 v48, s2, 44
	v_not_b32_e32 v25, v2
	v_lshrrev_b32_e32 v2, 1, v0
	v_writelane_b32 v48, s3, 45
	v_and_b32_e32 v2, 0x1e0, v2
	v_writelane_b32 v48, s90, 46
	v_lshlrev_b32_e32 v14, 2, v0
	v_lshlrev_b32_e32 v4, 2, v26
	v_or_b32_e32 v29, 0xc00, v2
	v_mov_b32_e32 v2, 0xc00
	v_mov_b32_e32 v19, s62
	v_writelane_b32 v48, s91, 47
	v_mov_b32_e32 v18, 0
	v_cmp_eq_u32_e64 s[88:89], 0, v26
	v_mov_b32_e32 v15, v13
	v_add_u32_e32 v28, 0xc00, v14
	v_and_b32_e32 v23, 0x100, v4
	v_not_b32_e32 v24, v3
	v_lshlrev_b32_e32 v31, 4, v0
	v_lshl_or_b32 v32, v26, 3, v2
	s_lshl_b32 s1, s95, 2
	s_mov_b32 s92, 30
	s_mov_b64 s[64:65], 0
	v_mov_b32_e32 v20, s63
	v_mov_b32_e32 v16, 1
	;; [unrolled: 1-line block ×6, first 2 shown]
	v_writelane_b32 v48, s72, 48
                                        ; implicit-def: $sgpr66_sgpr67
                                        ; implicit-def: $sgpr68_sgpr69
                                        ; implicit-def: $sgpr76_sgpr77
                                        ; implicit-def: $sgpr78_sgpr79
                                        ; implicit-def: $sgpr70_sgpr71
                                        ; implicit-def: $sgpr22_sgpr23
                                        ; implicit-def: $sgpr74_sgpr75
                                        ; implicit-def: $sgpr2_sgpr3
                                        ; implicit-def: $sgpr80_sgpr81
                                        ; implicit-def: $sgpr82_sgpr83
	v_writelane_b32 v48, s73, 49
	s_branch .LBB147_12
.LBB147_10:                             ;   in Loop: Header=BB147_12 Depth=1
	s_or_b64 exec, exec, s[10:11]
	s_andn2_b64 s[10:11], s[82:83], exec
	s_and_b64 s[8:9], s[8:9], exec
	v_mov_b32_e32 v20, v3
	s_or_b64 s[82:83], s[10:11], s[8:9]
	s_andn2_b64 s[80:81], s[80:81], exec
	s_andn2_b64 s[2:3], s[2:3], exec
	;; [unrolled: 1-line block ×4, first 2 shown]
	s_orn2_b64 s[6:7], s[6:7], exec
	v_mov_b32_e32 v19, v2
.LBB147_11:                             ;   in Loop: Header=BB147_12 Depth=1
	s_or_b64 exec, exec, s[4:5]
	s_and_b64 s[4:5], exec, s[6:7]
	s_or_b64 s[64:65], s[4:5], s[64:65]
	s_andn2_b64 s[4:5], s[70:71], exec
	s_and_b64 s[6:7], s[82:83], exec
	s_or_b64 s[70:71], s[4:5], s[6:7]
	s_andn2_b64 s[4:5], s[78:79], exec
	s_and_b64 s[6:7], s[80:81], exec
	;; [unrolled: 3-line block ×5, first 2 shown]
	s_or_b64 s[66:67], s[4:5], s[6:7]
	s_andn2_b64 exec, exec, s[64:65]
	s_cbranch_execz .LBB147_470
.LBB147_12:                             ; =>This Loop Header: Depth=1
                                        ;     Child Loop BB147_18 Depth 2
                                        ;     Child Loop BB147_31 Depth 2
	;; [unrolled: 1-line block ×24, first 2 shown]
	ds_read_b128 v[2:5], v13 offset:5120
	s_waitcnt lgkmcnt(0)
	v_readfirstlane_b32 s31, v3
	v_readfirstlane_b32 s30, v2
	s_cmp_lg_u64 s[30:31], 0
	s_cbranch_scc1 .LBB147_39
; %bb.13:                               ;   in Loop: Header=BB147_12 Depth=1
	v_readlane_b32 s4, v48, 30
	v_readlane_b32 s5, v48, 31
	s_and_b64 vcc, exec, s[4:5]
	s_cbranch_vccz .LBB147_26
; %bb.14:                               ;   in Loop: Header=BB147_12 Depth=1
	s_mov_b64 s[4:5], 0x301
	v_cmp_gt_u64_e32 vcc, s[4:5], v[4:5]
	s_mov_b64 s[4:5], 0
	s_mov_b64 s[6:7], 0
	s_cbranch_vccz .LBB147_27
; %bb.15:                               ;   in Loop: Header=BB147_12 Depth=1
	s_mov_b64 s[8:9], exec
	v_readlane_b32 s6, v48, 32
	v_readlane_b32 s7, v48, 33
	s_and_b64 s[6:7], s[8:9], s[6:7]
	s_mov_b64 exec, s[6:7]
	s_cbranch_execz .LBB147_94
; %bb.16:                               ;   in Loop: Header=BB147_12 Depth=1
	global_load_dword v5, v[10:11], off
	global_load_ushort v4, v13, s[72:73]
	v_mov_b32_e32 v3, v1
	s_mov_b64 s[10:11], 0
	v_mov_b32_e32 v2, v0
	s_branch .LBB147_18
.LBB147_17:                             ;   in Loop: Header=BB147_18 Depth=2
	s_or_b64 exec, exec, s[6:7]
	s_waitcnt vmcnt(0)
	v_mov_b32_e32 v5, v6
	s_andn2_b64 exec, exec, s[10:11]
	s_cbranch_execz .LBB147_94
.LBB147_18:                             ;   Parent Loop BB147_12 Depth=1
                                        ; =>  This Inner Loop Header: Depth=2
	s_waitcnt vmcnt(0)
	v_add_co_u32_sdwa v2, vcc, v2, v4 dst_sel:DWORD dst_unused:UNUSED_PAD src0_sel:DWORD src1_sel:WORD_0
	v_addc_co_u32_e32 v3, vcc, 0, v3, vcc
	v_cmp_gt_u64_e64 s[6:7], s[60:61], v[2:3]
	v_cmp_le_u64_e32 vcc, s[60:61], v[2:3]
	s_waitcnt lgkmcnt(0)
	v_mov_b32_e32 v7, 0
	v_mov_b32_e32 v6, 0
	s_and_saveexec_b64 s[12:13], s[6:7]
	s_cbranch_execz .LBB147_20
; %bb.19:                               ;   in Loop: Header=BB147_18 Depth=2
	v_mul_lo_u32 v6, v3, s58
	v_mul_lo_u32 v12, v2, s59
	v_mad_u64_u32 v[8:9], s[6:7], v2, s58, 0
	v_add3_u32 v9, v9, v12, v6
	v_lshlrev_b64 v[8:9], 2, v[8:9]
	v_add_co_u32_e64 v8, s[6:7], s33, v8
	v_addc_co_u32_e64 v9, s[6:7], v27, v9, s[6:7]
	global_load_dword v6, v[8:9], off
.LBB147_20:                             ;   in Loop: Header=BB147_18 Depth=2
	s_or_b64 exec, exec, s[12:13]
	v_xor_b32_e32 v8, 0x80000000, v5
	v_and_b32_e32 v8, v8, v35
	v_cmp_eq_u32_e64 s[14:15], v8, v30
	s_cmp_lg_u64 s[14:15], 0
	s_cselect_b64 s[6:7], -1, 0
	s_and_b64 s[6:7], s[88:89], s[6:7]
	s_and_saveexec_b64 s[12:13], s[6:7]
	s_cbranch_execz .LBB147_24
; %bb.21:                               ;   in Loop: Header=BB147_18 Depth=2
	s_mov_b64 s[18:19], exec
	v_mbcnt_lo_u32_b32 v7, s18, 0
	v_mbcnt_hi_u32_b32 v7, s19, v7
	s_bcnt1_i32_b64 s20, s[14:15]
	v_cmp_eq_u32_e64 s[6:7], 0, v7
                                        ; implicit-def: $vgpr8
	s_and_saveexec_b64 s[16:17], s[6:7]
; %bb.22:                               ;   in Loop: Header=BB147_18 Depth=2
	s_bcnt1_i32_b64 s6, s[18:19]
	s_mul_i32 s6, s20, s6
	v_mov_b32_e32 v8, s6
	ds_add_rtn_u32 v8, v13, v8 offset:5144
; %bb.23:                               ;   in Loop: Header=BB147_18 Depth=2
	s_or_b64 exec, exec, s[16:17]
	s_waitcnt lgkmcnt(0)
	v_readfirstlane_b32 s6, v8
	v_mov_b32_e32 v8, s6
	v_mad_u32_u24 v7, s20, v7, v8
.LBB147_24:                             ;   in Loop: Header=BB147_18 Depth=2
	s_or_b64 exec, exec, s[12:13]
	ds_bpermute_b32 v7, v23, v7
	s_and_b64 s[6:7], exec, vcc
	s_or_b64 s[10:11], s[6:7], s[10:11]
	s_and_saveexec_b64 s[6:7], s[14:15]
	s_cbranch_execz .LBB147_17
; %bb.25:                               ;   in Loop: Header=BB147_18 Depth=2
	v_and_b32_e32 v9, s14, v25
	v_and_b32_e32 v8, s15, v24
	v_bcnt_u32_b32 v9, v9, 0
	v_bcnt_u32_b32 v8, v8, v9
	v_lshlrev_b32_e32 v8, 2, v8
	s_waitcnt lgkmcnt(0)
	v_lshl_add_u32 v7, v7, 2, v8
	ds_write_b32 v7, v5
	s_branch .LBB147_17
.LBB147_26:                             ;   in Loop: Header=BB147_12 Depth=1
	s_mov_b64 s[4:5], -1
	s_mov_b64 s[6:7], 0
.LBB147_27:                             ;   in Loop: Header=BB147_12 Depth=1
	s_and_b64 vcc, exec, s[4:5]
	s_cbranch_vccz .LBB147_37
.LBB147_28:                             ;   in Loop: Header=BB147_12 Depth=1
	s_mov_b64 s[4:5], exec
	v_readlane_b32 s6, v48, 32
	v_readlane_b32 s7, v48, 33
	s_and_b64 s[6:7], s[4:5], s[6:7]
	s_mov_b64 exec, s[6:7]
	s_cbranch_execz .LBB147_34
; %bb.29:                               ;   in Loop: Header=BB147_12 Depth=1
	global_load_ushort v2, v13, s[72:73]
	global_load_dword v7, v[10:11], off
	s_waitcnt vmcnt(1)
	v_and_b32_e32 v6, 0xffff, v2
	v_add_u32_e32 v12, v6, v0
	v_cmp_gt_u64_e32 vcc, s[60:61], v[12:13]
	v_mov_b32_e32 v2, v0
	s_and_saveexec_b64 s[6:7], vcc
	s_cbranch_execz .LBB147_33
; %bb.30:                               ;   in Loop: Header=BB147_12 Depth=1
	v_mov_b32_e32 v4, v12
	v_mov_b32_e32 v3, v1
	s_mov_b64 s[8:9], 0
	v_mov_b32_e32 v5, v13
	v_mov_b32_e32 v2, v0
.LBB147_31:                             ;   Parent Loop BB147_12 Depth=1
                                        ; =>  This Inner Loop Header: Depth=2
	v_mov_b32_e32 v22, v5
	v_mov_b32_e32 v21, v4
	v_mul_lo_u32 v5, v22, s58
	v_mul_lo_u32 v8, v21, s59
	v_mad_u64_u32 v[3:4], s[10:11], v21, s58, 0
	v_mov_b32_e32 v9, s94
	v_lshlrev_b32_e32 v2, 2, v2
	v_add3_u32 v4, v4, v8, v5
	v_lshlrev_b64 v[3:4], 2, v[3:4]
	s_waitcnt vmcnt(0)
	ds_write_b32 v2, v7
	v_add_co_u32_e32 v3, vcc, s33, v3
	v_addc_co_u32_e32 v4, vcc, v9, v4, vcc
	global_load_dword v8, v[3:4], off
	v_add_co_u32_e32 v4, vcc, v21, v6
	v_addc_co_u32_e32 v5, vcc, 0, v22, vcc
	v_cmp_le_u64_e32 vcc, s[60:61], v[4:5]
	v_mov_b32_e32 v2, v21
	s_or_b64 s[8:9], vcc, s[8:9]
	v_mov_b32_e32 v3, v22
	s_waitcnt vmcnt(0)
	v_mov_b32_e32 v7, v8
	s_andn2_b64 exec, exec, s[8:9]
	s_cbranch_execnz .LBB147_31
; %bb.32:                               ;   in Loop: Header=BB147_12 Depth=1
	s_or_b64 exec, exec, s[8:9]
	v_sub_u32_e32 v2, v4, v6
	v_mov_b32_e32 v7, v8
.LBB147_33:                             ;   in Loop: Header=BB147_12 Depth=1
	s_or_b64 exec, exec, s[6:7]
	v_lshlrev_b32_e32 v2, 2, v2
	s_waitcnt vmcnt(0)
	ds_write_b32 v2, v7
.LBB147_34:                             ;   in Loop: Header=BB147_12 Depth=1
	s_or_b64 exec, exec, s[4:5]
	s_waitcnt lgkmcnt(0)
	s_barrier
	s_mov_b64 s[4:5], exec
	v_readlane_b32 s6, v48, 12
	v_readlane_b32 s7, v48, 13
	s_and_b64 s[6:7], s[4:5], s[6:7]
	s_mov_b64 exec, s[6:7]
; %bb.35:                               ;   in Loop: Header=BB147_12 Depth=1
	v_mov_b32_e32 v2, s60
	v_mov_b32_e32 v3, s61
	ds_write_b64 v13, v[2:3] offset:5120
; %bb.36:                               ;   in Loop: Header=BB147_12 Depth=1
	s_or_b64 exec, exec, s[4:5]
	s_mov_b64 s[6:7], -1
	s_waitcnt lgkmcnt(0)
	s_barrier
.LBB147_37:                             ;   in Loop: Header=BB147_12 Depth=1
	s_mov_b64 s[30:31], 0
	s_and_b64 vcc, exec, s[6:7]
	s_cbranch_vccz .LBB147_39
; %bb.38:                               ;   in Loop: Header=BB147_12 Depth=1
	ds_read_b64 v[2:3], v13 offset:5120
	s_waitcnt lgkmcnt(0)
	v_readfirstlane_b32 s30, v2
.LBB147_39:                             ;   in Loop: Header=BB147_12 Depth=1
	s_cmp_lt_i32 s30, 1
	s_mov_b64 s[4:5], -1
	v_writelane_b32 v48, s22, 50
                                        ; implicit-def: $vgpr2_vgpr3
                                        ; implicit-def: $vgpr6_vgpr7
	v_writelane_b32 v48, s23, 51
	s_cbranch_scc1 .LBB147_49
; %bb.40:                               ;   in Loop: Header=BB147_12 Depth=1
	s_and_b64 vcc, exec, s[4:5]
	s_cbranch_vccnz .LBB147_63
.LBB147_41:                             ;   in Loop: Header=BB147_12 Depth=1
	v_lshlrev_b32_e32 v12, 6, v34
	s_and_saveexec_b64 s[4:5], s[88:89]
	s_cbranch_execz .LBB147_43
.LBB147_42:                             ;   in Loop: Header=BB147_12 Depth=1
	v_lshl_add_u32 v17, v12, 3, v29
	ds_write_b128 v17, v[2:5]
	ds_write_b128 v17, v[6:9] offset:16
.LBB147_43:                             ;   in Loop: Header=BB147_12 Depth=1
	s_or_b64 exec, exec, s[4:5]
	s_waitcnt lgkmcnt(0)
	s_barrier
	s_mov_b64 s[4:5], exec
	v_readlane_b32 s6, v48, 28
	v_readlane_b32 s7, v48, 29
	s_and_b64 s[6:7], s[4:5], s[6:7]
	s_mov_b64 exec, s[6:7]
	s_cbranch_execz .LBB147_78
; %bb.44:                               ;   in Loop: Header=BB147_12 Depth=1
	v_readlane_b32 s6, v48, 36
	v_mov_b32_e32 v2, 0
	v_readlane_b32 s7, v48, 37
	v_mov_b32_e32 v3, 0
	s_andn2_b64 vcc, exec, s[6:7]
	s_cbranch_vccnz .LBB147_77
; %bb.45:                               ;   in Loop: Header=BB147_12 Depth=1
	v_readlane_b32 s6, v48, 41
	v_readlane_b32 s7, v48, 42
	s_andn2_b64 vcc, exec, s[6:7]
	s_cbranch_vccnz .LBB147_73
; %bb.46:                               ;   in Loop: Header=BB147_12 Depth=1
	v_mov_b32_e32 v2, 0
	v_lshl_add_u32 v4, v34, 9, v32
	v_mov_b32_e32 v3, 0
	s_mov_b32 s6, 0
.LBB147_47:                             ;   Parent Loop BB147_12 Depth=1
                                        ; =>  This Inner Loop Header: Depth=2
	ds_read2_b64 v[5:8], v4 offset1:4
	ds_read2_b64 v[36:39], v4 offset0:8 offset1:12
	ds_read2_b64 v[40:43], v4 offset0:16 offset1:20
	;; [unrolled: 1-line block ×3, first 2 shown]
	s_add_i32 s6, s6, 8
	s_waitcnt lgkmcnt(3)
	v_add_co_u32_e32 v2, vcc, v5, v2
	v_addc_co_u32_e32 v3, vcc, v6, v3, vcc
	v_add_co_u32_e32 v2, vcc, v7, v2
	v_addc_co_u32_e32 v3, vcc, v8, v3, vcc
	s_waitcnt lgkmcnt(2)
	v_add_co_u32_e32 v2, vcc, v36, v2
	v_addc_co_u32_e32 v3, vcc, v37, v3, vcc
	v_add_co_u32_e32 v2, vcc, v38, v2
	v_addc_co_u32_e32 v3, vcc, v39, v3, vcc
	;; [unrolled: 5-line block ×3, first 2 shown]
	s_waitcnt lgkmcnt(0)
	v_add_co_u32_e32 v2, vcc, v44, v2
	v_addc_co_u32_e32 v3, vcc, v45, v3, vcc
	v_add_co_u32_e32 v2, vcc, v46, v2
	v_add_u32_e32 v4, 0x100, v4
	s_cmp_eq_u32 s0, s6
	v_addc_co_u32_e32 v3, vcc, v47, v3, vcc
	s_cbranch_scc0 .LBB147_47
; %bb.48:                               ;   in Loop: Header=BB147_12 Depth=1
	s_mov_b32 s6, s0
	s_branch .LBB147_74
.LBB147_49:                             ;   in Loop: Header=BB147_12 Depth=1
	global_load_ushort v12, v13, s[72:73]
	s_mov_b32 s4, s85
	s_waitcnt vmcnt(0)
	v_readfirstlane_b32 s5, v12
	s_and_b32 s5, 0xffff, s5
	s_lshl_b32 s31, s5, 2
	s_mov_b32 s5, s61
	s_cmp_lg_u64 s[4:5], 0
	s_cbranch_scc0 .LBB147_72
; %bb.50:                               ;   in Loop: Header=BB147_12 Depth=1
	v_cvt_f32_u32_e32 v2, s31
	s_sub_u32 s6, 0, s31
	s_subb_u32 s7, 0, 0
	v_mac_f32_e32 v2, 0, v33
	v_rcp_f32_e32 v2, v2
	v_mul_f32_e32 v2, 0x5f7ffffc, v2
	v_mul_f32_e32 v3, 0x2f800000, v2
	v_trunc_f32_e32 v3, v3
	v_mac_f32_e32 v2, 0xcf800000, v3
	v_cvt_u32_f32_e32 v3, v3
	v_cvt_u32_f32_e32 v2, v2
	v_readfirstlane_b32 s8, v3
	v_readfirstlane_b32 s4, v2
	s_mul_i32 s5, s6, s8
	s_mul_hi_u32 s10, s6, s4
	s_mul_i32 s9, s7, s4
	s_add_i32 s5, s10, s5
	s_mul_i32 s11, s6, s4
	s_add_i32 s5, s5, s9
	s_mul_hi_u32 s10, s4, s11
	s_mul_i32 s12, s4, s5
	s_mul_hi_u32 s9, s4, s5
	s_add_u32 s10, s10, s12
	s_addc_u32 s9, 0, s9
	s_mul_hi_u32 s13, s8, s11
	s_mul_i32 s11, s8, s11
	s_add_u32 s10, s10, s11
	s_mul_hi_u32 s12, s8, s5
	s_addc_u32 s9, s9, s13
	s_addc_u32 s10, s12, 0
	s_mul_i32 s5, s8, s5
	s_add_u32 s5, s9, s5
	s_addc_u32 s9, 0, s10
	s_add_u32 s10, s4, s5
	s_cselect_b64 s[4:5], -1, 0
	s_cmp_lg_u64 s[4:5], 0
	s_addc_u32 s8, s8, s9
	s_mul_i32 s4, s6, s8
	s_mul_hi_u32 s5, s6, s10
	s_add_i32 s4, s5, s4
	s_mul_i32 s7, s7, s10
	s_add_i32 s4, s4, s7
	s_mul_i32 s6, s6, s10
	s_mul_hi_u32 s7, s8, s6
	s_mul_i32 s9, s8, s6
	s_mul_i32 s12, s10, s4
	s_mul_hi_u32 s6, s10, s6
	s_mul_hi_u32 s11, s10, s4
	s_add_u32 s6, s6, s12
	s_addc_u32 s11, 0, s11
	s_add_u32 s6, s6, s9
	s_mul_hi_u32 s5, s8, s4
	s_addc_u32 s6, s11, s7
	s_addc_u32 s5, s5, 0
	s_mul_i32 s4, s8, s4
	s_add_u32 s4, s6, s4
	s_addc_u32 s6, 0, s5
	s_add_u32 s7, s10, s4
	s_cselect_b64 s[4:5], -1, 0
	s_cmp_lg_u64 s[4:5], 0
	s_addc_u32 s4, s8, s6
	s_mul_i32 s6, s60, s4
	s_mul_hi_u32 s8, s60, s7
	s_mul_hi_u32 s5, s60, s4
	s_add_u32 s6, s8, s6
	s_addc_u32 s5, 0, s5
	s_mul_hi_u32 s9, s61, s7
	s_mul_i32 s7, s61, s7
	s_add_u32 s6, s6, s7
	s_mul_hi_u32 s8, s61, s4
	s_addc_u32 s5, s5, s9
	s_addc_u32 s6, s8, 0
	s_mul_i32 s4, s61, s4
	s_add_u32 s4, s5, s4
	s_addc_u32 s5, 0, s6
	s_mul_i32 s5, s31, s5
	s_mul_hi_u32 s6, s31, s4
	s_add_i32 s6, s6, s5
	s_mul_i32 s4, s31, s4
	s_sub_u32 s7, s60, s4
	s_cselect_b64 s[4:5], -1, 0
	s_cmp_lg_u64 s[4:5], 0
	s_subb_u32 s6, s61, s6
	s_sub_u32 s8, s7, s31
	s_cselect_b64 s[4:5], -1, 0
	s_cmp_lg_u64 s[4:5], 0
	s_subb_u32 s9, s6, 0
	;; [unrolled: 4-line block ×3, first 2 shown]
	s_cmp_ge_u32 s8, s31
	s_cselect_b32 s5, -1, 0
	s_cmp_eq_u32 s9, 0
	s_cselect_b32 s5, s5, -1
	s_cmp_lg_u32 s5, 0
	s_cselect_b32 s4, s4, s9
	s_cselect_b32 s8, s10, s8
	s_cmp_ge_u32 s7, s31
	s_cselect_b32 s5, -1, 0
	s_cmp_eq_u32 s6, 0
	s_cselect_b32 s5, s5, -1
	s_cmp_lg_u32 s5, 0
	s_cselect_b32 s5, s4, s6
	s_cselect_b32 s4, s8, s7
	s_cbranch_execnz .LBB147_52
.LBB147_51:                             ;   in Loop: Header=BB147_12 Depth=1
	v_cvt_f32_u32_e32 v2, s31
	s_sub_i32 s4, 0, s31
	v_rcp_iflag_f32_e32 v2, v2
	v_mul_f32_e32 v2, 0x4f7ffffe, v2
	v_cvt_u32_f32_e32 v2, v2
	v_readfirstlane_b32 s5, v2
	s_mul_i32 s4, s4, s5
	s_mul_hi_u32 s4, s5, s4
	s_add_i32 s5, s5, s4
	s_mul_hi_u32 s4, s60, s5
	s_mul_i32 s4, s4, s31
	s_sub_i32 s4, s60, s4
	s_sub_i32 s5, s4, s31
	s_cmp_ge_u32 s4, s31
	s_cselect_b32 s4, s5, s4
	s_sub_i32 s5, s4, s31
	s_cmp_ge_u32 s4, s31
	s_cselect_b32 s84, s5, s4
	s_mov_b64 s[4:5], s[84:85]
.LBB147_52:                             ;   in Loop: Header=BB147_12 Depth=1
	s_sub_u32 s54, s60, s4
	s_subb_u32 s55, s61, s5
	v_cmp_gt_u64_e32 vcc, s[54:55], v[14:15]
	v_mov_b32_e32 v2, 0
	v_mov_b32_e32 v4, 0
	;; [unrolled: 1-line block ×8, first 2 shown]
	s_and_saveexec_b64 s[8:9], vcc
	s_cbranch_execz .LBB147_56
; %bb.53:                               ;   in Loop: Header=BB147_12 Depth=1
	v_mov_b32_e32 v22, v15
	s_mov_b64 s[10:11], 0
	s_mov_b64 s[72:73], 0
	;; [unrolled: 1-line block ×5, first 2 shown]
	v_mov_b32_e32 v21, v14
.LBB147_54:                             ;   Parent Loop BB147_12 Depth=1
                                        ; =>  This Inner Loop Header: Depth=2
	v_mul_lo_u32 v4, v22, s58
	v_mul_lo_u32 v5, v21, s59
	v_mad_u64_u32 v[2:3], s[6:7], v21, s58, 0
	v_mov_b32_e32 v6, s94
	s_lshl_b64 s[14:15], s[58:59], 2
	v_add3_u32 v3, v3, v5, v4
	v_lshlrev_b64 v[2:3], 2, v[2:3]
	v_mov_b32_e32 v7, s15
	v_add_co_u32_e64 v2, s[6:7], s33, v2
	v_addc_co_u32_e64 v3, s[6:7], v6, v3, s[6:7]
	v_add_co_u32_e64 v4, s[6:7], s14, v2
	v_addc_co_u32_e64 v5, s[6:7], v3, v7, s[6:7]
	global_load_dword v6, v[2:3], off
	global_load_dword v8, v[4:5], off
	v_add_co_u32_e64 v2, s[6:7], s14, v4
	v_addc_co_u32_e64 v3, s[6:7], v5, v7, s[6:7]
	global_load_dword v4, v[2:3], off
	v_add_co_u32_e64 v2, s[6:7], s14, v2
	v_addc_co_u32_e64 v3, s[6:7], v3, v7, s[6:7]
	global_load_dword v2, v[2:3], off
	v_add_co_u32_e32 v21, vcc, s31, v21
	v_addc_co_u32_e32 v22, vcc, 0, v22, vcc
	v_cmp_le_u64_e32 vcc, s[54:55], v[21:22]
	s_waitcnt vmcnt(3)
	v_xor_b32_e32 v3, 0x80000000, v6
	s_waitcnt vmcnt(2)
	v_xor_b32_e32 v5, 0x80000000, v8
	v_and_b32_e32 v6, v3, v35
	v_bfe_u32 v3, v3, s92, 2
	v_cmp_eq_u32_e64 s[14:15], v6, v30
	v_and_b32_e32 v6, v5, v35
	v_bfe_u32 v5, v5, s92, 2
	v_cmp_eq_u32_e64 s[6:7], 0, v3
	s_waitcnt vmcnt(1)
	v_xor_b32_e32 v4, 0x80000000, v4
	v_cmp_eq_u32_e64 s[16:17], v6, v30
	v_cmp_eq_u32_e64 s[26:27], 0, v5
	s_and_b64 s[6:7], s[14:15], s[6:7]
	v_cmp_eq_u32_e64 s[34:35], 1, v3
	v_cmp_eq_u32_e64 s[36:37], 2, v3
	;; [unrolled: 1-line block ×3, first 2 shown]
	s_waitcnt vmcnt(0)
	v_xor_b32_e32 v2, 0x80000000, v2
	v_and_b32_e32 v3, v4, v35
	v_bfe_u32 v4, v4, s92, 2
	v_cmp_eq_u32_e64 s[38:39], 1, v5
	v_cmp_eq_u32_e64 s[40:41], 2, v5
	v_cmp_eq_u32_e64 s[20:21], 3, v5
	v_cndmask_b32_e64 v5, 0, 1, s[6:7]
	s_and_b64 s[26:27], s[16:17], s[26:27]
	v_cmp_eq_u32_e64 s[22:23], v3, v30
	v_and_b32_e32 v3, v2, v35
	v_bfe_u32 v2, v2, s92, 2
	v_cmp_eq_u32_e64 s[6:7], 0, v4
	v_cmp_eq_u32_e64 s[42:43], 1, v4
	v_cmp_eq_u32_e64 s[44:45], 2, v4
	v_cmp_eq_u32_e64 s[24:25], 3, v4
	v_cmp_ne_u32_e64 s[46:47], 0, v5
	v_cndmask_b32_e64 v4, 0, 1, s[26:27]
	v_cmp_eq_u32_e64 s[26:27], v3, v30
	v_cmp_eq_u32_e64 s[48:49], 0, v2
	s_bcnt1_i32_b64 s84, s[46:47]
	v_cmp_ne_u32_e64 s[46:47], 0, v4
	s_and_b64 s[6:7], s[22:23], s[6:7]
	v_cmp_eq_u32_e64 s[50:51], 1, v2
	v_cmp_eq_u32_e64 s[52:53], 2, v2
	;; [unrolled: 1-line block ×3, first 2 shown]
	v_cndmask_b32_e64 v2, 0, 1, s[6:7]
	s_bcnt1_i32_b64 s86, s[46:47]
	s_and_b64 s[46:47], s[26:27], s[48:49]
	v_cmp_ne_u32_e64 s[6:7], 0, v2
	v_cndmask_b32_e64 v2, 0, 1, s[46:47]
	s_bcnt1_i32_b64 s46, s[6:7]
	v_cmp_ne_u32_e64 s[6:7], 0, v2
	s_bcnt1_i32_b64 s6, s[6:7]
	s_add_u32 s4, s84, s4
	s_addc_u32 s5, 0, s5
	s_add_u32 s4, s4, s86
	s_addc_u32 s5, s5, 0
	s_add_u32 s4, s4, s46
	s_addc_u32 s5, s5, 0
	s_add_u32 s4, s4, s6
	s_addc_u32 s5, s5, 0
	s_and_b64 s[6:7], s[14:15], s[34:35]
	v_cndmask_b32_e64 v4, 0, 1, s[6:7]
	s_and_b64 s[6:7], s[16:17], s[38:39]
	v_cndmask_b32_e64 v5, 0, 1, s[6:7]
	s_and_b64 s[6:7], s[22:23], s[42:43]
	v_cndmask_b32_e64 v6, 0, 1, s[6:7]
	s_and_b64 s[6:7], s[26:27], s[50:51]
	v_cndmask_b32_e64 v7, 0, 1, s[6:7]
	v_cmp_ne_u32_e64 s[6:7], 0, v4
	v_cmp_ne_u32_e64 s[34:35], 0, v5
	v_cmp_ne_u32_e64 s[38:39], 0, v6
	v_cmp_ne_u32_e64 s[42:43], 0, v7
	s_bcnt1_i32_b64 s6, s[6:7]
	s_bcnt1_i32_b64 s7, s[34:35]
	s_bcnt1_i32_b64 s34, s[38:39]
	s_bcnt1_i32_b64 s35, s[42:43]
	s_add_u32 s6, s6, s12
	s_addc_u32 s12, 0, s13
	s_add_u32 s6, s6, s7
	s_addc_u32 s7, s12, 0
	s_add_u32 s6, s6, s34
	s_addc_u32 s7, s7, 0
	s_add_u32 s12, s6, s35
	s_addc_u32 s13, s7, 0
	s_and_b64 s[6:7], s[14:15], s[36:37]
	v_cndmask_b32_e64 v6, 0, 1, s[6:7]
	s_and_b64 s[6:7], s[16:17], s[40:41]
	v_cndmask_b32_e64 v7, 0, 1, s[6:7]
	s_and_b64 s[6:7], s[22:23], s[44:45]
	v_cndmask_b32_e64 v8, 0, 1, s[6:7]
	s_and_b64 s[6:7], s[26:27], s[52:53]
	v_cndmask_b32_e64 v9, 0, 1, s[6:7]
	v_cmp_ne_u32_e64 s[6:7], 0, v6
	v_cmp_ne_u32_e64 s[34:35], 0, v7
	v_cmp_ne_u32_e64 s[36:37], 0, v8
	v_cmp_ne_u32_e64 s[38:39], 0, v9
	s_bcnt1_i32_b64 s6, s[6:7]
	s_bcnt1_i32_b64 s7, s[34:35]
	s_bcnt1_i32_b64 s34, s[36:37]
	;; [unrolled: 24-line block ×3, first 2 shown]
	s_bcnt1_i32_b64 s15, s[18:19]
	s_add_u32 s6, s6, s72
	s_addc_u32 s16, 0, s73
	s_add_u32 s6, s6, s7
	s_addc_u32 s7, s16, 0
	;; [unrolled: 2-line block ×3, first 2 shown]
	s_add_u32 s72, s6, s15
	v_mov_b32_e32 v2, s4
	v_mov_b32_e32 v4, s12
	;; [unrolled: 1-line block ×3, first 2 shown]
	s_addc_u32 s73, s7, 0
	v_mov_b32_e32 v8, s72
	v_mov_b32_e32 v3, s5
	;; [unrolled: 1-line block ×4, first 2 shown]
	s_or_b64 s[10:11], vcc, s[10:11]
	v_mov_b32_e32 v9, s73
	s_andn2_b64 exec, exec, s[10:11]
	s_cbranch_execnz .LBB147_54
; %bb.55:                               ;   in Loop: Header=BB147_12 Depth=1
	s_or_b64 exec, exec, s[10:11]
	v_readlane_b32 s90, v48, 46
	v_readlane_b32 s72, v48, 48
	;; [unrolled: 1-line block ×4, first 2 shown]
.LBB147_56:                             ;   in Loop: Header=BB147_12 Depth=1
	s_or_b64 exec, exec, s[8:9]
	v_mov_b32_e32 v17, s55
	v_add_co_u32_e32 v21, vcc, s54, v0
	v_addc_co_u32_e32 v22, vcc, 0, v17, vcc
	v_cmp_gt_u64_e32 vcc, s[60:61], v[21:22]
	s_and_saveexec_b64 s[4:5], vcc
	s_cbranch_execz .LBB147_62
; %bb.57:                               ;   in Loop: Header=BB147_12 Depth=1
	v_mul_lo_u32 v17, v22, s58
	v_mul_lo_u32 v38, v21, s59
	v_mad_u64_u32 v[36:37], s[6:7], v21, s58, 0
	s_mov_b64 s[8:9], 0
	v_add3_u32 v37, v37, v38, v17
	v_lshlrev_b64 v[36:37], 2, v[36:37]
	v_mov_b32_e32 v17, s94
	v_add_co_u32_e32 v36, vcc, s33, v36
	v_addc_co_u32_e32 v37, vcc, v17, v37, vcc
	global_load_dword v36, v[36:37], off
	s_branch .LBB147_59
.LBB147_58:                             ;   in Loop: Header=BB147_59 Depth=2
	s_or_b64 exec, exec, s[10:11]
	s_waitcnt vmcnt(0)
	v_xor_b32_e32 v36, 0x80000000, v36
	s_and_b64 s[6:7], exec, vcc
	v_and_b32_e32 v37, v36, v35
	v_bfe_u32 v36, v36, s92, 2
	s_or_b64 s[8:9], s[6:7], s[8:9]
	v_cmp_eq_u32_e32 vcc, v37, v30
	v_cmp_eq_u32_e64 s[6:7], 0, v36
	s_and_b64 s[6:7], vcc, s[6:7]
	v_cndmask_b32_e64 v37, 0, 1, s[6:7]
	v_cmp_ne_u32_e64 s[6:7], 0, v37
	s_bcnt1_i32_b64 s6, s[6:7]
	v_add_co_u32_e64 v2, s[6:7], s6, v2
	v_addc_co_u32_e64 v3, s[6:7], 0, v3, s[6:7]
	v_cmp_eq_u32_e64 s[6:7], 1, v36
	s_and_b64 s[6:7], vcc, s[6:7]
	v_cndmask_b32_e64 v37, 0, 1, s[6:7]
	v_cmp_ne_u32_e64 s[6:7], 0, v37
	s_bcnt1_i32_b64 s6, s[6:7]
	v_add_co_u32_e64 v4, s[6:7], s6, v4
	v_addc_co_u32_e64 v5, s[6:7], 0, v5, s[6:7]
	;; [unrolled: 7-line block ×3, first 2 shown]
	v_cmp_eq_u32_e64 s[6:7], 3, v36
	s_and_b64 s[6:7], vcc, s[6:7]
	v_cndmask_b32_e64 v36, 0, 1, s[6:7]
	v_cmp_ne_u32_e32 vcc, 0, v36
	s_bcnt1_i32_b64 s6, vcc
	v_add_co_u32_e32 v8, vcc, s6, v8
	v_addc_co_u32_e32 v9, vcc, 0, v9, vcc
	v_mov_b32_e32 v36, v17
	s_andn2_b64 exec, exec, s[8:9]
	s_cbranch_execz .LBB147_61
.LBB147_59:                             ;   Parent Loop BB147_12 Depth=1
                                        ; =>  This Inner Loop Header: Depth=2
	v_add_co_u32_sdwa v21, vcc, v21, v12 dst_sel:DWORD dst_unused:UNUSED_PAD src0_sel:DWORD src1_sel:WORD_0
	v_addc_co_u32_e32 v22, vcc, 0, v22, vcc
	v_cmp_gt_u64_e64 s[6:7], s[60:61], v[21:22]
	v_cmp_le_u64_e32 vcc, s[60:61], v[21:22]
	v_mov_b32_e32 v17, 0
	s_and_saveexec_b64 s[10:11], s[6:7]
	s_cbranch_execz .LBB147_58
; %bb.60:                               ;   in Loop: Header=BB147_59 Depth=2
	v_mul_lo_u32 v17, v22, s58
	v_mul_lo_u32 v39, v21, s59
	v_mad_u64_u32 v[37:38], s[6:7], v21, s58, 0
	v_add3_u32 v38, v38, v39, v17
	v_lshlrev_b64 v[37:38], 2, v[37:38]
	v_mov_b32_e32 v17, s94
	v_add_co_u32_e64 v37, s[6:7], s33, v37
	v_addc_co_u32_e64 v38, s[6:7], v17, v38, s[6:7]
	global_load_dword v17, v[37:38], off
	s_branch .LBB147_58
.LBB147_61:                             ;   in Loop: Header=BB147_12 Depth=1
	s_or_b64 exec, exec, s[8:9]
.LBB147_62:                             ;   in Loop: Header=BB147_12 Depth=1
	s_or_b64 exec, exec, s[4:5]
	s_branch .LBB147_41
.LBB147_63:                             ;   in Loop: Header=BB147_12 Depth=1
	global_load_ushort v12, v13, s[72:73]
	v_mov_b32_e32 v6, 0
	v_mov_b32_e32 v7, 0
	s_waitcnt vmcnt(0)
	v_readfirstlane_b32 s4, v12
	s_and_b32 s6, 0xffff, s4
	s_lshl_b32 s31, s6, 2
	v_cvt_f32_u32_e32 v2, s31
	s_sub_i32 s4, 0, s31
	v_rcp_iflag_f32_e32 v4, v2
	v_mov_b32_e32 v2, 0
	v_mov_b32_e32 v3, 0
	v_mul_f32_e32 v4, 0x4f7ffffe, v4
	v_cvt_u32_f32_e32 v8, v4
	v_mov_b32_e32 v4, 0
	v_mov_b32_e32 v5, 0
	v_readfirstlane_b32 s5, v8
	s_mul_i32 s4, s4, s5
	s_mul_hi_u32 s4, s5, s4
	s_add_i32 s5, s5, s4
	s_mul_hi_u32 s4, s30, s5
	s_mul_i32 s5, s4, s31
	s_sub_i32 s5, s30, s5
	s_add_i32 s7, s4, 1
	s_sub_i32 s8, s5, s31
	s_cmp_ge_u32 s5, s31
	s_cselect_b32 s4, s7, s4
	s_cselect_b32 s5, s8, s5
	s_add_i32 s7, s4, 1
	s_cmp_ge_u32 s5, s31
	s_cselect_b32 s4, s7, s4
	s_mul_hi_u32 s9, s6, s4
	s_mul_i32 s8, s6, s4
	s_lshl_b64 s[4:5], s[8:9], 2
	v_cmp_gt_u64_e32 vcc, s[4:5], v[14:15]
	v_mov_b32_e32 v8, 0
	v_mov_b32_e32 v9, 0
	s_and_saveexec_b64 s[10:11], vcc
	s_cbranch_execz .LBB147_67
; %bb.64:                               ;   in Loop: Header=BB147_12 Depth=1
	v_mov_b32_e32 v22, v15
	s_mov_b32 s93, s57
	s_mov_b64 s[56:57], s[88:89]
	s_lshl_b32 s9, s6, 4
	s_mov_b64 s[12:13], 0
	v_mov_b32_e32 v17, v31
	s_mov_b64 s[72:73], 0
	s_mov_b64 s[90:91], 0
	;; [unrolled: 1-line block ×4, first 2 shown]
	v_mov_b32_e32 v21, v14
.LBB147_65:                             ;   Parent Loop BB147_12 Depth=1
                                        ; =>  This Inner Loop Header: Depth=2
	ds_read_b128 v[2:5], v17
	v_add_co_u32_e32 v21, vcc, s31, v21
	v_addc_co_u32_e32 v22, vcc, 0, v22, vcc
	s_waitcnt lgkmcnt(0)
	v_xor_b32_e32 v2, 0x80000000, v2
	v_xor_b32_e32 v3, 0x80000000, v3
	v_and_b32_e32 v6, v2, v35
	v_bfe_u32 v2, v2, s92, 2
	v_xor_b32_e32 v4, 0x80000000, v4
	v_and_b32_e32 v7, v3, v35
	v_bfe_u32 v3, v3, s92, 2
	v_cmp_eq_u32_e64 s[20:21], v6, v30
	v_cmp_eq_u32_e64 s[6:7], 0, v2
	v_xor_b32_e32 v5, 0x80000000, v5
	v_and_b32_e32 v8, v4, v35
	v_bfe_u32 v4, v4, s92, 2
	v_cmp_eq_u32_e64 s[18:19], v7, v30
	v_cmp_eq_u32_e64 s[34:35], 0, v3
	s_and_b64 s[6:7], s[20:21], s[6:7]
	v_and_b32_e32 v9, v5, v35
	v_bfe_u32 v5, v5, s92, 2
	v_cmp_eq_u32_e64 s[16:17], v8, v30
	v_cmp_eq_u32_e64 s[36:37], 0, v4
	;; [unrolled: 1-line block ×5, first 2 shown]
	v_cndmask_b32_e64 v2, 0, 1, s[6:7]
	s_and_b64 s[6:7], s[18:19], s[34:35]
	v_cmp_eq_u32_e64 s[14:15], v9, v30
	v_cmp_eq_u32_e64 s[38:39], 0, v5
	;; [unrolled: 1-line block ×5, first 2 shown]
	v_cndmask_b32_e64 v3, 0, 1, s[6:7]
	s_and_b64 s[6:7], s[16:17], s[36:37]
	v_cmp_eq_u32_e64 s[44:45], 1, v4
	v_cmp_eq_u32_e64 s[52:53], 2, v4
	;; [unrolled: 1-line block ×3, first 2 shown]
	v_cndmask_b32_e64 v4, 0, 1, s[6:7]
	s_and_b64 s[6:7], s[14:15], s[38:39]
	v_cmp_eq_u32_e64 s[46:47], 1, v5
	v_cmp_eq_u32_e64 s[54:55], 2, v5
	;; [unrolled: 1-line block ×3, first 2 shown]
	v_cndmask_b32_e64 v5, 0, 1, s[6:7]
	v_cmp_ne_u32_e64 s[6:7], 0, v2
	v_cmp_ne_u32_e64 s[34:35], 0, v3
	v_cmp_ne_u32_e64 s[36:37], 0, v4
	v_cmp_ne_u32_e64 s[38:39], 0, v5
	s_bcnt1_i32_b64 s6, s[6:7]
	s_bcnt1_i32_b64 s7, s[34:35]
	s_bcnt1_i32_b64 s34, s[36:37]
	s_bcnt1_i32_b64 s35, s[38:39]
	s_add_u32 s6, s6, s88
	s_addc_u32 s36, 0, s89
	s_add_u32 s6, s6, s7
	s_addc_u32 s7, s36, 0
	s_add_u32 s6, s6, s34
	s_addc_u32 s7, s7, 0
	s_add_u32 s88, s6, s35
	s_addc_u32 s89, s7, 0
	s_and_b64 s[6:7], s[20:21], s[40:41]
	v_cndmask_b32_e64 v4, 0, 1, s[6:7]
	s_and_b64 s[6:7], s[18:19], s[42:43]
	v_cndmask_b32_e64 v5, 0, 1, s[6:7]
	s_and_b64 s[6:7], s[16:17], s[44:45]
	v_cndmask_b32_e64 v6, 0, 1, s[6:7]
	s_and_b64 s[6:7], s[14:15], s[46:47]
	v_cndmask_b32_e64 v7, 0, 1, s[6:7]
	v_cmp_ne_u32_e64 s[6:7], 0, v4
	v_cmp_ne_u32_e64 s[34:35], 0, v5
	v_cmp_ne_u32_e64 s[36:37], 0, v6
	v_cmp_ne_u32_e64 s[38:39], 0, v7
	s_bcnt1_i32_b64 s6, s[6:7]
	s_bcnt1_i32_b64 s7, s[34:35]
	s_bcnt1_i32_b64 s34, s[36:37]
	s_bcnt1_i32_b64 s35, s[38:39]
	s_add_u32 s6, s6, s86
	s_addc_u32 s36, 0, s87
	s_add_u32 s6, s6, s7
	s_addc_u32 s7, s36, 0
	s_add_u32 s6, s6, s34
	s_addc_u32 s7, s7, 0
	s_add_u32 s86, s6, s35
	s_addc_u32 s87, s7, 0
	s_and_b64 s[6:7], s[20:21], s[48:49]
	v_cndmask_b32_e64 v6, 0, 1, s[6:7]
	s_and_b64 s[6:7], s[18:19], s[50:51]
	v_cndmask_b32_e64 v7, 0, 1, s[6:7]
	s_and_b64 s[6:7], s[16:17], s[52:53]
	v_cndmask_b32_e64 v8, 0, 1, s[6:7]
	s_and_b64 s[6:7], s[14:15], s[54:55]
	;; [unrolled: 24-line block ×3, first 2 shown]
	v_cndmask_b32_e64 v37, 0, 1, s[6:7]
	v_cmp_ne_u32_e64 s[6:7], 0, v8
	v_cmp_ne_u32_e64 s[14:15], 0, v9
	;; [unrolled: 1-line block ×4, first 2 shown]
	s_bcnt1_i32_b64 s6, s[6:7]
	s_bcnt1_i32_b64 s7, s[14:15]
	;; [unrolled: 1-line block ×4, first 2 shown]
	s_add_u32 s6, s6, s72
	s_addc_u32 s16, 0, s73
	s_add_u32 s6, s6, s7
	s_addc_u32 s7, s16, 0
	;; [unrolled: 2-line block ×3, first 2 shown]
	v_cmp_le_u64_e32 vcc, s[4:5], v[21:22]
	s_add_u32 s72, s6, s15
	v_mov_b32_e32 v2, s88
	v_mov_b32_e32 v4, s86
	;; [unrolled: 1-line block ×3, first 2 shown]
	s_addc_u32 s73, s7, 0
	v_mov_b32_e32 v8, s72
	v_add_u32_e32 v17, s9, v17
	v_mov_b32_e32 v3, s89
	v_mov_b32_e32 v5, s87
	;; [unrolled: 1-line block ×3, first 2 shown]
	s_or_b64 s[12:13], vcc, s[12:13]
	v_mov_b32_e32 v9, s73
	s_andn2_b64 exec, exec, s[12:13]
	s_cbranch_execnz .LBB147_65
; %bb.66:                               ;   in Loop: Header=BB147_12 Depth=1
	s_or_b64 exec, exec, s[12:13]
	v_readlane_b32 s90, v48, 46
	v_readlane_b32 s72, v48, 48
	s_mov_b64 s[88:89], s[56:57]
	v_readlane_b32 s91, v48, 47
	s_mov_b32 s57, s93
	v_readlane_b32 s73, v48, 49
.LBB147_67:                             ;   in Loop: Header=BB147_12 Depth=1
	s_or_b64 exec, exec, s[10:11]
	v_mov_b32_e32 v17, s5
	v_add_co_u32_e32 v21, vcc, s4, v0
	s_and_b32 s84, s30, 0x7fffffff
	v_addc_co_u32_e32 v22, vcc, 0, v17, vcc
	v_cmp_gt_u64_e32 vcc, s[84:85], v[21:22]
	s_and_saveexec_b64 s[4:5], vcc
	s_cbranch_execz .LBB147_71
; %bb.68:                               ;   in Loop: Header=BB147_12 Depth=1
	v_lshl_add_u32 v17, s8, 4, v14
	s_mov_b64 s[8:9], 0
.LBB147_69:                             ;   Parent Loop BB147_12 Depth=1
                                        ; =>  This Inner Loop Header: Depth=2
	ds_read_b32 v36, v17
	v_add_co_u32_sdwa v21, vcc, v21, v12 dst_sel:DWORD dst_unused:UNUSED_PAD src0_sel:DWORD src1_sel:WORD_0
	v_addc_co_u32_e32 v22, vcc, 0, v22, vcc
	s_waitcnt lgkmcnt(0)
	v_xor_b32_e32 v36, 0x80000000, v36
	v_and_b32_e32 v37, v36, v35
	v_bfe_u32 v36, v36, s92, 2
	v_cmp_eq_u32_e64 s[6:7], v37, v30
	v_cmp_eq_u32_e64 s[14:15], 0, v36
	v_cmp_eq_u32_e64 s[16:17], 1, v36
	s_and_b64 s[10:11], s[6:7], s[14:15]
	v_cmp_eq_u32_e64 s[18:19], 2, v36
	v_cmp_eq_u32_e64 s[20:21], 3, v36
	v_cndmask_b32_e64 v36, 0, 1, s[10:11]
	s_and_b64 s[10:11], s[6:7], s[16:17]
	v_cndmask_b32_e64 v37, 0, 1, s[10:11]
	s_and_b64 s[10:11], s[6:7], s[18:19]
	s_and_b64 s[6:7], s[6:7], s[20:21]
	v_cndmask_b32_e64 v38, 0, 1, s[10:11]
	v_cndmask_b32_e64 v39, 0, 1, s[6:7]
	v_cmp_le_u64_e32 vcc, s[84:85], v[21:22]
	v_cmp_ne_u32_e64 s[6:7], 0, v36
	v_cmp_ne_u32_e64 s[14:15], 0, v37
	;; [unrolled: 1-line block ×4, first 2 shown]
	s_bcnt1_i32_b64 s6, s[6:7]
	s_bcnt1_i32_b64 s7, s[14:15]
	;; [unrolled: 1-line block ×4, first 2 shown]
	s_or_b64 s[8:9], vcc, s[8:9]
	v_add_co_u32_e32 v2, vcc, s6, v2
	v_addc_co_u32_e32 v3, vcc, 0, v3, vcc
	v_add_co_u32_e32 v4, vcc, s7, v4
	v_addc_co_u32_e32 v5, vcc, 0, v5, vcc
	;; [unrolled: 2-line block ×3, first 2 shown]
	v_add_co_u32_e32 v8, vcc, s11, v8
	v_add_u32_e32 v17, s31, v17
	v_addc_co_u32_e32 v9, vcc, 0, v9, vcc
	s_andn2_b64 exec, exec, s[8:9]
	s_cbranch_execnz .LBB147_69
; %bb.70:                               ;   in Loop: Header=BB147_12 Depth=1
	s_or_b64 exec, exec, s[8:9]
.LBB147_71:                             ;   in Loop: Header=BB147_12 Depth=1
	s_or_b64 exec, exec, s[4:5]
	v_lshlrev_b32_e32 v12, 6, v34
	s_and_saveexec_b64 s[4:5], s[88:89]
	s_cbranch_execnz .LBB147_42
	s_branch .LBB147_43
.LBB147_72:                             ;   in Loop: Header=BB147_12 Depth=1
                                        ; implicit-def: $sgpr4_sgpr5
	s_branch .LBB147_51
.LBB147_73:                             ;   in Loop: Header=BB147_12 Depth=1
	v_mov_b32_e32 v2, 0
	v_mov_b32_e32 v3, 0
	s_mov_b32 s6, 0
.LBB147_74:                             ;   in Loop: Header=BB147_12 Depth=1
	v_readlane_b32 s8, v48, 44
	v_readlane_b32 s9, v48, 45
	s_andn2_b64 vcc, exec, s[8:9]
	s_cbranch_vccnz .LBB147_77
; %bb.75:                               ;   in Loop: Header=BB147_12 Depth=1
	v_lshlrev_b32_e32 v4, 9, v34
	s_lshl_b32 s6, s6, 5
	v_add_u32_e32 v4, s6, v4
	v_add_u32_e32 v4, v32, v4
	v_readlane_b32 s6, v48, 43
.LBB147_76:                             ;   Parent Loop BB147_12 Depth=1
                                        ; =>  This Inner Loop Header: Depth=2
	ds_read_b64 v[5:6], v4
	s_add_i32 s6, s6, -1
	v_add_u32_e32 v4, 32, v4
	s_cmp_lg_u32 s6, 0
	s_waitcnt lgkmcnt(0)
	v_add_co_u32_e32 v2, vcc, v5, v2
	v_addc_co_u32_e32 v3, vcc, v6, v3, vcc
	s_cbranch_scc1 .LBB147_76
.LBB147_77:                             ;   in Loop: Header=BB147_12 Depth=1
	v_add_lshl_u32 v4, v12, v26, 3
	ds_write_b64 v4, v[2:3] offset:3072
.LBB147_78:                             ;   in Loop: Header=BB147_12 Depth=1
	s_or_b64 exec, exec, s[4:5]
	v_lshlrev_b32_e32 v6, 3, v12
	s_waitcnt lgkmcnt(0)
	s_barrier
	ds_read_b128 v[2:5], v6 offset:3072
	ds_read_b128 v[6:9], v6 offset:3088
	s_lshl_b32 s93, 3, s92
	v_cmp_eq_u64_e64 s[14:15], 1, v[19:20]
	s_not_b32 s84, s93
	s_waitcnt lgkmcnt(1)
	v_readfirstlane_b32 s17, v3
	v_readfirstlane_b32 s16, v2
	;; [unrolled: 1-line block ×4, first 2 shown]
	s_waitcnt lgkmcnt(0)
	v_readfirstlane_b32 s23, v7
	v_readfirstlane_b32 s22, v6
	;; [unrolled: 1-line block ×4, first 2 shown]
	s_mov_b64 s[38:39], -1
	s_mov_b64 s[18:19], 0
	s_andn2_b64 vcc, exec, s[90:91]
	s_mov_b64 s[28:29], 0
	s_mov_b64 s[26:27], 0
                                        ; implicit-def: $sgpr34_sgpr35
                                        ; implicit-def: $sgpr36_sgpr37
                                        ; implicit-def: $vgpr2_vgpr3
                                        ; implicit-def: $vgpr8
                                        ; implicit-def: $vgpr12
                                        ; implicit-def: $vgpr9
                                        ; implicit-def: $vgpr5
	s_cbranch_vccnz .LBB147_273
; %bb.79:                               ;   in Loop: Header=BB147_12 Depth=1
	s_cmp_eq_u64 s[16:17], 1
	s_cselect_b64 s[4:5], -1, 0
	s_and_b64 s[6:7], s[4:5], s[14:15]
	s_mov_b64 s[4:5], -1
	v_mov_b32_e32 v12, v30
	v_mov_b32_e32 v9, v35
	;; [unrolled: 1-line block ×3, first 2 shown]
                                        ; implicit-def: $sgpr36_sgpr37
                                        ; implicit-def: $sgpr34_sgpr35
	s_and_saveexec_b64 s[26:27], s[6:7]
	s_cbranch_execz .LBB147_114
; %bb.80:                               ;   in Loop: Header=BB147_12 Depth=1
	ds_read_b64 v[2:3], v13 offset:5120
	s_waitcnt lgkmcnt(0)
	s_barrier
	v_readfirstlane_b32 s8, v2
	v_readfirstlane_b32 s9, v3
	s_mov_b64 s[4:5], exec
	v_readlane_b32 s10, v48, 34
	v_readlane_b32 s11, v48, 35
	s_and_b64 s[10:11], s[4:5], s[10:11]
	s_mov_b64 exec, s[10:11]
; %bb.81:                               ;   in Loop: Header=BB147_12 Depth=1
	ds_write_b32 v28, v13
; %bb.82:                               ;   in Loop: Header=BB147_12 Depth=1
	s_or_b64 exec, exec, s[4:5]
	v_and_b32_e32 v12, s84, v30
	v_or_b32_e32 v9, s93, v35
	s_mov_b64 s[34:35], -1
	s_mov_b64 s[36:37], 0
	s_cmp_eq_u64 s[8:9], 0
	s_mov_b64 s[4:5], 0
	s_mov_b64 s[10:11], -1
	s_waitcnt lgkmcnt(0)
	s_barrier
                                        ; implicit-def: $vgpr5
	s_cbranch_scc1 .LBB147_99
; %bb.83:                               ;   in Loop: Header=BB147_12 Depth=1
	v_readlane_b32 s4, v48, 38
	s_add_u32 s28, s8, s4
	v_readlane_b32 s4, v48, 40
	s_addc_u32 s5, s9, s4
	s_mov_b32 s4, s85
	s_cmp_lg_u64 s[4:5], 0
	s_cbranch_scc0 .LBB147_140
; %bb.84:                               ;   in Loop: Header=BB147_12 Depth=1
	v_cvt_f32_u32_e32 v2, s95
	s_sub_u32 s4, 0, s95
	s_subb_u32 s12, 0, 0
	v_mac_f32_e32 v2, 0, v33
	v_rcp_f32_e32 v2, v2
	v_mul_f32_e32 v2, 0x5f7ffffc, v2
	v_mul_f32_e32 v3, 0x2f800000, v2
	v_trunc_f32_e32 v3, v3
	v_mac_f32_e32 v2, 0xcf800000, v3
	v_cvt_u32_f32_e32 v3, v3
	v_cvt_u32_f32_e32 v2, v2
	v_readfirstlane_b32 s13, v3
	v_readfirstlane_b32 s10, v2
	s_mul_i32 s11, s4, s13
	s_mul_hi_u32 s30, s4, s10
	s_mul_i32 s29, s12, s10
	s_add_i32 s11, s30, s11
	s_mul_i32 s31, s4, s10
	s_add_i32 s11, s11, s29
	s_mul_hi_u32 s30, s10, s31
	s_mul_i32 s38, s10, s11
	s_mul_hi_u32 s29, s10, s11
	s_add_u32 s30, s30, s38
	s_addc_u32 s29, 0, s29
	s_mul_hi_u32 s39, s13, s31
	s_mul_i32 s31, s13, s31
	s_add_u32 s30, s30, s31
	s_mul_hi_u32 s38, s13, s11
	s_addc_u32 s29, s29, s39
	s_addc_u32 s30, s38, 0
	s_mul_i32 s11, s13, s11
	s_add_u32 s11, s29, s11
	s_addc_u32 s29, 0, s30
	s_add_u32 s30, s10, s11
	s_cselect_b64 s[10:11], -1, 0
	s_cmp_lg_u64 s[10:11], 0
	s_addc_u32 s13, s13, s29
	s_mul_i32 s10, s4, s13
	s_mul_hi_u32 s11, s4, s30
	s_add_i32 s10, s11, s10
	s_mul_i32 s12, s12, s30
	s_add_i32 s10, s10, s12
	s_mul_i32 s4, s4, s30
	s_mul_hi_u32 s12, s13, s4
	s_mul_i32 s29, s13, s4
	s_mul_i32 s38, s30, s10
	s_mul_hi_u32 s4, s30, s4
	s_mul_hi_u32 s31, s30, s10
	s_add_u32 s4, s4, s38
	s_addc_u32 s31, 0, s31
	s_add_u32 s4, s4, s29
	s_mul_hi_u32 s11, s13, s10
	s_addc_u32 s4, s31, s12
	s_addc_u32 s11, s11, 0
	s_mul_i32 s10, s13, s10
	s_add_u32 s4, s4, s10
	s_addc_u32 s12, 0, s11
	s_add_u32 s4, s30, s4
	s_cselect_b64 s[10:11], -1, 0
	s_cmp_lg_u64 s[10:11], 0
	s_addc_u32 s10, s13, s12
	s_mul_i32 s12, s28, s10
	s_mul_hi_u32 s13, s28, s4
	s_mul_hi_u32 s11, s28, s10
	s_add_u32 s12, s13, s12
	s_addc_u32 s11, 0, s11
	s_mul_hi_u32 s29, s5, s4
	s_mul_i32 s4, s5, s4
	s_add_u32 s4, s12, s4
	s_mul_hi_u32 s13, s5, s10
	s_addc_u32 s4, s11, s29
	s_addc_u32 s11, s13, 0
	s_mul_i32 s10, s5, s10
	s_add_u32 s4, s4, s10
	s_addc_u32 s10, 0, s11
	s_mul_i32 s10, s95, s10
	s_mul_hi_u32 s11, s95, s4
	s_add_i32 s12, s11, s10
	s_mul_i32 s4, s95, s4
	s_sub_u32 s4, s28, s4
	s_cselect_b64 s[10:11], -1, 0
	s_cmp_lg_u64 s[10:11], 0
	s_subb_u32 s12, s5, s12
	s_sub_u32 s13, s4, s95
	s_cselect_b64 s[10:11], -1, 0
	s_cmp_lg_u64 s[10:11], 0
	s_subb_u32 s29, s12, 0
	;; [unrolled: 4-line block ×3, first 2 shown]
	s_cmp_ge_u32 s13, s95
	s_cselect_b32 s11, -1, 0
	s_cmp_eq_u32 s29, 0
	s_cselect_b32 s11, s11, -1
	s_cmp_lg_u32 s11, 0
	s_cselect_b32 s10, s10, s29
	s_cselect_b32 s13, s30, s13
	s_cmp_ge_u32 s4, s95
	s_cselect_b32 s11, -1, 0
	s_cmp_eq_u32 s12, 0
	s_cselect_b32 s11, s11, -1
	s_cmp_lg_u32 s11, 0
	s_cselect_b32 s11, s10, s12
	s_cselect_b32 s10, s13, s4
	s_cbranch_execnz .LBB147_86
.LBB147_85:                             ;   in Loop: Header=BB147_12 Depth=1
	v_cvt_f32_u32_e32 v2, s95
	s_sub_i32 s4, 0, s95
	s_mov_b32 s12, s84
	v_rcp_iflag_f32_e32 v2, v2
	v_mul_f32_e32 v2, 0x4f7ffffe, v2
	v_cvt_u32_f32_e32 v2, v2
	v_readfirstlane_b32 s10, v2
	s_mul_i32 s4, s4, s10
	s_mul_hi_u32 s4, s10, s4
	s_add_i32 s10, s10, s4
	s_mul_hi_u32 s4, s28, s10
	s_mul_i32 s4, s4, s95
	s_sub_i32 s4, s28, s4
	s_sub_i32 s10, s4, s95
	s_cmp_ge_u32 s4, s95
	s_cselect_b32 s4, s10, s4
	s_sub_i32 s10, s4, s95
	s_cmp_ge_u32 s4, s95
	s_cselect_b32 s84, s10, s4
	s_mov_b64 s[10:11], s[84:85]
	s_mov_b32 s84, s12
.LBB147_86:                             ;   in Loop: Header=BB147_12 Depth=1
	s_sub_u32 s28, s28, s10
	s_subb_u32 s29, s5, s11
	v_cmp_gt_u64_e32 vcc, s[28:29], v[0:1]
	s_mov_b64 s[10:11], 0
	s_mov_b64 s[4:5], 0
                                        ; implicit-def: $vgpr5
	s_and_saveexec_b64 s[12:13], vcc
	s_cbranch_execz .LBB147_98
; %bb.87:                               ;   in Loop: Header=BB147_12 Depth=1
	v_mov_b32_e32 v3, v1
	v_mov_b32_e32 v6, v14
	;; [unrolled: 1-line block ×3, first 2 shown]
                                        ; implicit-def: $sgpr30_sgpr31
	s_branch .LBB147_90
.LBB147_88:                             ;   in Loop: Header=BB147_90 Depth=2
	s_or_b64 exec, exec, s[38:39]
	s_waitcnt lgkmcnt(0)
	s_barrier
	ds_read_b64 v[4:5], v13 offset:3072
	s_mov_b64 s[38:39], -1
	s_mov_b64 s[40:41], -1
	s_waitcnt lgkmcnt(0)
	s_barrier
	v_cmp_ne_u32_e32 vcc, 0, v4
	s_cbranch_vccz .LBB147_93
.LBB147_89:                             ;   in Loop: Header=BB147_90 Depth=2
	s_and_b64 s[38:39], exec, s[38:39]
	s_or_b64 s[4:5], s[38:39], s[4:5]
	s_andn2_b64 s[30:31], s[30:31], exec
	s_and_b64 s[38:39], s[40:41], exec
	s_or_b64 s[30:31], s[30:31], s[38:39]
	s_andn2_b64 exec, exec, s[4:5]
	s_cbranch_execz .LBB147_97
.LBB147_90:                             ;   Parent Loop BB147_12 Depth=1
                                        ; =>  This Inner Loop Header: Depth=2
	v_cmp_gt_u64_e32 vcc, s[8:9], v[2:3]
	s_and_saveexec_b64 s[38:39], vcc
	s_cbranch_execz .LBB147_88
; %bb.91:                               ;   in Loop: Header=BB147_90 Depth=2
	ds_read_b32 v17, v6
	s_waitcnt lgkmcnt(0)
	v_xor_b32_e32 v4, 0x80000000, v17
	v_and_b32_e32 v4, v4, v9
	v_cmp_eq_u32_e32 vcc, v4, v12
	s_and_b64 exec, exec, vcc
	s_cbranch_execz .LBB147_88
; %bb.92:                               ;   in Loop: Header=BB147_90 Depth=2
	ds_write_b64 v13, v[16:17] offset:3072
	s_branch .LBB147_88
.LBB147_93:                             ;   in Loop: Header=BB147_90 Depth=2
	v_add_co_u32_e32 v2, vcc, s95, v2
	v_addc_co_u32_e32 v3, vcc, 0, v3, vcc
	v_cmp_le_u64_e32 vcc, s[28:29], v[2:3]
	v_add_u32_e32 v6, s1, v6
	s_mov_b64 s[40:41], 0
	s_orn2_b64 s[38:39], vcc, exec
	s_branch .LBB147_89
.LBB147_94:                             ;   in Loop: Header=BB147_12 Depth=1
	s_or_b64 exec, exec, s[8:9]
	s_waitcnt lgkmcnt(0)
	s_barrier
	s_mov_b64 s[6:7], exec
	v_readlane_b32 s8, v48, 12
	v_readlane_b32 s9, v48, 13
	s_and_b64 s[8:9], s[6:7], s[8:9]
	s_mov_b64 exec, s[8:9]
	s_cbranch_execz .LBB147_96
; %bb.95:                               ;   in Loop: Header=BB147_12 Depth=1
	ds_read_b32 v2, v13 offset:5144
	s_waitcnt lgkmcnt(0)
	v_ashrrev_i32_e32 v3, 31, v2
	ds_write_b64 v13, v[2:3] offset:5120
.LBB147_96:                             ;   in Loop: Header=BB147_12 Depth=1
	s_or_b64 exec, exec, s[6:7]
	s_waitcnt lgkmcnt(0)
	s_barrier
	s_mov_b64 s[6:7], -1
	s_and_b64 vcc, exec, s[4:5]
	s_cbranch_vccnz .LBB147_28
	s_branch .LBB147_37
.LBB147_97:                             ;   in Loop: Header=BB147_12 Depth=1
	s_or_b64 exec, exec, s[4:5]
	s_and_b64 s[4:5], s[30:31], exec
.LBB147_98:                             ;   in Loop: Header=BB147_12 Depth=1
	s_or_b64 exec, exec, s[12:13]
.LBB147_99:                             ;   in Loop: Header=BB147_12 Depth=1
	s_and_b64 vcc, exec, s[10:11]
	s_cbranch_vccz .LBB147_113
; %bb.100:                              ;   in Loop: Header=BB147_12 Depth=1
	s_mov_b32 s56, s85
	s_cmp_lg_u64 s[56:57], 0
	s_cbranch_scc0 .LBB147_141
; %bb.101:                              ;   in Loop: Header=BB147_12 Depth=1
	v_cvt_f32_u32_e32 v2, s95
	s_sub_u32 s10, 0, s95
	s_subb_u32 s11, 0, 0
	v_mac_f32_e32 v2, 0, v33
	v_rcp_f32_e32 v2, v2
	v_mul_f32_e32 v2, 0x5f7ffffc, v2
	v_mul_f32_e32 v3, 0x2f800000, v2
	v_trunc_f32_e32 v3, v3
	v_mac_f32_e32 v2, 0xcf800000, v3
	v_cvt_u32_f32_e32 v3, v3
	v_cvt_u32_f32_e32 v2, v2
	v_readfirstlane_b32 s12, v3
	v_readfirstlane_b32 s8, v2
	s_mul_i32 s9, s10, s12
	s_mul_hi_u32 s28, s10, s8
	s_mul_i32 s13, s11, s8
	s_add_i32 s9, s28, s9
	s_mul_i32 s29, s10, s8
	s_add_i32 s9, s9, s13
	s_mul_hi_u32 s28, s8, s29
	s_mul_i32 s30, s8, s9
	s_mul_hi_u32 s13, s8, s9
	s_add_u32 s28, s28, s30
	s_addc_u32 s13, 0, s13
	s_mul_hi_u32 s31, s12, s29
	s_mul_i32 s29, s12, s29
	s_add_u32 s28, s28, s29
	s_mul_hi_u32 s30, s12, s9
	s_addc_u32 s13, s13, s31
	s_addc_u32 s28, s30, 0
	s_mul_i32 s9, s12, s9
	s_add_u32 s9, s13, s9
	s_addc_u32 s13, 0, s28
	s_add_u32 s28, s8, s9
	s_cselect_b64 s[8:9], -1, 0
	s_cmp_lg_u64 s[8:9], 0
	s_addc_u32 s12, s12, s13
	s_mul_i32 s8, s10, s12
	s_mul_hi_u32 s9, s10, s28
	s_add_i32 s8, s9, s8
	s_mul_i32 s11, s11, s28
	s_add_i32 s8, s8, s11
	s_mul_i32 s10, s10, s28
	s_mul_hi_u32 s11, s12, s10
	s_mul_i32 s13, s12, s10
	s_mul_i32 s30, s28, s8
	s_mul_hi_u32 s10, s28, s10
	s_mul_hi_u32 s29, s28, s8
	s_add_u32 s10, s10, s30
	s_addc_u32 s29, 0, s29
	s_add_u32 s10, s10, s13
	s_mul_hi_u32 s9, s12, s8
	s_addc_u32 s10, s29, s11
	s_addc_u32 s9, s9, 0
	s_mul_i32 s8, s12, s8
	s_add_u32 s8, s10, s8
	s_addc_u32 s10, 0, s9
	s_add_u32 s11, s28, s8
	s_cselect_b64 s[8:9], -1, 0
	s_cmp_lg_u64 s[8:9], 0
	s_addc_u32 s8, s12, s10
	v_readlane_b32 s28, v48, 39
	s_mul_i32 s10, s28, s8
	s_mul_hi_u32 s12, s28, s11
	s_mul_hi_u32 s9, s28, s8
	s_add_u32 s10, s12, s10
	s_addc_u32 s9, 0, s9
	s_mul_hi_u32 s13, s57, s11
	s_mul_i32 s11, s57, s11
	s_add_u32 s10, s10, s11
	s_mul_hi_u32 s12, s57, s8
	s_addc_u32 s9, s9, s13
	s_addc_u32 s10, s12, 0
	s_mul_i32 s8, s57, s8
	s_add_u32 s8, s9, s8
	s_addc_u32 s9, 0, s10
	s_mul_i32 s9, s95, s9
	s_mul_hi_u32 s10, s95, s8
	s_add_i32 s10, s10, s9
	s_mul_i32 s8, s95, s8
	s_sub_u32 s11, s28, s8
	s_cselect_b64 s[8:9], -1, 0
	s_cmp_lg_u64 s[8:9], 0
	s_subb_u32 s10, s57, s10
	s_sub_u32 s12, s11, s95
	s_cselect_b64 s[8:9], -1, 0
	s_cmp_lg_u64 s[8:9], 0
	s_subb_u32 s13, s10, 0
	;; [unrolled: 4-line block ×3, first 2 shown]
	s_cmp_ge_u32 s12, s95
	s_cselect_b32 s9, -1, 0
	s_cmp_eq_u32 s13, 0
	s_cselect_b32 s9, s9, -1
	s_cmp_lg_u32 s9, 0
	s_cselect_b32 s8, s8, s13
	s_cselect_b32 s12, s28, s12
	s_cmp_ge_u32 s11, s95
	s_cselect_b32 s9, -1, 0
	s_cmp_eq_u32 s10, 0
	s_cselect_b32 s9, s9, -1
	s_cmp_lg_u32 s9, 0
	s_cselect_b32 s9, s8, s10
	s_cselect_b32 s8, s12, s11
	s_cbranch_execnz .LBB147_103
.LBB147_102:                            ;   in Loop: Header=BB147_12 Depth=1
	v_cvt_f32_u32_e32 v2, s95
	s_sub_i32 s8, 0, s95
	v_readlane_b32 s10, v48, 39
	v_rcp_iflag_f32_e32 v2, v2
	v_mul_f32_e32 v2, 0x4f7ffffe, v2
	v_cvt_u32_f32_e32 v2, v2
	v_readfirstlane_b32 s9, v2
	s_mul_i32 s8, s8, s9
	s_mul_hi_u32 s8, s9, s8
	s_add_i32 s9, s9, s8
	s_mul_hi_u32 s8, s10, s9
	s_mul_i32 s8, s8, s95
	s_sub_i32 s8, s10, s8
	s_sub_i32 s9, s8, s95
	s_cmp_ge_u32 s8, s95
	s_cselect_b32 s8, s9, s8
	s_sub_i32 s9, s8, s95
	s_cmp_ge_u32 s8, s95
	s_mov_b32 s10, s84
	s_cselect_b32 s84, s9, s8
	s_mov_b64 s[8:9], s[84:85]
	s_mov_b32 s84, s10
.LBB147_103:                            ;   in Loop: Header=BB147_12 Depth=1
	v_readlane_b32 s10, v48, 39
	s_sub_u32 s10, s10, s8
	s_subb_u32 s11, s57, s9
	v_cmp_gt_u64_e32 vcc, s[10:11], v[0:1]
                                        ; implicit-def: $vgpr5
	s_and_saveexec_b64 s[8:9], vcc
	s_cbranch_execz .LBB147_112
; %bb.104:                              ;   in Loop: Header=BB147_12 Depth=1
	v_mov_b32_e32 v3, v1
	s_mov_b64 s[12:13], 0
	v_mov_b32_e32 v2, v0
                                        ; implicit-def: $sgpr28_sgpr29
	s_branch .LBB147_107
.LBB147_105:                            ;   in Loop: Header=BB147_107 Depth=2
	s_or_b64 exec, exec, s[30:31]
	s_waitcnt lgkmcnt(0)
	s_barrier
	ds_read_b64 v[4:5], v13 offset:3072
	s_mov_b64 s[30:31], -1
	s_mov_b64 s[34:35], -1
	s_waitcnt lgkmcnt(0)
	s_barrier
	v_cmp_ne_u32_e32 vcc, 0, v4
	s_cbranch_vccz .LBB147_110
.LBB147_106:                            ;   in Loop: Header=BB147_107 Depth=2
	s_and_b64 s[30:31], exec, s[30:31]
	s_or_b64 s[12:13], s[30:31], s[12:13]
	s_andn2_b64 s[28:29], s[28:29], exec
	s_and_b64 s[30:31], s[34:35], exec
	s_or_b64 s[28:29], s[28:29], s[30:31]
	s_andn2_b64 exec, exec, s[12:13]
	s_cbranch_execz .LBB147_111
.LBB147_107:                            ;   Parent Loop BB147_12 Depth=1
                                        ; =>  This Inner Loop Header: Depth=2
	v_cmp_gt_u64_e32 vcc, s[60:61], v[2:3]
	s_and_saveexec_b64 s[30:31], vcc
	s_cbranch_execz .LBB147_105
; %bb.108:                              ;   in Loop: Header=BB147_107 Depth=2
	v_mul_lo_u32 v6, v3, s58
	v_mul_lo_u32 v7, v2, s59
	v_mad_u64_u32 v[4:5], s[34:35], v2, s58, 0
	v_add3_u32 v5, v5, v7, v6
	v_lshlrev_b64 v[4:5], 2, v[4:5]
	v_mov_b32_e32 v6, s94
	v_add_co_u32_e32 v4, vcc, s33, v4
	v_addc_co_u32_e32 v5, vcc, v6, v5, vcc
	global_load_dword v17, v[4:5], off
	s_waitcnt vmcnt(0)
	v_xor_b32_e32 v4, 0x80000000, v17
	v_and_b32_e32 v4, v4, v9
	v_cmp_eq_u32_e32 vcc, v4, v12
	s_and_b64 exec, exec, vcc
	s_cbranch_execz .LBB147_105
; %bb.109:                              ;   in Loop: Header=BB147_107 Depth=2
	ds_write_b64 v13, v[16:17] offset:3072
	s_branch .LBB147_105
.LBB147_110:                            ;   in Loop: Header=BB147_107 Depth=2
	v_add_co_u32_e32 v2, vcc, s95, v2
	v_addc_co_u32_e32 v3, vcc, 0, v3, vcc
	v_cmp_le_u64_e32 vcc, s[10:11], v[2:3]
	s_mov_b64 s[34:35], 0
	s_orn2_b64 s[30:31], vcc, exec
	s_branch .LBB147_106
.LBB147_111:                            ;   in Loop: Header=BB147_12 Depth=1
	s_or_b64 exec, exec, s[12:13]
	s_andn2_b64 s[4:5], s[4:5], exec
	s_and_b64 s[10:11], s[28:29], exec
	s_or_b64 s[4:5], s[4:5], s[10:11]
.LBB147_112:                            ;   in Loop: Header=BB147_12 Depth=1
	s_or_b64 exec, exec, s[8:9]
	s_mov_b64 s[34:35], 0
	s_mov_b64 s[36:37], -1
.LBB147_113:                            ;   in Loop: Header=BB147_12 Depth=1
	s_orn2_b64 s[4:5], s[4:5], exec
.LBB147_114:                            ;   in Loop: Header=BB147_12 Depth=1
	s_or_b64 exec, exec, s[26:27]
	s_mov_b64 s[38:39], 0
	s_mov_b64 s[28:29], 0
	s_mov_b64 s[26:27], 0
                                        ; implicit-def: $vgpr2_vgpr3
                                        ; implicit-def: $vgpr8
	s_and_saveexec_b64 s[40:41], s[4:5]
	s_cbranch_execz .LBB147_272
; %bb.115:                              ;   in Loop: Header=BB147_12 Depth=1
	v_mov_b32_e32 v2, 1
	s_xor_b64 s[8:9], s[6:7], -1
	v_mov_b32_e32 v8, 1
	v_mov_b32_e32 v3, 0
	s_mov_b64 s[6:7], 0
	s_and_saveexec_b64 s[4:5], s[8:9]
	s_cbranch_execz .LBB147_124
; %bb.116:                              ;   in Loop: Header=BB147_12 Depth=1
	v_cmp_ge_u64_e32 vcc, s[16:17], v[19:20]
	s_and_saveexec_b64 s[6:7], vcc
	s_xor_b64 s[6:7], exec, s[6:7]
	s_cbranch_execz .LBB147_121
; %bb.117:                              ;   in Loop: Header=BB147_12 Depth=1
	ds_read_b64 v[2:3], v13 offset:5120
	v_and_b32_e32 v12, s84, v12
	v_or_b32_e32 v9, s93, v9
	s_waitcnt lgkmcnt(0)
	v_cmp_ne_u64_e32 vcc, 0, v[2:3]
	s_cbranch_vccnz .LBB147_121
; %bb.118:                              ;   in Loop: Header=BB147_12 Depth=1
	s_mov_b64 s[8:9], exec
	v_readlane_b32 s10, v48, 12
	v_readlane_b32 s11, v48, 13
	s_and_b64 s[10:11], s[8:9], s[10:11]
	s_mov_b64 exec, s[10:11]
; %bb.119:                              ;   in Loop: Header=BB147_12 Depth=1
	v_mov_b32_e32 v2, s16
	v_mov_b32_e32 v3, s17
	ds_write_b64 v13, v[2:3] offset:5128
; %bb.120:                              ;   in Loop: Header=BB147_12 Depth=1
	s_or_b64 exec, exec, s[8:9]
	s_waitcnt lgkmcnt(0)
	s_barrier
.LBB147_121:                            ;   in Loop: Header=BB147_12 Depth=1
	s_or_saveexec_b64 s[6:7], s[6:7]
	v_mov_b32_e32 v2, v19
	s_mov_b64 s[8:9], 0
	v_mov_b32_e32 v8, 8
	v_mov_b32_e32 v3, v20
	s_xor_b64 exec, exec, s[6:7]
; %bb.122:                              ;   in Loop: Header=BB147_12 Depth=1
	v_mov_b32_e32 v3, s17
	v_subrev_co_u32_e32 v2, vcc, s16, v19
	s_mov_b64 s[8:9], exec
	v_subb_co_u32_e32 v3, vcc, v20, v3, vcc
	v_mov_b32_e32 v8, 0
; %bb.123:                              ;   in Loop: Header=BB147_12 Depth=1
	s_or_b64 exec, exec, s[6:7]
	s_and_b64 s[6:7], s[8:9], exec
.LBB147_124:                            ;   in Loop: Header=BB147_12 Depth=1
	s_or_b64 exec, exec, s[4:5]
	s_mov_b64 s[4:5], -1
                                        ; implicit-def: $sgpr26_sgpr27
                                        ; implicit-def: $sgpr28_sgpr29
	s_and_saveexec_b64 s[8:9], s[6:7]
	s_xor_b64 s[6:7], exec, s[8:9]
	s_cbranch_execz .LBB147_269
; %bb.125:                              ;   in Loop: Header=BB147_12 Depth=1
	s_cmp_eq_u64 s[20:21], 1
	v_cmp_eq_u64_e32 vcc, 1, v[2:3]
	s_cselect_b64 s[4:5], -1, 0
	s_and_b64 s[30:31], s[4:5], vcc
	s_mov_b64 s[4:5], -1
                                        ; implicit-def: $sgpr28_sgpr29
                                        ; implicit-def: $sgpr26_sgpr27
	s_and_saveexec_b64 s[42:43], s[30:31]
	s_cbranch_execz .LBB147_159
; %bb.126:                              ;   in Loop: Header=BB147_12 Depth=1
	ds_read_b64 v[4:5], v13 offset:5120
	s_waitcnt lgkmcnt(0)
	s_barrier
	v_readfirstlane_b32 s8, v4
	v_readfirstlane_b32 s9, v5
	s_mov_b64 s[4:5], exec
	v_readlane_b32 s10, v48, 34
	v_readlane_b32 s11, v48, 35
	s_and_b64 s[10:11], s[4:5], s[10:11]
	s_mov_b64 exec, s[10:11]
; %bb.127:                              ;   in Loop: Header=BB147_12 Depth=1
	ds_write_b32 v28, v13
; %bb.128:                              ;   in Loop: Header=BB147_12 Depth=1
	s_or_b64 exec, exec, s[4:5]
	v_and_b32_e32 v4, s84, v12
	v_lshl_or_b32 v12, 1, s92, v4
	v_or_b32_e32 v9, s93, v9
	s_mov_b64 s[26:27], -1
	s_mov_b64 s[28:29], 0
	s_cmp_eq_u64 s[8:9], 0
	s_mov_b64 s[4:5], 0
	s_mov_b64 s[10:11], -1
	s_waitcnt lgkmcnt(0)
	s_barrier
                                        ; implicit-def: $vgpr5
	s_cbranch_scc1 .LBB147_144
; %bb.129:                              ;   in Loop: Header=BB147_12 Depth=1
	v_readlane_b32 s4, v48, 38
	s_add_u32 s44, s8, s4
	v_readlane_b32 s4, v48, 40
	s_addc_u32 s5, s9, s4
	s_mov_b32 s4, s85
	s_cmp_lg_u64 s[4:5], 0
	s_cbranch_scc0 .LBB147_185
; %bb.130:                              ;   in Loop: Header=BB147_12 Depth=1
	v_cvt_f32_u32_e32 v4, s95
	s_sub_u32 s4, 0, s95
	s_subb_u32 s12, 0, 0
	v_mac_f32_e32 v4, 0, v33
	v_rcp_f32_e32 v4, v4
	v_mul_f32_e32 v4, 0x5f7ffffc, v4
	v_mul_f32_e32 v5, 0x2f800000, v4
	v_trunc_f32_e32 v5, v5
	v_mac_f32_e32 v4, 0xcf800000, v5
	v_cvt_u32_f32_e32 v5, v5
	v_cvt_u32_f32_e32 v4, v4
	v_readfirstlane_b32 s13, v5
	v_readfirstlane_b32 s10, v4
	s_mul_i32 s11, s4, s13
	s_mul_hi_u32 s46, s4, s10
	s_mul_i32 s45, s12, s10
	s_add_i32 s11, s46, s11
	s_mul_i32 s47, s4, s10
	s_add_i32 s11, s11, s45
	s_mul_hi_u32 s46, s10, s47
	s_mul_i32 s48, s10, s11
	s_mul_hi_u32 s45, s10, s11
	s_add_u32 s46, s46, s48
	s_addc_u32 s45, 0, s45
	s_mul_hi_u32 s49, s13, s47
	s_mul_i32 s47, s13, s47
	s_add_u32 s46, s46, s47
	s_mul_hi_u32 s48, s13, s11
	s_addc_u32 s45, s45, s49
	s_addc_u32 s46, s48, 0
	s_mul_i32 s11, s13, s11
	s_add_u32 s11, s45, s11
	s_addc_u32 s45, 0, s46
	s_add_u32 s46, s10, s11
	s_cselect_b64 s[10:11], -1, 0
	s_cmp_lg_u64 s[10:11], 0
	s_addc_u32 s13, s13, s45
	s_mul_i32 s10, s4, s13
	s_mul_hi_u32 s11, s4, s46
	s_add_i32 s10, s11, s10
	s_mul_i32 s12, s12, s46
	s_add_i32 s10, s10, s12
	s_mul_i32 s4, s4, s46
	s_mul_hi_u32 s12, s13, s4
	s_mul_i32 s45, s13, s4
	s_mul_i32 s48, s46, s10
	s_mul_hi_u32 s4, s46, s4
	s_mul_hi_u32 s47, s46, s10
	s_add_u32 s4, s4, s48
	s_addc_u32 s47, 0, s47
	s_add_u32 s4, s4, s45
	s_mul_hi_u32 s11, s13, s10
	s_addc_u32 s4, s47, s12
	s_addc_u32 s11, s11, 0
	s_mul_i32 s10, s13, s10
	s_add_u32 s4, s4, s10
	s_addc_u32 s12, 0, s11
	s_add_u32 s4, s46, s4
	s_cselect_b64 s[10:11], -1, 0
	s_cmp_lg_u64 s[10:11], 0
	s_addc_u32 s10, s13, s12
	s_mul_i32 s12, s44, s10
	s_mul_hi_u32 s13, s44, s4
	s_mul_hi_u32 s11, s44, s10
	s_add_u32 s12, s13, s12
	s_addc_u32 s11, 0, s11
	s_mul_hi_u32 s45, s5, s4
	s_mul_i32 s4, s5, s4
	s_add_u32 s4, s12, s4
	s_mul_hi_u32 s13, s5, s10
	s_addc_u32 s4, s11, s45
	s_addc_u32 s11, s13, 0
	s_mul_i32 s10, s5, s10
	s_add_u32 s4, s4, s10
	s_addc_u32 s10, 0, s11
	s_mul_i32 s10, s95, s10
	s_mul_hi_u32 s11, s95, s4
	s_add_i32 s12, s11, s10
	s_mul_i32 s4, s95, s4
	s_sub_u32 s4, s44, s4
	s_cselect_b64 s[10:11], -1, 0
	s_cmp_lg_u64 s[10:11], 0
	s_subb_u32 s12, s5, s12
	s_sub_u32 s13, s4, s95
	s_cselect_b64 s[10:11], -1, 0
	s_cmp_lg_u64 s[10:11], 0
	s_subb_u32 s45, s12, 0
	;; [unrolled: 4-line block ×3, first 2 shown]
	s_cmp_ge_u32 s13, s95
	s_cselect_b32 s11, -1, 0
	s_cmp_eq_u32 s45, 0
	s_cselect_b32 s11, s11, -1
	s_cmp_lg_u32 s11, 0
	s_cselect_b32 s10, s10, s45
	s_cselect_b32 s13, s46, s13
	s_cmp_ge_u32 s4, s95
	s_cselect_b32 s11, -1, 0
	s_cmp_eq_u32 s12, 0
	s_cselect_b32 s11, s11, -1
	s_cmp_lg_u32 s11, 0
	s_cselect_b32 s11, s10, s12
	s_cselect_b32 s10, s13, s4
	s_cbranch_execnz .LBB147_132
.LBB147_131:                            ;   in Loop: Header=BB147_12 Depth=1
	v_cvt_f32_u32_e32 v4, s95
	s_sub_i32 s4, 0, s95
	s_mov_b32 s12, s84
	v_rcp_iflag_f32_e32 v4, v4
	v_mul_f32_e32 v4, 0x4f7ffffe, v4
	v_cvt_u32_f32_e32 v4, v4
	v_readfirstlane_b32 s10, v4
	s_mul_i32 s4, s4, s10
	s_mul_hi_u32 s4, s10, s4
	s_add_i32 s10, s10, s4
	s_mul_hi_u32 s4, s44, s10
	s_mul_i32 s4, s4, s95
	s_sub_i32 s4, s44, s4
	s_sub_i32 s10, s4, s95
	s_cmp_ge_u32 s4, s95
	s_cselect_b32 s4, s10, s4
	s_sub_i32 s10, s4, s95
	s_cmp_ge_u32 s4, s95
	s_cselect_b32 s84, s10, s4
	s_mov_b64 s[10:11], s[84:85]
	s_mov_b32 s84, s12
.LBB147_132:                            ;   in Loop: Header=BB147_12 Depth=1
	s_sub_u32 s44, s44, s10
	s_subb_u32 s45, s5, s11
	v_cmp_gt_u64_e32 vcc, s[44:45], v[0:1]
	s_mov_b64 s[10:11], 0
	s_mov_b64 s[4:5], 0
                                        ; implicit-def: $vgpr5
	s_and_saveexec_b64 s[12:13], vcc
	s_cbranch_execz .LBB147_143
; %bb.133:                              ;   in Loop: Header=BB147_12 Depth=1
	v_mov_b32_e32 v7, v1
	v_mov_b32_e32 v21, v14
	;; [unrolled: 1-line block ×3, first 2 shown]
                                        ; implicit-def: $sgpr46_sgpr47
	s_branch .LBB147_136
.LBB147_134:                            ;   in Loop: Header=BB147_136 Depth=2
	s_or_b64 exec, exec, s[48:49]
	s_waitcnt lgkmcnt(0)
	s_barrier
	ds_read_b64 v[4:5], v13 offset:3072
	s_mov_b64 s[48:49], -1
	s_mov_b64 s[50:51], -1
	s_waitcnt lgkmcnt(0)
	s_barrier
	v_cmp_ne_u32_e32 vcc, 0, v4
	s_cbranch_vccz .LBB147_139
.LBB147_135:                            ;   in Loop: Header=BB147_136 Depth=2
	s_and_b64 s[48:49], exec, s[48:49]
	s_or_b64 s[4:5], s[48:49], s[4:5]
	s_andn2_b64 s[46:47], s[46:47], exec
	s_and_b64 s[48:49], s[50:51], exec
	s_or_b64 s[46:47], s[46:47], s[48:49]
	s_andn2_b64 exec, exec, s[4:5]
	s_cbranch_execz .LBB147_142
.LBB147_136:                            ;   Parent Loop BB147_12 Depth=1
                                        ; =>  This Inner Loop Header: Depth=2
	v_cmp_gt_u64_e32 vcc, s[8:9], v[6:7]
	s_and_saveexec_b64 s[48:49], vcc
	s_cbranch_execz .LBB147_134
; %bb.137:                              ;   in Loop: Header=BB147_136 Depth=2
	ds_read_b32 v17, v21
	s_waitcnt lgkmcnt(0)
	v_xor_b32_e32 v4, 0x80000000, v17
	v_and_b32_e32 v4, v4, v9
	v_cmp_eq_u32_e32 vcc, v4, v12
	s_and_b64 exec, exec, vcc
	s_cbranch_execz .LBB147_134
; %bb.138:                              ;   in Loop: Header=BB147_136 Depth=2
	ds_write_b64 v13, v[16:17] offset:3072
	s_branch .LBB147_134
.LBB147_139:                            ;   in Loop: Header=BB147_136 Depth=2
	v_add_co_u32_e32 v6, vcc, s95, v6
	v_addc_co_u32_e32 v7, vcc, 0, v7, vcc
	v_cmp_le_u64_e32 vcc, s[44:45], v[6:7]
	v_add_u32_e32 v21, s1, v21
	s_mov_b64 s[50:51], 0
	s_orn2_b64 s[48:49], vcc, exec
	s_branch .LBB147_135
.LBB147_140:                            ;   in Loop: Header=BB147_12 Depth=1
                                        ; implicit-def: $sgpr10_sgpr11
	s_branch .LBB147_85
.LBB147_141:                            ;   in Loop: Header=BB147_12 Depth=1
                                        ; implicit-def: $sgpr8_sgpr9
	s_branch .LBB147_102
.LBB147_142:                            ;   in Loop: Header=BB147_12 Depth=1
	s_or_b64 exec, exec, s[4:5]
	s_and_b64 s[4:5], s[46:47], exec
.LBB147_143:                            ;   in Loop: Header=BB147_12 Depth=1
	s_or_b64 exec, exec, s[12:13]
.LBB147_144:                            ;   in Loop: Header=BB147_12 Depth=1
	s_and_b64 vcc, exec, s[10:11]
	s_cbranch_vccz .LBB147_158
; %bb.145:                              ;   in Loop: Header=BB147_12 Depth=1
	s_mov_b32 s56, s85
	s_cmp_lg_u64 s[56:57], 0
	s_cbranch_scc0 .LBB147_186
; %bb.146:                              ;   in Loop: Header=BB147_12 Depth=1
	v_cvt_f32_u32_e32 v4, s95
	s_sub_u32 s10, 0, s95
	s_subb_u32 s11, 0, 0
	v_mac_f32_e32 v4, 0, v33
	v_rcp_f32_e32 v4, v4
	v_mul_f32_e32 v4, 0x5f7ffffc, v4
	v_mul_f32_e32 v5, 0x2f800000, v4
	v_trunc_f32_e32 v5, v5
	v_mac_f32_e32 v4, 0xcf800000, v5
	v_cvt_u32_f32_e32 v5, v5
	v_cvt_u32_f32_e32 v4, v4
	v_readfirstlane_b32 s12, v5
	v_readfirstlane_b32 s8, v4
	s_mul_i32 s9, s10, s12
	s_mul_hi_u32 s26, s10, s8
	s_mul_i32 s13, s11, s8
	s_add_i32 s9, s26, s9
	s_mul_i32 s27, s10, s8
	s_add_i32 s9, s9, s13
	s_mul_hi_u32 s26, s8, s27
	s_mul_i32 s28, s8, s9
	s_mul_hi_u32 s13, s8, s9
	s_add_u32 s26, s26, s28
	s_addc_u32 s13, 0, s13
	s_mul_hi_u32 s29, s12, s27
	s_mul_i32 s27, s12, s27
	s_add_u32 s26, s26, s27
	s_mul_hi_u32 s28, s12, s9
	s_addc_u32 s13, s13, s29
	s_addc_u32 s26, s28, 0
	s_mul_i32 s9, s12, s9
	s_add_u32 s9, s13, s9
	s_addc_u32 s13, 0, s26
	s_add_u32 s26, s8, s9
	s_cselect_b64 s[8:9], -1, 0
	s_cmp_lg_u64 s[8:9], 0
	s_addc_u32 s12, s12, s13
	s_mul_i32 s8, s10, s12
	s_mul_hi_u32 s9, s10, s26
	s_add_i32 s8, s9, s8
	s_mul_i32 s11, s11, s26
	s_add_i32 s8, s8, s11
	s_mul_i32 s10, s10, s26
	s_mul_hi_u32 s11, s12, s10
	s_mul_i32 s13, s12, s10
	s_mul_i32 s28, s26, s8
	s_mul_hi_u32 s10, s26, s10
	s_mul_hi_u32 s27, s26, s8
	s_add_u32 s10, s10, s28
	s_addc_u32 s27, 0, s27
	s_add_u32 s10, s10, s13
	s_mul_hi_u32 s9, s12, s8
	s_addc_u32 s10, s27, s11
	s_addc_u32 s9, s9, 0
	s_mul_i32 s8, s12, s8
	s_add_u32 s8, s10, s8
	s_addc_u32 s10, 0, s9
	s_add_u32 s11, s26, s8
	s_cselect_b64 s[8:9], -1, 0
	s_cmp_lg_u64 s[8:9], 0
	s_addc_u32 s8, s12, s10
	v_readlane_b32 s26, v48, 39
	s_mul_i32 s10, s26, s8
	s_mul_hi_u32 s12, s26, s11
	s_mul_hi_u32 s9, s26, s8
	s_add_u32 s10, s12, s10
	s_addc_u32 s9, 0, s9
	s_mul_hi_u32 s13, s57, s11
	s_mul_i32 s11, s57, s11
	s_add_u32 s10, s10, s11
	s_mul_hi_u32 s12, s57, s8
	s_addc_u32 s9, s9, s13
	s_addc_u32 s10, s12, 0
	s_mul_i32 s8, s57, s8
	s_add_u32 s8, s9, s8
	s_addc_u32 s9, 0, s10
	s_mul_i32 s9, s95, s9
	s_mul_hi_u32 s10, s95, s8
	s_add_i32 s10, s10, s9
	s_mul_i32 s8, s95, s8
	s_sub_u32 s11, s26, s8
	s_cselect_b64 s[8:9], -1, 0
	s_cmp_lg_u64 s[8:9], 0
	s_subb_u32 s10, s57, s10
	s_sub_u32 s12, s11, s95
	s_cselect_b64 s[8:9], -1, 0
	s_cmp_lg_u64 s[8:9], 0
	s_subb_u32 s13, s10, 0
	;; [unrolled: 4-line block ×3, first 2 shown]
	s_cmp_ge_u32 s12, s95
	s_cselect_b32 s9, -1, 0
	s_cmp_eq_u32 s13, 0
	s_cselect_b32 s9, s9, -1
	s_cmp_lg_u32 s9, 0
	s_cselect_b32 s8, s8, s13
	s_cselect_b32 s12, s26, s12
	s_cmp_ge_u32 s11, s95
	s_cselect_b32 s9, -1, 0
	s_cmp_eq_u32 s10, 0
	s_cselect_b32 s9, s9, -1
	s_cmp_lg_u32 s9, 0
	s_cselect_b32 s9, s8, s10
	s_cselect_b32 s8, s12, s11
	s_cbranch_execnz .LBB147_148
.LBB147_147:                            ;   in Loop: Header=BB147_12 Depth=1
	v_cvt_f32_u32_e32 v4, s95
	s_sub_i32 s8, 0, s95
	v_readlane_b32 s10, v48, 39
	v_rcp_iflag_f32_e32 v4, v4
	v_mul_f32_e32 v4, 0x4f7ffffe, v4
	v_cvt_u32_f32_e32 v4, v4
	v_readfirstlane_b32 s9, v4
	s_mul_i32 s8, s8, s9
	s_mul_hi_u32 s8, s9, s8
	s_add_i32 s9, s9, s8
	s_mul_hi_u32 s8, s10, s9
	s_mul_i32 s8, s8, s95
	s_sub_i32 s8, s10, s8
	s_sub_i32 s9, s8, s95
	s_cmp_ge_u32 s8, s95
	s_cselect_b32 s8, s9, s8
	s_sub_i32 s9, s8, s95
	s_cmp_ge_u32 s8, s95
	s_mov_b32 s10, s84
	s_cselect_b32 s84, s9, s8
	s_mov_b64 s[8:9], s[84:85]
	s_mov_b32 s84, s10
.LBB147_148:                            ;   in Loop: Header=BB147_12 Depth=1
	v_readlane_b32 s10, v48, 39
	s_sub_u32 s10, s10, s8
	s_subb_u32 s11, s57, s9
	v_cmp_gt_u64_e32 vcc, s[10:11], v[0:1]
                                        ; implicit-def: $vgpr5
	s_and_saveexec_b64 s[8:9], vcc
	s_cbranch_execz .LBB147_157
; %bb.149:                              ;   in Loop: Header=BB147_12 Depth=1
	v_mov_b32_e32 v7, v1
	s_mov_b64 s[12:13], 0
	v_mov_b32_e32 v6, v0
                                        ; implicit-def: $sgpr26_sgpr27
	s_branch .LBB147_152
.LBB147_150:                            ;   in Loop: Header=BB147_152 Depth=2
	s_or_b64 exec, exec, s[28:29]
	s_waitcnt lgkmcnt(0)
	s_barrier
	ds_read_b64 v[4:5], v13 offset:3072
	s_mov_b64 s[28:29], -1
	s_mov_b64 s[44:45], -1
	s_waitcnt lgkmcnt(0)
	s_barrier
	v_cmp_eq_u32_e32 vcc, 0, v4
	s_cbranch_vccnz .LBB147_155
.LBB147_151:                            ;   in Loop: Header=BB147_152 Depth=2
	s_and_b64 s[28:29], exec, s[28:29]
	s_or_b64 s[12:13], s[28:29], s[12:13]
	s_andn2_b64 s[26:27], s[26:27], exec
	s_and_b64 s[28:29], s[44:45], exec
	s_or_b64 s[26:27], s[26:27], s[28:29]
	s_andn2_b64 exec, exec, s[12:13]
	s_cbranch_execz .LBB147_156
.LBB147_152:                            ;   Parent Loop BB147_12 Depth=1
                                        ; =>  This Inner Loop Header: Depth=2
	v_cmp_gt_u64_e32 vcc, s[60:61], v[6:7]
	s_and_saveexec_b64 s[28:29], vcc
	s_cbranch_execz .LBB147_150
; %bb.153:                              ;   in Loop: Header=BB147_152 Depth=2
	v_mul_lo_u32 v17, v7, s58
	v_mul_lo_u32 v21, v6, s59
	v_mad_u64_u32 v[4:5], s[44:45], v6, s58, 0
	v_add3_u32 v5, v5, v21, v17
	v_lshlrev_b64 v[4:5], 2, v[4:5]
	v_mov_b32_e32 v17, s94
	v_add_co_u32_e32 v4, vcc, s33, v4
	v_addc_co_u32_e32 v5, vcc, v17, v5, vcc
	global_load_dword v17, v[4:5], off
	s_waitcnt vmcnt(0)
	v_xor_b32_e32 v4, 0x80000000, v17
	v_and_b32_e32 v4, v4, v9
	v_cmp_eq_u32_e32 vcc, v4, v12
	s_and_b64 exec, exec, vcc
	s_cbranch_execz .LBB147_150
; %bb.154:                              ;   in Loop: Header=BB147_152 Depth=2
	ds_write_b64 v13, v[16:17] offset:3072
	s_branch .LBB147_150
.LBB147_155:                            ;   in Loop: Header=BB147_152 Depth=2
	v_add_co_u32_e32 v6, vcc, s95, v6
	v_addc_co_u32_e32 v7, vcc, 0, v7, vcc
	v_cmp_le_u64_e32 vcc, s[10:11], v[6:7]
	s_mov_b64 s[44:45], 0
	s_orn2_b64 s[28:29], vcc, exec
	s_branch .LBB147_151
.LBB147_156:                            ;   in Loop: Header=BB147_12 Depth=1
	s_or_b64 exec, exec, s[12:13]
	s_andn2_b64 s[4:5], s[4:5], exec
	s_and_b64 s[10:11], s[26:27], exec
	s_or_b64 s[4:5], s[4:5], s[10:11]
.LBB147_157:                            ;   in Loop: Header=BB147_12 Depth=1
	s_or_b64 exec, exec, s[8:9]
	s_mov_b64 s[26:27], 0
	s_mov_b64 s[28:29], -1
.LBB147_158:                            ;   in Loop: Header=BB147_12 Depth=1
	s_orn2_b64 s[4:5], s[4:5], exec
.LBB147_159:                            ;   in Loop: Header=BB147_12 Depth=1
	s_or_b64 exec, exec, s[42:43]
	s_mov_b64 s[8:9], 0
	s_and_saveexec_b64 s[42:43], s[4:5]
	s_cbranch_execz .LBB147_268
; %bb.160:                              ;   in Loop: Header=BB147_12 Depth=1
	v_mov_b32_e32 v6, 1
	s_xor_b64 s[10:11], s[30:31], -1
	v_mov_b32_e32 v8, 1
	v_mov_b32_e32 v7, 0
	s_and_saveexec_b64 s[4:5], s[10:11]
	s_cbranch_execz .LBB147_169
; %bb.161:                              ;   in Loop: Header=BB147_12 Depth=1
	v_cmp_ge_u64_e32 vcc, s[20:21], v[2:3]
	s_and_saveexec_b64 s[8:9], vcc
	s_xor_b64 s[8:9], exec, s[8:9]
	s_cbranch_execz .LBB147_166
; %bb.162:                              ;   in Loop: Header=BB147_12 Depth=1
	ds_read_b64 v[6:7], v13 offset:5120
	v_and_b32_e32 v4, s84, v12
	v_lshl_or_b32 v12, 1, s92, v4
	v_or_b32_e32 v9, s93, v9
	s_waitcnt lgkmcnt(0)
	v_cmp_ne_u64_e32 vcc, 0, v[6:7]
	s_cbranch_vccnz .LBB147_166
; %bb.163:                              ;   in Loop: Header=BB147_12 Depth=1
	s_mov_b64 s[10:11], exec
	v_readlane_b32 s12, v48, 12
	v_readlane_b32 s13, v48, 13
	s_and_b64 s[12:13], s[10:11], s[12:13]
	s_mov_b64 exec, s[12:13]
; %bb.164:                              ;   in Loop: Header=BB147_12 Depth=1
	v_mov_b32_e32 v6, s20
	v_mov_b32_e32 v7, s21
	ds_write_b64 v13, v[6:7] offset:5128
; %bb.165:                              ;   in Loop: Header=BB147_12 Depth=1
	s_or_b64 exec, exec, s[10:11]
	s_waitcnt lgkmcnt(0)
	s_barrier
.LBB147_166:                            ;   in Loop: Header=BB147_12 Depth=1
	s_or_saveexec_b64 s[8:9], s[8:9]
	s_mov_b64 s[10:11], 0
	v_mov_b32_e32 v8, 8
	s_xor_b64 exec, exec, s[8:9]
; %bb.167:                              ;   in Loop: Header=BB147_12 Depth=1
	v_mov_b32_e32 v4, s21
	v_subrev_co_u32_e32 v2, vcc, s20, v2
	s_mov_b64 s[10:11], exec
	v_subb_co_u32_e32 v3, vcc, v3, v4, vcc
	v_mov_b32_e32 v8, 0
; %bb.168:                              ;   in Loop: Header=BB147_12 Depth=1
	s_or_b64 exec, exec, s[8:9]
	v_mov_b32_e32 v7, v3
	s_and_b64 s[8:9], s[10:11], exec
	v_mov_b32_e32 v6, v2
.LBB147_169:                            ;   in Loop: Header=BB147_12 Depth=1
	s_or_b64 exec, exec, s[4:5]
	s_mov_b64 s[4:5], -1
                                        ; implicit-def: $sgpr46_sgpr47
                                        ; implicit-def: $sgpr48_sgpr49
	s_and_saveexec_b64 s[44:45], s[8:9]
	s_cbranch_execz .LBB147_267
; %bb.170:                              ;   in Loop: Header=BB147_12 Depth=1
	s_cmp_eq_u64 s[22:23], 1
	v_cmp_eq_u64_e32 vcc, 1, v[6:7]
	s_cselect_b64 s[4:5], -1, 0
	s_and_b64 s[50:51], s[4:5], vcc
	s_mov_b64 s[4:5], -1
                                        ; implicit-def: $sgpr48_sgpr49
                                        ; implicit-def: $sgpr46_sgpr47
	s_and_saveexec_b64 s[30:31], s[50:51]
	s_cbranch_execz .LBB147_204
; %bb.171:                              ;   in Loop: Header=BB147_12 Depth=1
	ds_read_b64 v[2:3], v13 offset:5120
	s_waitcnt lgkmcnt(0)
	s_barrier
	v_readfirstlane_b32 s8, v2
	v_readfirstlane_b32 s9, v3
	s_mov_b64 s[4:5], exec
	v_readlane_b32 s10, v48, 34
	v_readlane_b32 s11, v48, 35
	s_and_b64 s[10:11], s[4:5], s[10:11]
	s_mov_b64 exec, s[10:11]
; %bb.172:                              ;   in Loop: Header=BB147_12 Depth=1
	ds_write_b32 v28, v13
; %bb.173:                              ;   in Loop: Header=BB147_12 Depth=1
	s_or_b64 exec, exec, s[4:5]
	v_and_b32_e32 v2, s84, v12
	v_lshl_or_b32 v12, 2, s92, v2
	v_or_b32_e32 v9, s93, v9
	s_mov_b64 s[46:47], -1
	s_mov_b64 s[48:49], 0
	s_cmp_eq_u64 s[8:9], 0
	s_mov_b64 s[4:5], 0
	s_mov_b64 s[10:11], -1
	s_waitcnt lgkmcnt(0)
	s_barrier
                                        ; implicit-def: $vgpr5
	s_cbranch_scc1 .LBB147_189
; %bb.174:                              ;   in Loop: Header=BB147_12 Depth=1
	v_readlane_b32 s4, v48, 38
	s_add_u32 s52, s8, s4
	v_readlane_b32 s4, v48, 40
	s_addc_u32 s5, s9, s4
	s_mov_b32 s4, s85
	s_cmp_lg_u64 s[4:5], 0
	s_cbranch_scc0 .LBB147_221
; %bb.175:                              ;   in Loop: Header=BB147_12 Depth=1
	v_cvt_f32_u32_e32 v2, s95
	s_sub_u32 s4, 0, s95
	s_subb_u32 s12, 0, 0
	v_mac_f32_e32 v2, 0, v33
	v_rcp_f32_e32 v2, v2
	v_mul_f32_e32 v2, 0x5f7ffffc, v2
	v_mul_f32_e32 v3, 0x2f800000, v2
	v_trunc_f32_e32 v3, v3
	v_mac_f32_e32 v2, 0xcf800000, v3
	v_cvt_u32_f32_e32 v3, v3
	v_cvt_u32_f32_e32 v2, v2
	v_readfirstlane_b32 s13, v3
	v_readfirstlane_b32 s10, v2
	s_mul_i32 s11, s4, s13
	s_mul_hi_u32 s54, s4, s10
	s_mul_i32 s53, s12, s10
	s_add_i32 s11, s54, s11
	s_mul_i32 s55, s4, s10
	s_add_i32 s11, s11, s53
	s_mul_hi_u32 s54, s10, s55
	s_mul_i32 s72, s10, s11
	s_mul_hi_u32 s53, s10, s11
	s_add_u32 s54, s54, s72
	s_addc_u32 s53, 0, s53
	s_mul_hi_u32 s73, s13, s55
	s_mul_i32 s55, s13, s55
	s_add_u32 s54, s54, s55
	s_mul_hi_u32 s72, s13, s11
	s_addc_u32 s53, s53, s73
	s_addc_u32 s54, s72, 0
	s_mul_i32 s11, s13, s11
	s_add_u32 s11, s53, s11
	s_addc_u32 s53, 0, s54
	s_add_u32 s54, s10, s11
	s_cselect_b64 s[10:11], -1, 0
	s_cmp_lg_u64 s[10:11], 0
	s_addc_u32 s13, s13, s53
	s_mul_i32 s10, s4, s13
	s_mul_hi_u32 s11, s4, s54
	s_add_i32 s10, s11, s10
	s_mul_i32 s12, s12, s54
	s_add_i32 s10, s10, s12
	s_mul_i32 s4, s4, s54
	s_mul_hi_u32 s12, s13, s4
	s_mul_i32 s53, s13, s4
	s_mul_i32 s72, s54, s10
	s_mul_hi_u32 s4, s54, s4
	s_mul_hi_u32 s55, s54, s10
	s_add_u32 s4, s4, s72
	s_addc_u32 s55, 0, s55
	s_add_u32 s4, s4, s53
	s_mul_hi_u32 s11, s13, s10
	s_addc_u32 s4, s55, s12
	s_addc_u32 s11, s11, 0
	s_mul_i32 s10, s13, s10
	s_add_u32 s4, s4, s10
	s_addc_u32 s12, 0, s11
	s_add_u32 s4, s54, s4
	s_cselect_b64 s[10:11], -1, 0
	s_cmp_lg_u64 s[10:11], 0
	s_addc_u32 s10, s13, s12
	s_mul_i32 s12, s52, s10
	s_mul_hi_u32 s13, s52, s4
	s_mul_hi_u32 s11, s52, s10
	s_add_u32 s12, s13, s12
	s_addc_u32 s11, 0, s11
	s_mul_hi_u32 s53, s5, s4
	s_mul_i32 s4, s5, s4
	s_add_u32 s4, s12, s4
	s_mul_hi_u32 s13, s5, s10
	s_addc_u32 s4, s11, s53
	s_addc_u32 s11, s13, 0
	s_mul_i32 s10, s5, s10
	s_add_u32 s4, s4, s10
	s_addc_u32 s10, 0, s11
	s_mul_i32 s10, s95, s10
	s_mul_hi_u32 s11, s95, s4
	s_add_i32 s12, s11, s10
	s_mul_i32 s4, s95, s4
	s_sub_u32 s4, s52, s4
	s_cselect_b64 s[10:11], -1, 0
	s_cmp_lg_u64 s[10:11], 0
	s_subb_u32 s12, s5, s12
	s_sub_u32 s13, s4, s95
	s_cselect_b64 s[10:11], -1, 0
	s_cmp_lg_u64 s[10:11], 0
	s_subb_u32 s53, s12, 0
	s_sub_u32 s54, s13, s95
	s_cselect_b64 s[10:11], -1, 0
	s_cmp_lg_u64 s[10:11], 0
	s_subb_u32 s10, s53, 0
	s_cmp_ge_u32 s13, s95
	s_cselect_b32 s11, -1, 0
	s_cmp_eq_u32 s53, 0
	s_cselect_b32 s11, s11, -1
	s_cmp_lg_u32 s11, 0
	s_cselect_b32 s10, s10, s53
	s_cselect_b32 s13, s54, s13
	s_cmp_ge_u32 s4, s95
	s_cselect_b32 s11, -1, 0
	s_cmp_eq_u32 s12, 0
	s_cselect_b32 s11, s11, -1
	s_cmp_lg_u32 s11, 0
	s_cselect_b32 s11, s10, s12
	s_cselect_b32 s10, s13, s4
	s_cbranch_execnz .LBB147_177
.LBB147_176:                            ;   in Loop: Header=BB147_12 Depth=1
	v_cvt_f32_u32_e32 v2, s95
	s_sub_i32 s4, 0, s95
	s_mov_b32 s12, s84
	v_rcp_iflag_f32_e32 v2, v2
	v_mul_f32_e32 v2, 0x4f7ffffe, v2
	v_cvt_u32_f32_e32 v2, v2
	v_readfirstlane_b32 s10, v2
	s_mul_i32 s4, s4, s10
	s_mul_hi_u32 s4, s10, s4
	s_add_i32 s10, s10, s4
	s_mul_hi_u32 s4, s52, s10
	s_mul_i32 s4, s4, s95
	s_sub_i32 s4, s52, s4
	s_sub_i32 s10, s4, s95
	s_cmp_ge_u32 s4, s95
	s_cselect_b32 s4, s10, s4
	s_sub_i32 s10, s4, s95
	s_cmp_ge_u32 s4, s95
	s_cselect_b32 s84, s10, s4
	s_mov_b64 s[10:11], s[84:85]
	s_mov_b32 s84, s12
.LBB147_177:                            ;   in Loop: Header=BB147_12 Depth=1
	s_sub_u32 s52, s52, s10
	s_subb_u32 s53, s5, s11
	v_cmp_gt_u64_e32 vcc, s[52:53], v[0:1]
	s_mov_b64 s[10:11], 0
	s_mov_b64 s[4:5], 0
                                        ; implicit-def: $vgpr5
	s_and_saveexec_b64 s[12:13], vcc
	s_cbranch_execz .LBB147_188
; %bb.178:                              ;   in Loop: Header=BB147_12 Depth=1
	v_mov_b32_e32 v3, v1
	v_mov_b32_e32 v21, v14
	;; [unrolled: 1-line block ×3, first 2 shown]
                                        ; implicit-def: $sgpr54_sgpr55
	s_branch .LBB147_181
.LBB147_179:                            ;   in Loop: Header=BB147_181 Depth=2
	s_or_b64 exec, exec, s[72:73]
	s_waitcnt lgkmcnt(0)
	s_barrier
	ds_read_b64 v[4:5], v13 offset:3072
	s_mov_b64 s[72:73], -1
	s_mov_b64 s[86:87], -1
	s_waitcnt lgkmcnt(0)
	s_barrier
	v_cmp_ne_u32_e32 vcc, 0, v4
	s_cbranch_vccz .LBB147_184
.LBB147_180:                            ;   in Loop: Header=BB147_181 Depth=2
	s_and_b64 s[72:73], exec, s[72:73]
	s_or_b64 s[4:5], s[72:73], s[4:5]
	s_andn2_b64 s[54:55], s[54:55], exec
	s_and_b64 s[72:73], s[86:87], exec
	s_or_b64 s[54:55], s[54:55], s[72:73]
	s_andn2_b64 exec, exec, s[4:5]
	s_cbranch_execz .LBB147_187
.LBB147_181:                            ;   Parent Loop BB147_12 Depth=1
                                        ; =>  This Inner Loop Header: Depth=2
	v_cmp_gt_u64_e32 vcc, s[8:9], v[2:3]
	s_and_saveexec_b64 s[72:73], vcc
	s_cbranch_execz .LBB147_179
; %bb.182:                              ;   in Loop: Header=BB147_181 Depth=2
	ds_read_b32 v17, v21
	s_waitcnt lgkmcnt(0)
	v_xor_b32_e32 v4, 0x80000000, v17
	v_and_b32_e32 v4, v4, v9
	v_cmp_eq_u32_e32 vcc, v4, v12
	s_and_b64 exec, exec, vcc
	s_cbranch_execz .LBB147_179
; %bb.183:                              ;   in Loop: Header=BB147_181 Depth=2
	ds_write_b64 v13, v[16:17] offset:3072
	s_branch .LBB147_179
.LBB147_184:                            ;   in Loop: Header=BB147_181 Depth=2
	v_add_co_u32_e32 v2, vcc, s95, v2
	v_addc_co_u32_e32 v3, vcc, 0, v3, vcc
	v_cmp_le_u64_e32 vcc, s[52:53], v[2:3]
	v_add_u32_e32 v21, s1, v21
	s_mov_b64 s[86:87], 0
	s_orn2_b64 s[72:73], vcc, exec
	s_branch .LBB147_180
.LBB147_185:                            ;   in Loop: Header=BB147_12 Depth=1
                                        ; implicit-def: $sgpr10_sgpr11
	s_branch .LBB147_131
.LBB147_186:                            ;   in Loop: Header=BB147_12 Depth=1
                                        ; implicit-def: $sgpr8_sgpr9
	s_branch .LBB147_147
.LBB147_187:                            ;   in Loop: Header=BB147_12 Depth=1
	s_or_b64 exec, exec, s[4:5]
	s_and_b64 s[4:5], s[54:55], exec
.LBB147_188:                            ;   in Loop: Header=BB147_12 Depth=1
	s_or_b64 exec, exec, s[12:13]
	v_readlane_b32 s72, v48, 48
	v_readlane_b32 s73, v48, 49
.LBB147_189:                            ;   in Loop: Header=BB147_12 Depth=1
	s_and_b64 vcc, exec, s[10:11]
	s_cbranch_vccz .LBB147_203
; %bb.190:                              ;   in Loop: Header=BB147_12 Depth=1
	s_mov_b32 s56, s85
	s_cmp_lg_u64 s[56:57], 0
	s_cbranch_scc0 .LBB147_222
; %bb.191:                              ;   in Loop: Header=BB147_12 Depth=1
	v_cvt_f32_u32_e32 v2, s95
	s_sub_u32 s10, 0, s95
	s_subb_u32 s11, 0, 0
	v_mac_f32_e32 v2, 0, v33
	v_rcp_f32_e32 v2, v2
	v_mul_f32_e32 v2, 0x5f7ffffc, v2
	v_mul_f32_e32 v3, 0x2f800000, v2
	v_trunc_f32_e32 v3, v3
	v_mac_f32_e32 v2, 0xcf800000, v3
	v_cvt_u32_f32_e32 v3, v3
	v_cvt_u32_f32_e32 v2, v2
	v_readfirstlane_b32 s12, v3
	v_readfirstlane_b32 s8, v2
	s_mul_i32 s9, s10, s12
	s_mul_hi_u32 s46, s10, s8
	s_mul_i32 s13, s11, s8
	s_add_i32 s9, s46, s9
	s_mul_i32 s47, s10, s8
	s_add_i32 s9, s9, s13
	s_mul_hi_u32 s46, s8, s47
	s_mul_i32 s48, s8, s9
	s_mul_hi_u32 s13, s8, s9
	s_add_u32 s46, s46, s48
	s_addc_u32 s13, 0, s13
	s_mul_hi_u32 s49, s12, s47
	s_mul_i32 s47, s12, s47
	s_add_u32 s46, s46, s47
	s_mul_hi_u32 s48, s12, s9
	s_addc_u32 s13, s13, s49
	s_addc_u32 s46, s48, 0
	s_mul_i32 s9, s12, s9
	s_add_u32 s9, s13, s9
	s_addc_u32 s13, 0, s46
	s_add_u32 s46, s8, s9
	s_cselect_b64 s[8:9], -1, 0
	s_cmp_lg_u64 s[8:9], 0
	s_addc_u32 s12, s12, s13
	s_mul_i32 s8, s10, s12
	s_mul_hi_u32 s9, s10, s46
	s_add_i32 s8, s9, s8
	s_mul_i32 s11, s11, s46
	s_add_i32 s8, s8, s11
	s_mul_i32 s10, s10, s46
	s_mul_hi_u32 s11, s12, s10
	s_mul_i32 s13, s12, s10
	s_mul_i32 s48, s46, s8
	s_mul_hi_u32 s10, s46, s10
	s_mul_hi_u32 s47, s46, s8
	s_add_u32 s10, s10, s48
	s_addc_u32 s47, 0, s47
	s_add_u32 s10, s10, s13
	s_mul_hi_u32 s9, s12, s8
	s_addc_u32 s10, s47, s11
	s_addc_u32 s9, s9, 0
	s_mul_i32 s8, s12, s8
	s_add_u32 s8, s10, s8
	s_addc_u32 s10, 0, s9
	s_add_u32 s11, s46, s8
	s_cselect_b64 s[8:9], -1, 0
	s_cmp_lg_u64 s[8:9], 0
	s_addc_u32 s8, s12, s10
	v_readlane_b32 s46, v48, 39
	s_mul_i32 s10, s46, s8
	s_mul_hi_u32 s12, s46, s11
	s_mul_hi_u32 s9, s46, s8
	s_add_u32 s10, s12, s10
	s_addc_u32 s9, 0, s9
	s_mul_hi_u32 s13, s57, s11
	s_mul_i32 s11, s57, s11
	s_add_u32 s10, s10, s11
	s_mul_hi_u32 s12, s57, s8
	s_addc_u32 s9, s9, s13
	s_addc_u32 s10, s12, 0
	s_mul_i32 s8, s57, s8
	s_add_u32 s8, s9, s8
	s_addc_u32 s9, 0, s10
	s_mul_i32 s9, s95, s9
	s_mul_hi_u32 s10, s95, s8
	s_add_i32 s10, s10, s9
	s_mul_i32 s8, s95, s8
	s_sub_u32 s11, s46, s8
	s_cselect_b64 s[8:9], -1, 0
	s_cmp_lg_u64 s[8:9], 0
	s_subb_u32 s10, s57, s10
	s_sub_u32 s12, s11, s95
	s_cselect_b64 s[8:9], -1, 0
	s_cmp_lg_u64 s[8:9], 0
	s_subb_u32 s13, s10, 0
	;; [unrolled: 4-line block ×3, first 2 shown]
	s_cmp_ge_u32 s12, s95
	s_cselect_b32 s9, -1, 0
	s_cmp_eq_u32 s13, 0
	s_cselect_b32 s9, s9, -1
	s_cmp_lg_u32 s9, 0
	s_cselect_b32 s8, s8, s13
	s_cselect_b32 s12, s46, s12
	s_cmp_ge_u32 s11, s95
	s_cselect_b32 s9, -1, 0
	s_cmp_eq_u32 s10, 0
	s_cselect_b32 s9, s9, -1
	s_cmp_lg_u32 s9, 0
	s_cselect_b32 s9, s8, s10
	s_cselect_b32 s8, s12, s11
	s_cbranch_execnz .LBB147_193
.LBB147_192:                            ;   in Loop: Header=BB147_12 Depth=1
	v_cvt_f32_u32_e32 v2, s95
	s_sub_i32 s8, 0, s95
	v_readlane_b32 s10, v48, 39
	v_rcp_iflag_f32_e32 v2, v2
	v_mul_f32_e32 v2, 0x4f7ffffe, v2
	v_cvt_u32_f32_e32 v2, v2
	v_readfirstlane_b32 s9, v2
	s_mul_i32 s8, s8, s9
	s_mul_hi_u32 s8, s9, s8
	s_add_i32 s9, s9, s8
	s_mul_hi_u32 s8, s10, s9
	s_mul_i32 s8, s8, s95
	s_sub_i32 s8, s10, s8
	s_sub_i32 s9, s8, s95
	s_cmp_ge_u32 s8, s95
	s_cselect_b32 s8, s9, s8
	s_sub_i32 s9, s8, s95
	s_cmp_ge_u32 s8, s95
	s_mov_b32 s10, s84
	s_cselect_b32 s84, s9, s8
	s_mov_b64 s[8:9], s[84:85]
	s_mov_b32 s84, s10
.LBB147_193:                            ;   in Loop: Header=BB147_12 Depth=1
	v_readlane_b32 s10, v48, 39
	s_sub_u32 s10, s10, s8
	s_subb_u32 s11, s57, s9
	v_cmp_gt_u64_e32 vcc, s[10:11], v[0:1]
                                        ; implicit-def: $vgpr5
	s_and_saveexec_b64 s[8:9], vcc
	s_cbranch_execz .LBB147_202
; %bb.194:                              ;   in Loop: Header=BB147_12 Depth=1
	v_mov_b32_e32 v3, v1
	s_mov_b64 s[12:13], 0
	v_mov_b32_e32 v2, v0
                                        ; implicit-def: $sgpr46_sgpr47
	s_branch .LBB147_197
.LBB147_195:                            ;   in Loop: Header=BB147_197 Depth=2
	s_or_b64 exec, exec, s[48:49]
	s_waitcnt lgkmcnt(0)
	s_barrier
	ds_read_b64 v[4:5], v13 offset:3072
	s_mov_b64 s[48:49], -1
	s_mov_b64 s[52:53], -1
	s_waitcnt lgkmcnt(0)
	s_barrier
	v_cmp_eq_u32_e32 vcc, 0, v4
	s_cbranch_vccnz .LBB147_200
.LBB147_196:                            ;   in Loop: Header=BB147_197 Depth=2
	s_and_b64 s[48:49], exec, s[48:49]
	s_or_b64 s[12:13], s[48:49], s[12:13]
	s_andn2_b64 s[46:47], s[46:47], exec
	s_and_b64 s[48:49], s[52:53], exec
	s_or_b64 s[46:47], s[46:47], s[48:49]
	s_andn2_b64 exec, exec, s[12:13]
	s_cbranch_execz .LBB147_201
.LBB147_197:                            ;   Parent Loop BB147_12 Depth=1
                                        ; =>  This Inner Loop Header: Depth=2
	v_cmp_gt_u64_e32 vcc, s[60:61], v[2:3]
	s_and_saveexec_b64 s[48:49], vcc
	s_cbranch_execz .LBB147_195
; %bb.198:                              ;   in Loop: Header=BB147_197 Depth=2
	v_mul_lo_u32 v17, v3, s58
	v_mul_lo_u32 v21, v2, s59
	v_mad_u64_u32 v[4:5], s[52:53], v2, s58, 0
	v_add3_u32 v5, v5, v21, v17
	v_lshlrev_b64 v[4:5], 2, v[4:5]
	v_mov_b32_e32 v17, s94
	v_add_co_u32_e32 v4, vcc, s33, v4
	v_addc_co_u32_e32 v5, vcc, v17, v5, vcc
	global_load_dword v17, v[4:5], off
	s_waitcnt vmcnt(0)
	v_xor_b32_e32 v4, 0x80000000, v17
	v_and_b32_e32 v4, v4, v9
	v_cmp_eq_u32_e32 vcc, v4, v12
	s_and_b64 exec, exec, vcc
	s_cbranch_execz .LBB147_195
; %bb.199:                              ;   in Loop: Header=BB147_197 Depth=2
	ds_write_b64 v13, v[16:17] offset:3072
	s_branch .LBB147_195
.LBB147_200:                            ;   in Loop: Header=BB147_197 Depth=2
	v_add_co_u32_e32 v2, vcc, s95, v2
	v_addc_co_u32_e32 v3, vcc, 0, v3, vcc
	v_cmp_le_u64_e32 vcc, s[10:11], v[2:3]
	s_mov_b64 s[52:53], 0
	s_orn2_b64 s[48:49], vcc, exec
	s_branch .LBB147_196
.LBB147_201:                            ;   in Loop: Header=BB147_12 Depth=1
	s_or_b64 exec, exec, s[12:13]
	s_andn2_b64 s[4:5], s[4:5], exec
	s_and_b64 s[10:11], s[46:47], exec
	s_or_b64 s[4:5], s[4:5], s[10:11]
.LBB147_202:                            ;   in Loop: Header=BB147_12 Depth=1
	s_or_b64 exec, exec, s[8:9]
	s_mov_b64 s[46:47], 0
	s_mov_b64 s[48:49], -1
.LBB147_203:                            ;   in Loop: Header=BB147_12 Depth=1
	s_orn2_b64 s[4:5], s[4:5], exec
.LBB147_204:                            ;   in Loop: Header=BB147_12 Depth=1
	s_or_b64 exec, exec, s[30:31]
	s_mov_b64 s[8:9], 0
	s_and_saveexec_b64 s[30:31], s[4:5]
	s_cbranch_execz .LBB147_266
; %bb.205:                              ;   in Loop: Header=BB147_12 Depth=1
	v_mov_b32_e32 v2, 1
	s_xor_b64 s[10:11], s[50:51], -1
	v_mov_b32_e32 v8, 1
	v_mov_b32_e32 v3, 0
	s_and_saveexec_b64 s[4:5], s[10:11]
	s_cbranch_execz .LBB147_214
; %bb.206:                              ;   in Loop: Header=BB147_12 Depth=1
	v_cmp_ge_u64_e32 vcc, s[22:23], v[6:7]
	s_and_saveexec_b64 s[8:9], vcc
	s_xor_b64 s[8:9], exec, s[8:9]
	s_cbranch_execz .LBB147_211
; %bb.207:                              ;   in Loop: Header=BB147_12 Depth=1
	ds_read_b64 v[2:3], v13 offset:5120
	v_and_b32_e32 v4, s84, v12
	v_lshl_or_b32 v12, 2, s92, v4
	v_or_b32_e32 v9, s93, v9
	s_waitcnt lgkmcnt(0)
	v_cmp_ne_u64_e32 vcc, 0, v[2:3]
	s_cbranch_vccnz .LBB147_211
; %bb.208:                              ;   in Loop: Header=BB147_12 Depth=1
	s_mov_b64 s[10:11], exec
	v_readlane_b32 s12, v48, 12
	v_readlane_b32 s13, v48, 13
	s_and_b64 s[12:13], s[10:11], s[12:13]
	s_mov_b64 exec, s[12:13]
; %bb.209:                              ;   in Loop: Header=BB147_12 Depth=1
	v_mov_b32_e32 v2, s22
	v_mov_b32_e32 v3, s23
	ds_write_b64 v13, v[2:3] offset:5128
; %bb.210:                              ;   in Loop: Header=BB147_12 Depth=1
	s_or_b64 exec, exec, s[10:11]
	s_waitcnt lgkmcnt(0)
	s_barrier
.LBB147_211:                            ;   in Loop: Header=BB147_12 Depth=1
	s_or_saveexec_b64 s[8:9], s[8:9]
	s_mov_b64 s[10:11], 0
	v_mov_b32_e32 v8, 8
	s_xor_b64 exec, exec, s[8:9]
; %bb.212:                              ;   in Loop: Header=BB147_12 Depth=1
	v_mov_b32_e32 v2, s23
	v_subrev_co_u32_e32 v6, vcc, s22, v6
	s_mov_b64 s[10:11], exec
	v_subb_co_u32_e32 v7, vcc, v7, v2, vcc
	v_mov_b32_e32 v8, 0
; %bb.213:                              ;   in Loop: Header=BB147_12 Depth=1
	s_or_b64 exec, exec, s[8:9]
	v_mov_b32_e32 v2, v6
	s_and_b64 s[8:9], s[10:11], exec
	v_mov_b32_e32 v3, v7
.LBB147_214:                            ;   in Loop: Header=BB147_12 Depth=1
	s_or_b64 exec, exec, s[4:5]
	s_mov_b64 s[4:5], -1
                                        ; implicit-def: $sgpr54_sgpr55
                                        ; implicit-def: $sgpr52_sgpr53
	s_and_saveexec_b64 s[50:51], s[8:9]
	s_cbranch_execz .LBB147_265
; %bb.215:                              ;   in Loop: Header=BB147_12 Depth=1
	s_cmp_eq_u64 s[24:25], 1
	v_cmp_eq_u64_e32 vcc, 1, v[2:3]
	s_cselect_b64 s[4:5], -1, 0
	s_mov_b64 s[8:9], -1
	s_and_b64 s[4:5], s[4:5], vcc
                                        ; implicit-def: $sgpr54_sgpr55
                                        ; implicit-def: $sgpr52_sgpr53
	s_mov_b64 s[10:11], exec
	v_writelane_b32 v48, s4, 52
	v_writelane_b32 v48, s5, 53
	;; [unrolled: 1-line block ×3, first 2 shown]
	s_and_b64 s[4:5], s[10:11], s[4:5]
	v_writelane_b32 v48, s11, 55
	s_mov_b64 exec, s[4:5]
	s_cbranch_execz .LBB147_253
; %bb.216:                              ;   in Loop: Header=BB147_12 Depth=1
	ds_read_b64 v[4:5], v13 offset:5120
	s_waitcnt lgkmcnt(0)
	s_barrier
	v_readfirstlane_b32 s8, v4
	v_readfirstlane_b32 s9, v5
	s_mov_b64 s[4:5], exec
	v_readlane_b32 s10, v48, 34
	v_readlane_b32 s11, v48, 35
	s_and_b64 s[10:11], s[4:5], s[10:11]
	s_mov_b64 exec, s[10:11]
; %bb.217:                              ;   in Loop: Header=BB147_12 Depth=1
	ds_write_b32 v28, v13
; %bb.218:                              ;   in Loop: Header=BB147_12 Depth=1
	s_or_b64 exec, exec, s[4:5]
	v_or_b32_e32 v12, s93, v12
	v_or_b32_e32 v9, s93, v9
	s_mov_b64 s[52:53], -1
	s_mov_b64 s[54:55], 0
	s_cmp_eq_u64 s[8:9], 0
	s_mov_b64 s[4:5], 0
	s_mov_b64 s[10:11], -1
	s_waitcnt lgkmcnt(0)
	s_barrier
                                        ; implicit-def: $vgpr5
	s_cbranch_scc1 .LBB147_236
; %bb.219:                              ;   in Loop: Header=BB147_12 Depth=1
	s_mov_b32 s56, s84
	v_writelane_b32 v48, s56, 56
	v_writelane_b32 v48, s57, 57
	;; [unrolled: 1-line block ×4, first 2 shown]
	v_readlane_b32 s4, v48, 38
	s_add_u32 s72, s8, s4
	v_readlane_b32 s4, v48, 40
	s_addc_u32 s5, s9, s4
	s_mov_b32 s4, s85
	s_cmp_lg_u64 s[4:5], 0
	s_cbranch_scc0 .LBB147_223
; %bb.220:                              ;   in Loop: Header=BB147_12 Depth=1
	v_cvt_f32_u32_e32 v4, s95
	s_sub_u32 s4, 0, s95
	s_subb_u32 s12, 0, 0
	v_mac_f32_e32 v4, 0, v33
	v_rcp_f32_e32 v4, v4
	v_mul_f32_e32 v4, 0x5f7ffffc, v4
	v_mul_f32_e32 v5, 0x2f800000, v4
	v_trunc_f32_e32 v5, v5
	v_mac_f32_e32 v4, 0xcf800000, v5
	v_cvt_u32_f32_e32 v5, v5
	v_cvt_u32_f32_e32 v4, v4
	v_readfirstlane_b32 s13, v5
	v_readfirstlane_b32 s10, v4
	s_mul_i32 s11, s4, s13
	s_mul_hi_u32 s84, s4, s10
	s_mul_i32 s73, s12, s10
	s_add_i32 s11, s84, s11
	s_mul_i32 s86, s4, s10
	s_add_i32 s11, s11, s73
	s_mul_hi_u32 s84, s10, s86
	s_mul_i32 s87, s10, s11
	s_mul_hi_u32 s73, s10, s11
	s_add_u32 s84, s84, s87
	s_addc_u32 s73, 0, s73
	s_mul_hi_u32 s88, s13, s86
	s_mul_i32 s86, s13, s86
	s_add_u32 s84, s84, s86
	s_mul_hi_u32 s87, s13, s11
	s_addc_u32 s73, s73, s88
	s_addc_u32 s84, s87, 0
	s_mul_i32 s11, s13, s11
	s_add_u32 s11, s73, s11
	s_addc_u32 s73, 0, s84
	s_add_u32 s84, s10, s11
	s_cselect_b64 s[10:11], -1, 0
	s_cmp_lg_u64 s[10:11], 0
	s_addc_u32 s13, s13, s73
	s_mul_i32 s10, s4, s13
	s_mul_hi_u32 s11, s4, s84
	s_add_i32 s10, s11, s10
	s_mul_i32 s12, s12, s84
	s_add_i32 s10, s10, s12
	s_mul_i32 s4, s4, s84
	s_mul_hi_u32 s12, s13, s4
	s_mul_i32 s73, s13, s4
	s_mul_i32 s87, s84, s10
	s_mul_hi_u32 s4, s84, s4
	s_mul_hi_u32 s86, s84, s10
	s_add_u32 s4, s4, s87
	s_addc_u32 s86, 0, s86
	s_add_u32 s4, s4, s73
	s_mul_hi_u32 s11, s13, s10
	s_addc_u32 s4, s86, s12
	s_addc_u32 s11, s11, 0
	s_mul_i32 s10, s13, s10
	s_add_u32 s4, s4, s10
	s_addc_u32 s12, 0, s11
	s_add_u32 s4, s84, s4
	s_cselect_b64 s[10:11], -1, 0
	s_cmp_lg_u64 s[10:11], 0
	s_addc_u32 s10, s13, s12
	s_mul_i32 s12, s72, s10
	s_mul_hi_u32 s13, s72, s4
	s_mul_hi_u32 s11, s72, s10
	s_add_u32 s12, s13, s12
	s_addc_u32 s11, 0, s11
	s_mul_hi_u32 s73, s5, s4
	s_mul_i32 s4, s5, s4
	s_add_u32 s4, s12, s4
	s_mul_hi_u32 s13, s5, s10
	s_addc_u32 s4, s11, s73
	s_addc_u32 s11, s13, 0
	s_mul_i32 s10, s5, s10
	s_add_u32 s4, s4, s10
	s_addc_u32 s10, 0, s11
	s_mul_i32 s10, s95, s10
	s_mul_hi_u32 s11, s95, s4
	s_add_i32 s12, s11, s10
	s_mul_i32 s4, s95, s4
	s_sub_u32 s4, s72, s4
	s_cselect_b64 s[10:11], -1, 0
	s_cmp_lg_u64 s[10:11], 0
	s_subb_u32 s12, s5, s12
	s_sub_u32 s13, s4, s95
	s_cselect_b64 s[10:11], -1, 0
	s_cmp_lg_u64 s[10:11], 0
	s_subb_u32 s73, s12, 0
	;; [unrolled: 4-line block ×3, first 2 shown]
	s_cmp_ge_u32 s13, s95
	s_cselect_b32 s11, -1, 0
	s_cmp_eq_u32 s73, 0
	s_cselect_b32 s11, s11, -1
	s_cmp_lg_u32 s11, 0
	s_cselect_b32 s10, s10, s73
	s_cselect_b32 s13, s84, s13
	s_cmp_ge_u32 s4, s95
	s_cselect_b32 s11, -1, 0
	s_cmp_eq_u32 s12, 0
	s_cselect_b32 s11, s11, -1
	s_cmp_lg_u32 s11, 0
	s_cselect_b32 s11, s10, s12
	s_cselect_b32 s10, s13, s4
	s_mov_b64 s[12:13], 0
	s_branch .LBB147_224
.LBB147_221:                            ;   in Loop: Header=BB147_12 Depth=1
                                        ; implicit-def: $sgpr10_sgpr11
	s_branch .LBB147_176
.LBB147_222:                            ;   in Loop: Header=BB147_12 Depth=1
                                        ; implicit-def: $sgpr8_sgpr9
	s_branch .LBB147_192
.LBB147_223:                            ;   in Loop: Header=BB147_12 Depth=1
	s_mov_b64 s[12:13], -1
                                        ; implicit-def: $sgpr10_sgpr11
.LBB147_224:                            ;   in Loop: Header=BB147_12 Depth=1
	s_andn2_b64 vcc, exec, s[12:13]
	s_cbranch_vccnz .LBB147_226
; %bb.225:                              ;   in Loop: Header=BB147_12 Depth=1
	v_cvt_f32_u32_e32 v4, s95
	s_sub_i32 s4, 0, s95
	v_rcp_iflag_f32_e32 v4, v4
	v_mul_f32_e32 v4, 0x4f7ffffe, v4
	v_cvt_u32_f32_e32 v4, v4
	v_readfirstlane_b32 s10, v4
	s_mul_i32 s4, s4, s10
	s_mul_hi_u32 s4, s10, s4
	s_add_i32 s10, s10, s4
	s_mul_hi_u32 s4, s72, s10
	s_mul_i32 s4, s4, s95
	s_sub_i32 s4, s72, s4
	s_sub_i32 s10, s4, s95
	s_cmp_ge_u32 s4, s95
	s_cselect_b32 s4, s10, s4
	s_sub_i32 s10, s4, s95
	s_cmp_ge_u32 s4, s95
	s_cselect_b32 s84, s10, s4
	s_mov_b64 s[10:11], s[84:85]
.LBB147_226:                            ;   in Loop: Header=BB147_12 Depth=1
	s_sub_u32 s72, s72, s10
	s_subb_u32 s73, s5, s11
	v_cmp_gt_u64_e32 vcc, s[72:73], v[0:1]
	s_mov_b64 s[10:11], 0
	s_mov_b64 s[4:5], 0
                                        ; implicit-def: $vgpr5
	s_and_saveexec_b64 s[12:13], vcc
	s_mov_b32 s84, s56
	s_cbranch_execz .LBB147_235
; %bb.227:                              ;   in Loop: Header=BB147_12 Depth=1
	v_mov_b32_e32 v7, v1
	v_mov_b32_e32 v21, v14
	;; [unrolled: 1-line block ×3, first 2 shown]
                                        ; implicit-def: $sgpr86_sgpr87
	s_branch .LBB147_230
.LBB147_228:                            ;   in Loop: Header=BB147_230 Depth=2
	s_or_b64 exec, exec, s[88:89]
	s_waitcnt lgkmcnt(0)
	s_barrier
	ds_read_b64 v[4:5], v13 offset:3072
	s_mov_b64 s[88:89], -1
	s_mov_b64 s[90:91], -1
	s_waitcnt lgkmcnt(0)
	s_barrier
	v_cmp_ne_u32_e32 vcc, 0, v4
	s_cbranch_vccz .LBB147_233
.LBB147_229:                            ;   in Loop: Header=BB147_230 Depth=2
	s_and_b64 s[88:89], exec, s[88:89]
	s_or_b64 s[4:5], s[88:89], s[4:5]
	s_andn2_b64 s[86:87], s[86:87], exec
	s_and_b64 s[88:89], s[90:91], exec
	s_or_b64 s[86:87], s[86:87], s[88:89]
	s_andn2_b64 exec, exec, s[4:5]
	s_cbranch_execz .LBB147_234
.LBB147_230:                            ;   Parent Loop BB147_12 Depth=1
                                        ; =>  This Inner Loop Header: Depth=2
	v_cmp_gt_u64_e32 vcc, s[8:9], v[6:7]
	s_and_saveexec_b64 s[88:89], vcc
	s_cbranch_execz .LBB147_228
; %bb.231:                              ;   in Loop: Header=BB147_230 Depth=2
	ds_read_b32 v17, v21
	s_waitcnt lgkmcnt(0)
	v_xor_b32_e32 v4, 0x80000000, v17
	v_and_b32_e32 v4, v4, v9
	v_cmp_eq_u32_e32 vcc, v4, v12
	s_and_b64 exec, exec, vcc
	s_cbranch_execz .LBB147_228
; %bb.232:                              ;   in Loop: Header=BB147_230 Depth=2
	ds_write_b64 v13, v[16:17] offset:3072
	s_branch .LBB147_228
.LBB147_233:                            ;   in Loop: Header=BB147_230 Depth=2
	v_add_co_u32_e32 v6, vcc, s95, v6
	v_addc_co_u32_e32 v7, vcc, 0, v7, vcc
	v_cmp_le_u64_e32 vcc, s[72:73], v[6:7]
	v_add_u32_e32 v21, s1, v21
	s_mov_b64 s[90:91], 0
	s_orn2_b64 s[88:89], vcc, exec
	s_branch .LBB147_229
.LBB147_234:                            ;   in Loop: Header=BB147_12 Depth=1
	s_or_b64 exec, exec, s[4:5]
	v_readlane_b32 s90, v48, 46
	s_and_b64 s[4:5], s[86:87], exec
	v_readlane_b32 s91, v48, 47
.LBB147_235:                            ;   in Loop: Header=BB147_12 Depth=1
	s_or_b64 exec, exec, s[12:13]
	v_readlane_b32 s88, v48, 58
	v_readlane_b32 s56, v48, 56
	;; [unrolled: 1-line block ×6, first 2 shown]
.LBB147_236:                            ;   in Loop: Header=BB147_12 Depth=1
	s_and_b64 vcc, exec, s[10:11]
	s_cbranch_vccz .LBB147_252
; %bb.237:                              ;   in Loop: Header=BB147_12 Depth=1
	s_mov_b32 s56, s85
	s_cmp_lg_u64 s[56:57], 0
	s_cbranch_scc0 .LBB147_239
; %bb.238:                              ;   in Loop: Header=BB147_12 Depth=1
	v_cvt_f32_u32_e32 v4, s95
	s_sub_u32 s10, 0, s95
	s_subb_u32 s11, 0, 0
	v_mac_f32_e32 v4, 0, v33
	v_rcp_f32_e32 v4, v4
	v_mul_f32_e32 v4, 0x5f7ffffc, v4
	v_mul_f32_e32 v5, 0x2f800000, v4
	v_trunc_f32_e32 v5, v5
	v_mac_f32_e32 v4, 0xcf800000, v5
	v_cvt_u32_f32_e32 v5, v5
	v_cvt_u32_f32_e32 v4, v4
	v_readfirstlane_b32 s12, v5
	v_readfirstlane_b32 s8, v4
	s_mul_i32 s9, s10, s12
	s_mul_hi_u32 s52, s10, s8
	s_mul_i32 s13, s11, s8
	s_add_i32 s9, s52, s9
	s_mul_i32 s53, s10, s8
	s_add_i32 s9, s9, s13
	s_mul_hi_u32 s52, s8, s53
	s_mul_i32 s54, s8, s9
	s_mul_hi_u32 s13, s8, s9
	s_add_u32 s52, s52, s54
	s_addc_u32 s13, 0, s13
	s_mul_hi_u32 s55, s12, s53
	s_mul_i32 s53, s12, s53
	s_add_u32 s52, s52, s53
	s_mul_hi_u32 s54, s12, s9
	s_addc_u32 s13, s13, s55
	s_addc_u32 s52, s54, 0
	s_mul_i32 s9, s12, s9
	s_add_u32 s9, s13, s9
	s_addc_u32 s13, 0, s52
	s_add_u32 s52, s8, s9
	s_cselect_b64 s[8:9], -1, 0
	s_cmp_lg_u64 s[8:9], 0
	s_addc_u32 s12, s12, s13
	s_mul_i32 s8, s10, s12
	s_mul_hi_u32 s9, s10, s52
	s_add_i32 s8, s9, s8
	s_mul_i32 s11, s11, s52
	s_add_i32 s8, s8, s11
	s_mul_i32 s10, s10, s52
	s_mul_hi_u32 s11, s12, s10
	s_mul_i32 s13, s12, s10
	s_mul_i32 s54, s52, s8
	s_mul_hi_u32 s10, s52, s10
	s_mul_hi_u32 s53, s52, s8
	s_add_u32 s10, s10, s54
	s_addc_u32 s53, 0, s53
	s_add_u32 s10, s10, s13
	s_mul_hi_u32 s9, s12, s8
	s_addc_u32 s10, s53, s11
	s_addc_u32 s9, s9, 0
	s_mul_i32 s8, s12, s8
	s_add_u32 s8, s10, s8
	s_addc_u32 s10, 0, s9
	s_add_u32 s11, s52, s8
	s_cselect_b64 s[8:9], -1, 0
	s_cmp_lg_u64 s[8:9], 0
	s_addc_u32 s8, s12, s10
	v_readlane_b32 s52, v48, 39
	s_mul_i32 s10, s52, s8
	s_mul_hi_u32 s12, s52, s11
	s_mul_hi_u32 s9, s52, s8
	s_add_u32 s10, s12, s10
	s_addc_u32 s9, 0, s9
	s_mul_hi_u32 s13, s57, s11
	s_mul_i32 s11, s57, s11
	s_add_u32 s10, s10, s11
	s_mul_hi_u32 s12, s57, s8
	s_addc_u32 s9, s9, s13
	s_addc_u32 s10, s12, 0
	s_mul_i32 s8, s57, s8
	s_add_u32 s8, s9, s8
	s_addc_u32 s9, 0, s10
	s_mul_i32 s9, s95, s9
	s_mul_hi_u32 s10, s95, s8
	s_add_i32 s10, s10, s9
	s_mul_i32 s8, s95, s8
	s_sub_u32 s11, s52, s8
	s_cselect_b64 s[8:9], -1, 0
	s_cmp_lg_u64 s[8:9], 0
	s_subb_u32 s10, s57, s10
	s_sub_u32 s12, s11, s95
	s_cselect_b64 s[8:9], -1, 0
	s_cmp_lg_u64 s[8:9], 0
	s_subb_u32 s13, s10, 0
	;; [unrolled: 4-line block ×3, first 2 shown]
	s_cmp_ge_u32 s12, s95
	s_cselect_b32 s9, -1, 0
	s_cmp_eq_u32 s13, 0
	s_cselect_b32 s9, s9, -1
	s_cmp_lg_u32 s9, 0
	s_cselect_b32 s8, s8, s13
	s_cselect_b32 s12, s52, s12
	s_cmp_ge_u32 s11, s95
	s_cselect_b32 s9, -1, 0
	s_cmp_eq_u32 s10, 0
	s_cselect_b32 s9, s9, -1
	s_cmp_lg_u32 s9, 0
	s_cselect_b32 s9, s8, s10
	s_cselect_b32 s8, s12, s11
	s_mov_b64 s[10:11], 0
	s_branch .LBB147_240
.LBB147_239:                            ;   in Loop: Header=BB147_12 Depth=1
	s_mov_b64 s[10:11], -1
                                        ; implicit-def: $sgpr8_sgpr9
.LBB147_240:                            ;   in Loop: Header=BB147_12 Depth=1
	s_andn2_b64 vcc, exec, s[10:11]
	s_cbranch_vccnz .LBB147_242
; %bb.241:                              ;   in Loop: Header=BB147_12 Depth=1
	v_cvt_f32_u32_e32 v4, s95
	s_sub_i32 s8, 0, s95
	v_readlane_b32 s10, v48, 39
	v_rcp_iflag_f32_e32 v4, v4
	v_mul_f32_e32 v4, 0x4f7ffffe, v4
	v_cvt_u32_f32_e32 v4, v4
	v_readfirstlane_b32 s9, v4
	s_mul_i32 s8, s8, s9
	s_mul_hi_u32 s8, s9, s8
	s_add_i32 s9, s9, s8
	s_mul_hi_u32 s8, s10, s9
	s_mul_i32 s8, s8, s95
	s_sub_i32 s8, s10, s8
	s_sub_i32 s9, s8, s95
	s_cmp_ge_u32 s8, s95
	s_cselect_b32 s8, s9, s8
	s_sub_i32 s9, s8, s95
	s_cmp_ge_u32 s8, s95
	s_mov_b32 s10, s84
	s_cselect_b32 s84, s9, s8
	s_mov_b64 s[8:9], s[84:85]
	s_mov_b32 s84, s10
.LBB147_242:                            ;   in Loop: Header=BB147_12 Depth=1
	v_readlane_b32 s10, v48, 39
	s_sub_u32 s10, s10, s8
	s_subb_u32 s11, s57, s9
	v_cmp_gt_u64_e32 vcc, s[10:11], v[0:1]
                                        ; implicit-def: $vgpr5
	s_and_saveexec_b64 s[8:9], vcc
	s_cbranch_execz .LBB147_251
; %bb.243:                              ;   in Loop: Header=BB147_12 Depth=1
	v_mov_b32_e32 v7, v1
	s_mov_b64 s[12:13], 0
	v_mov_b32_e32 v6, v0
                                        ; implicit-def: $sgpr52_sgpr53
	s_branch .LBB147_246
.LBB147_244:                            ;   in Loop: Header=BB147_246 Depth=2
	s_or_b64 exec, exec, s[54:55]
	s_waitcnt lgkmcnt(0)
	s_barrier
	ds_read_b64 v[4:5], v13 offset:3072
	s_mov_b64 s[54:55], -1
	s_mov_b64 s[72:73], -1
	s_waitcnt lgkmcnt(0)
	s_barrier
	v_cmp_eq_u32_e32 vcc, 0, v4
	s_cbranch_vccnz .LBB147_249
.LBB147_245:                            ;   in Loop: Header=BB147_246 Depth=2
	s_and_b64 s[54:55], exec, s[54:55]
	s_or_b64 s[12:13], s[54:55], s[12:13]
	s_andn2_b64 s[52:53], s[52:53], exec
	s_and_b64 s[54:55], s[72:73], exec
	s_or_b64 s[52:53], s[52:53], s[54:55]
	s_andn2_b64 exec, exec, s[12:13]
	s_cbranch_execz .LBB147_250
.LBB147_246:                            ;   Parent Loop BB147_12 Depth=1
                                        ; =>  This Inner Loop Header: Depth=2
	v_cmp_gt_u64_e32 vcc, s[60:61], v[6:7]
	s_and_saveexec_b64 s[54:55], vcc
	s_cbranch_execz .LBB147_244
; %bb.247:                              ;   in Loop: Header=BB147_246 Depth=2
	v_mul_lo_u32 v17, v7, s58
	v_mul_lo_u32 v21, v6, s59
	v_mad_u64_u32 v[4:5], s[72:73], v6, s58, 0
	v_add3_u32 v5, v5, v21, v17
	v_lshlrev_b64 v[4:5], 2, v[4:5]
	v_mov_b32_e32 v17, s94
	v_add_co_u32_e32 v4, vcc, s33, v4
	v_addc_co_u32_e32 v5, vcc, v17, v5, vcc
	global_load_dword v17, v[4:5], off
	s_waitcnt vmcnt(0)
	v_xor_b32_e32 v4, 0x80000000, v17
	v_and_b32_e32 v4, v4, v9
	v_cmp_eq_u32_e32 vcc, v4, v12
	s_and_b64 exec, exec, vcc
	s_cbranch_execz .LBB147_244
; %bb.248:                              ;   in Loop: Header=BB147_246 Depth=2
	ds_write_b64 v13, v[16:17] offset:3072
	s_branch .LBB147_244
.LBB147_249:                            ;   in Loop: Header=BB147_246 Depth=2
	v_add_co_u32_e32 v6, vcc, s95, v6
	v_addc_co_u32_e32 v7, vcc, 0, v7, vcc
	v_cmp_le_u64_e32 vcc, s[10:11], v[6:7]
	s_mov_b64 s[72:73], 0
	s_orn2_b64 s[54:55], vcc, exec
	s_branch .LBB147_245
.LBB147_250:                            ;   in Loop: Header=BB147_12 Depth=1
	s_or_b64 exec, exec, s[12:13]
	s_andn2_b64 s[4:5], s[4:5], exec
	s_and_b64 s[10:11], s[52:53], exec
	v_readlane_b32 s72, v48, 48
	s_or_b64 s[4:5], s[4:5], s[10:11]
	v_readlane_b32 s73, v48, 49
.LBB147_251:                            ;   in Loop: Header=BB147_12 Depth=1
	s_or_b64 exec, exec, s[8:9]
	s_mov_b64 s[52:53], 0
	s_mov_b64 s[54:55], -1
.LBB147_252:                            ;   in Loop: Header=BB147_12 Depth=1
	s_orn2_b64 s[8:9], s[4:5], exec
.LBB147_253:                            ;   in Loop: Header=BB147_12 Depth=1
	v_readlane_b32 s4, v48, 54
	v_readlane_b32 s5, v48, 55
	s_or_b64 exec, exec, s[4:5]
	s_mov_b64 s[10:11], 0
	s_and_saveexec_b64 s[4:5], s[8:9]
	s_cbranch_execz .LBB147_264
; %bb.254:                              ;   in Loop: Header=BB147_12 Depth=1
	v_readlane_b32 s8, v48, 52
	v_readlane_b32 s9, v48, 53
	v_mov_b32_e32 v6, 1
	s_xor_b64 s[10:11], s[8:9], -1
	v_mov_b32_e32 v7, 0
	v_mov_b32_e32 v8, 1
	s_and_saveexec_b64 s[8:9], s[10:11]
	s_cbranch_execz .LBB147_263
; %bb.255:                              ;   in Loop: Header=BB147_12 Depth=1
	v_cmp_ge_u64_e32 vcc, s[24:25], v[2:3]
	s_and_saveexec_b64 s[10:11], vcc
	s_xor_b64 s[10:11], exec, s[10:11]
	s_cbranch_execz .LBB147_260
; %bb.256:                              ;   in Loop: Header=BB147_12 Depth=1
	ds_read_b64 v[6:7], v13 offset:5120
	v_or_b32_e32 v12, s93, v12
	v_or_b32_e32 v9, s93, v9
	s_waitcnt lgkmcnt(0)
	v_cmp_ne_u64_e32 vcc, 0, v[6:7]
	s_cbranch_vccnz .LBB147_260
; %bb.257:                              ;   in Loop: Header=BB147_12 Depth=1
	s_mov_b32 s87, s57
	v_readlane_b32 s56, v48, 12
	v_readlane_b32 s57, v48, 13
	s_and_saveexec_b64 s[12:13], s[56:57]
; %bb.258:                              ;   in Loop: Header=BB147_12 Depth=1
	v_mov_b32_e32 v6, s24
	v_mov_b32_e32 v7, s25
	ds_write_b64 v13, v[6:7] offset:5128
; %bb.259:                              ;   in Loop: Header=BB147_12 Depth=1
	s_or_b64 exec, exec, s[12:13]
	v_readlane_b32 s72, v48, 48
	s_mov_b32 s57, s87
	v_readlane_b32 s73, v48, 49
	s_waitcnt lgkmcnt(0)
	s_barrier
.LBB147_260:                            ;   in Loop: Header=BB147_12 Depth=1
	s_andn2_saveexec_b64 s[10:11], s[10:11]
; %bb.261:                              ;   in Loop: Header=BB147_12 Depth=1
	v_mov_b32_e32 v4, s25
	v_subrev_co_u32_e32 v2, vcc, s24, v2
	v_subb_co_u32_e32 v3, vcc, v3, v4, vcc
; %bb.262:                              ;   in Loop: Header=BB147_12 Depth=1
	s_or_b64 exec, exec, s[10:11]
	v_mov_b32_e32 v7, v3
	v_mov_b32_e32 v8, 8
	;; [unrolled: 1-line block ×3, first 2 shown]
.LBB147_263:                            ;   in Loop: Header=BB147_12 Depth=1
	s_or_b64 exec, exec, s[8:9]
	v_mov_b32_e32 v2, v6
	s_mov_b64 s[10:11], exec
	v_mov_b32_e32 v3, v7
.LBB147_264:                            ;   in Loop: Header=BB147_12 Depth=1
	s_or_b64 exec, exec, s[4:5]
	s_orn2_b64 s[4:5], s[10:11], exec
.LBB147_265:                            ;   in Loop: Header=BB147_12 Depth=1
	s_or_b64 exec, exec, s[50:51]
	s_andn2_b64 s[8:9], s[48:49], exec
	s_and_b64 s[10:11], s[54:55], exec
	s_or_b64 s[48:49], s[8:9], s[10:11]
	s_andn2_b64 s[8:9], s[46:47], exec
	s_and_b64 s[10:11], s[52:53], exec
	v_mov_b32_e32 v7, v3
	s_or_b64 s[46:47], s[8:9], s[10:11]
	s_and_b64 s[8:9], s[4:5], exec
	v_mov_b32_e32 v6, v2
.LBB147_266:                            ;   in Loop: Header=BB147_12 Depth=1
	s_or_b64 exec, exec, s[30:31]
	s_orn2_b64 s[4:5], s[8:9], exec
.LBB147_267:                            ;   in Loop: Header=BB147_12 Depth=1
	s_or_b64 exec, exec, s[44:45]
	s_andn2_b64 s[8:9], s[28:29], exec
	s_and_b64 s[10:11], s[48:49], exec
	s_or_b64 s[28:29], s[8:9], s[10:11]
	s_andn2_b64 s[8:9], s[26:27], exec
	s_and_b64 s[10:11], s[46:47], exec
	v_mov_b32_e32 v2, v6
	s_or_b64 s[26:27], s[8:9], s[10:11]
	s_and_b64 s[8:9], s[4:5], exec
	v_mov_b32_e32 v3, v7
.LBB147_268:                            ;   in Loop: Header=BB147_12 Depth=1
	s_or_b64 exec, exec, s[42:43]
	s_orn2_b64 s[4:5], s[8:9], exec
.LBB147_269:                            ;   in Loop: Header=BB147_12 Depth=1
	s_or_b64 exec, exec, s[6:7]
	s_mov_b64 s[6:7], 0
	s_mov_b64 s[8:9], 0
	s_and_saveexec_b64 s[10:11], s[4:5]
	s_xor_b64 s[4:5], exec, s[10:11]
; %bb.270:                              ;   in Loop: Header=BB147_12 Depth=1
	v_cmp_eq_u32_e32 vcc, 8, v8
	v_cmp_ne_u32_e64 s[6:7], 8, v8
	s_and_b64 s[8:9], s[6:7], exec
	s_and_b64 s[6:7], vcc, exec
; %bb.271:                              ;   in Loop: Header=BB147_12 Depth=1
	s_or_b64 exec, exec, s[4:5]
	s_andn2_b64 s[4:5], s[36:37], exec
	s_and_b64 s[10:11], s[28:29], exec
	s_or_b64 s[36:37], s[4:5], s[10:11]
	s_andn2_b64 s[4:5], s[34:35], exec
	s_and_b64 s[10:11], s[26:27], exec
	s_or_b64 s[34:35], s[4:5], s[10:11]
	s_and_b64 s[26:27], s[8:9], exec
	s_and_b64 s[28:29], s[6:7], exec
.LBB147_272:                            ;   in Loop: Header=BB147_12 Depth=1
	s_or_b64 exec, exec, s[40:41]
.LBB147_273:                            ;   in Loop: Header=BB147_12 Depth=1
	s_and_b64 vcc, exec, s[38:39]
	s_cbranch_vccz .LBB147_289
; %bb.274:                              ;   in Loop: Header=BB147_12 Depth=1
	s_cmp_eq_u64 s[24:25], 1
	s_cselect_b64 s[4:5], -1, 0
	s_and_b64 s[6:7], s[4:5], s[14:15]
	s_mov_b64 s[4:5], -1
                                        ; implicit-def: $sgpr14_sgpr15
                                        ; implicit-def: $sgpr18_sgpr19
	s_and_saveexec_b64 s[30:31], s[6:7]
	s_cbranch_execz .LBB147_307
; %bb.275:                              ;   in Loop: Header=BB147_12 Depth=1
	ds_read_b64 v[2:3], v13 offset:5120
	s_waitcnt lgkmcnt(0)
	s_barrier
	v_readfirstlane_b32 s8, v2
	v_readfirstlane_b32 s9, v3
	s_mov_b64 s[4:5], exec
	v_readlane_b32 s10, v48, 34
	v_readlane_b32 s11, v48, 35
	s_and_b64 s[10:11], s[4:5], s[10:11]
	s_mov_b64 exec, s[10:11]
; %bb.276:                              ;   in Loop: Header=BB147_12 Depth=1
	ds_write_b32 v28, v13
; %bb.277:                              ;   in Loop: Header=BB147_12 Depth=1
	s_or_b64 exec, exec, s[4:5]
	v_or_b32_e32 v30, s93, v30
	v_or_b32_e32 v35, s93, v35
	s_mov_b64 s[18:19], -1
	s_mov_b64 s[14:15], 0
	s_cmp_eq_u64 s[8:9], 0
	s_mov_b64 s[4:5], 0
	s_mov_b64 s[10:11], -1
	s_waitcnt lgkmcnt(0)
	s_barrier
                                        ; implicit-def: $vgpr18
	s_cbranch_scc1 .LBB147_292
; %bb.278:                              ;   in Loop: Header=BB147_12 Depth=1
	v_readlane_b32 s4, v48, 38
	s_add_u32 s34, s8, s4
	v_readlane_b32 s4, v48, 40
	s_addc_u32 s5, s9, s4
	s_mov_b32 s4, s85
	s_cmp_lg_u64 s[4:5], 0
	s_cbranch_scc0 .LBB147_333
; %bb.279:                              ;   in Loop: Header=BB147_12 Depth=1
	v_cvt_f32_u32_e32 v2, s95
	s_sub_u32 s4, 0, s95
	s_subb_u32 s12, 0, 0
	v_mac_f32_e32 v2, 0, v33
	v_rcp_f32_e32 v2, v2
	v_mul_f32_e32 v2, 0x5f7ffffc, v2
	v_mul_f32_e32 v3, 0x2f800000, v2
	v_trunc_f32_e32 v3, v3
	v_mac_f32_e32 v2, 0xcf800000, v3
	v_cvt_u32_f32_e32 v3, v3
	v_cvt_u32_f32_e32 v2, v2
	v_readfirstlane_b32 s13, v3
	v_readfirstlane_b32 s10, v2
	s_mul_i32 s11, s4, s13
	s_mul_hi_u32 s36, s4, s10
	s_mul_i32 s35, s12, s10
	s_add_i32 s11, s36, s11
	s_mul_i32 s37, s4, s10
	s_add_i32 s11, s11, s35
	s_mul_hi_u32 s36, s10, s37
	s_mul_i32 s38, s10, s11
	s_mul_hi_u32 s35, s10, s11
	s_add_u32 s36, s36, s38
	s_addc_u32 s35, 0, s35
	s_mul_hi_u32 s39, s13, s37
	s_mul_i32 s37, s13, s37
	s_add_u32 s36, s36, s37
	s_mul_hi_u32 s38, s13, s11
	s_addc_u32 s35, s35, s39
	s_addc_u32 s36, s38, 0
	s_mul_i32 s11, s13, s11
	s_add_u32 s11, s35, s11
	s_addc_u32 s35, 0, s36
	s_add_u32 s36, s10, s11
	s_cselect_b64 s[10:11], -1, 0
	s_cmp_lg_u64 s[10:11], 0
	s_addc_u32 s13, s13, s35
	s_mul_i32 s10, s4, s13
	s_mul_hi_u32 s11, s4, s36
	s_add_i32 s10, s11, s10
	s_mul_i32 s12, s12, s36
	s_add_i32 s10, s10, s12
	s_mul_i32 s4, s4, s36
	s_mul_hi_u32 s12, s13, s4
	s_mul_i32 s35, s13, s4
	s_mul_i32 s38, s36, s10
	s_mul_hi_u32 s4, s36, s4
	s_mul_hi_u32 s37, s36, s10
	s_add_u32 s4, s4, s38
	s_addc_u32 s37, 0, s37
	s_add_u32 s4, s4, s35
	s_mul_hi_u32 s11, s13, s10
	s_addc_u32 s4, s37, s12
	s_addc_u32 s11, s11, 0
	s_mul_i32 s10, s13, s10
	s_add_u32 s4, s4, s10
	s_addc_u32 s12, 0, s11
	s_add_u32 s4, s36, s4
	s_cselect_b64 s[10:11], -1, 0
	s_cmp_lg_u64 s[10:11], 0
	s_addc_u32 s10, s13, s12
	s_mul_i32 s12, s34, s10
	s_mul_hi_u32 s13, s34, s4
	s_mul_hi_u32 s11, s34, s10
	s_add_u32 s12, s13, s12
	s_addc_u32 s11, 0, s11
	s_mul_hi_u32 s35, s5, s4
	s_mul_i32 s4, s5, s4
	s_add_u32 s4, s12, s4
	s_mul_hi_u32 s13, s5, s10
	s_addc_u32 s4, s11, s35
	s_addc_u32 s11, s13, 0
	s_mul_i32 s10, s5, s10
	s_add_u32 s4, s4, s10
	s_addc_u32 s10, 0, s11
	s_mul_i32 s10, s95, s10
	s_mul_hi_u32 s11, s95, s4
	s_add_i32 s12, s11, s10
	s_mul_i32 s4, s95, s4
	s_sub_u32 s4, s34, s4
	s_cselect_b64 s[10:11], -1, 0
	s_cmp_lg_u64 s[10:11], 0
	s_subb_u32 s12, s5, s12
	s_sub_u32 s13, s4, s95
	s_cselect_b64 s[10:11], -1, 0
	s_cmp_lg_u64 s[10:11], 0
	s_subb_u32 s35, s12, 0
	;; [unrolled: 4-line block ×3, first 2 shown]
	s_cmp_ge_u32 s13, s95
	s_cselect_b32 s11, -1, 0
	s_cmp_eq_u32 s35, 0
	s_cselect_b32 s11, s11, -1
	s_cmp_lg_u32 s11, 0
	s_cselect_b32 s10, s10, s35
	s_cselect_b32 s13, s36, s13
	s_cmp_ge_u32 s4, s95
	s_cselect_b32 s11, -1, 0
	s_cmp_eq_u32 s12, 0
	s_cselect_b32 s11, s11, -1
	s_cmp_lg_u32 s11, 0
	s_cselect_b32 s11, s10, s12
	s_cselect_b32 s10, s13, s4
	s_cbranch_execnz .LBB147_281
.LBB147_280:                            ;   in Loop: Header=BB147_12 Depth=1
	v_cvt_f32_u32_e32 v2, s95
	s_sub_i32 s4, 0, s95
	s_mov_b32 s12, s84
	v_rcp_iflag_f32_e32 v2, v2
	v_mul_f32_e32 v2, 0x4f7ffffe, v2
	v_cvt_u32_f32_e32 v2, v2
	v_readfirstlane_b32 s10, v2
	s_mul_i32 s4, s4, s10
	s_mul_hi_u32 s4, s10, s4
	s_add_i32 s10, s10, s4
	s_mul_hi_u32 s4, s34, s10
	s_mul_i32 s4, s4, s95
	s_sub_i32 s4, s34, s4
	s_sub_i32 s10, s4, s95
	s_cmp_ge_u32 s4, s95
	s_cselect_b32 s4, s10, s4
	s_sub_i32 s10, s4, s95
	s_cmp_ge_u32 s4, s95
	s_cselect_b32 s84, s10, s4
	s_mov_b64 s[10:11], s[84:85]
	s_mov_b32 s84, s12
.LBB147_281:                            ;   in Loop: Header=BB147_12 Depth=1
	s_sub_u32 s34, s34, s10
	s_subb_u32 s35, s5, s11
	v_cmp_gt_u64_e32 vcc, s[34:35], v[0:1]
	s_mov_b64 s[10:11], 0
	s_mov_b64 s[4:5], 0
                                        ; implicit-def: $vgpr18
	s_and_saveexec_b64 s[12:13], vcc
	s_cbranch_execz .LBB147_291
; %bb.282:                              ;   in Loop: Header=BB147_12 Depth=1
	v_mov_b32_e32 v3, v1
	v_mov_b32_e32 v4, v14
	;; [unrolled: 1-line block ×3, first 2 shown]
                                        ; implicit-def: $sgpr36_sgpr37
	s_branch .LBB147_285
.LBB147_283:                            ;   in Loop: Header=BB147_285 Depth=2
	s_or_b64 exec, exec, s[38:39]
	s_waitcnt lgkmcnt(0)
	s_barrier
	ds_read_b64 v[17:18], v13 offset:3072
	s_mov_b64 s[38:39], -1
	s_mov_b64 s[40:41], -1
	s_waitcnt lgkmcnt(0)
	s_barrier
	v_cmp_ne_u32_e32 vcc, 0, v17
	s_cbranch_vccz .LBB147_288
.LBB147_284:                            ;   in Loop: Header=BB147_285 Depth=2
	s_and_b64 s[38:39], exec, s[38:39]
	s_or_b64 s[4:5], s[38:39], s[4:5]
	s_andn2_b64 s[36:37], s[36:37], exec
	s_and_b64 s[38:39], s[40:41], exec
	s_or_b64 s[36:37], s[36:37], s[38:39]
	s_andn2_b64 exec, exec, s[4:5]
	s_cbranch_execz .LBB147_290
.LBB147_285:                            ;   Parent Loop BB147_12 Depth=1
                                        ; =>  This Inner Loop Header: Depth=2
	v_cmp_gt_u64_e32 vcc, s[8:9], v[2:3]
	s_and_saveexec_b64 s[38:39], vcc
	s_cbranch_execz .LBB147_283
; %bb.286:                              ;   in Loop: Header=BB147_285 Depth=2
	ds_read_b32 v17, v4
	s_waitcnt lgkmcnt(0)
	v_xor_b32_e32 v5, 0x80000000, v17
	v_and_b32_e32 v5, v5, v35
	v_cmp_eq_u32_e32 vcc, v5, v30
	s_and_b64 exec, exec, vcc
	s_cbranch_execz .LBB147_283
; %bb.287:                              ;   in Loop: Header=BB147_285 Depth=2
	ds_write_b64 v13, v[16:17] offset:3072
	s_branch .LBB147_283
.LBB147_288:                            ;   in Loop: Header=BB147_285 Depth=2
	v_add_co_u32_e32 v2, vcc, s95, v2
	v_addc_co_u32_e32 v3, vcc, 0, v3, vcc
	v_cmp_le_u64_e32 vcc, s[34:35], v[2:3]
	v_add_u32_e32 v4, s1, v4
	s_mov_b64 s[40:41], 0
	s_orn2_b64 s[38:39], vcc, exec
	s_branch .LBB147_284
.LBB147_289:                            ;   in Loop: Header=BB147_12 Depth=1
	s_mov_b64 s[14:15], 0
	v_mov_b32_e32 v30, v12
	v_mov_b32_e32 v35, v9
	;; [unrolled: 1-line block ×3, first 2 shown]
	s_and_saveexec_b64 s[4:5], s[28:29]
	s_cbranch_execnz .LBB147_466
	s_branch .LBB147_467
.LBB147_290:                            ;   in Loop: Header=BB147_12 Depth=1
	s_or_b64 exec, exec, s[4:5]
	s_and_b64 s[4:5], s[36:37], exec
.LBB147_291:                            ;   in Loop: Header=BB147_12 Depth=1
	s_or_b64 exec, exec, s[12:13]
.LBB147_292:                            ;   in Loop: Header=BB147_12 Depth=1
	s_and_b64 vcc, exec, s[10:11]
	s_cbranch_vccz .LBB147_306
; %bb.293:                              ;   in Loop: Header=BB147_12 Depth=1
	s_mov_b32 s56, s85
	s_cmp_lg_u64 s[56:57], 0
	s_cbranch_scc0 .LBB147_334
; %bb.294:                              ;   in Loop: Header=BB147_12 Depth=1
	v_cvt_f32_u32_e32 v2, s95
	s_sub_u32 s10, 0, s95
	s_subb_u32 s11, 0, 0
	v_mac_f32_e32 v2, 0, v33
	v_rcp_f32_e32 v2, v2
	v_mul_f32_e32 v2, 0x5f7ffffc, v2
	v_mul_f32_e32 v3, 0x2f800000, v2
	v_trunc_f32_e32 v3, v3
	v_mac_f32_e32 v2, 0xcf800000, v3
	v_cvt_u32_f32_e32 v3, v3
	v_cvt_u32_f32_e32 v2, v2
	v_readfirstlane_b32 s12, v3
	v_readfirstlane_b32 s8, v2
	s_mul_i32 s9, s10, s12
	s_mul_hi_u32 s14, s10, s8
	s_mul_i32 s13, s11, s8
	s_add_i32 s9, s14, s9
	s_mul_i32 s15, s10, s8
	s_add_i32 s9, s9, s13
	s_mul_hi_u32 s14, s8, s15
	s_mul_i32 s18, s8, s9
	s_mul_hi_u32 s13, s8, s9
	s_add_u32 s14, s14, s18
	s_addc_u32 s13, 0, s13
	s_mul_hi_u32 s19, s12, s15
	s_mul_i32 s15, s12, s15
	s_add_u32 s14, s14, s15
	s_mul_hi_u32 s18, s12, s9
	s_addc_u32 s13, s13, s19
	s_addc_u32 s14, s18, 0
	s_mul_i32 s9, s12, s9
	s_add_u32 s9, s13, s9
	s_addc_u32 s13, 0, s14
	s_add_u32 s14, s8, s9
	s_cselect_b64 s[8:9], -1, 0
	s_cmp_lg_u64 s[8:9], 0
	s_addc_u32 s12, s12, s13
	s_mul_i32 s8, s10, s12
	s_mul_hi_u32 s9, s10, s14
	s_add_i32 s8, s9, s8
	s_mul_i32 s11, s11, s14
	s_add_i32 s8, s8, s11
	s_mul_i32 s10, s10, s14
	s_mul_hi_u32 s11, s12, s10
	s_mul_i32 s13, s12, s10
	s_mul_i32 s18, s14, s8
	s_mul_hi_u32 s10, s14, s10
	s_mul_hi_u32 s15, s14, s8
	s_add_u32 s10, s10, s18
	s_addc_u32 s15, 0, s15
	s_add_u32 s10, s10, s13
	s_mul_hi_u32 s9, s12, s8
	s_addc_u32 s10, s15, s11
	s_addc_u32 s9, s9, 0
	s_mul_i32 s8, s12, s8
	s_add_u32 s8, s10, s8
	s_addc_u32 s10, 0, s9
	s_add_u32 s11, s14, s8
	s_cselect_b64 s[8:9], -1, 0
	s_cmp_lg_u64 s[8:9], 0
	s_addc_u32 s8, s12, s10
	v_readlane_b32 s14, v48, 39
	s_mul_i32 s10, s14, s8
	s_mul_hi_u32 s12, s14, s11
	s_mul_hi_u32 s9, s14, s8
	s_add_u32 s10, s12, s10
	s_addc_u32 s9, 0, s9
	s_mul_hi_u32 s13, s57, s11
	s_mul_i32 s11, s57, s11
	s_add_u32 s10, s10, s11
	s_mul_hi_u32 s12, s57, s8
	s_addc_u32 s9, s9, s13
	s_addc_u32 s10, s12, 0
	s_mul_i32 s8, s57, s8
	s_add_u32 s8, s9, s8
	s_addc_u32 s9, 0, s10
	s_mul_i32 s9, s95, s9
	s_mul_hi_u32 s10, s95, s8
	s_add_i32 s10, s10, s9
	s_mul_i32 s8, s95, s8
	s_sub_u32 s11, s14, s8
	s_cselect_b64 s[8:9], -1, 0
	s_cmp_lg_u64 s[8:9], 0
	s_subb_u32 s10, s57, s10
	s_sub_u32 s12, s11, s95
	s_cselect_b64 s[8:9], -1, 0
	s_cmp_lg_u64 s[8:9], 0
	s_subb_u32 s13, s10, 0
	;; [unrolled: 4-line block ×3, first 2 shown]
	s_cmp_ge_u32 s12, s95
	s_cselect_b32 s9, -1, 0
	s_cmp_eq_u32 s13, 0
	s_cselect_b32 s9, s9, -1
	s_cmp_lg_u32 s9, 0
	s_cselect_b32 s8, s8, s13
	s_cselect_b32 s12, s14, s12
	s_cmp_ge_u32 s11, s95
	s_cselect_b32 s9, -1, 0
	s_cmp_eq_u32 s10, 0
	s_cselect_b32 s9, s9, -1
	s_cmp_lg_u32 s9, 0
	s_cselect_b32 s9, s8, s10
	s_cselect_b32 s8, s12, s11
	s_cbranch_execnz .LBB147_296
.LBB147_295:                            ;   in Loop: Header=BB147_12 Depth=1
	v_cvt_f32_u32_e32 v2, s95
	s_sub_i32 s8, 0, s95
	v_readlane_b32 s10, v48, 39
	v_rcp_iflag_f32_e32 v2, v2
	v_mul_f32_e32 v2, 0x4f7ffffe, v2
	v_cvt_u32_f32_e32 v2, v2
	v_readfirstlane_b32 s9, v2
	s_mul_i32 s8, s8, s9
	s_mul_hi_u32 s8, s9, s8
	s_add_i32 s9, s9, s8
	s_mul_hi_u32 s8, s10, s9
	s_mul_i32 s8, s8, s95
	s_sub_i32 s8, s10, s8
	s_sub_i32 s9, s8, s95
	s_cmp_ge_u32 s8, s95
	s_cselect_b32 s8, s9, s8
	s_sub_i32 s9, s8, s95
	s_cmp_ge_u32 s8, s95
	s_mov_b32 s10, s84
	s_cselect_b32 s84, s9, s8
	s_mov_b64 s[8:9], s[84:85]
	s_mov_b32 s84, s10
.LBB147_296:                            ;   in Loop: Header=BB147_12 Depth=1
	v_readlane_b32 s10, v48, 39
	s_sub_u32 s10, s10, s8
	s_subb_u32 s11, s57, s9
	v_cmp_gt_u64_e32 vcc, s[10:11], v[0:1]
                                        ; implicit-def: $vgpr18
	s_and_saveexec_b64 s[8:9], vcc
	s_cbranch_execz .LBB147_305
; %bb.297:                              ;   in Loop: Header=BB147_12 Depth=1
	v_mov_b32_e32 v3, v1
	s_mov_b64 s[12:13], 0
	v_mov_b32_e32 v2, v0
                                        ; implicit-def: $sgpr14_sgpr15
	s_branch .LBB147_300
.LBB147_298:                            ;   in Loop: Header=BB147_300 Depth=2
	s_or_b64 exec, exec, s[18:19]
	s_waitcnt lgkmcnt(0)
	s_barrier
	ds_read_b64 v[17:18], v13 offset:3072
	s_mov_b64 s[18:19], -1
	s_mov_b64 s[34:35], -1
	s_waitcnt lgkmcnt(0)
	s_barrier
	v_cmp_ne_u32_e32 vcc, 0, v17
	s_cbranch_vccz .LBB147_303
.LBB147_299:                            ;   in Loop: Header=BB147_300 Depth=2
	s_and_b64 s[18:19], exec, s[18:19]
	s_or_b64 s[12:13], s[18:19], s[12:13]
	s_andn2_b64 s[14:15], s[14:15], exec
	s_and_b64 s[18:19], s[34:35], exec
	s_or_b64 s[14:15], s[14:15], s[18:19]
	s_andn2_b64 exec, exec, s[12:13]
	s_cbranch_execz .LBB147_304
.LBB147_300:                            ;   Parent Loop BB147_12 Depth=1
                                        ; =>  This Inner Loop Header: Depth=2
	v_cmp_gt_u64_e32 vcc, s[60:61], v[2:3]
	s_and_saveexec_b64 s[18:19], vcc
	s_cbranch_execz .LBB147_298
; %bb.301:                              ;   in Loop: Header=BB147_300 Depth=2
	v_mul_lo_u32 v6, v3, s58
	v_mul_lo_u32 v7, v2, s59
	v_mad_u64_u32 v[4:5], s[34:35], v2, s58, 0
	v_add3_u32 v5, v5, v7, v6
	v_lshlrev_b64 v[4:5], 2, v[4:5]
	v_mov_b32_e32 v6, s94
	v_add_co_u32_e32 v4, vcc, s33, v4
	v_addc_co_u32_e32 v5, vcc, v6, v5, vcc
	global_load_dword v17, v[4:5], off
	s_waitcnt vmcnt(0)
	v_xor_b32_e32 v4, 0x80000000, v17
	v_and_b32_e32 v4, v4, v35
	v_cmp_eq_u32_e32 vcc, v4, v30
	s_and_b64 exec, exec, vcc
	s_cbranch_execz .LBB147_298
; %bb.302:                              ;   in Loop: Header=BB147_300 Depth=2
	ds_write_b64 v13, v[16:17] offset:3072
	s_branch .LBB147_298
.LBB147_303:                            ;   in Loop: Header=BB147_300 Depth=2
	v_add_co_u32_e32 v2, vcc, s95, v2
	v_addc_co_u32_e32 v3, vcc, 0, v3, vcc
	v_cmp_le_u64_e32 vcc, s[10:11], v[2:3]
	s_mov_b64 s[34:35], 0
	s_orn2_b64 s[18:19], vcc, exec
	s_branch .LBB147_299
.LBB147_304:                            ;   in Loop: Header=BB147_12 Depth=1
	s_or_b64 exec, exec, s[12:13]
	s_andn2_b64 s[4:5], s[4:5], exec
	s_and_b64 s[10:11], s[14:15], exec
	s_or_b64 s[4:5], s[4:5], s[10:11]
.LBB147_305:                            ;   in Loop: Header=BB147_12 Depth=1
	s_or_b64 exec, exec, s[8:9]
	s_mov_b64 s[18:19], 0
	s_mov_b64 s[14:15], -1
.LBB147_306:                            ;   in Loop: Header=BB147_12 Depth=1
	s_orn2_b64 s[4:5], s[4:5], exec
.LBB147_307:                            ;   in Loop: Header=BB147_12 Depth=1
	s_or_b64 exec, exec, s[30:31]
                                        ; implicit-def: $vgpr2_vgpr3
                                        ; implicit-def: $vgpr8
	s_and_saveexec_b64 s[34:35], s[4:5]
	s_cbranch_execz .LBB147_465
; %bb.308:                              ;   in Loop: Header=BB147_12 Depth=1
	v_mov_b32_e32 v2, 1
	s_xor_b64 s[8:9], s[6:7], -1
	v_mov_b32_e32 v8, 1
	v_mov_b32_e32 v3, 0
	s_mov_b64 s[6:7], 0
	s_and_saveexec_b64 s[4:5], s[8:9]
	s_cbranch_execz .LBB147_317
; %bb.309:                              ;   in Loop: Header=BB147_12 Depth=1
	v_cmp_ge_u64_e32 vcc, s[24:25], v[19:20]
	s_and_saveexec_b64 s[6:7], vcc
	s_xor_b64 s[6:7], exec, s[6:7]
	s_cbranch_execz .LBB147_314
; %bb.310:                              ;   in Loop: Header=BB147_12 Depth=1
	ds_read_b64 v[2:3], v13 offset:5120
	v_or_b32_e32 v30, s93, v30
	v_or_b32_e32 v35, s93, v35
	s_waitcnt lgkmcnt(0)
	v_cmp_ne_u64_e32 vcc, 0, v[2:3]
	s_cbranch_vccnz .LBB147_314
; %bb.311:                              ;   in Loop: Header=BB147_12 Depth=1
	s_mov_b64 s[8:9], exec
	v_readlane_b32 s10, v48, 12
	v_readlane_b32 s11, v48, 13
	s_and_b64 s[10:11], s[8:9], s[10:11]
	s_mov_b64 exec, s[10:11]
; %bb.312:                              ;   in Loop: Header=BB147_12 Depth=1
	v_mov_b32_e32 v2, s24
	v_mov_b32_e32 v3, s25
	ds_write_b64 v13, v[2:3] offset:5128
; %bb.313:                              ;   in Loop: Header=BB147_12 Depth=1
	s_or_b64 exec, exec, s[8:9]
	s_waitcnt lgkmcnt(0)
	s_barrier
.LBB147_314:                            ;   in Loop: Header=BB147_12 Depth=1
	s_or_saveexec_b64 s[6:7], s[6:7]
	s_mov_b64 s[8:9], 0
	v_mov_b32_e32 v8, 5
	s_xor_b64 exec, exec, s[6:7]
; %bb.315:                              ;   in Loop: Header=BB147_12 Depth=1
	v_mov_b32_e32 v2, s25
	v_subrev_co_u32_e32 v19, vcc, s24, v19
	s_mov_b64 s[8:9], exec
	v_subb_co_u32_e32 v20, vcc, v20, v2, vcc
	v_mov_b32_e32 v8, 0
; %bb.316:                              ;   in Loop: Header=BB147_12 Depth=1
	s_or_b64 exec, exec, s[6:7]
	v_mov_b32_e32 v2, v19
	s_and_b64 s[6:7], s[8:9], exec
	v_mov_b32_e32 v3, v20
.LBB147_317:                            ;   in Loop: Header=BB147_12 Depth=1
	s_or_b64 exec, exec, s[4:5]
	s_mov_b64 s[4:5], -1
                                        ; implicit-def: $sgpr24_sgpr25
                                        ; implicit-def: $sgpr36_sgpr37
	s_and_saveexec_b64 s[8:9], s[6:7]
	s_xor_b64 s[6:7], exec, s[8:9]
	s_cbranch_execz .LBB147_462
; %bb.318:                              ;   in Loop: Header=BB147_12 Depth=1
	s_cmp_eq_u64 s[22:23], 1
	v_cmp_eq_u64_e32 vcc, 1, v[2:3]
	s_cselect_b64 s[4:5], -1, 0
	s_and_b64 s[30:31], s[4:5], vcc
	s_mov_b64 s[4:5], -1
                                        ; implicit-def: $sgpr36_sgpr37
                                        ; implicit-def: $sgpr24_sgpr25
	s_and_saveexec_b64 s[38:39], s[30:31]
	s_cbranch_execz .LBB147_352
; %bb.319:                              ;   in Loop: Header=BB147_12 Depth=1
	ds_read_b64 v[4:5], v13 offset:5120
	s_waitcnt lgkmcnt(0)
	s_barrier
	v_readfirstlane_b32 s8, v4
	v_readfirstlane_b32 s9, v5
	s_mov_b64 s[4:5], exec
	v_readlane_b32 s10, v48, 34
	v_readlane_b32 s11, v48, 35
	s_and_b64 s[10:11], s[4:5], s[10:11]
	s_mov_b64 exec, s[10:11]
; %bb.320:                              ;   in Loop: Header=BB147_12 Depth=1
	ds_write_b32 v28, v13
; %bb.321:                              ;   in Loop: Header=BB147_12 Depth=1
	s_or_b64 exec, exec, s[4:5]
	v_and_b32_e32 v4, s84, v30
	v_lshl_or_b32 v30, 2, s92, v4
	v_or_b32_e32 v35, s93, v35
	s_mov_b64 s[24:25], -1
	s_mov_b64 s[36:37], 0
	s_cmp_eq_u64 s[8:9], 0
	s_mov_b64 s[4:5], 0
	s_mov_b64 s[10:11], -1
	s_waitcnt lgkmcnt(0)
	s_barrier
                                        ; implicit-def: $vgpr18
	s_cbranch_scc1 .LBB147_337
; %bb.322:                              ;   in Loop: Header=BB147_12 Depth=1
	v_readlane_b32 s4, v48, 38
	s_add_u32 s40, s8, s4
	v_readlane_b32 s4, v48, 40
	s_addc_u32 s5, s9, s4
	s_mov_b32 s4, s85
	s_cmp_lg_u64 s[4:5], 0
	s_cbranch_scc0 .LBB147_378
; %bb.323:                              ;   in Loop: Header=BB147_12 Depth=1
	v_cvt_f32_u32_e32 v4, s95
	s_sub_u32 s4, 0, s95
	s_subb_u32 s12, 0, 0
	v_mac_f32_e32 v4, 0, v33
	v_rcp_f32_e32 v4, v4
	v_mul_f32_e32 v4, 0x5f7ffffc, v4
	v_mul_f32_e32 v5, 0x2f800000, v4
	v_trunc_f32_e32 v5, v5
	v_mac_f32_e32 v4, 0xcf800000, v5
	v_cvt_u32_f32_e32 v5, v5
	v_cvt_u32_f32_e32 v4, v4
	v_readfirstlane_b32 s13, v5
	v_readfirstlane_b32 s10, v4
	s_mul_i32 s11, s4, s13
	s_mul_hi_u32 s42, s4, s10
	s_mul_i32 s41, s12, s10
	s_add_i32 s11, s42, s11
	s_mul_i32 s43, s4, s10
	s_add_i32 s11, s11, s41
	s_mul_hi_u32 s42, s10, s43
	s_mul_i32 s44, s10, s11
	s_mul_hi_u32 s41, s10, s11
	s_add_u32 s42, s42, s44
	s_addc_u32 s41, 0, s41
	s_mul_hi_u32 s45, s13, s43
	s_mul_i32 s43, s13, s43
	s_add_u32 s42, s42, s43
	s_mul_hi_u32 s44, s13, s11
	s_addc_u32 s41, s41, s45
	s_addc_u32 s42, s44, 0
	s_mul_i32 s11, s13, s11
	s_add_u32 s11, s41, s11
	s_addc_u32 s41, 0, s42
	s_add_u32 s42, s10, s11
	s_cselect_b64 s[10:11], -1, 0
	s_cmp_lg_u64 s[10:11], 0
	s_addc_u32 s13, s13, s41
	s_mul_i32 s10, s4, s13
	s_mul_hi_u32 s11, s4, s42
	s_add_i32 s10, s11, s10
	s_mul_i32 s12, s12, s42
	s_add_i32 s10, s10, s12
	s_mul_i32 s4, s4, s42
	s_mul_hi_u32 s12, s13, s4
	s_mul_i32 s41, s13, s4
	s_mul_i32 s44, s42, s10
	s_mul_hi_u32 s4, s42, s4
	s_mul_hi_u32 s43, s42, s10
	s_add_u32 s4, s4, s44
	s_addc_u32 s43, 0, s43
	s_add_u32 s4, s4, s41
	s_mul_hi_u32 s11, s13, s10
	s_addc_u32 s4, s43, s12
	s_addc_u32 s11, s11, 0
	s_mul_i32 s10, s13, s10
	s_add_u32 s4, s4, s10
	s_addc_u32 s12, 0, s11
	s_add_u32 s4, s42, s4
	s_cselect_b64 s[10:11], -1, 0
	s_cmp_lg_u64 s[10:11], 0
	s_addc_u32 s10, s13, s12
	s_mul_i32 s12, s40, s10
	s_mul_hi_u32 s13, s40, s4
	s_mul_hi_u32 s11, s40, s10
	s_add_u32 s12, s13, s12
	s_addc_u32 s11, 0, s11
	s_mul_hi_u32 s41, s5, s4
	s_mul_i32 s4, s5, s4
	s_add_u32 s4, s12, s4
	s_mul_hi_u32 s13, s5, s10
	s_addc_u32 s4, s11, s41
	s_addc_u32 s11, s13, 0
	s_mul_i32 s10, s5, s10
	s_add_u32 s4, s4, s10
	s_addc_u32 s10, 0, s11
	s_mul_i32 s10, s95, s10
	s_mul_hi_u32 s11, s95, s4
	s_add_i32 s12, s11, s10
	s_mul_i32 s4, s95, s4
	s_sub_u32 s4, s40, s4
	s_cselect_b64 s[10:11], -1, 0
	s_cmp_lg_u64 s[10:11], 0
	s_subb_u32 s12, s5, s12
	s_sub_u32 s13, s4, s95
	s_cselect_b64 s[10:11], -1, 0
	s_cmp_lg_u64 s[10:11], 0
	s_subb_u32 s41, s12, 0
	s_sub_u32 s42, s13, s95
	s_cselect_b64 s[10:11], -1, 0
	s_cmp_lg_u64 s[10:11], 0
	s_subb_u32 s10, s41, 0
	s_cmp_ge_u32 s13, s95
	s_cselect_b32 s11, -1, 0
	s_cmp_eq_u32 s41, 0
	s_cselect_b32 s11, s11, -1
	s_cmp_lg_u32 s11, 0
	s_cselect_b32 s10, s10, s41
	s_cselect_b32 s13, s42, s13
	s_cmp_ge_u32 s4, s95
	s_cselect_b32 s11, -1, 0
	s_cmp_eq_u32 s12, 0
	s_cselect_b32 s11, s11, -1
	s_cmp_lg_u32 s11, 0
	s_cselect_b32 s11, s10, s12
	s_cselect_b32 s10, s13, s4
	s_cbranch_execnz .LBB147_325
.LBB147_324:                            ;   in Loop: Header=BB147_12 Depth=1
	v_cvt_f32_u32_e32 v4, s95
	s_sub_i32 s4, 0, s95
	s_mov_b32 s12, s84
	v_rcp_iflag_f32_e32 v4, v4
	v_mul_f32_e32 v4, 0x4f7ffffe, v4
	v_cvt_u32_f32_e32 v4, v4
	v_readfirstlane_b32 s10, v4
	s_mul_i32 s4, s4, s10
	s_mul_hi_u32 s4, s10, s4
	s_add_i32 s10, s10, s4
	s_mul_hi_u32 s4, s40, s10
	s_mul_i32 s4, s4, s95
	s_sub_i32 s4, s40, s4
	s_sub_i32 s10, s4, s95
	s_cmp_ge_u32 s4, s95
	s_cselect_b32 s4, s10, s4
	s_sub_i32 s10, s4, s95
	s_cmp_ge_u32 s4, s95
	s_cselect_b32 s84, s10, s4
	s_mov_b64 s[10:11], s[84:85]
	s_mov_b32 s84, s12
.LBB147_325:                            ;   in Loop: Header=BB147_12 Depth=1
	s_sub_u32 s40, s40, s10
	s_subb_u32 s41, s5, s11
	v_cmp_gt_u64_e32 vcc, s[40:41], v[0:1]
	s_mov_b64 s[10:11], 0
	s_mov_b64 s[4:5], 0
                                        ; implicit-def: $vgpr18
	s_and_saveexec_b64 s[12:13], vcc
	s_cbranch_execz .LBB147_336
; %bb.326:                              ;   in Loop: Header=BB147_12 Depth=1
	v_mov_b32_e32 v5, v1
	v_mov_b32_e32 v6, v14
	;; [unrolled: 1-line block ×3, first 2 shown]
                                        ; implicit-def: $sgpr42_sgpr43
	s_branch .LBB147_329
.LBB147_327:                            ;   in Loop: Header=BB147_329 Depth=2
	s_or_b64 exec, exec, s[44:45]
	s_waitcnt lgkmcnt(0)
	s_barrier
	ds_read_b64 v[17:18], v13 offset:3072
	s_mov_b64 s[44:45], -1
	s_mov_b64 s[46:47], -1
	s_waitcnt lgkmcnt(0)
	s_barrier
	v_cmp_ne_u32_e32 vcc, 0, v17
	s_cbranch_vccz .LBB147_332
.LBB147_328:                            ;   in Loop: Header=BB147_329 Depth=2
	s_and_b64 s[44:45], exec, s[44:45]
	s_or_b64 s[4:5], s[44:45], s[4:5]
	s_andn2_b64 s[42:43], s[42:43], exec
	s_and_b64 s[44:45], s[46:47], exec
	s_or_b64 s[42:43], s[42:43], s[44:45]
	s_andn2_b64 exec, exec, s[4:5]
	s_cbranch_execz .LBB147_335
.LBB147_329:                            ;   Parent Loop BB147_12 Depth=1
                                        ; =>  This Inner Loop Header: Depth=2
	v_cmp_gt_u64_e32 vcc, s[8:9], v[4:5]
	s_and_saveexec_b64 s[44:45], vcc
	s_cbranch_execz .LBB147_327
; %bb.330:                              ;   in Loop: Header=BB147_329 Depth=2
	ds_read_b32 v17, v6
	s_waitcnt lgkmcnt(0)
	v_xor_b32_e32 v7, 0x80000000, v17
	v_and_b32_e32 v7, v7, v35
	v_cmp_eq_u32_e32 vcc, v7, v30
	s_and_b64 exec, exec, vcc
	s_cbranch_execz .LBB147_327
; %bb.331:                              ;   in Loop: Header=BB147_329 Depth=2
	ds_write_b64 v13, v[16:17] offset:3072
	s_branch .LBB147_327
.LBB147_332:                            ;   in Loop: Header=BB147_329 Depth=2
	v_add_co_u32_e32 v4, vcc, s95, v4
	v_addc_co_u32_e32 v5, vcc, 0, v5, vcc
	v_cmp_le_u64_e32 vcc, s[40:41], v[4:5]
	v_add_u32_e32 v6, s1, v6
	s_mov_b64 s[46:47], 0
	s_orn2_b64 s[44:45], vcc, exec
	s_branch .LBB147_328
.LBB147_333:                            ;   in Loop: Header=BB147_12 Depth=1
                                        ; implicit-def: $sgpr10_sgpr11
	s_branch .LBB147_280
.LBB147_334:                            ;   in Loop: Header=BB147_12 Depth=1
                                        ; implicit-def: $sgpr8_sgpr9
	s_branch .LBB147_295
.LBB147_335:                            ;   in Loop: Header=BB147_12 Depth=1
	s_or_b64 exec, exec, s[4:5]
	s_and_b64 s[4:5], s[42:43], exec
.LBB147_336:                            ;   in Loop: Header=BB147_12 Depth=1
	s_or_b64 exec, exec, s[12:13]
.LBB147_337:                            ;   in Loop: Header=BB147_12 Depth=1
	s_and_b64 vcc, exec, s[10:11]
	s_cbranch_vccz .LBB147_351
; %bb.338:                              ;   in Loop: Header=BB147_12 Depth=1
	s_mov_b32 s56, s85
	s_cmp_lg_u64 s[56:57], 0
	s_cbranch_scc0 .LBB147_379
; %bb.339:                              ;   in Loop: Header=BB147_12 Depth=1
	v_cvt_f32_u32_e32 v4, s95
	s_sub_u32 s10, 0, s95
	s_subb_u32 s11, 0, 0
	v_mac_f32_e32 v4, 0, v33
	v_rcp_f32_e32 v4, v4
	v_mul_f32_e32 v4, 0x5f7ffffc, v4
	v_mul_f32_e32 v5, 0x2f800000, v4
	v_trunc_f32_e32 v5, v5
	v_mac_f32_e32 v4, 0xcf800000, v5
	v_cvt_u32_f32_e32 v5, v5
	v_cvt_u32_f32_e32 v4, v4
	v_readfirstlane_b32 s12, v5
	v_readfirstlane_b32 s8, v4
	s_mul_i32 s9, s10, s12
	s_mul_hi_u32 s24, s10, s8
	s_mul_i32 s13, s11, s8
	s_add_i32 s9, s24, s9
	s_mul_i32 s25, s10, s8
	s_add_i32 s9, s9, s13
	s_mul_hi_u32 s24, s8, s25
	s_mul_i32 s36, s8, s9
	s_mul_hi_u32 s13, s8, s9
	s_add_u32 s24, s24, s36
	s_addc_u32 s13, 0, s13
	s_mul_hi_u32 s37, s12, s25
	s_mul_i32 s25, s12, s25
	s_add_u32 s24, s24, s25
	s_mul_hi_u32 s36, s12, s9
	s_addc_u32 s13, s13, s37
	s_addc_u32 s24, s36, 0
	s_mul_i32 s9, s12, s9
	s_add_u32 s9, s13, s9
	s_addc_u32 s13, 0, s24
	s_add_u32 s24, s8, s9
	s_cselect_b64 s[8:9], -1, 0
	s_cmp_lg_u64 s[8:9], 0
	s_addc_u32 s12, s12, s13
	s_mul_i32 s8, s10, s12
	s_mul_hi_u32 s9, s10, s24
	s_add_i32 s8, s9, s8
	s_mul_i32 s11, s11, s24
	s_add_i32 s8, s8, s11
	s_mul_i32 s10, s10, s24
	s_mul_hi_u32 s11, s12, s10
	s_mul_i32 s13, s12, s10
	s_mul_i32 s36, s24, s8
	s_mul_hi_u32 s10, s24, s10
	s_mul_hi_u32 s25, s24, s8
	s_add_u32 s10, s10, s36
	s_addc_u32 s25, 0, s25
	s_add_u32 s10, s10, s13
	s_mul_hi_u32 s9, s12, s8
	s_addc_u32 s10, s25, s11
	s_addc_u32 s9, s9, 0
	s_mul_i32 s8, s12, s8
	s_add_u32 s8, s10, s8
	s_addc_u32 s10, 0, s9
	s_add_u32 s11, s24, s8
	s_cselect_b64 s[8:9], -1, 0
	s_cmp_lg_u64 s[8:9], 0
	s_addc_u32 s8, s12, s10
	v_readlane_b32 s24, v48, 39
	s_mul_i32 s10, s24, s8
	s_mul_hi_u32 s12, s24, s11
	s_mul_hi_u32 s9, s24, s8
	s_add_u32 s10, s12, s10
	s_addc_u32 s9, 0, s9
	s_mul_hi_u32 s13, s57, s11
	s_mul_i32 s11, s57, s11
	s_add_u32 s10, s10, s11
	s_mul_hi_u32 s12, s57, s8
	s_addc_u32 s9, s9, s13
	s_addc_u32 s10, s12, 0
	s_mul_i32 s8, s57, s8
	s_add_u32 s8, s9, s8
	s_addc_u32 s9, 0, s10
	s_mul_i32 s9, s95, s9
	s_mul_hi_u32 s10, s95, s8
	s_add_i32 s10, s10, s9
	s_mul_i32 s8, s95, s8
	s_sub_u32 s11, s24, s8
	s_cselect_b64 s[8:9], -1, 0
	s_cmp_lg_u64 s[8:9], 0
	s_subb_u32 s10, s57, s10
	s_sub_u32 s12, s11, s95
	s_cselect_b64 s[8:9], -1, 0
	s_cmp_lg_u64 s[8:9], 0
	s_subb_u32 s13, s10, 0
	s_sub_u32 s24, s12, s95
	s_cselect_b64 s[8:9], -1, 0
	s_cmp_lg_u64 s[8:9], 0
	s_subb_u32 s8, s13, 0
	s_cmp_ge_u32 s12, s95
	s_cselect_b32 s9, -1, 0
	s_cmp_eq_u32 s13, 0
	s_cselect_b32 s9, s9, -1
	s_cmp_lg_u32 s9, 0
	s_cselect_b32 s8, s8, s13
	s_cselect_b32 s12, s24, s12
	s_cmp_ge_u32 s11, s95
	s_cselect_b32 s9, -1, 0
	s_cmp_eq_u32 s10, 0
	s_cselect_b32 s9, s9, -1
	s_cmp_lg_u32 s9, 0
	s_cselect_b32 s9, s8, s10
	s_cselect_b32 s8, s12, s11
	s_cbranch_execnz .LBB147_341
.LBB147_340:                            ;   in Loop: Header=BB147_12 Depth=1
	v_cvt_f32_u32_e32 v4, s95
	s_sub_i32 s8, 0, s95
	v_readlane_b32 s10, v48, 39
	v_rcp_iflag_f32_e32 v4, v4
	v_mul_f32_e32 v4, 0x4f7ffffe, v4
	v_cvt_u32_f32_e32 v4, v4
	v_readfirstlane_b32 s9, v4
	s_mul_i32 s8, s8, s9
	s_mul_hi_u32 s8, s9, s8
	s_add_i32 s9, s9, s8
	s_mul_hi_u32 s8, s10, s9
	s_mul_i32 s8, s8, s95
	s_sub_i32 s8, s10, s8
	s_sub_i32 s9, s8, s95
	s_cmp_ge_u32 s8, s95
	s_cselect_b32 s8, s9, s8
	s_sub_i32 s9, s8, s95
	s_cmp_ge_u32 s8, s95
	s_mov_b32 s10, s84
	s_cselect_b32 s84, s9, s8
	s_mov_b64 s[8:9], s[84:85]
	s_mov_b32 s84, s10
.LBB147_341:                            ;   in Loop: Header=BB147_12 Depth=1
	v_readlane_b32 s10, v48, 39
	s_sub_u32 s10, s10, s8
	s_subb_u32 s11, s57, s9
	v_cmp_gt_u64_e32 vcc, s[10:11], v[0:1]
                                        ; implicit-def: $vgpr18
	s_and_saveexec_b64 s[8:9], vcc
	s_cbranch_execz .LBB147_350
; %bb.342:                              ;   in Loop: Header=BB147_12 Depth=1
	v_mov_b32_e32 v5, v1
	s_mov_b64 s[12:13], 0
	v_mov_b32_e32 v4, v0
                                        ; implicit-def: $sgpr24_sgpr25
	s_branch .LBB147_345
.LBB147_343:                            ;   in Loop: Header=BB147_345 Depth=2
	s_or_b64 exec, exec, s[36:37]
	s_waitcnt lgkmcnt(0)
	s_barrier
	ds_read_b64 v[17:18], v13 offset:3072
	s_mov_b64 s[36:37], -1
	s_mov_b64 s[40:41], -1
	s_waitcnt lgkmcnt(0)
	s_barrier
	v_cmp_eq_u32_e32 vcc, 0, v17
	s_cbranch_vccnz .LBB147_348
.LBB147_344:                            ;   in Loop: Header=BB147_345 Depth=2
	s_and_b64 s[36:37], exec, s[36:37]
	s_or_b64 s[12:13], s[36:37], s[12:13]
	s_andn2_b64 s[24:25], s[24:25], exec
	s_and_b64 s[36:37], s[40:41], exec
	s_or_b64 s[24:25], s[24:25], s[36:37]
	s_andn2_b64 exec, exec, s[12:13]
	s_cbranch_execz .LBB147_349
.LBB147_345:                            ;   Parent Loop BB147_12 Depth=1
                                        ; =>  This Inner Loop Header: Depth=2
	v_cmp_gt_u64_e32 vcc, s[60:61], v[4:5]
	s_and_saveexec_b64 s[36:37], vcc
	s_cbranch_execz .LBB147_343
; %bb.346:                              ;   in Loop: Header=BB147_345 Depth=2
	v_mul_lo_u32 v9, v5, s58
	v_mul_lo_u32 v12, v4, s59
	v_mad_u64_u32 v[6:7], s[40:41], v4, s58, 0
	v_add3_u32 v7, v7, v12, v9
	v_lshlrev_b64 v[6:7], 2, v[6:7]
	v_mov_b32_e32 v9, s94
	v_add_co_u32_e32 v6, vcc, s33, v6
	v_addc_co_u32_e32 v7, vcc, v9, v7, vcc
	global_load_dword v17, v[6:7], off
	s_waitcnt vmcnt(0)
	v_xor_b32_e32 v6, 0x80000000, v17
	v_and_b32_e32 v6, v6, v35
	v_cmp_eq_u32_e32 vcc, v6, v30
	s_and_b64 exec, exec, vcc
	s_cbranch_execz .LBB147_343
; %bb.347:                              ;   in Loop: Header=BB147_345 Depth=2
	ds_write_b64 v13, v[16:17] offset:3072
	s_branch .LBB147_343
.LBB147_348:                            ;   in Loop: Header=BB147_345 Depth=2
	v_add_co_u32_e32 v4, vcc, s95, v4
	v_addc_co_u32_e32 v5, vcc, 0, v5, vcc
	v_cmp_le_u64_e32 vcc, s[10:11], v[4:5]
	s_mov_b64 s[40:41], 0
	s_orn2_b64 s[36:37], vcc, exec
	s_branch .LBB147_344
.LBB147_349:                            ;   in Loop: Header=BB147_12 Depth=1
	s_or_b64 exec, exec, s[12:13]
	s_andn2_b64 s[4:5], s[4:5], exec
	s_and_b64 s[10:11], s[24:25], exec
	s_or_b64 s[4:5], s[4:5], s[10:11]
.LBB147_350:                            ;   in Loop: Header=BB147_12 Depth=1
	s_or_b64 exec, exec, s[8:9]
	s_mov_b64 s[24:25], 0
	s_mov_b64 s[36:37], -1
.LBB147_351:                            ;   in Loop: Header=BB147_12 Depth=1
	s_orn2_b64 s[4:5], s[4:5], exec
.LBB147_352:                            ;   in Loop: Header=BB147_12 Depth=1
	s_or_b64 exec, exec, s[38:39]
	s_mov_b64 s[8:9], 0
	s_and_saveexec_b64 s[38:39], s[4:5]
	s_cbranch_execz .LBB147_461
; %bb.353:                              ;   in Loop: Header=BB147_12 Depth=1
	v_mov_b32_e32 v4, 1
	s_xor_b64 s[10:11], s[30:31], -1
	v_mov_b32_e32 v8, 1
	v_mov_b32_e32 v5, 0
	s_and_saveexec_b64 s[4:5], s[10:11]
	s_cbranch_execz .LBB147_362
; %bb.354:                              ;   in Loop: Header=BB147_12 Depth=1
	v_cmp_ge_u64_e32 vcc, s[22:23], v[2:3]
	s_and_saveexec_b64 s[8:9], vcc
	s_xor_b64 s[8:9], exec, s[8:9]
	s_cbranch_execz .LBB147_359
; %bb.355:                              ;   in Loop: Header=BB147_12 Depth=1
	ds_read_b64 v[4:5], v13 offset:5120
	v_and_b32_e32 v6, s84, v30
	v_lshl_or_b32 v30, 2, s92, v6
	v_or_b32_e32 v35, s93, v35
	s_waitcnt lgkmcnt(0)
	v_cmp_ne_u64_e32 vcc, 0, v[4:5]
	s_cbranch_vccnz .LBB147_359
; %bb.356:                              ;   in Loop: Header=BB147_12 Depth=1
	s_mov_b64 s[10:11], exec
	v_readlane_b32 s12, v48, 12
	v_readlane_b32 s13, v48, 13
	s_and_b64 s[12:13], s[10:11], s[12:13]
	s_mov_b64 exec, s[12:13]
; %bb.357:                              ;   in Loop: Header=BB147_12 Depth=1
	v_mov_b32_e32 v4, s22
	v_mov_b32_e32 v5, s23
	ds_write_b64 v13, v[4:5] offset:5128
; %bb.358:                              ;   in Loop: Header=BB147_12 Depth=1
	s_or_b64 exec, exec, s[10:11]
	s_waitcnt lgkmcnt(0)
	s_barrier
.LBB147_359:                            ;   in Loop: Header=BB147_12 Depth=1
	s_or_saveexec_b64 s[8:9], s[8:9]
	s_mov_b64 s[10:11], 0
	v_mov_b32_e32 v8, 5
	s_xor_b64 exec, exec, s[8:9]
; %bb.360:                              ;   in Loop: Header=BB147_12 Depth=1
	v_mov_b32_e32 v4, s23
	v_subrev_co_u32_e32 v2, vcc, s22, v2
	s_mov_b64 s[10:11], exec
	v_subb_co_u32_e32 v3, vcc, v3, v4, vcc
	v_mov_b32_e32 v8, 0
; %bb.361:                              ;   in Loop: Header=BB147_12 Depth=1
	s_or_b64 exec, exec, s[8:9]
	v_mov_b32_e32 v5, v3
	s_and_b64 s[8:9], s[10:11], exec
	v_mov_b32_e32 v4, v2
.LBB147_362:                            ;   in Loop: Header=BB147_12 Depth=1
	s_or_b64 exec, exec, s[4:5]
	s_mov_b64 s[4:5], -1
                                        ; implicit-def: $sgpr40_sgpr41
                                        ; implicit-def: $sgpr42_sgpr43
	s_and_saveexec_b64 s[22:23], s[8:9]
	s_cbranch_execz .LBB147_460
; %bb.363:                              ;   in Loop: Header=BB147_12 Depth=1
	s_cmp_eq_u64 s[20:21], 1
	v_cmp_eq_u64_e32 vcc, 1, v[4:5]
	s_cselect_b64 s[4:5], -1, 0
	s_and_b64 s[44:45], s[4:5], vcc
	s_mov_b64 s[4:5], -1
                                        ; implicit-def: $sgpr42_sgpr43
                                        ; implicit-def: $sgpr40_sgpr41
	s_and_saveexec_b64 s[30:31], s[44:45]
	s_cbranch_execz .LBB147_397
; %bb.364:                              ;   in Loop: Header=BB147_12 Depth=1
	ds_read_b64 v[2:3], v13 offset:5120
	s_waitcnt lgkmcnt(0)
	s_barrier
	v_readfirstlane_b32 s8, v2
	v_readfirstlane_b32 s9, v3
	s_mov_b64 s[4:5], exec
	v_readlane_b32 s10, v48, 34
	v_readlane_b32 s11, v48, 35
	s_and_b64 s[10:11], s[4:5], s[10:11]
	s_mov_b64 exec, s[10:11]
; %bb.365:                              ;   in Loop: Header=BB147_12 Depth=1
	ds_write_b32 v28, v13
; %bb.366:                              ;   in Loop: Header=BB147_12 Depth=1
	s_or_b64 exec, exec, s[4:5]
	v_and_b32_e32 v2, s84, v30
	v_lshl_or_b32 v30, 1, s92, v2
	v_or_b32_e32 v35, s93, v35
	s_mov_b64 s[40:41], -1
	s_mov_b64 s[42:43], 0
	s_cmp_eq_u64 s[8:9], 0
	s_mov_b64 s[4:5], 0
	s_mov_b64 s[10:11], -1
	s_waitcnt lgkmcnt(0)
	s_barrier
                                        ; implicit-def: $vgpr18
	s_cbranch_scc1 .LBB147_382
; %bb.367:                              ;   in Loop: Header=BB147_12 Depth=1
	v_readlane_b32 s4, v48, 38
	s_add_u32 s46, s8, s4
	v_readlane_b32 s4, v48, 40
	s_addc_u32 s5, s9, s4
	s_mov_b32 s4, s85
	s_cmp_lg_u64 s[4:5], 0
	s_cbranch_scc0 .LBB147_414
; %bb.368:                              ;   in Loop: Header=BB147_12 Depth=1
	v_cvt_f32_u32_e32 v2, s95
	s_sub_u32 s4, 0, s95
	s_subb_u32 s12, 0, 0
	v_mac_f32_e32 v2, 0, v33
	v_rcp_f32_e32 v2, v2
	v_mul_f32_e32 v2, 0x5f7ffffc, v2
	v_mul_f32_e32 v3, 0x2f800000, v2
	v_trunc_f32_e32 v3, v3
	v_mac_f32_e32 v2, 0xcf800000, v3
	v_cvt_u32_f32_e32 v3, v3
	v_cvt_u32_f32_e32 v2, v2
	v_readfirstlane_b32 s13, v3
	v_readfirstlane_b32 s10, v2
	s_mul_i32 s11, s4, s13
	s_mul_hi_u32 s48, s4, s10
	s_mul_i32 s47, s12, s10
	s_add_i32 s11, s48, s11
	s_mul_i32 s49, s4, s10
	s_add_i32 s11, s11, s47
	s_mul_hi_u32 s48, s10, s49
	s_mul_i32 s50, s10, s11
	s_mul_hi_u32 s47, s10, s11
	s_add_u32 s48, s48, s50
	s_addc_u32 s47, 0, s47
	s_mul_hi_u32 s51, s13, s49
	s_mul_i32 s49, s13, s49
	s_add_u32 s48, s48, s49
	s_mul_hi_u32 s50, s13, s11
	s_addc_u32 s47, s47, s51
	s_addc_u32 s48, s50, 0
	s_mul_i32 s11, s13, s11
	s_add_u32 s11, s47, s11
	s_addc_u32 s47, 0, s48
	s_add_u32 s48, s10, s11
	s_cselect_b64 s[10:11], -1, 0
	s_cmp_lg_u64 s[10:11], 0
	s_addc_u32 s13, s13, s47
	s_mul_i32 s10, s4, s13
	s_mul_hi_u32 s11, s4, s48
	s_add_i32 s10, s11, s10
	s_mul_i32 s12, s12, s48
	s_add_i32 s10, s10, s12
	s_mul_i32 s4, s4, s48
	s_mul_hi_u32 s12, s13, s4
	s_mul_i32 s47, s13, s4
	s_mul_i32 s50, s48, s10
	s_mul_hi_u32 s4, s48, s4
	s_mul_hi_u32 s49, s48, s10
	s_add_u32 s4, s4, s50
	s_addc_u32 s49, 0, s49
	s_add_u32 s4, s4, s47
	s_mul_hi_u32 s11, s13, s10
	s_addc_u32 s4, s49, s12
	s_addc_u32 s11, s11, 0
	s_mul_i32 s10, s13, s10
	s_add_u32 s4, s4, s10
	s_addc_u32 s12, 0, s11
	s_add_u32 s4, s48, s4
	s_cselect_b64 s[10:11], -1, 0
	s_cmp_lg_u64 s[10:11], 0
	s_addc_u32 s10, s13, s12
	s_mul_i32 s12, s46, s10
	s_mul_hi_u32 s13, s46, s4
	s_mul_hi_u32 s11, s46, s10
	s_add_u32 s12, s13, s12
	s_addc_u32 s11, 0, s11
	s_mul_hi_u32 s47, s5, s4
	s_mul_i32 s4, s5, s4
	s_add_u32 s4, s12, s4
	s_mul_hi_u32 s13, s5, s10
	s_addc_u32 s4, s11, s47
	s_addc_u32 s11, s13, 0
	s_mul_i32 s10, s5, s10
	s_add_u32 s4, s4, s10
	s_addc_u32 s10, 0, s11
	s_mul_i32 s10, s95, s10
	s_mul_hi_u32 s11, s95, s4
	s_add_i32 s12, s11, s10
	s_mul_i32 s4, s95, s4
	s_sub_u32 s4, s46, s4
	s_cselect_b64 s[10:11], -1, 0
	s_cmp_lg_u64 s[10:11], 0
	s_subb_u32 s12, s5, s12
	s_sub_u32 s13, s4, s95
	s_cselect_b64 s[10:11], -1, 0
	s_cmp_lg_u64 s[10:11], 0
	s_subb_u32 s47, s12, 0
	s_sub_u32 s48, s13, s95
	s_cselect_b64 s[10:11], -1, 0
	s_cmp_lg_u64 s[10:11], 0
	s_subb_u32 s10, s47, 0
	s_cmp_ge_u32 s13, s95
	s_cselect_b32 s11, -1, 0
	s_cmp_eq_u32 s47, 0
	s_cselect_b32 s11, s11, -1
	s_cmp_lg_u32 s11, 0
	s_cselect_b32 s10, s10, s47
	s_cselect_b32 s13, s48, s13
	s_cmp_ge_u32 s4, s95
	s_cselect_b32 s11, -1, 0
	s_cmp_eq_u32 s12, 0
	s_cselect_b32 s11, s11, -1
	s_cmp_lg_u32 s11, 0
	s_cselect_b32 s11, s10, s12
	s_cselect_b32 s10, s13, s4
	s_cbranch_execnz .LBB147_370
.LBB147_369:                            ;   in Loop: Header=BB147_12 Depth=1
	v_cvt_f32_u32_e32 v2, s95
	s_sub_i32 s4, 0, s95
	s_mov_b32 s12, s84
	v_rcp_iflag_f32_e32 v2, v2
	v_mul_f32_e32 v2, 0x4f7ffffe, v2
	v_cvt_u32_f32_e32 v2, v2
	v_readfirstlane_b32 s10, v2
	s_mul_i32 s4, s4, s10
	s_mul_hi_u32 s4, s10, s4
	s_add_i32 s10, s10, s4
	s_mul_hi_u32 s4, s46, s10
	s_mul_i32 s4, s4, s95
	s_sub_i32 s4, s46, s4
	s_sub_i32 s10, s4, s95
	s_cmp_ge_u32 s4, s95
	s_cselect_b32 s4, s10, s4
	s_sub_i32 s10, s4, s95
	s_cmp_ge_u32 s4, s95
	s_cselect_b32 s84, s10, s4
	s_mov_b64 s[10:11], s[84:85]
	s_mov_b32 s84, s12
.LBB147_370:                            ;   in Loop: Header=BB147_12 Depth=1
	s_sub_u32 s46, s46, s10
	s_subb_u32 s47, s5, s11
	v_cmp_gt_u64_e32 vcc, s[46:47], v[0:1]
	s_mov_b64 s[10:11], 0
	s_mov_b64 s[4:5], 0
                                        ; implicit-def: $vgpr18
	s_and_saveexec_b64 s[12:13], vcc
	s_cbranch_execz .LBB147_381
; %bb.371:                              ;   in Loop: Header=BB147_12 Depth=1
	v_mov_b32_e32 v3, v1
	v_mov_b32_e32 v6, v14
	;; [unrolled: 1-line block ×3, first 2 shown]
                                        ; implicit-def: $sgpr48_sgpr49
	s_branch .LBB147_374
.LBB147_372:                            ;   in Loop: Header=BB147_374 Depth=2
	s_or_b64 exec, exec, s[50:51]
	s_waitcnt lgkmcnt(0)
	s_barrier
	ds_read_b64 v[17:18], v13 offset:3072
	s_mov_b64 s[50:51], -1
	s_mov_b64 s[52:53], -1
	s_waitcnt lgkmcnt(0)
	s_barrier
	v_cmp_ne_u32_e32 vcc, 0, v17
	s_cbranch_vccz .LBB147_377
.LBB147_373:                            ;   in Loop: Header=BB147_374 Depth=2
	s_and_b64 s[50:51], exec, s[50:51]
	s_or_b64 s[4:5], s[50:51], s[4:5]
	s_andn2_b64 s[48:49], s[48:49], exec
	s_and_b64 s[50:51], s[52:53], exec
	s_or_b64 s[48:49], s[48:49], s[50:51]
	s_andn2_b64 exec, exec, s[4:5]
	s_cbranch_execz .LBB147_380
.LBB147_374:                            ;   Parent Loop BB147_12 Depth=1
                                        ; =>  This Inner Loop Header: Depth=2
	v_cmp_gt_u64_e32 vcc, s[8:9], v[2:3]
	s_and_saveexec_b64 s[50:51], vcc
	s_cbranch_execz .LBB147_372
; %bb.375:                              ;   in Loop: Header=BB147_374 Depth=2
	ds_read_b32 v17, v6
	s_waitcnt lgkmcnt(0)
	v_xor_b32_e32 v7, 0x80000000, v17
	v_and_b32_e32 v7, v7, v35
	v_cmp_eq_u32_e32 vcc, v7, v30
	s_and_b64 exec, exec, vcc
	s_cbranch_execz .LBB147_372
; %bb.376:                              ;   in Loop: Header=BB147_374 Depth=2
	ds_write_b64 v13, v[16:17] offset:3072
	s_branch .LBB147_372
.LBB147_377:                            ;   in Loop: Header=BB147_374 Depth=2
	v_add_co_u32_e32 v2, vcc, s95, v2
	v_addc_co_u32_e32 v3, vcc, 0, v3, vcc
	v_cmp_le_u64_e32 vcc, s[46:47], v[2:3]
	v_add_u32_e32 v6, s1, v6
	s_mov_b64 s[52:53], 0
	s_orn2_b64 s[50:51], vcc, exec
	s_branch .LBB147_373
.LBB147_378:                            ;   in Loop: Header=BB147_12 Depth=1
                                        ; implicit-def: $sgpr10_sgpr11
	s_branch .LBB147_324
.LBB147_379:                            ;   in Loop: Header=BB147_12 Depth=1
                                        ; implicit-def: $sgpr8_sgpr9
	s_branch .LBB147_340
.LBB147_380:                            ;   in Loop: Header=BB147_12 Depth=1
	s_or_b64 exec, exec, s[4:5]
	s_and_b64 s[4:5], s[48:49], exec
.LBB147_381:                            ;   in Loop: Header=BB147_12 Depth=1
	s_or_b64 exec, exec, s[12:13]
.LBB147_382:                            ;   in Loop: Header=BB147_12 Depth=1
	s_and_b64 vcc, exec, s[10:11]
	s_cbranch_vccz .LBB147_396
; %bb.383:                              ;   in Loop: Header=BB147_12 Depth=1
	s_mov_b32 s56, s85
	s_cmp_lg_u64 s[56:57], 0
	s_cbranch_scc0 .LBB147_415
; %bb.384:                              ;   in Loop: Header=BB147_12 Depth=1
	v_cvt_f32_u32_e32 v2, s95
	s_sub_u32 s10, 0, s95
	s_subb_u32 s11, 0, 0
	v_mac_f32_e32 v2, 0, v33
	v_rcp_f32_e32 v2, v2
	v_mul_f32_e32 v2, 0x5f7ffffc, v2
	v_mul_f32_e32 v3, 0x2f800000, v2
	v_trunc_f32_e32 v3, v3
	v_mac_f32_e32 v2, 0xcf800000, v3
	v_cvt_u32_f32_e32 v3, v3
	v_cvt_u32_f32_e32 v2, v2
	v_readfirstlane_b32 s12, v3
	v_readfirstlane_b32 s8, v2
	s_mul_i32 s9, s10, s12
	s_mul_hi_u32 s40, s10, s8
	s_mul_i32 s13, s11, s8
	s_add_i32 s9, s40, s9
	s_mul_i32 s41, s10, s8
	s_add_i32 s9, s9, s13
	s_mul_hi_u32 s40, s8, s41
	s_mul_i32 s42, s8, s9
	s_mul_hi_u32 s13, s8, s9
	s_add_u32 s40, s40, s42
	s_addc_u32 s13, 0, s13
	s_mul_hi_u32 s43, s12, s41
	s_mul_i32 s41, s12, s41
	s_add_u32 s40, s40, s41
	s_mul_hi_u32 s42, s12, s9
	s_addc_u32 s13, s13, s43
	s_addc_u32 s40, s42, 0
	s_mul_i32 s9, s12, s9
	s_add_u32 s9, s13, s9
	s_addc_u32 s13, 0, s40
	s_add_u32 s40, s8, s9
	s_cselect_b64 s[8:9], -1, 0
	s_cmp_lg_u64 s[8:9], 0
	s_addc_u32 s12, s12, s13
	s_mul_i32 s8, s10, s12
	s_mul_hi_u32 s9, s10, s40
	s_add_i32 s8, s9, s8
	s_mul_i32 s11, s11, s40
	s_add_i32 s8, s8, s11
	s_mul_i32 s10, s10, s40
	s_mul_hi_u32 s11, s12, s10
	s_mul_i32 s13, s12, s10
	s_mul_i32 s42, s40, s8
	s_mul_hi_u32 s10, s40, s10
	s_mul_hi_u32 s41, s40, s8
	s_add_u32 s10, s10, s42
	s_addc_u32 s41, 0, s41
	s_add_u32 s10, s10, s13
	s_mul_hi_u32 s9, s12, s8
	s_addc_u32 s10, s41, s11
	s_addc_u32 s9, s9, 0
	s_mul_i32 s8, s12, s8
	s_add_u32 s8, s10, s8
	s_addc_u32 s10, 0, s9
	s_add_u32 s11, s40, s8
	s_cselect_b64 s[8:9], -1, 0
	s_cmp_lg_u64 s[8:9], 0
	s_addc_u32 s8, s12, s10
	v_readlane_b32 s40, v48, 39
	s_mul_i32 s10, s40, s8
	s_mul_hi_u32 s12, s40, s11
	s_mul_hi_u32 s9, s40, s8
	s_add_u32 s10, s12, s10
	s_addc_u32 s9, 0, s9
	s_mul_hi_u32 s13, s57, s11
	s_mul_i32 s11, s57, s11
	s_add_u32 s10, s10, s11
	s_mul_hi_u32 s12, s57, s8
	s_addc_u32 s9, s9, s13
	s_addc_u32 s10, s12, 0
	s_mul_i32 s8, s57, s8
	s_add_u32 s8, s9, s8
	s_addc_u32 s9, 0, s10
	s_mul_i32 s9, s95, s9
	s_mul_hi_u32 s10, s95, s8
	s_add_i32 s10, s10, s9
	s_mul_i32 s8, s95, s8
	s_sub_u32 s11, s40, s8
	s_cselect_b64 s[8:9], -1, 0
	s_cmp_lg_u64 s[8:9], 0
	s_subb_u32 s10, s57, s10
	s_sub_u32 s12, s11, s95
	s_cselect_b64 s[8:9], -1, 0
	s_cmp_lg_u64 s[8:9], 0
	s_subb_u32 s13, s10, 0
	;; [unrolled: 4-line block ×3, first 2 shown]
	s_cmp_ge_u32 s12, s95
	s_cselect_b32 s9, -1, 0
	s_cmp_eq_u32 s13, 0
	s_cselect_b32 s9, s9, -1
	s_cmp_lg_u32 s9, 0
	s_cselect_b32 s8, s8, s13
	s_cselect_b32 s12, s40, s12
	s_cmp_ge_u32 s11, s95
	s_cselect_b32 s9, -1, 0
	s_cmp_eq_u32 s10, 0
	s_cselect_b32 s9, s9, -1
	s_cmp_lg_u32 s9, 0
	s_cselect_b32 s9, s8, s10
	s_cselect_b32 s8, s12, s11
	s_cbranch_execnz .LBB147_386
.LBB147_385:                            ;   in Loop: Header=BB147_12 Depth=1
	v_cvt_f32_u32_e32 v2, s95
	s_sub_i32 s8, 0, s95
	v_readlane_b32 s10, v48, 39
	v_rcp_iflag_f32_e32 v2, v2
	v_mul_f32_e32 v2, 0x4f7ffffe, v2
	v_cvt_u32_f32_e32 v2, v2
	v_readfirstlane_b32 s9, v2
	s_mul_i32 s8, s8, s9
	s_mul_hi_u32 s8, s9, s8
	s_add_i32 s9, s9, s8
	s_mul_hi_u32 s8, s10, s9
	s_mul_i32 s8, s8, s95
	s_sub_i32 s8, s10, s8
	s_sub_i32 s9, s8, s95
	s_cmp_ge_u32 s8, s95
	s_cselect_b32 s8, s9, s8
	s_sub_i32 s9, s8, s95
	s_cmp_ge_u32 s8, s95
	s_mov_b32 s10, s84
	s_cselect_b32 s84, s9, s8
	s_mov_b64 s[8:9], s[84:85]
	s_mov_b32 s84, s10
.LBB147_386:                            ;   in Loop: Header=BB147_12 Depth=1
	v_readlane_b32 s10, v48, 39
	s_sub_u32 s10, s10, s8
	s_subb_u32 s11, s57, s9
	v_cmp_gt_u64_e32 vcc, s[10:11], v[0:1]
                                        ; implicit-def: $vgpr18
	s_and_saveexec_b64 s[8:9], vcc
	s_cbranch_execz .LBB147_395
; %bb.387:                              ;   in Loop: Header=BB147_12 Depth=1
	v_mov_b32_e32 v3, v1
	s_mov_b64 s[12:13], 0
	v_mov_b32_e32 v2, v0
                                        ; implicit-def: $sgpr40_sgpr41
	s_branch .LBB147_390
.LBB147_388:                            ;   in Loop: Header=BB147_390 Depth=2
	s_or_b64 exec, exec, s[42:43]
	s_waitcnt lgkmcnt(0)
	s_barrier
	ds_read_b64 v[17:18], v13 offset:3072
	s_mov_b64 s[42:43], -1
	s_mov_b64 s[46:47], -1
	s_waitcnt lgkmcnt(0)
	s_barrier
	v_cmp_eq_u32_e32 vcc, 0, v17
	s_cbranch_vccnz .LBB147_393
.LBB147_389:                            ;   in Loop: Header=BB147_390 Depth=2
	s_and_b64 s[42:43], exec, s[42:43]
	s_or_b64 s[12:13], s[42:43], s[12:13]
	s_andn2_b64 s[40:41], s[40:41], exec
	s_and_b64 s[42:43], s[46:47], exec
	s_or_b64 s[40:41], s[40:41], s[42:43]
	s_andn2_b64 exec, exec, s[12:13]
	s_cbranch_execz .LBB147_394
.LBB147_390:                            ;   Parent Loop BB147_12 Depth=1
                                        ; =>  This Inner Loop Header: Depth=2
	v_cmp_gt_u64_e32 vcc, s[60:61], v[2:3]
	s_and_saveexec_b64 s[42:43], vcc
	s_cbranch_execz .LBB147_388
; %bb.391:                              ;   in Loop: Header=BB147_390 Depth=2
	v_mul_lo_u32 v9, v3, s58
	v_mul_lo_u32 v12, v2, s59
	v_mad_u64_u32 v[6:7], s[46:47], v2, s58, 0
	v_add3_u32 v7, v7, v12, v9
	v_lshlrev_b64 v[6:7], 2, v[6:7]
	v_mov_b32_e32 v9, s94
	v_add_co_u32_e32 v6, vcc, s33, v6
	v_addc_co_u32_e32 v7, vcc, v9, v7, vcc
	global_load_dword v17, v[6:7], off
	s_waitcnt vmcnt(0)
	v_xor_b32_e32 v6, 0x80000000, v17
	v_and_b32_e32 v6, v6, v35
	v_cmp_eq_u32_e32 vcc, v6, v30
	s_and_b64 exec, exec, vcc
	s_cbranch_execz .LBB147_388
; %bb.392:                              ;   in Loop: Header=BB147_390 Depth=2
	ds_write_b64 v13, v[16:17] offset:3072
	s_branch .LBB147_388
.LBB147_393:                            ;   in Loop: Header=BB147_390 Depth=2
	v_add_co_u32_e32 v2, vcc, s95, v2
	v_addc_co_u32_e32 v3, vcc, 0, v3, vcc
	v_cmp_le_u64_e32 vcc, s[10:11], v[2:3]
	s_mov_b64 s[46:47], 0
	s_orn2_b64 s[42:43], vcc, exec
	s_branch .LBB147_389
.LBB147_394:                            ;   in Loop: Header=BB147_12 Depth=1
	s_or_b64 exec, exec, s[12:13]
	s_andn2_b64 s[4:5], s[4:5], exec
	s_and_b64 s[10:11], s[40:41], exec
	s_or_b64 s[4:5], s[4:5], s[10:11]
.LBB147_395:                            ;   in Loop: Header=BB147_12 Depth=1
	s_or_b64 exec, exec, s[8:9]
	s_mov_b64 s[40:41], 0
	s_mov_b64 s[42:43], -1
.LBB147_396:                            ;   in Loop: Header=BB147_12 Depth=1
	s_orn2_b64 s[4:5], s[4:5], exec
.LBB147_397:                            ;   in Loop: Header=BB147_12 Depth=1
	s_or_b64 exec, exec, s[30:31]
	s_mov_b64 s[8:9], 0
	s_and_saveexec_b64 s[30:31], s[4:5]
	s_cbranch_execz .LBB147_459
; %bb.398:                              ;   in Loop: Header=BB147_12 Depth=1
	v_mov_b32_e32 v2, 1
	s_xor_b64 s[10:11], s[44:45], -1
	v_mov_b32_e32 v8, 1
	v_mov_b32_e32 v3, 0
	s_and_saveexec_b64 s[4:5], s[10:11]
	s_cbranch_execz .LBB147_407
; %bb.399:                              ;   in Loop: Header=BB147_12 Depth=1
	v_cmp_ge_u64_e32 vcc, s[20:21], v[4:5]
	s_and_saveexec_b64 s[8:9], vcc
	s_xor_b64 s[8:9], exec, s[8:9]
	s_cbranch_execz .LBB147_404
; %bb.400:                              ;   in Loop: Header=BB147_12 Depth=1
	ds_read_b64 v[2:3], v13 offset:5120
	v_and_b32_e32 v6, s84, v30
	v_lshl_or_b32 v30, 1, s92, v6
	v_or_b32_e32 v35, s93, v35
	s_waitcnt lgkmcnt(0)
	v_cmp_ne_u64_e32 vcc, 0, v[2:3]
	s_cbranch_vccnz .LBB147_404
; %bb.401:                              ;   in Loop: Header=BB147_12 Depth=1
	s_mov_b64 s[10:11], exec
	v_readlane_b32 s12, v48, 12
	v_readlane_b32 s13, v48, 13
	s_and_b64 s[12:13], s[10:11], s[12:13]
	s_mov_b64 exec, s[12:13]
; %bb.402:                              ;   in Loop: Header=BB147_12 Depth=1
	v_mov_b32_e32 v2, s20
	v_mov_b32_e32 v3, s21
	ds_write_b64 v13, v[2:3] offset:5128
; %bb.403:                              ;   in Loop: Header=BB147_12 Depth=1
	s_or_b64 exec, exec, s[10:11]
	s_waitcnt lgkmcnt(0)
	s_barrier
.LBB147_404:                            ;   in Loop: Header=BB147_12 Depth=1
	s_or_saveexec_b64 s[8:9], s[8:9]
	s_mov_b64 s[10:11], 0
	v_mov_b32_e32 v8, 5
	s_xor_b64 exec, exec, s[8:9]
; %bb.405:                              ;   in Loop: Header=BB147_12 Depth=1
	v_mov_b32_e32 v2, s21
	v_subrev_co_u32_e32 v4, vcc, s20, v4
	s_mov_b64 s[10:11], exec
	v_subb_co_u32_e32 v5, vcc, v5, v2, vcc
	v_mov_b32_e32 v8, 0
; %bb.406:                              ;   in Loop: Header=BB147_12 Depth=1
	s_or_b64 exec, exec, s[8:9]
	v_mov_b32_e32 v2, v4
	s_and_b64 s[8:9], s[10:11], exec
	v_mov_b32_e32 v3, v5
.LBB147_407:                            ;   in Loop: Header=BB147_12 Depth=1
	s_or_b64 exec, exec, s[4:5]
	s_mov_b64 s[4:5], -1
                                        ; implicit-def: $sgpr50_sgpr51
                                        ; implicit-def: $sgpr48_sgpr49
	s_and_saveexec_b64 s[20:21], s[8:9]
	s_cbranch_execz .LBB147_458
; %bb.408:                              ;   in Loop: Header=BB147_12 Depth=1
	s_cmp_eq_u64 s[16:17], 1
	v_cmp_eq_u64_e32 vcc, 1, v[2:3]
	s_cselect_b64 s[4:5], -1, 0
	s_and_b64 s[44:45], s[4:5], vcc
	s_mov_b64 s[8:9], -1
                                        ; implicit-def: $sgpr50_sgpr51
                                        ; implicit-def: $sgpr48_sgpr49
	s_and_saveexec_b64 s[46:47], s[44:45]
	s_cbranch_execz .LBB147_446
; %bb.409:                              ;   in Loop: Header=BB147_12 Depth=1
	ds_read_b64 v[4:5], v13 offset:5120
	s_waitcnt lgkmcnt(0)
	s_barrier
	v_readfirstlane_b32 s8, v4
	v_readfirstlane_b32 s9, v5
	s_mov_b64 s[4:5], exec
	v_readlane_b32 s10, v48, 34
	v_readlane_b32 s11, v48, 35
	s_and_b64 s[10:11], s[4:5], s[10:11]
	s_mov_b64 exec, s[10:11]
; %bb.410:                              ;   in Loop: Header=BB147_12 Depth=1
	ds_write_b32 v28, v13
; %bb.411:                              ;   in Loop: Header=BB147_12 Depth=1
	s_or_b64 exec, exec, s[4:5]
	v_and_b32_e32 v30, s84, v30
	v_or_b32_e32 v35, s93, v35
	s_mov_b64 s[48:49], -1
	s_mov_b64 s[50:51], 0
	s_cmp_eq_u64 s[8:9], 0
	s_mov_b64 s[4:5], 0
	s_mov_b64 s[10:11], -1
	s_waitcnt lgkmcnt(0)
	s_barrier
                                        ; implicit-def: $vgpr18
	s_cbranch_scc1 .LBB147_429
; %bb.412:                              ;   in Loop: Header=BB147_12 Depth=1
	v_readlane_b32 s4, v48, 38
	s_add_u32 s52, s8, s4
	v_readlane_b32 s4, v48, 40
	s_addc_u32 s5, s9, s4
	s_mov_b32 s4, s85
	s_cmp_lg_u64 s[4:5], 0
	s_cbranch_scc0 .LBB147_416
; %bb.413:                              ;   in Loop: Header=BB147_12 Depth=1
	v_cvt_f32_u32_e32 v4, s95
	s_sub_u32 s4, 0, s95
	s_subb_u32 s12, 0, 0
	v_mac_f32_e32 v4, 0, v33
	v_rcp_f32_e32 v4, v4
	v_mul_f32_e32 v4, 0x5f7ffffc, v4
	v_mul_f32_e32 v5, 0x2f800000, v4
	v_trunc_f32_e32 v5, v5
	v_mac_f32_e32 v4, 0xcf800000, v5
	v_cvt_u32_f32_e32 v5, v5
	v_cvt_u32_f32_e32 v4, v4
	v_readfirstlane_b32 s13, v5
	v_readfirstlane_b32 s10, v4
	s_mul_i32 s11, s4, s13
	s_mul_hi_u32 s54, s4, s10
	s_mul_i32 s53, s12, s10
	s_add_i32 s11, s54, s11
	s_mul_i32 s55, s4, s10
	s_add_i32 s11, s11, s53
	s_mul_hi_u32 s54, s10, s55
	s_mul_i32 s72, s10, s11
	s_mul_hi_u32 s53, s10, s11
	s_add_u32 s54, s54, s72
	s_addc_u32 s53, 0, s53
	s_mul_hi_u32 s73, s13, s55
	s_mul_i32 s55, s13, s55
	s_add_u32 s54, s54, s55
	s_mul_hi_u32 s72, s13, s11
	s_addc_u32 s53, s53, s73
	s_addc_u32 s54, s72, 0
	s_mul_i32 s11, s13, s11
	s_add_u32 s11, s53, s11
	s_addc_u32 s53, 0, s54
	s_add_u32 s54, s10, s11
	s_cselect_b64 s[10:11], -1, 0
	s_cmp_lg_u64 s[10:11], 0
	s_addc_u32 s13, s13, s53
	s_mul_i32 s10, s4, s13
	s_mul_hi_u32 s11, s4, s54
	s_add_i32 s10, s11, s10
	s_mul_i32 s12, s12, s54
	s_add_i32 s10, s10, s12
	s_mul_i32 s4, s4, s54
	s_mul_hi_u32 s12, s13, s4
	s_mul_i32 s53, s13, s4
	s_mul_i32 s72, s54, s10
	s_mul_hi_u32 s4, s54, s4
	s_mul_hi_u32 s55, s54, s10
	s_add_u32 s4, s4, s72
	s_addc_u32 s55, 0, s55
	s_add_u32 s4, s4, s53
	s_mul_hi_u32 s11, s13, s10
	s_addc_u32 s4, s55, s12
	s_addc_u32 s11, s11, 0
	s_mul_i32 s10, s13, s10
	s_add_u32 s4, s4, s10
	s_addc_u32 s12, 0, s11
	s_add_u32 s4, s54, s4
	s_cselect_b64 s[10:11], -1, 0
	s_cmp_lg_u64 s[10:11], 0
	s_addc_u32 s10, s13, s12
	s_mul_i32 s12, s52, s10
	s_mul_hi_u32 s13, s52, s4
	s_mul_hi_u32 s11, s52, s10
	s_add_u32 s12, s13, s12
	s_addc_u32 s11, 0, s11
	s_mul_hi_u32 s53, s5, s4
	s_mul_i32 s4, s5, s4
	s_add_u32 s4, s12, s4
	s_mul_hi_u32 s13, s5, s10
	s_addc_u32 s4, s11, s53
	s_addc_u32 s11, s13, 0
	s_mul_i32 s10, s5, s10
	s_add_u32 s4, s4, s10
	s_addc_u32 s10, 0, s11
	s_mul_i32 s10, s95, s10
	s_mul_hi_u32 s11, s95, s4
	s_add_i32 s12, s11, s10
	s_mul_i32 s4, s95, s4
	s_sub_u32 s4, s52, s4
	s_cselect_b64 s[10:11], -1, 0
	s_cmp_lg_u64 s[10:11], 0
	s_subb_u32 s12, s5, s12
	s_sub_u32 s13, s4, s95
	s_cselect_b64 s[10:11], -1, 0
	s_cmp_lg_u64 s[10:11], 0
	s_subb_u32 s53, s12, 0
	;; [unrolled: 4-line block ×3, first 2 shown]
	s_cmp_ge_u32 s13, s95
	s_cselect_b32 s11, -1, 0
	s_cmp_eq_u32 s53, 0
	s_cselect_b32 s11, s11, -1
	s_cmp_lg_u32 s11, 0
	s_cselect_b32 s10, s10, s53
	s_cselect_b32 s13, s54, s13
	s_cmp_ge_u32 s4, s95
	s_cselect_b32 s11, -1, 0
	s_cmp_eq_u32 s12, 0
	s_cselect_b32 s11, s11, -1
	s_cmp_lg_u32 s11, 0
	s_cselect_b32 s11, s10, s12
	s_cselect_b32 s10, s13, s4
	s_mov_b64 s[12:13], 0
	s_branch .LBB147_417
.LBB147_414:                            ;   in Loop: Header=BB147_12 Depth=1
                                        ; implicit-def: $sgpr10_sgpr11
	s_branch .LBB147_369
.LBB147_415:                            ;   in Loop: Header=BB147_12 Depth=1
                                        ; implicit-def: $sgpr8_sgpr9
	s_branch .LBB147_385
.LBB147_416:                            ;   in Loop: Header=BB147_12 Depth=1
	s_mov_b64 s[12:13], -1
                                        ; implicit-def: $sgpr10_sgpr11
.LBB147_417:                            ;   in Loop: Header=BB147_12 Depth=1
	s_andn2_b64 vcc, exec, s[12:13]
	s_cbranch_vccnz .LBB147_419
; %bb.418:                              ;   in Loop: Header=BB147_12 Depth=1
	v_cvt_f32_u32_e32 v4, s95
	s_sub_i32 s4, 0, s95
	s_mov_b32 s12, s84
	v_rcp_iflag_f32_e32 v4, v4
	v_mul_f32_e32 v4, 0x4f7ffffe, v4
	v_cvt_u32_f32_e32 v4, v4
	v_readfirstlane_b32 s10, v4
	s_mul_i32 s4, s4, s10
	s_mul_hi_u32 s4, s10, s4
	s_add_i32 s10, s10, s4
	s_mul_hi_u32 s4, s52, s10
	s_mul_i32 s4, s4, s95
	s_sub_i32 s4, s52, s4
	s_sub_i32 s10, s4, s95
	s_cmp_ge_u32 s4, s95
	s_cselect_b32 s4, s10, s4
	s_sub_i32 s10, s4, s95
	s_cmp_ge_u32 s4, s95
	s_cselect_b32 s84, s10, s4
	s_mov_b64 s[10:11], s[84:85]
	s_mov_b32 s84, s12
.LBB147_419:                            ;   in Loop: Header=BB147_12 Depth=1
	s_sub_u32 s52, s52, s10
	s_subb_u32 s53, s5, s11
	v_cmp_gt_u64_e32 vcc, s[52:53], v[0:1]
	s_mov_b64 s[10:11], 0
	s_mov_b64 s[4:5], 0
                                        ; implicit-def: $vgpr18
	s_and_saveexec_b64 s[12:13], vcc
	s_cbranch_execz .LBB147_428
; %bb.420:                              ;   in Loop: Header=BB147_12 Depth=1
	v_mov_b32_e32 v5, v1
	v_mov_b32_e32 v6, v14
	;; [unrolled: 1-line block ×3, first 2 shown]
                                        ; implicit-def: $sgpr54_sgpr55
	s_branch .LBB147_423
.LBB147_421:                            ;   in Loop: Header=BB147_423 Depth=2
	s_or_b64 exec, exec, s[72:73]
	s_waitcnt lgkmcnt(0)
	s_barrier
	ds_read_b64 v[17:18], v13 offset:3072
	s_mov_b64 s[72:73], -1
	s_mov_b64 s[86:87], -1
	s_waitcnt lgkmcnt(0)
	s_barrier
	v_cmp_ne_u32_e32 vcc, 0, v17
	s_cbranch_vccz .LBB147_426
.LBB147_422:                            ;   in Loop: Header=BB147_423 Depth=2
	s_and_b64 s[72:73], exec, s[72:73]
	s_or_b64 s[4:5], s[72:73], s[4:5]
	s_andn2_b64 s[54:55], s[54:55], exec
	s_and_b64 s[72:73], s[86:87], exec
	s_or_b64 s[54:55], s[54:55], s[72:73]
	s_andn2_b64 exec, exec, s[4:5]
	s_cbranch_execz .LBB147_427
.LBB147_423:                            ;   Parent Loop BB147_12 Depth=1
                                        ; =>  This Inner Loop Header: Depth=2
	v_cmp_gt_u64_e32 vcc, s[8:9], v[4:5]
	s_and_saveexec_b64 s[72:73], vcc
	s_cbranch_execz .LBB147_421
; %bb.424:                              ;   in Loop: Header=BB147_423 Depth=2
	ds_read_b32 v17, v6
	s_waitcnt lgkmcnt(0)
	v_xor_b32_e32 v7, 0x80000000, v17
	v_and_b32_e32 v7, v7, v35
	v_cmp_eq_u32_e32 vcc, v7, v30
	s_and_b64 exec, exec, vcc
	s_cbranch_execz .LBB147_421
; %bb.425:                              ;   in Loop: Header=BB147_423 Depth=2
	ds_write_b64 v13, v[16:17] offset:3072
	s_branch .LBB147_421
.LBB147_426:                            ;   in Loop: Header=BB147_423 Depth=2
	v_add_co_u32_e32 v4, vcc, s95, v4
	v_addc_co_u32_e32 v5, vcc, 0, v5, vcc
	v_cmp_le_u64_e32 vcc, s[52:53], v[4:5]
	v_add_u32_e32 v6, s1, v6
	s_mov_b64 s[86:87], 0
	s_orn2_b64 s[72:73], vcc, exec
	s_branch .LBB147_422
.LBB147_427:                            ;   in Loop: Header=BB147_12 Depth=1
	s_or_b64 exec, exec, s[4:5]
	s_and_b64 s[4:5], s[54:55], exec
.LBB147_428:                            ;   in Loop: Header=BB147_12 Depth=1
	s_or_b64 exec, exec, s[12:13]
	v_readlane_b32 s72, v48, 48
	v_readlane_b32 s73, v48, 49
.LBB147_429:                            ;   in Loop: Header=BB147_12 Depth=1
	s_and_b64 vcc, exec, s[10:11]
	s_cbranch_vccz .LBB147_445
; %bb.430:                              ;   in Loop: Header=BB147_12 Depth=1
	s_mov_b32 s56, s85
	s_cmp_lg_u64 s[56:57], 0
	s_cbranch_scc0 .LBB147_432
; %bb.431:                              ;   in Loop: Header=BB147_12 Depth=1
	v_cvt_f32_u32_e32 v4, s95
	s_sub_u32 s10, 0, s95
	s_subb_u32 s11, 0, 0
	v_mac_f32_e32 v4, 0, v33
	v_rcp_f32_e32 v4, v4
	v_mul_f32_e32 v4, 0x5f7ffffc, v4
	v_mul_f32_e32 v5, 0x2f800000, v4
	v_trunc_f32_e32 v5, v5
	v_mac_f32_e32 v4, 0xcf800000, v5
	v_cvt_u32_f32_e32 v5, v5
	v_cvt_u32_f32_e32 v4, v4
	v_readfirstlane_b32 s12, v5
	v_readfirstlane_b32 s8, v4
	s_mul_i32 s9, s10, s12
	s_mul_hi_u32 s48, s10, s8
	s_mul_i32 s13, s11, s8
	s_add_i32 s9, s48, s9
	s_mul_i32 s49, s10, s8
	s_add_i32 s9, s9, s13
	s_mul_hi_u32 s48, s8, s49
	s_mul_i32 s50, s8, s9
	s_mul_hi_u32 s13, s8, s9
	s_add_u32 s48, s48, s50
	s_addc_u32 s13, 0, s13
	s_mul_hi_u32 s51, s12, s49
	s_mul_i32 s49, s12, s49
	s_add_u32 s48, s48, s49
	s_mul_hi_u32 s50, s12, s9
	s_addc_u32 s13, s13, s51
	s_addc_u32 s48, s50, 0
	s_mul_i32 s9, s12, s9
	s_add_u32 s9, s13, s9
	s_addc_u32 s13, 0, s48
	s_add_u32 s48, s8, s9
	s_cselect_b64 s[8:9], -1, 0
	s_cmp_lg_u64 s[8:9], 0
	s_addc_u32 s12, s12, s13
	s_mul_i32 s8, s10, s12
	s_mul_hi_u32 s9, s10, s48
	s_add_i32 s8, s9, s8
	s_mul_i32 s11, s11, s48
	s_add_i32 s8, s8, s11
	s_mul_i32 s10, s10, s48
	s_mul_hi_u32 s11, s12, s10
	s_mul_i32 s13, s12, s10
	s_mul_i32 s50, s48, s8
	s_mul_hi_u32 s10, s48, s10
	s_mul_hi_u32 s49, s48, s8
	s_add_u32 s10, s10, s50
	s_addc_u32 s49, 0, s49
	s_add_u32 s10, s10, s13
	s_mul_hi_u32 s9, s12, s8
	s_addc_u32 s10, s49, s11
	s_addc_u32 s9, s9, 0
	s_mul_i32 s8, s12, s8
	s_add_u32 s8, s10, s8
	s_addc_u32 s10, 0, s9
	s_add_u32 s11, s48, s8
	s_cselect_b64 s[8:9], -1, 0
	s_cmp_lg_u64 s[8:9], 0
	s_addc_u32 s8, s12, s10
	v_readlane_b32 s48, v48, 39
	s_mul_i32 s10, s48, s8
	s_mul_hi_u32 s12, s48, s11
	s_mul_hi_u32 s9, s48, s8
	s_add_u32 s10, s12, s10
	s_addc_u32 s9, 0, s9
	s_mul_hi_u32 s13, s57, s11
	s_mul_i32 s11, s57, s11
	s_add_u32 s10, s10, s11
	s_mul_hi_u32 s12, s57, s8
	s_addc_u32 s9, s9, s13
	s_addc_u32 s10, s12, 0
	s_mul_i32 s8, s57, s8
	s_add_u32 s8, s9, s8
	s_addc_u32 s9, 0, s10
	s_mul_i32 s9, s95, s9
	s_mul_hi_u32 s10, s95, s8
	s_add_i32 s10, s10, s9
	s_mul_i32 s8, s95, s8
	s_sub_u32 s11, s48, s8
	s_cselect_b64 s[8:9], -1, 0
	s_cmp_lg_u64 s[8:9], 0
	s_subb_u32 s10, s57, s10
	s_sub_u32 s12, s11, s95
	s_cselect_b64 s[8:9], -1, 0
	s_cmp_lg_u64 s[8:9], 0
	s_subb_u32 s13, s10, 0
	;; [unrolled: 4-line block ×3, first 2 shown]
	s_cmp_ge_u32 s12, s95
	s_cselect_b32 s9, -1, 0
	s_cmp_eq_u32 s13, 0
	s_cselect_b32 s9, s9, -1
	s_cmp_lg_u32 s9, 0
	s_cselect_b32 s8, s8, s13
	s_cselect_b32 s12, s48, s12
	s_cmp_ge_u32 s11, s95
	s_cselect_b32 s9, -1, 0
	s_cmp_eq_u32 s10, 0
	s_cselect_b32 s9, s9, -1
	s_cmp_lg_u32 s9, 0
	s_cselect_b32 s9, s8, s10
	s_cselect_b32 s8, s12, s11
	s_mov_b64 s[10:11], 0
	s_branch .LBB147_433
.LBB147_432:                            ;   in Loop: Header=BB147_12 Depth=1
	s_mov_b64 s[10:11], -1
                                        ; implicit-def: $sgpr8_sgpr9
.LBB147_433:                            ;   in Loop: Header=BB147_12 Depth=1
	s_andn2_b64 vcc, exec, s[10:11]
	s_cbranch_vccnz .LBB147_435
; %bb.434:                              ;   in Loop: Header=BB147_12 Depth=1
	v_cvt_f32_u32_e32 v4, s95
	s_sub_i32 s8, 0, s95
	v_readlane_b32 s10, v48, 39
	v_rcp_iflag_f32_e32 v4, v4
	v_mul_f32_e32 v4, 0x4f7ffffe, v4
	v_cvt_u32_f32_e32 v4, v4
	v_readfirstlane_b32 s9, v4
	s_mul_i32 s8, s8, s9
	s_mul_hi_u32 s8, s9, s8
	s_add_i32 s9, s9, s8
	s_mul_hi_u32 s8, s10, s9
	s_mul_i32 s8, s8, s95
	s_sub_i32 s8, s10, s8
	s_sub_i32 s9, s8, s95
	s_cmp_ge_u32 s8, s95
	s_cselect_b32 s8, s9, s8
	s_sub_i32 s9, s8, s95
	s_cmp_ge_u32 s8, s95
	s_mov_b32 s10, s84
	s_cselect_b32 s84, s9, s8
	s_mov_b64 s[8:9], s[84:85]
	s_mov_b32 s84, s10
.LBB147_435:                            ;   in Loop: Header=BB147_12 Depth=1
	v_readlane_b32 s10, v48, 39
	s_sub_u32 s10, s10, s8
	s_subb_u32 s11, s57, s9
	v_cmp_gt_u64_e32 vcc, s[10:11], v[0:1]
                                        ; implicit-def: $vgpr18
	s_and_saveexec_b64 s[8:9], vcc
	s_cbranch_execz .LBB147_444
; %bb.436:                              ;   in Loop: Header=BB147_12 Depth=1
	v_mov_b32_e32 v5, v1
	s_mov_b64 s[12:13], 0
	v_mov_b32_e32 v4, v0
                                        ; implicit-def: $sgpr48_sgpr49
	s_branch .LBB147_439
.LBB147_437:                            ;   in Loop: Header=BB147_439 Depth=2
	s_or_b64 exec, exec, s[50:51]
	s_waitcnt lgkmcnt(0)
	s_barrier
	ds_read_b64 v[17:18], v13 offset:3072
	s_mov_b64 s[50:51], -1
	s_mov_b64 s[52:53], -1
	s_waitcnt lgkmcnt(0)
	s_barrier
	v_cmp_eq_u32_e32 vcc, 0, v17
	s_cbranch_vccnz .LBB147_442
.LBB147_438:                            ;   in Loop: Header=BB147_439 Depth=2
	s_and_b64 s[50:51], exec, s[50:51]
	s_or_b64 s[12:13], s[50:51], s[12:13]
	s_andn2_b64 s[48:49], s[48:49], exec
	s_and_b64 s[50:51], s[52:53], exec
	s_or_b64 s[48:49], s[48:49], s[50:51]
	s_andn2_b64 exec, exec, s[12:13]
	s_cbranch_execz .LBB147_443
.LBB147_439:                            ;   Parent Loop BB147_12 Depth=1
                                        ; =>  This Inner Loop Header: Depth=2
	v_cmp_gt_u64_e32 vcc, s[60:61], v[4:5]
	s_and_saveexec_b64 s[50:51], vcc
	s_cbranch_execz .LBB147_437
; %bb.440:                              ;   in Loop: Header=BB147_439 Depth=2
	v_mul_lo_u32 v9, v5, s58
	v_mul_lo_u32 v12, v4, s59
	v_mad_u64_u32 v[6:7], s[52:53], v4, s58, 0
	v_add3_u32 v7, v7, v12, v9
	v_lshlrev_b64 v[6:7], 2, v[6:7]
	v_mov_b32_e32 v9, s94
	v_add_co_u32_e32 v6, vcc, s33, v6
	v_addc_co_u32_e32 v7, vcc, v9, v7, vcc
	global_load_dword v17, v[6:7], off
	s_waitcnt vmcnt(0)
	v_xor_b32_e32 v6, 0x80000000, v17
	v_and_b32_e32 v6, v6, v35
	v_cmp_eq_u32_e32 vcc, v6, v30
	s_and_b64 exec, exec, vcc
	s_cbranch_execz .LBB147_437
; %bb.441:                              ;   in Loop: Header=BB147_439 Depth=2
	ds_write_b64 v13, v[16:17] offset:3072
	s_branch .LBB147_437
.LBB147_442:                            ;   in Loop: Header=BB147_439 Depth=2
	v_add_co_u32_e32 v4, vcc, s95, v4
	v_addc_co_u32_e32 v5, vcc, 0, v5, vcc
	v_cmp_le_u64_e32 vcc, s[10:11], v[4:5]
	s_mov_b64 s[52:53], 0
	s_orn2_b64 s[50:51], vcc, exec
	s_branch .LBB147_438
.LBB147_443:                            ;   in Loop: Header=BB147_12 Depth=1
	s_or_b64 exec, exec, s[12:13]
	s_andn2_b64 s[4:5], s[4:5], exec
	s_and_b64 s[10:11], s[48:49], exec
	s_or_b64 s[4:5], s[4:5], s[10:11]
.LBB147_444:                            ;   in Loop: Header=BB147_12 Depth=1
	s_or_b64 exec, exec, s[8:9]
	s_mov_b64 s[48:49], 0
	s_mov_b64 s[50:51], -1
.LBB147_445:                            ;   in Loop: Header=BB147_12 Depth=1
	s_orn2_b64 s[8:9], s[4:5], exec
.LBB147_446:                            ;   in Loop: Header=BB147_12 Depth=1
	s_or_b64 exec, exec, s[46:47]
	s_mov_b64 s[10:11], 0
	s_and_saveexec_b64 s[4:5], s[8:9]
	s_cbranch_execz .LBB147_457
; %bb.447:                              ;   in Loop: Header=BB147_12 Depth=1
	v_mov_b32_e32 v4, 1
	s_xor_b64 s[10:11], s[44:45], -1
	v_mov_b32_e32 v5, 0
	v_mov_b32_e32 v8, 1
	s_and_saveexec_b64 s[8:9], s[10:11]
	s_cbranch_execz .LBB147_456
; %bb.448:                              ;   in Loop: Header=BB147_12 Depth=1
	v_cmp_ge_u64_e32 vcc, s[16:17], v[2:3]
	s_and_saveexec_b64 s[10:11], vcc
	s_xor_b64 s[10:11], exec, s[10:11]
	s_cbranch_execz .LBB147_453
; %bb.449:                              ;   in Loop: Header=BB147_12 Depth=1
	ds_read_b64 v[4:5], v13 offset:5120
	v_and_b32_e32 v30, s84, v30
	v_or_b32_e32 v35, s93, v35
	s_waitcnt lgkmcnt(0)
	v_cmp_ne_u64_e32 vcc, 0, v[4:5]
	s_cbranch_vccnz .LBB147_453
; %bb.450:                              ;   in Loop: Header=BB147_12 Depth=1
	s_mov_b64 s[12:13], exec
	v_readlane_b32 s44, v48, 12
	v_readlane_b32 s45, v48, 13
	s_and_b64 s[44:45], s[12:13], s[44:45]
	s_mov_b64 exec, s[44:45]
; %bb.451:                              ;   in Loop: Header=BB147_12 Depth=1
	v_mov_b32_e32 v4, s16
	v_mov_b32_e32 v5, s17
	ds_write_b64 v13, v[4:5] offset:5128
; %bb.452:                              ;   in Loop: Header=BB147_12 Depth=1
	s_or_b64 exec, exec, s[12:13]
	s_waitcnt lgkmcnt(0)
	s_barrier
.LBB147_453:                            ;   in Loop: Header=BB147_12 Depth=1
	s_andn2_saveexec_b64 s[10:11], s[10:11]
; %bb.454:                              ;   in Loop: Header=BB147_12 Depth=1
	v_mov_b32_e32 v4, s17
	v_subrev_co_u32_e32 v2, vcc, s16, v2
	v_subb_co_u32_e32 v3, vcc, v3, v4, vcc
; %bb.455:                              ;   in Loop: Header=BB147_12 Depth=1
	s_or_b64 exec, exec, s[10:11]
	v_mov_b32_e32 v5, v3
	v_mov_b32_e32 v8, 5
	;; [unrolled: 1-line block ×3, first 2 shown]
.LBB147_456:                            ;   in Loop: Header=BB147_12 Depth=1
	s_or_b64 exec, exec, s[8:9]
	v_mov_b32_e32 v2, v4
	s_mov_b64 s[10:11], exec
	v_mov_b32_e32 v3, v5
.LBB147_457:                            ;   in Loop: Header=BB147_12 Depth=1
	s_or_b64 exec, exec, s[4:5]
	s_orn2_b64 s[4:5], s[10:11], exec
.LBB147_458:                            ;   in Loop: Header=BB147_12 Depth=1
	s_or_b64 exec, exec, s[20:21]
	s_andn2_b64 s[8:9], s[42:43], exec
	s_and_b64 s[10:11], s[50:51], exec
	s_or_b64 s[42:43], s[8:9], s[10:11]
	s_andn2_b64 s[8:9], s[40:41], exec
	s_and_b64 s[10:11], s[48:49], exec
	v_mov_b32_e32 v5, v3
	s_or_b64 s[40:41], s[8:9], s[10:11]
	s_and_b64 s[8:9], s[4:5], exec
	v_mov_b32_e32 v4, v2
.LBB147_459:                            ;   in Loop: Header=BB147_12 Depth=1
	s_or_b64 exec, exec, s[30:31]
	s_orn2_b64 s[4:5], s[8:9], exec
.LBB147_460:                            ;   in Loop: Header=BB147_12 Depth=1
	s_or_b64 exec, exec, s[22:23]
	s_andn2_b64 s[8:9], s[36:37], exec
	s_and_b64 s[10:11], s[42:43], exec
	s_or_b64 s[36:37], s[8:9], s[10:11]
	s_andn2_b64 s[8:9], s[24:25], exec
	s_and_b64 s[10:11], s[40:41], exec
	v_mov_b32_e32 v2, v4
	s_or_b64 s[24:25], s[8:9], s[10:11]
	s_and_b64 s[8:9], s[4:5], exec
	v_mov_b32_e32 v3, v5
.LBB147_461:                            ;   in Loop: Header=BB147_12 Depth=1
	s_or_b64 exec, exec, s[38:39]
	s_orn2_b64 s[4:5], s[8:9], exec
.LBB147_462:                            ;   in Loop: Header=BB147_12 Depth=1
	s_or_b64 exec, exec, s[6:7]
	s_mov_b64 s[6:7], s[28:29]
	s_mov_b64 s[8:9], s[26:27]
	s_and_saveexec_b64 s[10:11], s[4:5]
; %bb.463:                              ;   in Loop: Header=BB147_12 Depth=1
	v_cmp_ne_u32_e64 s[6:7], 5, v8
	v_cmp_eq_u32_e32 vcc, 5, v8
	s_andn2_b64 s[4:5], s[26:27], exec
	s_and_b64 s[6:7], s[6:7], exec
	s_or_b64 s[8:9], s[4:5], s[6:7]
	s_andn2_b64 s[4:5], s[28:29], exec
	s_and_b64 s[6:7], vcc, exec
	s_or_b64 s[6:7], s[4:5], s[6:7]
; %bb.464:                              ;   in Loop: Header=BB147_12 Depth=1
	s_or_b64 exec, exec, s[10:11]
	s_andn2_b64 s[4:5], s[14:15], exec
	s_and_b64 s[10:11], s[36:37], exec
	s_or_b64 s[14:15], s[4:5], s[10:11]
	s_andn2_b64 s[4:5], s[18:19], exec
	s_and_b64 s[10:11], s[24:25], exec
	s_or_b64 s[18:19], s[4:5], s[10:11]
	s_andn2_b64 s[4:5], s[26:27], exec
	s_and_b64 s[8:9], s[8:9], exec
	s_or_b64 s[26:27], s[4:5], s[8:9]
	s_andn2_b64 s[4:5], s[28:29], exec
	s_and_b64 s[6:7], s[6:7], exec
	s_or_b64 s[28:29], s[4:5], s[6:7]
.LBB147_465:                            ;   in Loop: Header=BB147_12 Depth=1
	s_or_b64 exec, exec, s[34:35]
	s_mov_b64 s[34:35], 0
	s_mov_b64 s[36:37], 0
	s_and_saveexec_b64 s[4:5], s[28:29]
.LBB147_466:                            ;   in Loop: Header=BB147_12 Depth=1
	v_mov_b32_e32 v8, 0
	s_or_b64 s[26:27], s[26:27], exec
.LBB147_467:                            ;   in Loop: Header=BB147_12 Depth=1
	s_or_b64 exec, exec, s[4:5]
	s_andn2_b64 s[4:5], s[80:81], exec
	s_and_b64 s[8:9], s[14:15], exec
	s_or_b64 s[80:81], s[4:5], s[8:9]
	s_andn2_b64 s[2:3], s[2:3], exec
	s_and_b64 s[4:5], s[18:19], exec
	s_or_b64 s[2:3], s[2:3], s[4:5]
	;; [unrolled: 3-line block ×3, first 2 shown]
	v_readlane_b32 s4, v48, 50
	v_readlane_b32 s5, v48, 51
	s_andn2_b64 s[4:5], s[4:5], exec
	s_and_b64 s[8:9], s[34:35], exec
	v_mov_b32_e32 v20, v3
	s_mov_b64 s[6:7], -1
	s_andn2_b64 s[82:83], s[82:83], exec
	s_or_b64 s[22:23], s[4:5], s[8:9]
	v_mov_b32_e32 v19, v2
	s_and_saveexec_b64 s[4:5], s[26:27]
	s_xor_b64 s[4:5], exec, s[4:5]
	s_cbranch_execz .LBB147_11
; %bb.468:                              ;   in Loop: Header=BB147_12 Depth=1
	v_cmp_eq_u32_e32 vcc, 0, v8
	s_mov_b64 s[8:9], -1
	s_and_saveexec_b64 s[10:11], vcc
	s_cbranch_execz .LBB147_10
; %bb.469:                              ;   in Loop: Header=BB147_12 Depth=1
	s_add_i32 s12, s92, -2
	s_cmp_eq_u32 s92, 0
	s_cselect_b64 s[6:7], -1, 0
	v_xor_b32_e32 v34, 1, v34
	s_xor_b64 s[8:9], exec, -1
	s_orn2_b64 s[6:7], s[6:7], exec
	s_mov_b32 s92, s12
	s_branch .LBB147_10
.LBB147_470:
	s_or_b64 exec, exec, s[64:65]
	s_xor_b64 s[4:5], s[78:79], -1
	s_xor_b64 s[8:9], s[76:77], -1
	;; [unrolled: 1-line block ×5, first 2 shown]
	s_mov_b64 s[6:7], 0
	s_and_saveexec_b64 s[10:11], s[0:1]
	s_xor_b64 s[10:11], exec, s[10:11]
	s_cbranch_execnz .LBB147_475
; %bb.471:
	s_andn2_saveexec_b64 s[0:1], s[10:11]
	s_cbranch_execnz .LBB147_494
.LBB147_472:
	s_or_b64 exec, exec, s[0:1]
	s_and_saveexec_b64 s[0:1], s[6:7]
.LBB147_473:
	; divergent unreachable
.LBB147_474:
	s_endpgm
.LBB147_475:
	s_and_saveexec_b64 s[0:1], s[12:13]
	s_xor_b64 s[12:13], exec, s[0:1]
	s_cbranch_execz .LBB147_492
; %bb.476:
	s_and_saveexec_b64 s[0:1], s[8:9]
	s_xor_b64 s[14:15], exec, s[0:1]
	s_cbranch_execz .LBB147_490
; %bb.477:
	;; [unrolled: 4-line block ×3, first 2 shown]
	s_and_saveexec_b64 s[0:1], s[2:3]
	s_xor_b64 s[2:3], exec, s[0:1]
; %bb.479:
	v_xor_b32_e32 v18, 0x80000000, v30
; %bb.480:
	s_or_b64 exec, exec, s[2:3]
	s_mov_b64 s[2:3], exec
	v_readlane_b32 s0, v48, 12
	v_readlane_b32 s1, v48, 13
	;; [unrolled: 1-line block ×4, first 2 shown]
	s_and_b64 s[0:1], s[2:3], s[0:1]
	v_readlane_b32 s43, v48, 27
	v_readlane_b32 s23, v48, 25
	;; [unrolled: 1-line block ×4, first 2 shown]
	s_mov_b64 exec, s[0:1]
; %bb.481:
	v_mov_b32_e32 v2, 0
	v_mov_b32_e32 v3, v2
	ds_write_b64 v2, v[2:3] offset:5136
; %bb.482:
	s_or_b64 exec, exec, s[2:3]
	v_mov_b32_e32 v14, 0
	s_waitcnt lgkmcnt(0)
	s_barrier
	s_mov_b64 s[2:3], exec
	v_readlane_b32 s0, v48, 32
	v_readlane_b32 s1, v48, 33
	s_and_b64 s[0:1], s[2:3], s[0:1]
	s_mov_b64 exec, s[0:1]
	s_cbranch_execz .LBB147_484
; %bb.483:
	global_load_dword v14, v[10:11], off
.LBB147_484:
	s_or_b64 exec, exec, s[2:3]
	s_add_u32 s0, s60, 63
	s_addc_u32 s9, s61, 0
	s_and_b32 s8, s0, 0xffffffc0
	v_readlane_b32 s2, v48, 2
	v_readlane_b32 s0, v48, 0
	v_readlane_b32 s3, v48, 3
	v_readlane_b32 s1, v48, 1
	s_mov_b32 s4, s0
	s_mul_i32 s0, s0, s3
	s_mul_hi_u32 s1, s4, s2
	s_add_i32 s1, s1, s0
	s_mul_i32 s0, s4, s2
	v_readlane_b32 s24, v48, 20
	s_sub_u32 s0, s6, s0
	v_readlane_b32 s26, v48, 22
	v_readlane_b32 s27, v48, 23
	s_subb_u32 s1, 0, s1
	s_mul_i32 s2, s0, s27
	s_mul_hi_u32 s3, s0, s26
	v_readlane_b32 s25, v48, 21
	s_add_i32 s2, s3, s2
	s_mul_i32 s1, s1, s26
	s_add_i32 s1, s2, s1
	s_mul_i32 s2, s4, s25
	s_mul_hi_u32 s3, s4, s24
	s_add_i32 s3, s3, s2
	s_mul_i32 s2, s4, s24
	v_readlane_b32 s18, v48, 6
	v_readlane_b32 s4, v48, 4
	;; [unrolled: 1-line block ×4, first 2 shown]
	s_mov_b32 s20, s4
	s_mul_i32 s4, s4, s19
	s_mul_hi_u32 s5, s20, s18
	s_mul_i32 s0, s0, s26
	s_add_i32 s5, s5, s4
	s_mul_i32 s4, s20, s18
	v_readlane_b32 s24, v48, 14
	s_sub_u32 s4, s6, s4
	v_readlane_b32 s26, v48, 16
	v_readlane_b32 s27, v48, 17
	s_subb_u32 s5, 0, s5
	s_mul_i32 s6, s4, s27
	s_mul_hi_u32 s7, s4, s26
	v_readlane_b32 s25, v48, 15
	s_add_i32 s6, s7, s6
	s_mul_i32 s5, s5, s26
	s_add_i32 s5, s6, s5
	s_mul_i32 s6, s20, s25
	s_mul_hi_u32 s7, s20, s24
	s_add_i32 s7, s7, s6
	s_lshl_b64 s[2:3], s[2:3], 2
	v_readlane_b32 s18, v48, 10
	v_readlane_b32 s19, v48, 11
	s_add_u32 s2, s18, s2
	s_addc_u32 s3, s19, s3
	s_lshl_b64 s[0:1], s[0:1], 2
	s_mul_i32 s6, s20, s24
	s_add_u32 s0, s2, s0
	s_addc_u32 s1, s3, s1
	s_lshl_b64 s[2:3], s[6:7], 3
	v_readlane_b32 s6, v48, 8
	s_load_dwordx2 s[18:19], s[22:23], 0x368
	s_load_dwordx2 s[20:21], s[22:23], 0x510
	s_mul_i32 s4, s4, s26
	v_readlane_b32 s7, v48, 9
	s_add_u32 s6, s6, s2
	s_addc_u32 s7, s7, s3
	s_lshl_b64 s[2:3], s[4:5], 3
	s_add_u32 s38, s6, s2
	v_cmp_gt_u64_e32 vcc, s[8:9], v[0:1]
	s_addc_u32 s39, s7, s3
	s_mov_b64 s[24:25], -1
	s_mov_b64 s[2:3], 0
	s_mov_b64 s[4:5], 0
	s_and_saveexec_b64 s[22:23], vcc
	s_cbranch_execnz .LBB147_495
; %bb.485:
	s_or_b64 exec, exec, s[22:23]
	s_and_saveexec_b64 s[6:7], s[24:25]
	s_cbranch_execnz .LBB147_510
.LBB147_486:
	s_or_b64 exec, exec, s[6:7]
	s_and_saveexec_b64 s[0:1], s[4:5]
	s_xor_b64 s[0:1], exec, s[0:1]
	s_cbranch_execnz .LBB147_533
.LBB147_487:
	s_or_b64 exec, exec, s[0:1]
	s_and_b64 s[6:7], s[2:3], exec
.LBB147_488:
	s_andn2_saveexec_b64 s[0:1], s[16:17]
	s_cbranch_execnz .LBB147_535
.LBB147_489:
	s_or_b64 exec, exec, s[0:1]
	s_and_b64 s[6:7], s[6:7], exec
.LBB147_490:
	s_andn2_saveexec_b64 s[0:1], s[14:15]
	s_cbranch_execnz .LBB147_534
.LBB147_491:
	s_or_b64 exec, exec, s[0:1]
	s_and_b64 s[6:7], s[6:7], exec
.LBB147_492:
	s_andn2_saveexec_b64 s[0:1], s[12:13]
	s_cbranch_execnz .LBB147_529
.LBB147_493:
	s_or_b64 exec, exec, s[0:1]
	s_and_b64 s[6:7], s[6:7], exec
	s_andn2_saveexec_b64 s[0:1], s[10:11]
	s_cbranch_execz .LBB147_472
.LBB147_494:
	s_or_b64 s[6:7], s[6:7], exec
	s_trap 2
	s_or_b64 exec, exec, s[0:1]
	s_and_saveexec_b64 s[0:1], s[6:7]
	s_cbranch_execnz .LBB147_473
	s_branch .LBB147_474
.LBB147_495:
	v_mov_b32_e32 v9, v1
	v_xor_b32_e32 v15, 0x80000000, v18
	s_mov_b64 s[24:25], 0
	v_mov_b32_e32 v3, 0
	v_mov_b32_e32 v8, v0
                                        ; implicit-def: $sgpr26_sgpr27
                                        ; implicit-def: $vgpr6_vgpr7
	s_branch .LBB147_497
.LBB147_496:                            ;   in Loop: Header=BB147_497 Depth=1
	s_or_b64 exec, exec, s[30:31]
	s_xor_b64 s[4:5], s[28:29], -1
	s_and_b64 s[6:7], exec, s[6:7]
	s_or_b64 s[24:25], s[6:7], s[24:25]
	s_andn2_b64 s[6:7], s[26:27], exec
	s_and_b64 s[4:5], s[4:5], exec
	v_mov_b32_e32 v9, v5
	s_or_b64 s[26:27], s[6:7], s[4:5]
	v_mov_b32_e32 v14, v16
	v_mov_b32_e32 v8, v4
	s_andn2_b64 exec, exec, s[24:25]
	s_cbranch_execz .LBB147_509
.LBB147_497:                            ; =>This Inner Loop Header: Depth=1
	v_add_co_u32_e64 v4, s[4:5], s95, v8
	v_addc_co_u32_e64 v5, s[4:5], 0, v9, s[4:5]
	v_cmp_gt_u64_e64 s[4:5], s[60:61], v[4:5]
	v_mov_b32_e32 v16, 0
	s_and_saveexec_b64 s[6:7], s[4:5]
	s_cbranch_execz .LBB147_499
; %bb.498:                              ;   in Loop: Header=BB147_497 Depth=1
	v_mul_lo_u32 v2, v5, s58
	v_mul_lo_u32 v16, v4, s59
	v_mad_u64_u32 v[12:13], s[4:5], v4, s58, 0
	v_add3_u32 v13, v13, v16, v2
	v_lshlrev_b64 v[12:13], 2, v[12:13]
	v_mov_b32_e32 v2, s94
	v_add_co_u32_e64 v12, s[4:5], s33, v12
	v_addc_co_u32_e64 v13, s[4:5], v2, v13, s[4:5]
	global_load_dword v16, v[12:13], off
.LBB147_499:                            ;   in Loop: Header=BB147_497 Depth=1
	s_or_b64 exec, exec, s[6:7]
	s_waitcnt vmcnt(0)
	v_xor_b32_e32 v2, 0x80000000, v14
	v_cmp_gt_u32_e64 s[6:7], v2, v15
	v_cndmask_b32_e64 v12, 0, 1, s[6:7]
	v_cmp_lt_u32_e64 s[6:7], v2, v15
	v_cndmask_b32_e64 v2, 0, 1, s[6:7]
	v_cndmask_b32_e64 v2, v2, v12, s[42:43]
	v_cmp_gt_u64_e64 s[4:5], s[60:61], v[8:9]
	v_and_b32_e32 v2, 1, v2
	v_cmp_eq_u32_e64 s[6:7], 1, v2
	s_and_b64 s[30:31], s[4:5], s[6:7]
	v_cndmask_b32_e64 v2, 0, 1, s[30:31]
	v_cmp_ne_u32_e64 s[4:5], 0, v2
	s_cmp_lg_u64 s[4:5], 0
	s_cselect_b64 s[6:7], -1, 0
	s_and_b64 s[6:7], s[88:89], s[6:7]
	s_and_saveexec_b64 s[28:29], s[6:7]
	s_cbranch_execz .LBB147_503
; %bb.500:                              ;   in Loop: Header=BB147_497 Depth=1
	s_mov_b64 s[36:37], exec
	v_mbcnt_lo_u32_b32 v2, s36, 0
	v_mbcnt_hi_u32_b32 v12, s37, v2
	s_bcnt1_i32_b64 s40, s[4:5]
	v_cmp_eq_u32_e64 s[6:7], 0, v12
                                        ; implicit-def: $vgpr6_vgpr7
	s_and_saveexec_b64 s[34:35], s[6:7]
	s_cbranch_execz .LBB147_502
; %bb.501:                              ;   in Loop: Header=BB147_497 Depth=1
	s_bcnt1_i32_b64 s6, s[36:37]
	s_mul_i32 s6, s40, s6
	v_mov_b32_e32 v2, s6
	s_waitcnt lgkmcnt(0)
	ds_add_rtn_u64 v[6:7], v3, v[2:3] offset:5136
.LBB147_502:                            ;   in Loop: Header=BB147_497 Depth=1
	s_or_b64 exec, exec, s[34:35]
	s_waitcnt lgkmcnt(0)
	v_readfirstlane_b32 s6, v7
	v_readfirstlane_b32 s7, v6
	v_mov_b32_e32 v6, s7
	v_mov_b32_e32 v7, s6
	v_mad_u64_u32 v[6:7], s[6:7], s40, v12, v[6:7]
.LBB147_503:                            ;   in Loop: Header=BB147_497 Depth=1
	s_or_b64 exec, exec, s[28:29]
	s_waitcnt lgkmcnt(0)
	ds_bpermute_b32 v6, v23, v6
	ds_bpermute_b32 v7, v23, v7
	s_mov_b64 s[6:7], -1
	s_mov_b64 s[34:35], -1
	s_and_saveexec_b64 s[28:29], s[30:31]
	s_cbranch_execz .LBB147_507
; %bb.504:                              ;   in Loop: Header=BB147_497 Depth=1
	v_and_b32_e32 v12, s4, v25
	v_and_b32_e32 v2, s5, v24
	v_bcnt_u32_b32 v12, v12, 0
	v_bcnt_u32_b32 v2, v2, v12
	s_waitcnt lgkmcnt(0)
	v_add_co_u32_e64 v12, s[4:5], v6, v2
	v_addc_co_u32_e64 v13, s[4:5], 0, v7, s[4:5]
	v_cmp_gt_u64_e64 s[4:5], s[62:63], v[12:13]
	s_mov_b64 s[30:31], 0
	s_and_saveexec_b64 s[34:35], s[4:5]
; %bb.505:                              ;   in Loop: Header=BB147_497 Depth=1
	v_mul_lo_u32 v2, v13, s18
	v_mul_lo_u32 v17, v12, s19
	v_mad_u64_u32 v[19:20], s[4:5], v12, s18, 0
	v_mul_lo_u32 v21, v13, s20
	v_mul_lo_u32 v22, v12, s21
	v_mad_u64_u32 v[12:13], s[4:5], v12, s20, 0
	v_add3_u32 v20, v20, v17, v2
	v_lshlrev_b64 v[19:20], 2, v[19:20]
	v_add3_u32 v13, v13, v22, v21
	v_mov_b32_e32 v2, s1
	v_add_co_u32_e64 v19, s[4:5], s0, v19
	v_lshlrev_b64 v[12:13], 3, v[12:13]
	v_addc_co_u32_e64 v20, s[4:5], v2, v20, s[4:5]
	v_mov_b32_e32 v2, s39
	v_add_co_u32_e64 v12, s[4:5], s38, v12
	s_mov_b64 s[30:31], exec
	v_addc_co_u32_e64 v13, s[4:5], v2, v13, s[4:5]
	global_store_dword v[19:20], v14, off
	global_store_dwordx2 v[12:13], v[8:9], off
; %bb.506:                              ;   in Loop: Header=BB147_497 Depth=1
	s_or_b64 exec, exec, s[34:35]
	s_orn2_b64 s[34:35], s[30:31], exec
.LBB147_507:                            ;   in Loop: Header=BB147_497 Depth=1
	s_or_b64 exec, exec, s[28:29]
	s_mov_b64 s[28:29], -1
	s_and_saveexec_b64 s[30:31], s[34:35]
	s_cbranch_execz .LBB147_496
; %bb.508:                              ;   in Loop: Header=BB147_497 Depth=1
	v_cmp_le_u64_e64 s[4:5], s[8:9], v[4:5]
	s_xor_b64 s[28:29], exec, -1
	s_orn2_b64 s[6:7], s[4:5], exec
	s_branch .LBB147_496
.LBB147_509:
	s_or_b64 exec, exec, s[24:25]
	s_mov_b64 s[4:5], exec
	s_orn2_b64 s[24:25], s[26:27], exec
	s_or_b64 exec, exec, s[22:23]
	s_and_saveexec_b64 s[6:7], s[24:25]
	s_cbranch_execz .LBB147_486
.LBB147_510:
	v_mov_b32_e32 v2, 0
	s_waitcnt vmcnt(0) lgkmcnt(0)
	s_barrier
	s_mov_b64 s[2:3], exec
	v_readlane_b32 s22, v48, 32
	v_readlane_b32 s23, v48, 33
	s_and_b64 s[22:23], s[2:3], s[22:23]
	s_mov_b64 exec, s[22:23]
	s_cbranch_execz .LBB147_512
; %bb.511:
	global_load_dword v2, v[10:11], off
.LBB147_512:
	s_or_b64 exec, exec, s[2:3]
	s_mov_b64 s[2:3], 0
	s_and_saveexec_b64 s[22:23], vcc
	s_cbranch_execz .LBB147_532
; %bb.513:
	s_mov_b64 s[24:25], 0
	v_mov_b32_e32 v3, 0
                                        ; implicit-def: $sgpr26_sgpr27
                                        ; implicit-def: $vgpr6_vgpr7
	s_branch .LBB147_516
.LBB147_514:                            ;   in Loop: Header=BB147_516 Depth=1
	s_or_b64 exec, exec, s[30:31]
	s_orn2_b64 s[34:35], s[36:37], exec
	s_orn2_b64 s[30:31], s[28:29], exec
.LBB147_515:                            ;   in Loop: Header=BB147_516 Depth=1
	s_or_b64 exec, exec, s[2:3]
	s_xor_b64 s[2:3], s[34:35], -1
	s_and_b64 s[28:29], exec, s[30:31]
	s_or_b64 s[24:25], s[28:29], s[24:25]
	s_andn2_b64 s[26:27], s[26:27], exec
	s_and_b64 s[2:3], s[2:3], exec
	v_mov_b32_e32 v0, v4
	s_or_b64 s[26:27], s[26:27], s[2:3]
	v_mov_b32_e32 v1, v5
	v_mov_b32_e32 v2, v10
	s_andn2_b64 exec, exec, s[24:25]
	s_cbranch_execz .LBB147_530
.LBB147_516:                            ; =>This Inner Loop Header: Depth=1
	v_add_co_u32_e32 v4, vcc, s95, v0
	v_addc_co_u32_e32 v5, vcc, 0, v1, vcc
	v_cmp_gt_u64_e32 vcc, s[60:61], v[4:5]
	v_mov_b32_e32 v10, 0
	s_and_saveexec_b64 s[2:3], vcc
	s_cbranch_execz .LBB147_518
; %bb.517:                              ;   in Loop: Header=BB147_516 Depth=1
	v_mul_lo_u32 v10, v5, s58
	v_mul_lo_u32 v11, v4, s59
	v_mad_u64_u32 v[8:9], s[28:29], v4, s58, 0
	v_add3_u32 v9, v9, v11, v10
	v_lshlrev_b64 v[8:9], 2, v[8:9]
	v_mov_b32_e32 v10, s94
	v_add_co_u32_e32 v8, vcc, s33, v8
	v_addc_co_u32_e32 v9, vcc, v10, v9, vcc
	global_load_dword v10, v[8:9], off
.LBB147_518:                            ;   in Loop: Header=BB147_516 Depth=1
	s_or_b64 exec, exec, s[2:3]
	v_cmp_gt_u64_e32 vcc, s[60:61], v[0:1]
	s_waitcnt vmcnt(0)
	v_cmp_eq_u32_e64 s[2:3], v2, v18
	s_and_b64 s[28:29], vcc, s[2:3]
	v_cndmask_b32_e64 v2, 0, 1, s[28:29]
	v_cmp_ne_u32_e32 vcc, 0, v2
	s_cmp_lg_u64 vcc, 0
	s_cselect_b64 s[2:3], -1, 0
	s_and_b64 s[2:3], s[88:89], s[2:3]
	s_and_saveexec_b64 s[30:31], s[2:3]
	s_cbranch_execz .LBB147_522
; %bb.519:                              ;   in Loop: Header=BB147_516 Depth=1
	s_mov_b64 s[36:37], exec
	v_mbcnt_lo_u32_b32 v2, s36, 0
	v_mbcnt_hi_u32_b32 v8, s37, v2
	s_bcnt1_i32_b64 s40, vcc
	v_cmp_eq_u32_e64 s[2:3], 0, v8
                                        ; implicit-def: $vgpr6_vgpr7
	s_and_saveexec_b64 s[34:35], s[2:3]
; %bb.520:                              ;   in Loop: Header=BB147_516 Depth=1
	s_bcnt1_i32_b64 s2, s[36:37]
	s_mul_i32 s2, s40, s2
	v_mov_b32_e32 v2, s2
	ds_add_rtn_u64 v[6:7], v3, v[2:3] offset:5136
; %bb.521:                              ;   in Loop: Header=BB147_516 Depth=1
	s_or_b64 exec, exec, s[34:35]
	s_waitcnt lgkmcnt(0)
	v_readfirstlane_b32 s2, v7
	v_readfirstlane_b32 s3, v6
	v_mov_b32_e32 v6, s3
	v_mov_b32_e32 v7, s2
	v_mad_u64_u32 v[6:7], s[2:3], s40, v8, v[6:7]
.LBB147_522:                            ;   in Loop: Header=BB147_516 Depth=1
	s_or_b64 exec, exec, s[30:31]
	ds_bpermute_b32 v6, v23, v6
	ds_bpermute_b32 v7, v23, v7
	s_cmp_eq_u64 vcc, 0
	s_cselect_b64 s[34:35], -1, 0
	s_mov_b64 s[30:31], -1
	s_waitcnt lgkmcnt(0)
	v_cmp_gt_u64_e64 s[2:3], s[62:63], v[6:7]
	s_or_b64 s[36:37], s[34:35], s[2:3]
	s_mov_b64 s[34:35], -1
	s_and_saveexec_b64 s[2:3], s[36:37]
	s_cbranch_execz .LBB147_515
; %bb.523:                              ;   in Loop: Header=BB147_516 Depth=1
	v_and_b32_e32 v8, vcc_lo, v25
	v_and_b32_e32 v2, vcc_hi, v24
	v_bcnt_u32_b32 v8, v8, 0
	v_bcnt_u32_b32 v2, v2, v8
	v_mov_b32_e32 v9, s63
	v_sub_co_u32_e32 v8, vcc, s62, v6
	v_subb_co_u32_e32 v9, vcc, v9, v7, vcc
	v_cmp_gt_u64_e32 vcc, v[8:9], v[2:3]
	s_mov_b64 s[36:37], -1
	s_and_b64 s[40:41], s[28:29], vcc
	s_mov_b64 s[28:29], -1
	s_and_saveexec_b64 s[30:31], s[40:41]
	s_cbranch_execz .LBB147_527
; %bb.524:                              ;   in Loop: Header=BB147_516 Depth=1
	v_add_co_u32_e32 v8, vcc, v6, v2
	v_addc_co_u32_e32 v9, vcc, 0, v7, vcc
	v_cmp_gt_u64_e32 vcc, s[62:63], v[8:9]
	s_mov_b64 s[34:35], 0
	s_and_saveexec_b64 s[36:37], vcc
; %bb.525:                              ;   in Loop: Header=BB147_516 Depth=1
	v_mul_lo_u32 v2, v9, s18
	v_mul_lo_u32 v13, v8, s19
	v_mad_u64_u32 v[11:12], s[40:41], v8, s18, 0
	v_mul_lo_u32 v14, v9, s20
	v_mul_lo_u32 v15, v8, s21
	v_mad_u64_u32 v[8:9], s[40:41], v8, s20, 0
	v_add3_u32 v12, v12, v13, v2
	v_lshlrev_b64 v[11:12], 2, v[11:12]
	v_add3_u32 v9, v9, v15, v14
	v_mov_b32_e32 v2, s1
	v_add_co_u32_e32 v11, vcc, s0, v11
	v_lshlrev_b64 v[8:9], 3, v[8:9]
	v_addc_co_u32_e32 v12, vcc, v2, v12, vcc
	v_mov_b32_e32 v2, s39
	v_add_co_u32_e32 v8, vcc, s38, v8
	s_mov_b64 s[34:35], exec
	v_addc_co_u32_e32 v9, vcc, v2, v9, vcc
	global_store_dword v[11:12], v18, off
	global_store_dwordx2 v[8:9], v[0:1], off
; %bb.526:                              ;   in Loop: Header=BB147_516 Depth=1
	s_or_b64 exec, exec, s[36:37]
	s_xor_b64 s[36:37], exec, -1
	s_orn2_b64 s[34:35], s[34:35], exec
.LBB147_527:                            ;   in Loop: Header=BB147_516 Depth=1
	s_or_b64 exec, exec, s[30:31]
	s_and_saveexec_b64 s[30:31], s[34:35]
	s_cbranch_execz .LBB147_514
; %bb.528:                              ;   in Loop: Header=BB147_516 Depth=1
	v_cmp_le_u64_e32 vcc, s[8:9], v[4:5]
	s_or_b64 s[36:37], s[36:37], exec
	s_orn2_b64 s[28:29], vcc, exec
	s_branch .LBB147_514
.LBB147_529:
	s_or_b64 s[6:7], s[6:7], exec
	s_trap 2
	s_branch .LBB147_493
.LBB147_530:
	s_or_b64 exec, exec, s[24:25]
	s_mov_b64 s[0:1], 0
	s_and_saveexec_b64 s[2:3], s[26:27]
	s_xor_b64 s[2:3], exec, s[2:3]
	s_cbranch_execnz .LBB147_536
.LBB147_531:
	s_or_b64 exec, exec, s[2:3]
	s_and_b64 s[2:3], s[0:1], exec
.LBB147_532:
	s_or_b64 exec, exec, s[22:23]
	s_and_b64 s[2:3], s[2:3], exec
	s_andn2_b64 s[4:5], s[4:5], exec
	s_or_b64 exec, exec, s[6:7]
	s_and_saveexec_b64 s[0:1], s[4:5]
	s_xor_b64 s[0:1], exec, s[0:1]
	s_cbranch_execz .LBB147_487
.LBB147_533:
	s_trap 2
	s_or_b64 s[2:3], s[2:3], exec
	s_branch .LBB147_487
.LBB147_534:
	s_or_b64 s[6:7], s[6:7], exec
	s_trap 2
	s_branch .LBB147_491
.LBB147_535:
	s_trap 2
	s_or_b64 s[6:7], s[6:7], exec
	s_branch .LBB147_489
.LBB147_536:
	s_mov_b64 s[0:1], exec
	s_trap 2
	s_branch .LBB147_531
	.section	.rodata,"a",@progbits
	.p2align	6, 0x0
	.amdhsa_kernel _ZN2at6native6sbtopk10gatherTopKIimLi2ELb0EEEvNS_4cuda6detail10TensorInfoIKT_T0_EES8_S8_bS8_S8_NS5_IS6_S8_EES8_NS5_IlS8_EES8_PS6_
		.amdhsa_group_segment_fixed_size 5152
		.amdhsa_private_segment_fixed_size 0
		.amdhsa_kernarg_size 1568
		.amdhsa_user_sgpr_count 6
		.amdhsa_user_sgpr_private_segment_buffer 1
		.amdhsa_user_sgpr_dispatch_ptr 0
		.amdhsa_user_sgpr_queue_ptr 0
		.amdhsa_user_sgpr_kernarg_segment_ptr 1
		.amdhsa_user_sgpr_dispatch_id 0
		.amdhsa_user_sgpr_flat_scratch_init 0
		.amdhsa_user_sgpr_private_segment_size 0
		.amdhsa_uses_dynamic_stack 0
		.amdhsa_system_sgpr_private_segment_wavefront_offset 0
		.amdhsa_system_sgpr_workgroup_id_x 1
		.amdhsa_system_sgpr_workgroup_id_y 1
		.amdhsa_system_sgpr_workgroup_id_z 1
		.amdhsa_system_sgpr_workgroup_info 0
		.amdhsa_system_vgpr_workitem_id 0
		.amdhsa_next_free_vgpr 49
		.amdhsa_next_free_sgpr 96
		.amdhsa_reserve_vcc 1
		.amdhsa_reserve_flat_scratch 0
		.amdhsa_float_round_mode_32 0
		.amdhsa_float_round_mode_16_64 0
		.amdhsa_float_denorm_mode_32 3
		.amdhsa_float_denorm_mode_16_64 3
		.amdhsa_dx10_clamp 1
		.amdhsa_ieee_mode 1
		.amdhsa_fp16_overflow 0
		.amdhsa_exception_fp_ieee_invalid_op 0
		.amdhsa_exception_fp_denorm_src 0
		.amdhsa_exception_fp_ieee_div_zero 0
		.amdhsa_exception_fp_ieee_overflow 0
		.amdhsa_exception_fp_ieee_underflow 0
		.amdhsa_exception_fp_ieee_inexact 0
		.amdhsa_exception_int_div_zero 0
	.end_amdhsa_kernel
	.section	.text._ZN2at6native6sbtopk10gatherTopKIimLi2ELb0EEEvNS_4cuda6detail10TensorInfoIKT_T0_EES8_S8_bS8_S8_NS5_IS6_S8_EES8_NS5_IlS8_EES8_PS6_,"axG",@progbits,_ZN2at6native6sbtopk10gatherTopKIimLi2ELb0EEEvNS_4cuda6detail10TensorInfoIKT_T0_EES8_S8_bS8_S8_NS5_IS6_S8_EES8_NS5_IlS8_EES8_PS6_,comdat
.Lfunc_end147:
	.size	_ZN2at6native6sbtopk10gatherTopKIimLi2ELb0EEEvNS_4cuda6detail10TensorInfoIKT_T0_EES8_S8_bS8_S8_NS5_IS6_S8_EES8_NS5_IlS8_EES8_PS6_, .Lfunc_end147-_ZN2at6native6sbtopk10gatherTopKIimLi2ELb0EEEvNS_4cuda6detail10TensorInfoIKT_T0_EES8_S8_bS8_S8_NS5_IS6_S8_EES8_NS5_IlS8_EES8_PS6_
                                        ; -- End function
	.set _ZN2at6native6sbtopk10gatherTopKIimLi2ELb0EEEvNS_4cuda6detail10TensorInfoIKT_T0_EES8_S8_bS8_S8_NS5_IS6_S8_EES8_NS5_IlS8_EES8_PS6_.num_vgpr, 49
	.set _ZN2at6native6sbtopk10gatherTopKIimLi2ELb0EEEvNS_4cuda6detail10TensorInfoIKT_T0_EES8_S8_bS8_S8_NS5_IS6_S8_EES8_NS5_IlS8_EES8_PS6_.num_agpr, 0
	.set _ZN2at6native6sbtopk10gatherTopKIimLi2ELb0EEEvNS_4cuda6detail10TensorInfoIKT_T0_EES8_S8_bS8_S8_NS5_IS6_S8_EES8_NS5_IlS8_EES8_PS6_.numbered_sgpr, 96
	.set _ZN2at6native6sbtopk10gatherTopKIimLi2ELb0EEEvNS_4cuda6detail10TensorInfoIKT_T0_EES8_S8_bS8_S8_NS5_IS6_S8_EES8_NS5_IlS8_EES8_PS6_.num_named_barrier, 0
	.set _ZN2at6native6sbtopk10gatherTopKIimLi2ELb0EEEvNS_4cuda6detail10TensorInfoIKT_T0_EES8_S8_bS8_S8_NS5_IS6_S8_EES8_NS5_IlS8_EES8_PS6_.private_seg_size, 0
	.set _ZN2at6native6sbtopk10gatherTopKIimLi2ELb0EEEvNS_4cuda6detail10TensorInfoIKT_T0_EES8_S8_bS8_S8_NS5_IS6_S8_EES8_NS5_IlS8_EES8_PS6_.uses_vcc, 1
	.set _ZN2at6native6sbtopk10gatherTopKIimLi2ELb0EEEvNS_4cuda6detail10TensorInfoIKT_T0_EES8_S8_bS8_S8_NS5_IS6_S8_EES8_NS5_IlS8_EES8_PS6_.uses_flat_scratch, 0
	.set _ZN2at6native6sbtopk10gatherTopKIimLi2ELb0EEEvNS_4cuda6detail10TensorInfoIKT_T0_EES8_S8_bS8_S8_NS5_IS6_S8_EES8_NS5_IlS8_EES8_PS6_.has_dyn_sized_stack, 0
	.set _ZN2at6native6sbtopk10gatherTopKIimLi2ELb0EEEvNS_4cuda6detail10TensorInfoIKT_T0_EES8_S8_bS8_S8_NS5_IS6_S8_EES8_NS5_IlS8_EES8_PS6_.has_recursion, 0
	.set _ZN2at6native6sbtopk10gatherTopKIimLi2ELb0EEEvNS_4cuda6detail10TensorInfoIKT_T0_EES8_S8_bS8_S8_NS5_IS6_S8_EES8_NS5_IlS8_EES8_PS6_.has_indirect_call, 0
	.section	.AMDGPU.csdata,"",@progbits
; Kernel info:
; codeLenInByte = 25520
; TotalNumSgprs: 100
; NumVgprs: 49
; ScratchSize: 0
; MemoryBound: 0
; FloatMode: 240
; IeeeMode: 1
; LDSByteSize: 5152 bytes/workgroup (compile time only)
; SGPRBlocks: 12
; VGPRBlocks: 12
; NumSGPRsForWavesPerEU: 100
; NumVGPRsForWavesPerEU: 49
; Occupancy: 4
; WaveLimiterHint : 1
; COMPUTE_PGM_RSRC2:SCRATCH_EN: 0
; COMPUTE_PGM_RSRC2:USER_SGPR: 6
; COMPUTE_PGM_RSRC2:TRAP_HANDLER: 0
; COMPUTE_PGM_RSRC2:TGID_X_EN: 1
; COMPUTE_PGM_RSRC2:TGID_Y_EN: 1
; COMPUTE_PGM_RSRC2:TGID_Z_EN: 1
; COMPUTE_PGM_RSRC2:TIDIG_COMP_CNT: 0
	.section	.text._ZN2at6native6mbtopk23computeBlockDigitCountsIimjLi3EEEvNS_4cuda6detail10TensorInfoIKT_T0_EEjPjjS8_iijT1_PSB_Ps,"axG",@progbits,_ZN2at6native6mbtopk23computeBlockDigitCountsIimjLi3EEEvNS_4cuda6detail10TensorInfoIKT_T0_EEjPjjS8_iijT1_PSB_Ps,comdat
	.protected	_ZN2at6native6mbtopk23computeBlockDigitCountsIimjLi3EEEvNS_4cuda6detail10TensorInfoIKT_T0_EEjPjjS8_iijT1_PSB_Ps ; -- Begin function _ZN2at6native6mbtopk23computeBlockDigitCountsIimjLi3EEEvNS_4cuda6detail10TensorInfoIKT_T0_EEjPjjS8_iijT1_PSB_Ps
	.globl	_ZN2at6native6mbtopk23computeBlockDigitCountsIimjLi3EEEvNS_4cuda6detail10TensorInfoIKT_T0_EEjPjjS8_iijT1_PSB_Ps
	.p2align	8
	.type	_ZN2at6native6mbtopk23computeBlockDigitCountsIimjLi3EEEvNS_4cuda6detail10TensorInfoIKT_T0_EEjPjjS8_iijT1_PSB_Ps,@function
_ZN2at6native6mbtopk23computeBlockDigitCountsIimjLi3EEEvNS_4cuda6detail10TensorInfoIKT_T0_EEjPjjS8_iijT1_PSB_Ps: ; @_ZN2at6native6mbtopk23computeBlockDigitCountsIimjLi3EEEvNS_4cuda6detail10TensorInfoIKT_T0_EEjPjjS8_iijT1_PSB_Ps
; %bb.0:
	s_load_dwordx4 s[0:3], s[4:5], 0x1c0
	s_load_dword s9, s[4:5], 0x1b0
	s_load_dwordx2 s[10:11], s[4:5], 0x1e0
	s_mov_b32 s21, 0
	s_waitcnt lgkmcnt(0)
	v_cvt_f32_u32_e32 v1, s2
	s_mul_i32 s8, s11, s8
	s_add_i32 s7, s8, s7
	v_rcp_iflag_f32_e32 v1, v1
	s_mul_i32 s24, s7, s10
	s_sub_i32 s11, 0, s2
	s_add_i32 s24, s24, s6
	v_mul_f32_e32 v1, 0x4f7ffffe, v1
	v_cvt_u32_f32_e32 v1, v1
	v_readfirstlane_b32 s6, v1
	s_mul_i32 s11, s11, s6
	s_mul_hi_u32 s7, s6, s11
	s_add_i32 s6, s6, s7
	s_mul_hi_u32 s6, s24, s6
	s_mul_i32 s7, s6, s2
	s_sub_i32 s7, s24, s7
	s_add_i32 s8, s6, 1
	s_sub_i32 s10, s7, s2
	s_cmp_ge_u32 s7, s2
	s_cselect_b32 s6, s8, s6
	s_cselect_b32 s7, s10, s7
	s_add_i32 s8, s6, 1
	s_cmp_ge_u32 s7, s2
	s_cselect_b32 s20, s8, s6
	s_cmp_ge_u32 s20, s9
	s_cbranch_scc1 .LBB148_25
; %bb.1:
	s_load_dwordx4 s[8:11], s[4:5], 0x1d0
	s_load_dwordx4 s[12:15], s[4:5], 0x10
	s_lshl_b64 s[16:17], s[20:21], 2
	s_mov_b64 s[6:7], 0
	s_waitcnt lgkmcnt(0)
	s_add_u32 s22, s8, s16
	v_mov_b32_e32 v1, s14
	v_mov_b32_e32 v2, s15
	v_cmp_lt_u64_e32 vcc, s[20:21], v[1:2]
	s_addc_u32 s23, s9, s17
	s_mov_b64 s[8:9], 0
	s_cbranch_vccnz .LBB148_3
; %bb.2:
	v_cvt_f32_u32_e32 v1, s14
	s_sub_i32 s7, 0, s14
	s_mov_b32 s9, 0
	v_rcp_iflag_f32_e32 v1, v1
	v_mul_f32_e32 v1, 0x4f7ffffe, v1
	v_cvt_u32_f32_e32 v1, v1
	v_readfirstlane_b32 s8, v1
	s_mul_i32 s7, s7, s8
	s_mul_hi_u32 s7, s8, s7
	s_add_i32 s8, s8, s7
	s_mul_hi_u32 s7, s20, s8
	s_mul_i32 s16, s7, s14
	s_sub_i32 s16, s20, s16
	s_add_i32 s8, s7, 1
	s_sub_i32 s17, s16, s14
	s_cmp_ge_u32 s16, s14
	s_cselect_b32 s7, s8, s7
	s_cselect_b32 s16, s17, s16
	s_add_i32 s8, s7, 1
	s_cmp_ge_u32 s16, s14
	s_cselect_b32 s8, s8, s7
.LBB148_3:
	v_mov_b32_e32 v1, s12
	v_mov_b32_e32 v2, s13
	v_cmp_lt_u64_e32 vcc, s[8:9], v[1:2]
	s_cbranch_vccnz .LBB148_5
; %bb.4:
	v_cvt_f32_u32_e32 v1, s12
	s_sub_i32 s6, 0, s12
	v_rcp_iflag_f32_e32 v1, v1
	v_mul_f32_e32 v1, 0x4f7ffffe, v1
	v_cvt_u32_f32_e32 v1, v1
	v_readfirstlane_b32 s7, v1
	s_mul_i32 s6, s6, s7
	s_mul_hi_u32 s6, s7, s6
	s_add_i32 s7, s7, s6
	s_mul_hi_u32 s6, s8, s7
	s_mul_i32 s16, s6, s12
	s_sub_i32 s16, s8, s16
	s_add_i32 s7, s6, 1
	s_sub_i32 s17, s16, s12
	s_cmp_ge_u32 s16, s12
	s_cselect_b32 s6, s7, s6
	s_cselect_b32 s16, s17, s16
	s_add_i32 s7, s6, 1
	s_cmp_ge_u32 s16, s12
	s_cselect_b32 s6, s7, s6
.LBB148_5:
	s_movk_i32 s7, 0x100
	v_cmp_gt_u32_e32 vcc, s7, v0
	v_lshlrev_b32_e32 v1, 2, v0
	s_and_saveexec_b64 s[16:17], vcc
; %bb.6:
	v_mov_b32_e32 v2, 0
	ds_write_b32 v1, v2
; %bb.7:
	s_or_b64 exec, exec, s[16:17]
	s_load_dword s21, s[4:5], 0x1a0
	s_mul_i32 s7, s20, s2
	s_sub_i32 s7, s24, s7
	s_add_i32 s18, s7, 1
	s_mul_i32 s7, s1, s7
	s_lshl_b32 s7, s7, 8
	s_waitcnt lgkmcnt(0)
	s_sub_i32 s16, s21, s7
	s_add_u32 s16, s16, 0xff
	s_addc_u32 s17, 0, 0
	s_lshr_b64 s[16:17], s[16:17], 8
	s_cmp_lt_u32 s18, s2
	s_cselect_b32 s25, s1, s16
	s_cmp_lt_i32 s25, 1
	s_mov_b32 s1, 0
	s_barrier
	s_cbranch_scc1 .LBB148_23
; %bb.8:
	s_load_dwordx2 s[26:27], s[4:5], 0xe0
	s_load_dwordx4 s[16:19], s[4:5], 0xd0
	s_load_dwordx2 s[28:29], s[4:5], 0x0
	s_load_dword s2, s[22:23], 0x0
	s_mul_i32 s15, s8, s15
	s_mul_hi_u32 s22, s8, s14
	s_add_i32 s22, s22, s15
	s_mul_i32 s14, s8, s14
	s_sub_u32 s14, s20, s14
	s_subb_u32 s15, 0, s22
	s_waitcnt lgkmcnt(0)
	s_mul_i32 s20, s14, s27
	s_mul_hi_u32 s22, s14, s26
	s_add_i32 s20, s22, s20
	s_mul_i32 s15, s15, s26
	s_add_i32 s15, s20, s15
	s_mul_i32 s13, s6, s13
	s_mul_hi_u32 s20, s6, s12
	s_add_i32 s20, s20, s13
	s_mul_i32 s12, s6, s12
	s_sub_u32 s8, s8, s12
	s_subb_u32 s9, s9, s20
	s_mul_i32 s12, s8, s19
	s_mul_hi_u32 s13, s8, s18
	s_add_i32 s12, s13, s12
	s_mul_i32 s9, s9, s18
	s_add_i32 s9, s12, s9
	s_mul_i32 s12, s6, s17
	s_mul_hi_u32 s13, s6, s16
	s_add_i32 s13, s13, s12
	s_mul_i32 s12, s6, s16
	s_lshl_b64 s[12:13], s[12:13], 2
	s_mul_i32 s8, s8, s18
	s_add_u32 s6, s28, s12
	s_addc_u32 s12, s29, s13
	s_lshl_b64 s[8:9], s[8:9], 2
	s_load_dwordx2 s[4:5], s[4:5], 0x1b8
	s_mul_i32 s14, s14, s26
	s_add_u32 s6, s6, s8
	s_addc_u32 s8, s12, s9
	s_lshl_b64 s[12:13], s[14:15], 2
	s_add_u32 s9, s6, s12
	s_addc_u32 s12, s8, s13
	s_and_b32 s8, s0, 0xff
	s_cmp_eq_u32 s25, 1
	v_add_u32_e32 v2, s7, v0
	s_cbranch_scc1 .LBB148_18
; %bb.9:
	s_and_b32 s13, s25, 0x7ffffffe
	s_mov_b32 s14, 0
	v_mov_b32_e32 v3, 1
	v_mov_b32_e32 v4, v2
	s_branch .LBB148_11
.LBB148_10:                             ;   in Loop: Header=BB148_11 Depth=1
	s_or_b64 exec, exec, s[6:7]
	s_add_i32 s14, s14, 2
	s_cmp_eq_u32 s13, s14
	v_add_u32_e32 v4, 0x200, v4
	s_cbranch_scc1 .LBB148_17
.LBB148_11:                             ; =>This Inner Loop Header: Depth=1
	v_cmp_gt_u32_e64 s[0:1], s21, v4
	s_and_saveexec_b64 s[6:7], s[0:1]
	s_cbranch_execz .LBB148_14
; %bb.12:                               ;   in Loop: Header=BB148_11 Depth=1
	s_waitcnt lgkmcnt(0)
	v_mad_u64_u32 v[5:6], s[0:1], s4, v4, 0
	v_mad_u64_u32 v[6:7], s[0:1], s5, v4, v[6:7]
	v_mov_b32_e32 v7, s12
	v_lshlrev_b64 v[5:6], 2, v[5:6]
	v_add_co_u32_e64 v5, s[0:1], s9, v5
	v_addc_co_u32_e64 v6, s[0:1], v7, v6, s[0:1]
	global_load_dword v5, v[5:6], off
	s_waitcnt vmcnt(0)
	v_xor_b32_e32 v5, 0x80000000, v5
	v_xor_b32_e32 v6, s2, v5
	v_and_b32_e32 v6, s3, v6
	v_cmp_eq_u32_e64 s[0:1], 0, v6
	s_and_b64 exec, exec, s[0:1]
; %bb.13:                               ;   in Loop: Header=BB148_11 Depth=1
	v_bfe_u32 v5, v5, s8, 8
	v_lshlrev_b32_e32 v5, 2, v5
	ds_add_u32 v5, v3
.LBB148_14:                             ;   in Loop: Header=BB148_11 Depth=1
	s_or_b64 exec, exec, s[6:7]
	v_add_u32_e32 v5, 0x100, v4
	v_cmp_gt_u32_e64 s[0:1], s21, v5
	s_and_saveexec_b64 s[6:7], s[0:1]
	s_cbranch_execz .LBB148_10
; %bb.15:                               ;   in Loop: Header=BB148_11 Depth=1
	s_waitcnt lgkmcnt(0)
	v_mad_u64_u32 v[6:7], s[0:1], s4, v5, 0
	v_mad_u64_u32 v[7:8], s[0:1], s5, v5, v[7:8]
	v_mov_b32_e32 v8, s12
	v_lshlrev_b64 v[5:6], 2, v[6:7]
	v_add_co_u32_e64 v5, s[0:1], s9, v5
	v_addc_co_u32_e64 v6, s[0:1], v8, v6, s[0:1]
	global_load_dword v5, v[5:6], off
	s_waitcnt vmcnt(0)
	v_xor_b32_e32 v5, 0x80000000, v5
	v_xor_b32_e32 v6, s2, v5
	v_and_b32_e32 v6, s3, v6
	v_cmp_eq_u32_e64 s[0:1], 0, v6
	s_and_b64 exec, exec, s[0:1]
	s_cbranch_execz .LBB148_10
; %bb.16:                               ;   in Loop: Header=BB148_11 Depth=1
	v_bfe_u32 v5, v5, s8, 8
	v_lshlrev_b32_e32 v5, 2, v5
	ds_add_u32 v5, v3
	s_branch .LBB148_10
.LBB148_17:
	s_lshl_b32 s1, s13, 8
.LBB148_18:
	s_bitcmp0_b32 s25, 0
	s_cbranch_scc1 .LBB148_23
; %bb.19:
	v_add_u32_e32 v2, s1, v2
	v_cmp_gt_u32_e64 s[0:1], s21, v2
	s_and_saveexec_b64 s[6:7], s[0:1]
	s_cbranch_execz .LBB148_22
; %bb.20:
	s_waitcnt lgkmcnt(0)
	v_mad_u64_u32 v[3:4], s[0:1], s4, v2, 0
	v_mad_u64_u32 v[4:5], s[0:1], s5, v2, v[4:5]
	v_mov_b32_e32 v5, s12
	v_lshlrev_b64 v[2:3], 2, v[3:4]
	v_add_co_u32_e64 v2, s[0:1], s9, v2
	v_addc_co_u32_e64 v3, s[0:1], v5, v3, s[0:1]
	global_load_dword v2, v[2:3], off
	s_waitcnt vmcnt(0)
	v_xor_b32_e32 v2, 0x80000000, v2
	v_xor_b32_e32 v3, s2, v2
	v_and_b32_e32 v3, s3, v3
	v_cmp_eq_u32_e64 s[0:1], 0, v3
	s_and_b64 exec, exec, s[0:1]
; %bb.21:
	v_bfe_u32 v2, v2, s8, 8
	v_lshlrev_b32_e32 v2, 2, v2
	v_mov_b32_e32 v3, 1
	ds_add_u32 v2, v3
.LBB148_22:
	s_or_b64 exec, exec, s[6:7]
.LBB148_23:
	s_waitcnt lgkmcnt(0)
	s_barrier
	s_and_saveexec_b64 s[0:1], vcc
	s_cbranch_execz .LBB148_25
; %bb.24:
	v_lshl_or_b32 v2, s24, 8, v0
	v_mov_b32_e32 v3, 0
	ds_read_b32 v5, v1
	v_lshlrev_b64 v[2:3], 1, v[2:3]
	v_mov_b32_e32 v4, s11
	v_add_co_u32_e32 v0, vcc, s10, v2
	v_addc_co_u32_e32 v1, vcc, v4, v3, vcc
	s_waitcnt lgkmcnt(0)
	global_store_short v[0:1], v5, off
.LBB148_25:
	s_endpgm
	.section	.rodata,"a",@progbits
	.p2align	6, 0x0
	.amdhsa_kernel _ZN2at6native6mbtopk23computeBlockDigitCountsIimjLi3EEEvNS_4cuda6detail10TensorInfoIKT_T0_EEjPjjS8_iijT1_PSB_Ps
		.amdhsa_group_segment_fixed_size 1024
		.amdhsa_private_segment_fixed_size 0
		.amdhsa_kernarg_size 736
		.amdhsa_user_sgpr_count 6
		.amdhsa_user_sgpr_private_segment_buffer 1
		.amdhsa_user_sgpr_dispatch_ptr 0
		.amdhsa_user_sgpr_queue_ptr 0
		.amdhsa_user_sgpr_kernarg_segment_ptr 1
		.amdhsa_user_sgpr_dispatch_id 0
		.amdhsa_user_sgpr_flat_scratch_init 0
		.amdhsa_user_sgpr_private_segment_size 0
		.amdhsa_uses_dynamic_stack 0
		.amdhsa_system_sgpr_private_segment_wavefront_offset 0
		.amdhsa_system_sgpr_workgroup_id_x 1
		.amdhsa_system_sgpr_workgroup_id_y 1
		.amdhsa_system_sgpr_workgroup_id_z 1
		.amdhsa_system_sgpr_workgroup_info 0
		.amdhsa_system_vgpr_workitem_id 0
		.amdhsa_next_free_vgpr 9
		.amdhsa_next_free_sgpr 30
		.amdhsa_reserve_vcc 1
		.amdhsa_reserve_flat_scratch 0
		.amdhsa_float_round_mode_32 0
		.amdhsa_float_round_mode_16_64 0
		.amdhsa_float_denorm_mode_32 3
		.amdhsa_float_denorm_mode_16_64 3
		.amdhsa_dx10_clamp 1
		.amdhsa_ieee_mode 1
		.amdhsa_fp16_overflow 0
		.amdhsa_exception_fp_ieee_invalid_op 0
		.amdhsa_exception_fp_denorm_src 0
		.amdhsa_exception_fp_ieee_div_zero 0
		.amdhsa_exception_fp_ieee_overflow 0
		.amdhsa_exception_fp_ieee_underflow 0
		.amdhsa_exception_fp_ieee_inexact 0
		.amdhsa_exception_int_div_zero 0
	.end_amdhsa_kernel
	.section	.text._ZN2at6native6mbtopk23computeBlockDigitCountsIimjLi3EEEvNS_4cuda6detail10TensorInfoIKT_T0_EEjPjjS8_iijT1_PSB_Ps,"axG",@progbits,_ZN2at6native6mbtopk23computeBlockDigitCountsIimjLi3EEEvNS_4cuda6detail10TensorInfoIKT_T0_EEjPjjS8_iijT1_PSB_Ps,comdat
.Lfunc_end148:
	.size	_ZN2at6native6mbtopk23computeBlockDigitCountsIimjLi3EEEvNS_4cuda6detail10TensorInfoIKT_T0_EEjPjjS8_iijT1_PSB_Ps, .Lfunc_end148-_ZN2at6native6mbtopk23computeBlockDigitCountsIimjLi3EEEvNS_4cuda6detail10TensorInfoIKT_T0_EEjPjjS8_iijT1_PSB_Ps
                                        ; -- End function
	.set _ZN2at6native6mbtopk23computeBlockDigitCountsIimjLi3EEEvNS_4cuda6detail10TensorInfoIKT_T0_EEjPjjS8_iijT1_PSB_Ps.num_vgpr, 9
	.set _ZN2at6native6mbtopk23computeBlockDigitCountsIimjLi3EEEvNS_4cuda6detail10TensorInfoIKT_T0_EEjPjjS8_iijT1_PSB_Ps.num_agpr, 0
	.set _ZN2at6native6mbtopk23computeBlockDigitCountsIimjLi3EEEvNS_4cuda6detail10TensorInfoIKT_T0_EEjPjjS8_iijT1_PSB_Ps.numbered_sgpr, 30
	.set _ZN2at6native6mbtopk23computeBlockDigitCountsIimjLi3EEEvNS_4cuda6detail10TensorInfoIKT_T0_EEjPjjS8_iijT1_PSB_Ps.num_named_barrier, 0
	.set _ZN2at6native6mbtopk23computeBlockDigitCountsIimjLi3EEEvNS_4cuda6detail10TensorInfoIKT_T0_EEjPjjS8_iijT1_PSB_Ps.private_seg_size, 0
	.set _ZN2at6native6mbtopk23computeBlockDigitCountsIimjLi3EEEvNS_4cuda6detail10TensorInfoIKT_T0_EEjPjjS8_iijT1_PSB_Ps.uses_vcc, 1
	.set _ZN2at6native6mbtopk23computeBlockDigitCountsIimjLi3EEEvNS_4cuda6detail10TensorInfoIKT_T0_EEjPjjS8_iijT1_PSB_Ps.uses_flat_scratch, 0
	.set _ZN2at6native6mbtopk23computeBlockDigitCountsIimjLi3EEEvNS_4cuda6detail10TensorInfoIKT_T0_EEjPjjS8_iijT1_PSB_Ps.has_dyn_sized_stack, 0
	.set _ZN2at6native6mbtopk23computeBlockDigitCountsIimjLi3EEEvNS_4cuda6detail10TensorInfoIKT_T0_EEjPjjS8_iijT1_PSB_Ps.has_recursion, 0
	.set _ZN2at6native6mbtopk23computeBlockDigitCountsIimjLi3EEEvNS_4cuda6detail10TensorInfoIKT_T0_EEjPjjS8_iijT1_PSB_Ps.has_indirect_call, 0
	.section	.AMDGPU.csdata,"",@progbits
; Kernel info:
; codeLenInByte = 1240
; TotalNumSgprs: 34
; NumVgprs: 9
; ScratchSize: 0
; MemoryBound: 0
; FloatMode: 240
; IeeeMode: 1
; LDSByteSize: 1024 bytes/workgroup (compile time only)
; SGPRBlocks: 4
; VGPRBlocks: 2
; NumSGPRsForWavesPerEU: 34
; NumVGPRsForWavesPerEU: 9
; Occupancy: 10
; WaveLimiterHint : 1
; COMPUTE_PGM_RSRC2:SCRATCH_EN: 0
; COMPUTE_PGM_RSRC2:USER_SGPR: 6
; COMPUTE_PGM_RSRC2:TRAP_HANDLER: 0
; COMPUTE_PGM_RSRC2:TGID_X_EN: 1
; COMPUTE_PGM_RSRC2:TGID_Y_EN: 1
; COMPUTE_PGM_RSRC2:TGID_Z_EN: 1
; COMPUTE_PGM_RSRC2:TIDIG_COMP_CNT: 0
	.section	.text._ZN2at6native6mbtopk10gatherTopKIimLi3EEEvNS_4cuda6detail10TensorInfoIKT_T0_EES8_S8_bjS8_NS5_IS6_S8_EES8_NS5_IlS8_EES8_jjPS6_PjSD_j,"axG",@progbits,_ZN2at6native6mbtopk10gatherTopKIimLi3EEEvNS_4cuda6detail10TensorInfoIKT_T0_EES8_S8_bjS8_NS5_IS6_S8_EES8_NS5_IlS8_EES8_jjPS6_PjSD_j,comdat
	.protected	_ZN2at6native6mbtopk10gatherTopKIimLi3EEEvNS_4cuda6detail10TensorInfoIKT_T0_EES8_S8_bjS8_NS5_IS6_S8_EES8_NS5_IlS8_EES8_jjPS6_PjSD_j ; -- Begin function _ZN2at6native6mbtopk10gatherTopKIimLi3EEEvNS_4cuda6detail10TensorInfoIKT_T0_EES8_S8_bjS8_NS5_IS6_S8_EES8_NS5_IlS8_EES8_jjPS6_PjSD_j
	.globl	_ZN2at6native6mbtopk10gatherTopKIimLi3EEEvNS_4cuda6detail10TensorInfoIKT_T0_EES8_S8_bjS8_NS5_IS6_S8_EES8_NS5_IlS8_EES8_jjPS6_PjSD_j
	.p2align	8
	.type	_ZN2at6native6mbtopk10gatherTopKIimLi3EEEvNS_4cuda6detail10TensorInfoIKT_T0_EES8_S8_bjS8_NS5_IS6_S8_EES8_NS5_IlS8_EES8_jjPS6_PjSD_j,@function
_ZN2at6native6mbtopk10gatherTopKIimLi3EEEvNS_4cuda6detail10TensorInfoIKT_T0_EES8_S8_bjS8_NS5_IS6_S8_EES8_NS5_IlS8_EES8_jjPS6_PjSD_j: ; @_ZN2at6native6mbtopk10gatherTopKIimLi3EEEvNS_4cuda6detail10TensorInfoIKT_T0_EES8_S8_bjS8_NS5_IS6_S8_EES8_NS5_IlS8_EES8_jjPS6_PjSD_j
; %bb.0:
	s_load_dwordx2 s[0:1], s[4:5], 0x538
	s_load_dword s2, s[4:5], 0x530
	s_waitcnt lgkmcnt(0)
	s_mul_i32 s1, s1, s8
	s_add_i32 s1, s1, s7
	s_mul_i32 s0, s1, s0
	s_add_i32 s0, s0, s6
	s_cmp_ge_u32 s0, s2
	s_cbranch_scc1 .LBB149_54
; %bb.1:
	s_load_dwordx2 s[34:35], s[4:5], 0x510
	s_load_dwordx4 s[8:11], s[4:5], 0x1a0
	s_load_dwordx4 s[12:15], s[4:5], 0x10
	s_mov_b32 s7, 0
	s_waitcnt lgkmcnt(0)
	v_cvt_f32_u32_e32 v1, s35
	s_sub_i32 s2, 0, s35
	s_lshl_b32 s1, s34, 8
	v_rcp_iflag_f32_e32 v1, v1
	v_mul_f32_e32 v1, 0x4f7ffffe, v1
	v_cvt_u32_f32_e32 v1, v1
	v_readfirstlane_b32 s3, v1
	s_mul_i32 s2, s2, s3
	s_mul_hi_u32 s2, s3, s2
	s_add_i32 s3, s3, s2
	s_mul_hi_u32 s2, s0, s3
	s_mul_i32 s3, s2, s35
	s_sub_i32 s3, s0, s3
	s_add_i32 s6, s2, 1
	s_sub_i32 s16, s3, s35
	s_cmp_ge_u32 s3, s35
	s_cselect_b32 s2, s6, s2
	s_cselect_b32 s3, s16, s3
	s_add_i32 s6, s2, 1
	s_cmp_ge_u32 s3, s35
	s_cselect_b32 s6, s6, s2
	s_mul_i32 s52, s6, s35
	s_sub_i32 s77, s0, s52
	s_add_i32 s0, s77, 1
	s_cmp_lt_u32 s0, s35
	s_mul_i32 s76, s77, s1
	s_cbranch_scc1 .LBB149_3
; %bb.2:
	s_sub_u32 s0, s8, s76
	s_subb_u32 s1, s9, 0
	s_add_u32 s0, s0, 0xff
	s_addc_u32 s1, s1, 0
	s_ashr_i32 s2, s1, 31
	s_lshr_b32 s2, s2, 24
	s_add_u32 s0, s0, s2
	s_addc_u32 s1, s1, 0
	s_lshr_b64 s[0:1], s[0:1], 8
	s_mov_b32 s34, s0
.LBB149_3:
	v_mov_b32_e32 v1, s14
	v_mov_b32_e32 v2, s15
	v_cmp_lt_u64_e32 vcc, s[6:7], v[1:2]
	s_mov_b64 s[50:51], 0
	s_mov_b64 s[48:49], 0
	s_cbranch_vccnz .LBB149_5
; %bb.4:
	v_cvt_f32_u32_e32 v1, s14
	s_sub_i32 s0, 0, s14
	s_mov_b32 s49, 0
	v_rcp_iflag_f32_e32 v1, v1
	v_mul_f32_e32 v1, 0x4f7ffffe, v1
	v_cvt_u32_f32_e32 v1, v1
	v_readfirstlane_b32 s1, v1
	s_mul_i32 s0, s0, s1
	s_mul_hi_u32 s0, s1, s0
	s_add_i32 s1, s1, s0
	s_mul_hi_u32 s0, s6, s1
	s_mul_i32 s2, s0, s14
	s_sub_i32 s2, s6, s2
	s_add_i32 s1, s0, 1
	s_sub_i32 s3, s2, s14
	s_cmp_ge_u32 s2, s14
	s_cselect_b32 s0, s1, s0
	s_cselect_b32 s2, s3, s2
	s_add_i32 s1, s0, 1
	s_cmp_ge_u32 s2, s14
	s_cselect_b32 s48, s1, s0
.LBB149_5:
	s_load_dwordx4 s[24:27], s[4:5], 0x1d0
	v_mov_b32_e32 v1, s12
	v_mov_b32_e32 v2, s13
	v_cmp_lt_u64_e32 vcc, s[48:49], v[1:2]
	s_cbranch_vccnz .LBB149_7
; %bb.6:
	v_cvt_f32_u32_e32 v1, s12
	s_sub_i32 s0, 0, s12
	v_rcp_iflag_f32_e32 v1, v1
	v_mul_f32_e32 v1, 0x4f7ffffe, v1
	v_cvt_u32_f32_e32 v1, v1
	v_readfirstlane_b32 s1, v1
	s_mul_i32 s0, s0, s1
	s_mul_hi_u32 s0, s1, s0
	s_add_i32 s1, s1, s0
	s_mul_hi_u32 s0, s48, s1
	s_mul_i32 s2, s0, s12
	s_sub_i32 s2, s48, s2
	s_add_i32 s1, s0, 1
	s_sub_i32 s3, s2, s12
	s_cmp_ge_u32 s2, s12
	s_cselect_b32 s0, s1, s0
	s_cselect_b32 s2, s3, s2
	s_add_i32 s1, s0, 1
	s_cmp_ge_u32 s2, s12
	s_cselect_b32 s50, s1, s0
.LBB149_7:
	s_waitcnt lgkmcnt(0)
	v_mov_b32_e32 v1, s26
	v_mov_b32_e32 v2, s27
	v_cmp_lt_u64_e32 vcc, s[6:7], v[1:2]
	s_mov_b64 s[56:57], 0
	s_mov_b64 s[54:55], 0
	s_cbranch_vccnz .LBB149_9
; %bb.8:
	v_cvt_f32_u32_e32 v1, s26
	s_sub_i32 s0, 0, s26
	s_mov_b32 s55, 0
	v_rcp_iflag_f32_e32 v1, v1
	v_mul_f32_e32 v1, 0x4f7ffffe, v1
	v_cvt_u32_f32_e32 v1, v1
	v_readfirstlane_b32 s1, v1
	s_mul_i32 s0, s0, s1
	s_mul_hi_u32 s0, s1, s0
	s_add_i32 s1, s1, s0
	s_mul_hi_u32 s0, s6, s1
	s_mul_i32 s2, s0, s26
	s_sub_i32 s2, s6, s2
	s_add_i32 s1, s0, 1
	s_sub_i32 s3, s2, s26
	s_cmp_ge_u32 s2, s26
	s_cselect_b32 s0, s1, s0
	s_cselect_b32 s2, s3, s2
	s_add_i32 s1, s0, 1
	s_cmp_ge_u32 s2, s26
	s_cselect_b32 s54, s1, s0
.LBB149_9:
	s_load_dwordx4 s[28:31], s[4:5], 0x378
	v_mov_b32_e32 v1, s24
	v_mov_b32_e32 v2, s25
	v_cmp_lt_u64_e32 vcc, s[54:55], v[1:2]
	s_cbranch_vccnz .LBB149_11
; %bb.10:
	v_cvt_f32_u32_e32 v1, s24
	s_sub_i32 s0, 0, s24
	v_rcp_iflag_f32_e32 v1, v1
	v_mul_f32_e32 v1, 0x4f7ffffe, v1
	v_cvt_u32_f32_e32 v1, v1
	v_readfirstlane_b32 s1, v1
	s_mul_i32 s0, s0, s1
	s_mul_hi_u32 s0, s1, s0
	s_add_i32 s1, s1, s0
	s_mul_hi_u32 s0, s54, s1
	s_mul_i32 s2, s0, s24
	s_sub_i32 s2, s54, s2
	s_add_i32 s1, s0, 1
	s_sub_i32 s3, s2, s24
	s_cmp_ge_u32 s2, s24
	s_cselect_b32 s0, s1, s0
	s_cselect_b32 s2, s3, s2
	s_add_i32 s1, s0, 1
	s_cmp_ge_u32 s2, s24
	s_cselect_b32 s56, s1, s0
.LBB149_11:
	s_waitcnt lgkmcnt(0)
	v_mov_b32_e32 v1, s30
	v_mov_b32_e32 v2, s31
	v_cmp_lt_u64_e32 vcc, s[6:7], v[1:2]
	s_mov_b64 s[58:59], 0
	s_mov_b64 s[60:61], 0
	s_cbranch_vccnz .LBB149_13
; %bb.12:
	v_cvt_f32_u32_e32 v1, s30
	s_sub_i32 s0, 0, s30
	s_mov_b32 s61, 0
	v_rcp_iflag_f32_e32 v1, v1
	v_mul_f32_e32 v1, 0x4f7ffffe, v1
	v_cvt_u32_f32_e32 v1, v1
	v_readfirstlane_b32 s1, v1
	s_mul_i32 s0, s0, s1
	s_mul_hi_u32 s0, s1, s0
	s_add_i32 s1, s1, s0
	s_mul_hi_u32 s0, s6, s1
	s_mul_i32 s2, s0, s30
	s_sub_i32 s2, s6, s2
	s_add_i32 s1, s0, 1
	s_sub_i32 s3, s2, s30
	s_cmp_ge_u32 s2, s30
	s_cselect_b32 s0, s1, s0
	s_cselect_b32 s2, s3, s2
	s_add_i32 s1, s0, 1
	s_cmp_ge_u32 s2, s30
	s_cselect_b32 s60, s1, s0
.LBB149_13:
	s_load_dwordx2 s[62:63], s[4:5], 0xe0
	s_load_dwordx4 s[40:43], s[4:5], 0xd0
	s_load_dwordx2 s[66:67], s[4:5], 0x2a0
	s_load_dwordx4 s[44:47], s[4:5], 0x290
	;; [unrolled: 2-line block ×3, first 2 shown]
	v_mov_b32_e32 v1, s28
	v_mov_b32_e32 v2, s29
	v_cmp_lt_u64_e32 vcc, s[60:61], v[1:2]
	s_cbranch_vccnz .LBB149_15
; %bb.14:
	v_cvt_f32_u32_e32 v1, s28
	s_sub_i32 s0, 0, s28
	v_rcp_iflag_f32_e32 v1, v1
	v_mul_f32_e32 v1, 0x4f7ffffe, v1
	v_cvt_u32_f32_e32 v1, v1
	v_readfirstlane_b32 s1, v1
	s_mul_i32 s0, s0, s1
	s_mul_hi_u32 s0, s1, s0
	s_add_i32 s1, s1, s0
	s_mul_hi_u32 s0, s60, s1
	s_mul_i32 s2, s0, s28
	s_sub_i32 s2, s60, s2
	s_add_i32 s1, s0, 1
	s_sub_i32 s3, s2, s28
	s_cmp_ge_u32 s2, s28
	s_cselect_b32 s0, s1, s0
	s_cselect_b32 s2, s3, s2
	s_add_i32 s1, s0, 1
	s_cmp_ge_u32 s2, s28
	s_cselect_b32 s58, s1, s0
.LBB149_15:
	s_load_dwordx4 s[16:19], s[4:5], 0x518
	s_load_dwordx2 s[64:65], s[4:5], 0x0
	s_lshl_b64 s[0:1], s[6:7], 2
	s_mov_b32 s53, 0
	v_cmp_eq_u32_e64 s[2:3], 0, v0
	s_waitcnt lgkmcnt(0)
	s_add_u32 s0, s16, s0
	s_addc_u32 s1, s17, s1
	s_load_dword s33, s[0:1], 0x0
	v_cmp_ne_u32_e64 s[0:1], 0, v0
	s_and_saveexec_b64 s[16:17], s[2:3]
	s_cbranch_execz .LBB149_31
; %bb.16:
	s_load_dwordx2 s[70:71], s[4:5], 0x528
	s_lshl_b64 s[72:73], s[52:53], 2
	s_add_u32 s20, s18, s72
	s_addc_u32 s21, s19, s73
	s_mov_b32 s51, 0
	s_waitcnt lgkmcnt(0)
	s_add_u32 s22, s70, s72
	s_addc_u32 s23, s71, s73
	s_cmp_lt_u32 s35, 4
	s_cbranch_scc1 .LBB149_28
; %bb.17:
	s_mov_b32 s52, 0
.LBB149_18:                             ; =>This Inner Loop Header: Depth=1
	s_add_u32 s74, s18, s72
	s_addc_u32 s75, s19, s73
	s_load_dwordx4 s[20:23], s[74:75], 0x0
	s_add_u32 s74, s70, s72
	s_addc_u32 s75, s71, s73
	s_cmp_ge_u32 s52, s77
	s_cbranch_scc0 .LBB149_25
; %bb.19:                               ;   in Loop: Header=BB149_18 Depth=1
	s_add_i32 s57, s52, 1
	s_cmp_ge_u32 s57, s77
	s_cbranch_scc0 .LBB149_26
.LBB149_20:                             ;   in Loop: Header=BB149_18 Depth=1
	s_add_i32 s57, s57, 1
	s_cmp_ge_u32 s57, s77
	s_cbranch_scc0 .LBB149_27
.LBB149_21:                             ;   in Loop: Header=BB149_18 Depth=1
	s_add_i32 s57, s57, 1
	s_cmp_ge_u32 s57, s77
	s_cbranch_scc1 .LBB149_23
.LBB149_22:                             ;   in Loop: Header=BB149_18 Depth=1
	s_load_dword s59, s[74:75], 0xc
	s_waitcnt lgkmcnt(0)
	s_add_i32 s53, s53, s23
	s_add_i32 s7, s59, s7
.LBB149_23:                             ;   in Loop: Header=BB149_18 Depth=1
	s_waitcnt lgkmcnt(0)
	s_add_i32 s20, s20, s51
	s_add_i32 s20, s20, s21
	;; [unrolled: 1-line block ×4, first 2 shown]
	s_add_u32 s18, s18, 16
	s_addc_u32 s19, s19, 0
	s_add_u32 s70, s70, 16
	s_addc_u32 s71, s71, 0
	s_add_i32 s59, s57, 4
	s_add_u32 s22, s70, s72
	s_addc_u32 s23, s71, s73
	s_add_u32 s20, s18, s72
	s_addc_u32 s21, s19, s73
	s_add_i32 s57, s57, 1
	s_cmp_ge_u32 s59, s35
	s_cbranch_scc1 .LBB149_29
; %bb.24:                               ;   in Loop: Header=BB149_18 Depth=1
	s_mov_b32 s52, s57
	s_branch .LBB149_18
.LBB149_25:                             ;   in Loop: Header=BB149_18 Depth=1
	s_load_dword s57, s[74:75], 0x0
	s_waitcnt lgkmcnt(0)
	s_add_i32 s53, s20, s53
	s_add_i32 s7, s57, s7
	;; [unrolled: 1-line block ×3, first 2 shown]
	s_cmp_ge_u32 s57, s77
	s_cbranch_scc1 .LBB149_20
.LBB149_26:                             ;   in Loop: Header=BB149_18 Depth=1
	s_load_dword s59, s[74:75], 0x4
	s_waitcnt lgkmcnt(0)
	s_add_i32 s53, s53, s21
	s_add_i32 s7, s59, s7
	;; [unrolled: 1-line block ×3, first 2 shown]
	s_cmp_ge_u32 s57, s77
	s_cbranch_scc1 .LBB149_21
.LBB149_27:                             ;   in Loop: Header=BB149_18 Depth=1
	s_load_dword s59, s[74:75], 0x8
	s_waitcnt lgkmcnt(0)
	s_add_i32 s53, s53, s22
	s_add_i32 s7, s59, s7
	;; [unrolled: 1-line block ×3, first 2 shown]
	s_cmp_ge_u32 s57, s77
	s_cbranch_scc0 .LBB149_22
	s_branch .LBB149_23
.LBB149_28:
	s_mov_b32 s18, 0
	s_cmp_ge_u32 s18, s35
	s_cbranch_scc0 .LBB149_52
	s_branch .LBB149_30
.LBB149_29:
	s_add_i32 s18, s52, 4
	s_cmp_ge_u32 s18, s35
	s_cbranch_scc0 .LBB149_52
.LBB149_30:
	v_mov_b32_e32 v1, s7
	v_mov_b32_e32 v2, s51
	v_mov_b32_e32 v3, s53
	v_mov_b32_e32 v4, 0
	ds_write_b96 v4, v[1:3] offset:1056
.LBB149_31:
	s_or_b64 exec, exec, s[16:17]
	s_load_dwordx4 s[16:19], s[4:5], 0x1b8
	s_load_dwordx4 s[20:23], s[4:5], 0x360
	s_cmp_eq_u32 s34, 0
	s_waitcnt lgkmcnt(0)
	s_barrier
	s_cbranch_scc1 .LBB149_54
; %bb.32:
	s_mul_i32 s7, s60, s31
	s_mul_hi_u32 s31, s60, s30
	s_add_i32 s31, s31, s7
	s_mul_i32 s7, s60, s30
	s_sub_u32 s7, s6, s7
	s_subb_u32 s30, 0, s31
	s_mul_i32 s31, s7, s69
	s_mul_hi_u32 s35, s7, s68
	s_add_i32 s31, s35, s31
	s_mul_i32 s35, s30, s68
	s_mul_i32 s30, s7, s68
	;; [unrolled: 1-line block ×3, first 2 shown]
	s_mul_hi_u32 s25, s56, s24
	s_add_i32 s31, s31, s35
	s_add_i32 s25, s25, s7
	s_mul_i32 s7, s56, s24
	s_sub_u32 s7, s54, s7
	s_subb_u32 s24, s55, s25
	s_mul_i32 s25, s56, s45
	s_mul_i32 s45, s7, s47
	s_mul_hi_u32 s47, s7, s46
	s_mul_i32 s24, s24, s46
	s_mul_i32 s46, s7, s46
	s_add_i32 s7, s47, s45
	s_mul_hi_u32 s35, s56, s44
	s_add_i32 s47, s7, s24
	s_mul_i32 s7, s54, s27
	s_mul_hi_u32 s24, s54, s26
	s_add_i32 s45, s35, s25
	s_add_i32 s24, s24, s7
	s_mul_i32 s7, s54, s26
	s_sub_u32 s7, s6, s7
	s_subb_u32 s24, 0, s24
	s_mul_i32 s25, s7, s67
	s_mul_hi_u32 s26, s7, s66
	s_add_i32 s25, s26, s25
	s_mul_i32 s24, s24, s66
	s_mul_i32 s26, s7, s66
	;; [unrolled: 1-line block ×3, first 2 shown]
	s_mul_hi_u32 s13, s50, s12
	s_add_i32 s27, s25, s24
	s_add_i32 s13, s13, s7
	s_mul_i32 s7, s50, s12
	s_sub_u32 s7, s48, s7
	s_subb_u32 s12, s49, s13
	s_mul_i32 s13, s7, s43
	s_mul_hi_u32 s24, s7, s42
	s_add_i32 s13, s24, s13
	s_mul_i32 s12, s12, s42
	s_add_i32 s13, s13, s12
	s_mul_i32 s12, s7, s42
	s_mul_i32 s7, s50, s41
	s_mul_hi_u32 s24, s50, s40
	s_add_i32 s25, s24, s7
	s_mul_i32 s7, s48, s15
	s_mul_hi_u32 s15, s48, s14
	s_add_i32 s15, s15, s7
	s_mul_i32 s7, s48, s14
	s_sub_u32 s6, s6, s7
	s_subb_u32 s7, 0, s15
	s_mul_i32 s14, s6, s63
	s_mul_hi_u32 s15, s6, s62
	s_add_i32 s14, s15, s14
	s_mul_i32 s7, s7, s62
	s_add_i32 s7, s14, s7
	s_mul_i32 s14, s58, s29
	s_mul_hi_u32 s15, s58, s28
	s_add_i32 s15, s15, s14
	s_mul_i32 s14, s58, s28
	s_sub_u32 s14, s60, s14
	s_subb_u32 s15, s61, s15
	s_mul_i32 s28, s14, s39
	s_mul_hi_u32 s29, s14, s38
	s_add_i32 s28, s29, s28
	s_mul_i32 s15, s15, s38
	s_mul_i32 s24, s50, s40
	s_add_i32 s15, s28, s15
	s_mul_i32 s28, s58, s37
	s_mul_hi_u32 s29, s58, s36
	s_add_i32 s29, s29, s28
	s_lshl_b64 s[24:25], s[24:25], 2
	s_add_u32 s24, s64, s24
	s_addc_u32 s25, s65, s25
	s_lshl_b64 s[12:13], s[12:13], 2
	s_mul_i32 s6, s6, s62
	s_add_u32 s12, s24, s12
	s_addc_u32 s13, s25, s13
	s_lshl_b64 s[6:7], s[6:7], 2
	s_mul_i32 s44, s56, s44
	s_add_u32 s24, s12, s6
	s_addc_u32 s25, s13, s7
	s_lshl_b64 s[6:7], s[44:45], 2
	s_add_u32 s12, s18, s6
	s_addc_u32 s13, s19, s7
	s_lshl_b64 s[6:7], s[46:47], 2
	;; [unrolled: 3-line block ×3, first 2 shown]
	v_mov_b32_e32 v5, 0
	s_mul_i32 s28, s58, s36
	s_add_u32 s18, s12, s6
	ds_read_b96 v[1:3], v5 offset:1056
	s_addc_u32 s19, s13, s7
	s_lshl_b64 s[6:7], s[28:29], 3
	s_mul_i32 s14, s14, s38
	s_add_u32 s12, s22, s6
	s_addc_u32 s13, s23, s7
	s_lshl_b64 s[6:7], s[14:15], 3
	s_add_u32 s12, s12, s6
	s_addc_u32 s13, s13, s7
	s_lshl_b64 s[6:7], s[30:31], 3
	s_waitcnt lgkmcnt(0)
	v_add_u32_e32 v1, v1, v2
	v_lshrrev_b32_e32 v2, 3, v0
	s_add_u32 s22, s12, s6
	s_load_dword s6, s[4:5], 0x1b0
	v_and_b32_e32 v2, 28, v2
	v_lshl_add_u32 v8, v0, 2, v2
	v_lshrrev_b32_e32 v2, 1, v0
	s_addc_u32 s23, s13, s7
	s_load_dwordx2 s[12:13], s[4:5], 0x508
	v_and_b32_e32 v9, 0x7c, v2
	v_add_u32_e32 v2, -1, v0
	v_lshrrev_b32_e32 v4, 3, v2
	s_xor_b32 s26, s33, 0x80000000
	v_and_b32_e32 v4, 0x1ffffffc, v4
	s_waitcnt lgkmcnt(0)
	s_bitcmp1_b32 s6, 0
	v_cmp_gt_u32_e64 s[6:7], 64, v0
	v_lshlrev_b32_e32 v10, 4, v0
	v_lshl_add_u32 v11, v2, 2, v4
	v_add_u32_e32 v4, s76, v0
	v_mbcnt_lo_u32_b32 v0, -1, 0
	s_cselect_b64 s[4:5], -1, 0
	v_mbcnt_hi_u32_b32 v0, -1, v0
                                        ; implicit-def: $vgpr12
	s_branch .LBB149_35
.LBB149_33:                             ;   in Loop: Header=BB149_35 Depth=1
	s_or_b64 exec, exec, s[14:15]
	v_add_u32_e32 v1, v2, v1
.LBB149_34:                             ;   in Loop: Header=BB149_35 Depth=1
	s_add_i32 s34, s34, -1
	v_add_u32_e32 v3, v13, v3
	s_cmp_lg_u32 s34, 0
	v_add_u32_e32 v4, 0x100, v4
	s_cbranch_scc0 .LBB149_54
.LBB149_35:                             ; =>This Inner Loop Header: Depth=1
	v_cmp_gt_u64_e32 vcc, s[8:9], v[4:5]
	v_mov_b32_e32 v2, v5
	v_mov_b32_e32 v6, v5
	s_and_saveexec_b64 s[14:15], vcc
	s_cbranch_execz .LBB149_37
; %bb.36:                               ;   in Loop: Header=BB149_35 Depth=1
	v_mad_u64_u32 v[6:7], s[28:29], s16, v4, 0
	v_mov_b32_e32 v2, v7
	v_mad_u64_u32 v[12:13], s[28:29], s17, v4, v[2:3]
	v_mov_b32_e32 v2, s25
	v_mov_b32_e32 v7, v12
	v_lshlrev_b64 v[6:7], 2, v[6:7]
	v_add_co_u32_e32 v6, vcc, s24, v6
	v_addc_co_u32_e32 v7, vcc, v2, v7, vcc
	global_load_dword v12, v[6:7], off
	s_waitcnt vmcnt(0)
	v_xor_b32_e32 v2, 0x80000000, v12
	v_cmp_lt_u32_e32 vcc, s26, v2
	v_cndmask_b32_e64 v6, 0, 1, vcc
	v_cmp_gt_u32_e32 vcc, s26, v2
	v_cndmask_b32_e64 v2, 0, 1, vcc
	v_cndmask_b32_e64 v2, v2, v6, s[4:5]
	v_cmp_eq_u32_e32 vcc, s33, v12
	v_and_b32_e32 v2, 1, v2
	v_cndmask_b32_e64 v6, 0, 1, vcc
.LBB149_37:                             ;   in Loop: Header=BB149_35 Depth=1
	s_or_b64 exec, exec, s[14:15]
	ds_write_b32 v8, v2
	s_waitcnt vmcnt(0) lgkmcnt(0)
	s_barrier
	s_and_saveexec_b64 s[14:15], s[6:7]
	s_cbranch_execz .LBB149_39
; %bb.38:                               ;   in Loop: Header=BB149_35 Depth=1
	v_add_u32_e32 v7, v9, v10
	ds_read2_b32 v[13:14], v7 offset1:1
	ds_read2_b32 v[15:16], v7 offset0:2 offset1:3
	v_and_b32_e32 v17, 15, v0
	v_cmp_ne_u32_e32 vcc, 0, v17
	s_waitcnt lgkmcnt(1)
	v_add_u32_e32 v14, v14, v13
	s_waitcnt lgkmcnt(0)
	v_add3_u32 v14, v14, v15, v16
	v_bfe_i32 v16, v0, 4, 1
	; wave barrier
	s_nop 0
	v_mov_b32_dpp v15, v14 row_shr:1 row_mask:0xf bank_mask:0xf
	v_cndmask_b32_e32 v15, 0, v15, vcc
	v_add_u32_e32 v14, v15, v14
	v_cmp_lt_u32_e32 vcc, 1, v17
	s_nop 0
	v_mov_b32_dpp v15, v14 row_shr:2 row_mask:0xf bank_mask:0xf
	v_cndmask_b32_e32 v15, 0, v15, vcc
	v_add_u32_e32 v14, v14, v15
	v_cmp_lt_u32_e32 vcc, 3, v17
	;; [unrolled: 5-line block ×4, first 2 shown]
	s_nop 0
	v_mov_b32_dpp v15, v14 row_bcast:15 row_mask:0xf bank_mask:0xf
	v_and_b32_e32 v15, v16, v15
	v_add_u32_e32 v14, v14, v15
	v_and_b32_e32 v16, 64, v0
	s_nop 0
	v_mov_b32_dpp v15, v14 row_bcast:31 row_mask:0xf bank_mask:0xf
	v_cndmask_b32_e32 v15, 0, v15, vcc
	v_add_u32_e32 v14, v14, v15
	v_add_u32_e32 v15, -1, v0
	v_cmp_lt_i32_e32 vcc, v15, v16
	v_cndmask_b32_e32 v15, v15, v0, vcc
	v_lshlrev_b32_e32 v15, 2, v15
	ds_bpermute_b32 v14, v15, v14
	s_waitcnt lgkmcnt(0)
	v_add_u32_e32 v13, v14, v13
	v_cndmask_b32_e64 v15, v13, v2, s[2:3]
	ds_write_b32 v7, v15
	; wave barrier
	ds_read2_b32 v[13:14], v7 offset0:1 offset1:2
	ds_read_b32 v16, v7 offset:12
	s_waitcnt lgkmcnt(1)
	v_add_u32_e32 v13, v13, v15
	v_add_u32_e32 v14, v14, v13
	ds_write2_b32 v7, v13, v14 offset0:1 offset1:2
	s_waitcnt lgkmcnt(1)
	v_add_u32_e32 v13, v16, v14
	ds_write_b32 v7, v13 offset:12
.LBB149_39:                             ;   in Loop: Header=BB149_35 Depth=1
	s_or_b64 exec, exec, s[14:15]
	v_mov_b32_e32 v7, 0
	s_waitcnt lgkmcnt(0)
	s_barrier
	s_and_saveexec_b64 s[14:15], s[0:1]
; %bb.40:                               ;   in Loop: Header=BB149_35 Depth=1
	ds_read_b32 v7, v11
; %bb.41:                               ;   in Loop: Header=BB149_35 Depth=1
	s_or_b64 exec, exec, s[14:15]
	ds_read_b32 v13, v5 offset:1048
	v_cmp_ne_u32_e32 vcc, 0, v2
	s_waitcnt lgkmcnt(0)
	s_barrier
	s_and_saveexec_b64 s[14:15], vcc
	s_cbranch_execz .LBB149_43
; %bb.42:                               ;   in Loop: Header=BB149_35 Depth=1
	v_add_u32_e32 v7, v7, v3
	v_mad_u64_u32 v[14:15], s[28:29], s20, v7, 0
	v_mad_u64_u32 v[16:17], s[28:29], s12, v7, 0
	v_mov_b32_e32 v2, v15
	v_mad_u64_u32 v[18:19], s[28:29], s21, v7, v[2:3]
	v_mov_b32_e32 v2, v17
	v_mov_b32_e32 v19, s19
	;; [unrolled: 1-line block ×3, first 2 shown]
	v_lshlrev_b64 v[14:15], 2, v[14:15]
	v_mad_u64_u32 v[17:18], s[28:29], s13, v7, v[2:3]
	v_add_co_u32_e32 v14, vcc, s18, v14
	v_addc_co_u32_e32 v15, vcc, v19, v15, vcc
	global_store_dword v[14:15], v12, off
	v_lshlrev_b64 v[14:15], 3, v[16:17]
	v_mov_b32_e32 v2, s23
	v_add_co_u32_e32 v14, vcc, s22, v14
	v_addc_co_u32_e32 v15, vcc, v2, v15, vcc
	global_store_dwordx2 v[14:15], v[4:5], off
.LBB149_43:                             ;   in Loop: Header=BB149_35 Depth=1
	s_or_b64 exec, exec, s[14:15]
	v_mov_b32_e32 v2, v5
	v_cmp_le_u64_e32 vcc, s[10:11], v[1:2]
	s_cbranch_vccnz .LBB149_34
; %bb.44:                               ;   in Loop: Header=BB149_35 Depth=1
	ds_write_b32 v8, v6
	s_waitcnt vmcnt(0) lgkmcnt(0)
	s_barrier
	s_and_saveexec_b64 s[14:15], s[6:7]
	s_cbranch_execz .LBB149_46
; %bb.45:                               ;   in Loop: Header=BB149_35 Depth=1
	v_add_u32_e32 v2, v9, v10
	ds_read2_b32 v[14:15], v2 offset1:1
	ds_read2_b32 v[16:17], v2 offset0:2 offset1:3
	v_and_b32_e32 v7, 15, v0
	v_cmp_ne_u32_e32 vcc, 0, v7
	s_waitcnt lgkmcnt(1)
	v_add_u32_e32 v15, v15, v14
	s_waitcnt lgkmcnt(0)
	v_add3_u32 v15, v15, v16, v17
	; wave barrier
	s_nop 1
	v_mov_b32_dpp v16, v15 row_shr:1 row_mask:0xf bank_mask:0xf
	v_cndmask_b32_e32 v16, 0, v16, vcc
	v_add_u32_e32 v15, v16, v15
	v_cmp_lt_u32_e32 vcc, 1, v7
	s_nop 0
	v_mov_b32_dpp v16, v15 row_shr:2 row_mask:0xf bank_mask:0xf
	v_cndmask_b32_e32 v16, 0, v16, vcc
	v_add_u32_e32 v15, v15, v16
	v_cmp_lt_u32_e32 vcc, 3, v7
	s_nop 0
	v_mov_b32_dpp v16, v15 row_shr:4 row_mask:0xf bank_mask:0xf
	v_cndmask_b32_e32 v16, 0, v16, vcc
	v_add_u32_e32 v15, v15, v16
	v_cmp_lt_u32_e32 vcc, 7, v7
	s_nop 0
	v_mov_b32_dpp v16, v15 row_shr:8 row_mask:0xf bank_mask:0xf
	v_cndmask_b32_e32 v7, 0, v16, vcc
	v_add_u32_e32 v7, v15, v7
	v_bfe_i32 v16, v0, 4, 1
	v_cmp_lt_u32_e32 vcc, 31, v0
	v_mov_b32_dpp v15, v7 row_bcast:15 row_mask:0xf bank_mask:0xf
	v_and_b32_e32 v15, v16, v15
	v_add_u32_e32 v7, v7, v15
	v_and_b32_e32 v16, 64, v0
	s_nop 0
	v_mov_b32_dpp v15, v7 row_bcast:31 row_mask:0xf bank_mask:0xf
	v_cndmask_b32_e32 v15, 0, v15, vcc
	v_add_u32_e32 v7, v7, v15
	v_add_u32_e32 v15, -1, v0
	v_cmp_lt_i32_e32 vcc, v15, v16
	v_cndmask_b32_e32 v15, v15, v0, vcc
	v_lshlrev_b32_e32 v15, 2, v15
	ds_bpermute_b32 v7, v15, v7
	s_waitcnt lgkmcnt(0)
	v_add_u32_e32 v7, v7, v14
	v_cndmask_b32_e64 v7, v7, v6, s[2:3]
	ds_write_b32 v2, v7
	; wave barrier
	ds_read2_b32 v[14:15], v2 offset0:1 offset1:2
	ds_read_b32 v16, v2 offset:12
	s_waitcnt lgkmcnt(1)
	v_add_u32_e32 v7, v14, v7
	v_add_u32_e32 v14, v15, v7
	ds_write2_b32 v2, v7, v14 offset0:1 offset1:2
	s_waitcnt lgkmcnt(1)
	v_add_u32_e32 v7, v16, v14
	ds_write_b32 v2, v7 offset:12
.LBB149_46:                             ;   in Loop: Header=BB149_35 Depth=1
	s_or_b64 exec, exec, s[14:15]
	v_mov_b32_e32 v7, 0
	s_waitcnt lgkmcnt(0)
	s_barrier
	s_and_saveexec_b64 s[14:15], s[0:1]
; %bb.47:                               ;   in Loop: Header=BB149_35 Depth=1
	ds_read_b32 v7, v11
; %bb.48:                               ;   in Loop: Header=BB149_35 Depth=1
	s_or_b64 exec, exec, s[14:15]
	ds_read_b32 v2, v5 offset:1048
	v_cmp_ne_u32_e32 vcc, 0, v6
	s_waitcnt lgkmcnt(0)
	s_barrier
	s_and_saveexec_b64 s[14:15], vcc
	s_cbranch_execz .LBB149_33
; %bb.49:                               ;   in Loop: Header=BB149_35 Depth=1
	v_add_u32_e32 v6, v7, v1
	v_mov_b32_e32 v7, v5
	v_cmp_gt_u64_e32 vcc, s[10:11], v[6:7]
	s_and_b64 exec, exec, vcc
	s_cbranch_execz .LBB149_33
; %bb.50:                               ;   in Loop: Header=BB149_35 Depth=1
	v_mad_u64_u32 v[14:15], s[28:29], s20, v6, 0
	v_mad_u64_u32 v[16:17], s[28:29], s12, v6, 0
	v_mov_b32_e32 v7, v15
	v_mad_u64_u32 v[18:19], s[28:29], s21, v6, v[7:8]
	v_mov_b32_e32 v7, v17
	;; [unrolled: 2-line block ×3, first 2 shown]
	v_lshlrev_b64 v[14:15], 2, v[14:15]
	v_mov_b32_e32 v17, v6
	v_mov_b32_e32 v19, s19
	v_add_co_u32_e32 v14, vcc, s18, v14
	v_lshlrev_b64 v[6:7], 3, v[16:17]
	v_addc_co_u32_e32 v15, vcc, v19, v15, vcc
	global_store_dword v[14:15], v12, off
	v_mov_b32_e32 v14, s23
	v_add_co_u32_e32 v6, vcc, s22, v6
	v_addc_co_u32_e32 v7, vcc, v14, v7, vcc
	global_store_dwordx2 v[6:7], v[4:5], off
	s_branch .LBB149_33
.LBB149_51:                             ;   in Loop: Header=BB149_52 Depth=1
	s_add_u32 s20, s20, 4
	s_addc_u32 s21, s21, 0
	s_waitcnt lgkmcnt(0)
	s_add_i32 s51, s19, s51
	s_add_u32 s22, s22, 4
	s_addc_u32 s23, s23, 0
	s_add_i32 s18, s18, 1
	s_cmp_lt_u32 s18, s35
	s_cbranch_scc0 .LBB149_30
.LBB149_52:                             ; =>This Inner Loop Header: Depth=1
	s_load_dword s19, s[20:21], 0x0
	s_cmp_ge_u32 s18, s77
	s_cbranch_scc1 .LBB149_51
; %bb.53:                               ;   in Loop: Header=BB149_52 Depth=1
	s_load_dword s52, s[22:23], 0x0
	s_waitcnt lgkmcnt(0)
	s_add_i32 s53, s19, s53
	s_add_i32 s7, s52, s7
	s_branch .LBB149_51
.LBB149_54:
	s_endpgm
	.section	.rodata,"a",@progbits
	.p2align	6, 0x0
	.amdhsa_kernel _ZN2at6native6mbtopk10gatherTopKIimLi3EEEvNS_4cuda6detail10TensorInfoIKT_T0_EES8_S8_bjS8_NS5_IS6_S8_EES8_NS5_IlS8_EES8_jjPS6_PjSD_j
		.amdhsa_group_segment_fixed_size 1068
		.amdhsa_private_segment_fixed_size 0
		.amdhsa_kernarg_size 1592
		.amdhsa_user_sgpr_count 6
		.amdhsa_user_sgpr_private_segment_buffer 1
		.amdhsa_user_sgpr_dispatch_ptr 0
		.amdhsa_user_sgpr_queue_ptr 0
		.amdhsa_user_sgpr_kernarg_segment_ptr 1
		.amdhsa_user_sgpr_dispatch_id 0
		.amdhsa_user_sgpr_flat_scratch_init 0
		.amdhsa_user_sgpr_private_segment_size 0
		.amdhsa_uses_dynamic_stack 0
		.amdhsa_system_sgpr_private_segment_wavefront_offset 0
		.amdhsa_system_sgpr_workgroup_id_x 1
		.amdhsa_system_sgpr_workgroup_id_y 1
		.amdhsa_system_sgpr_workgroup_id_z 1
		.amdhsa_system_sgpr_workgroup_info 0
		.amdhsa_system_vgpr_workitem_id 0
		.amdhsa_next_free_vgpr 20
		.amdhsa_next_free_sgpr 78
		.amdhsa_reserve_vcc 1
		.amdhsa_reserve_flat_scratch 0
		.amdhsa_float_round_mode_32 0
		.amdhsa_float_round_mode_16_64 0
		.amdhsa_float_denorm_mode_32 3
		.amdhsa_float_denorm_mode_16_64 3
		.amdhsa_dx10_clamp 1
		.amdhsa_ieee_mode 1
		.amdhsa_fp16_overflow 0
		.amdhsa_exception_fp_ieee_invalid_op 0
		.amdhsa_exception_fp_denorm_src 0
		.amdhsa_exception_fp_ieee_div_zero 0
		.amdhsa_exception_fp_ieee_overflow 0
		.amdhsa_exception_fp_ieee_underflow 0
		.amdhsa_exception_fp_ieee_inexact 0
		.amdhsa_exception_int_div_zero 0
	.end_amdhsa_kernel
	.section	.text._ZN2at6native6mbtopk10gatherTopKIimLi3EEEvNS_4cuda6detail10TensorInfoIKT_T0_EES8_S8_bjS8_NS5_IS6_S8_EES8_NS5_IlS8_EES8_jjPS6_PjSD_j,"axG",@progbits,_ZN2at6native6mbtopk10gatherTopKIimLi3EEEvNS_4cuda6detail10TensorInfoIKT_T0_EES8_S8_bjS8_NS5_IS6_S8_EES8_NS5_IlS8_EES8_jjPS6_PjSD_j,comdat
.Lfunc_end149:
	.size	_ZN2at6native6mbtopk10gatherTopKIimLi3EEEvNS_4cuda6detail10TensorInfoIKT_T0_EES8_S8_bjS8_NS5_IS6_S8_EES8_NS5_IlS8_EES8_jjPS6_PjSD_j, .Lfunc_end149-_ZN2at6native6mbtopk10gatherTopKIimLi3EEEvNS_4cuda6detail10TensorInfoIKT_T0_EES8_S8_bjS8_NS5_IS6_S8_EES8_NS5_IlS8_EES8_jjPS6_PjSD_j
                                        ; -- End function
	.set _ZN2at6native6mbtopk10gatherTopKIimLi3EEEvNS_4cuda6detail10TensorInfoIKT_T0_EES8_S8_bjS8_NS5_IS6_S8_EES8_NS5_IlS8_EES8_jjPS6_PjSD_j.num_vgpr, 20
	.set _ZN2at6native6mbtopk10gatherTopKIimLi3EEEvNS_4cuda6detail10TensorInfoIKT_T0_EES8_S8_bjS8_NS5_IS6_S8_EES8_NS5_IlS8_EES8_jjPS6_PjSD_j.num_agpr, 0
	.set _ZN2at6native6mbtopk10gatherTopKIimLi3EEEvNS_4cuda6detail10TensorInfoIKT_T0_EES8_S8_bjS8_NS5_IS6_S8_EES8_NS5_IlS8_EES8_jjPS6_PjSD_j.numbered_sgpr, 78
	.set _ZN2at6native6mbtopk10gatherTopKIimLi3EEEvNS_4cuda6detail10TensorInfoIKT_T0_EES8_S8_bjS8_NS5_IS6_S8_EES8_NS5_IlS8_EES8_jjPS6_PjSD_j.num_named_barrier, 0
	.set _ZN2at6native6mbtopk10gatherTopKIimLi3EEEvNS_4cuda6detail10TensorInfoIKT_T0_EES8_S8_bjS8_NS5_IS6_S8_EES8_NS5_IlS8_EES8_jjPS6_PjSD_j.private_seg_size, 0
	.set _ZN2at6native6mbtopk10gatherTopKIimLi3EEEvNS_4cuda6detail10TensorInfoIKT_T0_EES8_S8_bjS8_NS5_IS6_S8_EES8_NS5_IlS8_EES8_jjPS6_PjSD_j.uses_vcc, 1
	.set _ZN2at6native6mbtopk10gatherTopKIimLi3EEEvNS_4cuda6detail10TensorInfoIKT_T0_EES8_S8_bjS8_NS5_IS6_S8_EES8_NS5_IlS8_EES8_jjPS6_PjSD_j.uses_flat_scratch, 0
	.set _ZN2at6native6mbtopk10gatherTopKIimLi3EEEvNS_4cuda6detail10TensorInfoIKT_T0_EES8_S8_bjS8_NS5_IS6_S8_EES8_NS5_IlS8_EES8_jjPS6_PjSD_j.has_dyn_sized_stack, 0
	.set _ZN2at6native6mbtopk10gatherTopKIimLi3EEEvNS_4cuda6detail10TensorInfoIKT_T0_EES8_S8_bjS8_NS5_IS6_S8_EES8_NS5_IlS8_EES8_jjPS6_PjSD_j.has_recursion, 0
	.set _ZN2at6native6mbtopk10gatherTopKIimLi3EEEvNS_4cuda6detail10TensorInfoIKT_T0_EES8_S8_bjS8_NS5_IS6_S8_EES8_NS5_IlS8_EES8_jjPS6_PjSD_j.has_indirect_call, 0
	.section	.AMDGPU.csdata,"",@progbits
; Kernel info:
; codeLenInByte = 3248
; TotalNumSgprs: 82
; NumVgprs: 20
; ScratchSize: 0
; MemoryBound: 0
; FloatMode: 240
; IeeeMode: 1
; LDSByteSize: 1068 bytes/workgroup (compile time only)
; SGPRBlocks: 10
; VGPRBlocks: 4
; NumSGPRsForWavesPerEU: 82
; NumVGPRsForWavesPerEU: 20
; Occupancy: 9
; WaveLimiterHint : 1
; COMPUTE_PGM_RSRC2:SCRATCH_EN: 0
; COMPUTE_PGM_RSRC2:USER_SGPR: 6
; COMPUTE_PGM_RSRC2:TRAP_HANDLER: 0
; COMPUTE_PGM_RSRC2:TGID_X_EN: 1
; COMPUTE_PGM_RSRC2:TGID_Y_EN: 1
; COMPUTE_PGM_RSRC2:TGID_Z_EN: 1
; COMPUTE_PGM_RSRC2:TIDIG_COMP_CNT: 0
	.section	.text._ZN2at6native6sbtopk10gatherTopKIimLi3ELb0EEEvNS_4cuda6detail10TensorInfoIKT_T0_EES8_S8_bS8_S8_NS5_IS6_S8_EES8_NS5_IlS8_EES8_PS6_,"axG",@progbits,_ZN2at6native6sbtopk10gatherTopKIimLi3ELb0EEEvNS_4cuda6detail10TensorInfoIKT_T0_EES8_S8_bS8_S8_NS5_IS6_S8_EES8_NS5_IlS8_EES8_PS6_,comdat
	.protected	_ZN2at6native6sbtopk10gatherTopKIimLi3ELb0EEEvNS_4cuda6detail10TensorInfoIKT_T0_EES8_S8_bS8_S8_NS5_IS6_S8_EES8_NS5_IlS8_EES8_PS6_ ; -- Begin function _ZN2at6native6sbtopk10gatherTopKIimLi3ELb0EEEvNS_4cuda6detail10TensorInfoIKT_T0_EES8_S8_bS8_S8_NS5_IS6_S8_EES8_NS5_IlS8_EES8_PS6_
	.globl	_ZN2at6native6sbtopk10gatherTopKIimLi3ELb0EEEvNS_4cuda6detail10TensorInfoIKT_T0_EES8_S8_bS8_S8_NS5_IS6_S8_EES8_NS5_IlS8_EES8_PS6_
	.p2align	8
	.type	_ZN2at6native6sbtopk10gatherTopKIimLi3ELb0EEEvNS_4cuda6detail10TensorInfoIKT_T0_EES8_S8_bS8_S8_NS5_IS6_S8_EES8_NS5_IlS8_EES8_PS6_,@function
_ZN2at6native6sbtopk10gatherTopKIimLi3ELb0EEEvNS_4cuda6detail10TensorInfoIKT_T0_EES8_S8_bS8_S8_NS5_IS6_S8_EES8_NS5_IlS8_EES8_PS6_: ; @_ZN2at6native6sbtopk10gatherTopKIimLi3ELb0EEEvNS_4cuda6detail10TensorInfoIKT_T0_EES8_S8_bS8_S8_NS5_IS6_S8_EES8_NS5_IlS8_EES8_PS6_
; %bb.0:
	s_load_dwordx2 s[18:19], s[4:5], 0x520
	s_load_dwordx4 s[56:59], s[4:5], 0x1b8
	s_mov_b64 s[26:27], s[4:5]
	s_add_u32 s16, s26, 0x520
	s_addc_u32 s17, s27, 0
	s_waitcnt lgkmcnt(0)
	s_mul_i32 s0, s19, s8
	s_add_i32 s0, s0, s7
	s_mul_i32 s0, s0, s18
	s_add_i32 s28, s0, s6
	s_mov_b32 s29, 0
	v_mov_b32_e32 v1, s28
	v_mov_b32_e32 v2, s29
	v_cmp_le_u64_e32 vcc, s[56:57], v[1:2]
	s_cbranch_vccnz .LBB150_480
; %bb.1:
	s_load_dwordx4 s[0:3], s[26:27], 0x10
	s_mov_b64 s[8:9], 0
	s_mov_b64 s[4:5], 0
	s_waitcnt lgkmcnt(0)
	v_mov_b32_e32 v1, s2
	v_mov_b32_e32 v2, s3
	v_cmp_lt_u64_e32 vcc, s[28:29], v[1:2]
	s_cbranch_vccnz .LBB150_3
; %bb.2:
	v_cvt_f32_u32_e32 v1, s2
	s_sub_i32 s4, 0, s2
	s_mov_b32 s5, 0
	v_rcp_iflag_f32_e32 v1, v1
	v_mul_f32_e32 v1, 0x4f7ffffe, v1
	v_cvt_u32_f32_e32 v1, v1
	v_readfirstlane_b32 s7, v1
	s_mul_i32 s4, s4, s7
	s_mul_hi_u32 s4, s7, s4
	s_add_i32 s7, s7, s4
	s_mul_hi_u32 s4, s28, s7
	s_mul_i32 s9, s4, s2
	s_sub_i32 s9, s28, s9
	s_add_i32 s7, s4, 1
	s_sub_i32 s10, s9, s2
	s_cmp_ge_u32 s9, s2
	s_cselect_b32 s4, s7, s4
	s_cselect_b32 s9, s10, s9
	s_add_i32 s7, s4, 1
	s_cmp_ge_u32 s9, s2
	s_cselect_b32 s4, s7, s4
.LBB150_3:
	s_load_dwordx4 s[12:15], s[26:27], 0x1d8
	v_mov_b32_e32 v2, s1
	v_mov_b32_e32 v1, s0
	v_cmp_lt_u64_e32 vcc, s[4:5], v[1:2]
	s_cbranch_vccnz .LBB150_5
; %bb.4:
	v_cvt_f32_u32_e32 v1, s0
	s_sub_i32 s7, 0, s0
	v_rcp_iflag_f32_e32 v1, v1
	v_mul_f32_e32 v1, 0x4f7ffffe, v1
	v_cvt_u32_f32_e32 v1, v1
	v_readfirstlane_b32 s8, v1
	s_mul_i32 s7, s7, s8
	s_mul_hi_u32 s7, s8, s7
	s_add_i32 s8, s8, s7
	s_mul_hi_u32 s7, s4, s8
	s_mul_i32 s9, s7, s0
	s_sub_i32 s9, s4, s9
	s_add_i32 s8, s7, 1
	s_sub_i32 s10, s9, s0
	s_cmp_ge_u32 s9, s0
	s_cselect_b32 s7, s8, s7
	s_cselect_b32 s9, s10, s9
	s_add_i32 s8, s7, 1
	s_cmp_ge_u32 s9, s0
	s_cselect_b32 s8, s8, s7
.LBB150_5:
	s_waitcnt lgkmcnt(0)
	v_mov_b32_e32 v1, s14
	v_mov_b32_e32 v2, s15
	v_cmp_lt_u64_e32 vcc, s[28:29], v[1:2]
	s_mov_b64 s[10:11], 0
                                        ; implicit-def: $vgpr49 : SGPR spill to VGPR lane
	v_writelane_b32 v49, s10, 0
	s_mov_b64 s[20:21], 0
	v_writelane_b32 v49, s11, 1
	s_cbranch_vccnz .LBB150_7
; %bb.6:
	v_cvt_f32_u32_e32 v1, s14
	s_sub_i32 s7, 0, s14
	s_mov_b32 s21, 0
	v_rcp_iflag_f32_e32 v1, v1
	v_mul_f32_e32 v1, 0x4f7ffffe, v1
	v_cvt_u32_f32_e32 v1, v1
	v_readfirstlane_b32 s9, v1
	s_mul_i32 s7, s7, s9
	s_mul_hi_u32 s7, s9, s7
	s_add_i32 s9, s9, s7
	s_mul_hi_u32 s7, s28, s9
	s_mul_i32 s10, s7, s14
	s_sub_i32 s10, s28, s10
	s_add_i32 s9, s7, 1
	s_sub_i32 s11, s10, s14
	s_cmp_ge_u32 s10, s14
	s_cselect_b32 s7, s9, s7
	s_cselect_b32 s10, s11, s10
	s_add_i32 s9, s7, 1
	s_cmp_ge_u32 s10, s14
	s_cselect_b32 s20, s9, s7
.LBB150_7:
	s_load_dwordx4 s[36:39], s[26:27], 0x380
	v_mov_b32_e32 v1, s12
	v_mov_b32_e32 v2, s13
	v_cmp_lt_u64_e32 vcc, s[20:21], v[1:2]
	s_cbranch_vccnz .LBB150_9
; %bb.8:
	v_cvt_f32_u32_e32 v1, s12
	s_sub_i32 s7, 0, s12
	v_rcp_iflag_f32_e32 v1, v1
	v_mul_f32_e32 v1, 0x4f7ffffe, v1
	v_cvt_u32_f32_e32 v1, v1
	v_readfirstlane_b32 s9, v1
	s_mul_i32 s7, s7, s9
	s_mul_hi_u32 s7, s9, s7
	s_add_i32 s9, s9, s7
	s_mul_hi_u32 s7, s20, s9
	s_mul_i32 s10, s7, s12
	s_sub_i32 s10, s20, s10
	s_add_i32 s9, s7, 1
	s_sub_i32 s11, s10, s12
	s_cmp_ge_u32 s10, s12
	s_cselect_b32 s7, s9, s7
	s_cselect_b32 s10, s11, s10
	s_add_i32 s9, s7, 1
	s_cmp_ge_u32 s10, s12
	s_cselect_b32 s10, s9, s7
	v_writelane_b32 v49, s10, 0
	v_writelane_b32 v49, s11, 1
.LBB150_9:
	v_writelane_b32 v49, s20, 2
	v_writelane_b32 v49, s21, 3
	;; [unrolled: 1-line block ×6, first 2 shown]
	s_load_dwordx2 s[10:11], s[26:27], 0xe0
	s_load_dwordx4 s[12:15], s[26:27], 0xd0
	s_waitcnt lgkmcnt(0)
	v_mov_b32_e32 v1, s38
	v_mov_b32_e32 v2, s39
	v_cmp_lt_u64_e32 vcc, s[28:29], v[1:2]
	s_mov_b64 s[20:21], 0
	v_writelane_b32 v49, s20, 8
	s_mov_b64 s[22:23], 0
	v_writelane_b32 v49, s21, 9
	s_cbranch_vccnz .LBB150_11
; %bb.10:
	v_cvt_f32_u32_e32 v1, s38
	s_sub_i32 s7, 0, s38
	s_mov_b32 s23, 0
	v_rcp_iflag_f32_e32 v1, v1
	v_mul_f32_e32 v1, 0x4f7ffffe, v1
	v_cvt_u32_f32_e32 v1, v1
	v_readfirstlane_b32 s9, v1
	s_mul_i32 s7, s7, s9
	s_mul_hi_u32 s7, s9, s7
	s_add_i32 s9, s9, s7
	s_mul_hi_u32 s7, s28, s9
	s_mul_i32 s19, s7, s38
	s_sub_i32 s19, s28, s19
	s_add_i32 s9, s7, 1
	s_sub_i32 s20, s19, s38
	s_cmp_ge_u32 s19, s38
	s_cselect_b32 s7, s9, s7
	s_cselect_b32 s19, s20, s19
	s_add_i32 s9, s7, 1
	s_cmp_ge_u32 s19, s38
	s_cselect_b32 s22, s9, s7
.LBB150_11:
	s_load_dwordx2 s[20:21], s[26:27], 0x450
	s_load_dwordx4 s[40:43], s[26:27], 0x440
	v_mov_b32_e32 v1, s36
	v_mov_b32_e32 v2, s37
	s_waitcnt lgkmcnt(0)
	v_writelane_b32 v49, s20, 10
	v_writelane_b32 v49, s21, 11
	s_load_dwordx2 s[20:21], s[26:27], 0x2a8
	v_writelane_b32 v49, s40, 12
	v_writelane_b32 v49, s41, 13
	;; [unrolled: 1-line block ×4, first 2 shown]
	s_load_dwordx4 s[40:43], s[26:27], 0x298
	s_waitcnt lgkmcnt(0)
	v_writelane_b32 v49, s20, 16
	v_writelane_b32 v49, s21, 17
	s_load_dwordx2 s[20:21], s[26:27], 0x0
	v_writelane_b32 v49, s40, 18
	v_writelane_b32 v49, s41, 19
	;; [unrolled: 1-line block ×5, first 2 shown]
	v_cmp_lt_u64_e32 vcc, s[22:23], v[1:2]
	v_writelane_b32 v49, s23, 23
	s_cbranch_vccnz .LBB150_13
; %bb.12:
	v_cvt_f32_u32_e32 v1, s36
	s_sub_i32 s7, 0, s36
	v_readlane_b32 s22, v49, 22
	v_readlane_b32 s23, v49, 23
	v_rcp_iflag_f32_e32 v1, v1
	v_mul_f32_e32 v1, 0x4f7ffffe, v1
	v_cvt_u32_f32_e32 v1, v1
	v_readfirstlane_b32 s9, v1
	s_mul_i32 s7, s7, s9
	s_mul_hi_u32 s7, s9, s7
	s_add_i32 s9, s9, s7
	s_mul_hi_u32 s7, s22, s9
	s_mul_i32 s19, s7, s36
	s_sub_i32 s19, s22, s19
	s_add_i32 s9, s7, 1
	s_sub_i32 s22, s19, s36
	s_cmp_ge_u32 s19, s36
	s_cselect_b32 s7, s9, s7
	s_cselect_b32 s19, s22, s19
	s_add_i32 s9, s7, 1
	s_cmp_ge_u32 s19, s36
	s_cselect_b32 s22, s9, s7
	v_writelane_b32 v49, s22, 8
	v_writelane_b32 v49, s23, 9
.LBB150_13:
	s_load_dwordx2 s[22:23], s[26:27], 0x370
	v_writelane_b32 v49, s36, 24
	v_writelane_b32 v49, s37, 25
	;; [unrolled: 1-line block ×4, first 2 shown]
	s_waitcnt lgkmcnt(0)
	v_writelane_b32 v49, s22, 28
	v_writelane_b32 v49, s23, 29
	s_load_dwordx2 s[22:23], s[26:27], 0x1c8
	s_load_dwordx4 s[60:63], s[26:27], 0x1a0
	s_mov_b32 s91, 0
	v_cmp_eq_u32_e64 s[24:25], 0, v0
	s_waitcnt lgkmcnt(0)
	v_writelane_b32 v49, s22, 30
	v_writelane_b32 v49, s23, 31
	s_mov_b64 s[22:23], exec
	v_writelane_b32 v49, s24, 32
	v_writelane_b32 v49, s25, 33
	s_and_b64 s[24:25], s[22:23], s[24:25]
	s_mov_b64 exec, s[24:25]
	s_cbranch_execz .LBB150_15
; %bb.14:
	v_mov_b32_e32 v1, 0
	v_mov_b32_e32 v3, s60
	;; [unrolled: 1-line block ×4, first 2 shown]
	ds_write_b32 v1, v1 offset:5144
	ds_write_b128 v1, v[1:4] offset:5120
.LBB150_15:
	s_or_b64 exec, exec, s[22:23]
	s_mul_i32 s1, s8, s1
	s_mul_hi_u32 s7, s8, s0
	s_add_i32 s7, s7, s1
	s_mul_i32 s0, s8, s0
	s_sub_u32 s0, s4, s0
	s_subb_u32 s1, s5, s7
	s_mul_i32 s5, s0, s15
	s_mul_hi_u32 s7, s0, s14
	s_add_i32 s5, s7, s5
	s_mul_i32 s1, s1, s14
	s_add_i32 s1, s5, s1
	s_mul_i32 s5, s8, s13
	s_mul_hi_u32 s7, s8, s12
	s_add_i32 s9, s7, s5
	s_mul_i32 s3, s4, s3
	s_mul_hi_u32 s5, s4, s2
	s_add_i32 s5, s5, s3
	s_mul_i32 s2, s4, s2
	s_mov_b32 s4, s28
	v_writelane_b32 v49, s4, 34
	s_sub_u32 s2, s28, s2
	v_writelane_b32 v49, s5, 35
	s_subb_u32 s3, 0, s5
	s_mul_i32 s4, s2, s11
	s_mul_hi_u32 s5, s2, s10
	s_mul_i32 s8, s8, s12
	s_add_i32 s4, s5, s4
	s_mul_i32 s3, s3, s10
	s_add_i32 s3, s4, s3
	s_lshl_b64 s[4:5], s[8:9], 2
	s_mul_i32 s0, s0, s14
	s_add_u32 s4, s20, s4
	s_addc_u32 s5, s21, s5
	s_lshl_b64 s[0:1], s[0:1], 2
	v_writelane_b32 v49, s26, 36
	s_load_dword s7, s[26:27], 0x1b0
	s_mul_i32 s2, s2, s10
	s_add_u32 s4, s4, s0
	s_addc_u32 s5, s5, s1
	s_lshl_b64 s[0:1], s[2:3], 2
	s_add_u32 s33, s4, s0
	s_addc_u32 s74, s5, s1
	s_waitcnt lgkmcnt(0)
	s_bitcmp1_b32 s7, 0
	v_writelane_b32 v49, s27, 37
	s_cselect_b64 s[0:1], -1, 0
	v_mbcnt_lo_u32_b32 v1, -1, 0
	v_writelane_b32 v49, s0, 38
	v_mbcnt_hi_u32_b32 v26, -1, v1
	v_writelane_b32 v49, s1, 39
	s_xor_b64 s[92:93], s[0:1], -1
	v_cmp_gt_u32_e32 vcc, 64, v0
	v_cmp_gt_i32_e64 s[10:11], 4, v26
	v_mad_u64_u32 v[2:3], s[0:1], s58, v0, 0
	v_mov_b32_e32 v4, 0x300
	s_and_b64 s[0:1], vcc, s[10:11]
	v_mov_b32_e32 v5, 0
	v_writelane_b32 v49, s0, 40
	v_writelane_b32 v49, s1, 41
	v_cmp_gt_u64_e64 s[0:1], s[60:61], v[4:5]
	v_mov_b32_e32 v1, v3
	v_writelane_b32 v49, s0, 42
	v_mov_b32_e32 v13, 0
	v_writelane_b32 v49, s1, 43
	v_mad_u64_u32 v[3:4], s[0:1], s59, v0, v[1:2]
	v_mov_b32_e32 v1, v13
	v_cmp_gt_u64_e64 s[0:1], s[60:61], v[0:1]
	v_writelane_b32 v49, s0, 44
	v_writelane_b32 v49, s1, 45
	v_cmp_gt_u32_e64 s[0:1], 2, v0
	v_writelane_b32 v49, s0, 46
	s_barrier
	v_writelane_b32 v49, s1, 47
	s_load_dword s0, s[16:17], 0xc
	v_lshlrev_b64 v[2:3], 2, v[2:3]
	v_mov_b32_e32 v27, s74
	v_add_co_u32_e32 v10, vcc, s33, v2
	s_waitcnt lgkmcnt(0)
	s_and_b32 s75, s0, 0xffff
	s_bfe_u32 s0, s0, 0xa0006
	s_cmp_gt_u32 s75, 63
	s_cselect_b64 s[2:3], -1, 0
	v_writelane_b32 v49, s2, 48
	s_add_u32 s1, s75, -1
	v_writelane_b32 v49, s3, 49
	s_addc_u32 s2, 0, -1
	v_writelane_b32 v49, s1, 50
	s_add_u32 s1, s1, s60
	v_writelane_b32 v49, s1, 51
	v_writelane_b32 v49, s2, 52
	s_addc_u32 s1, s2, s61
	v_writelane_b32 v49, s0, 53
	s_cmp_lt_u32 s6, s18
	v_writelane_b32 v49, s1, 54
	s_cselect_b32 s1, 12, 18
	s_add_u32 s2, s16, s1
	s_addc_u32 s3, s17, 0
	v_writelane_b32 v49, s2, 55
	s_add_i32 s1, s0, -1
	v_writelane_b32 v49, s3, 56
	s_bfe_u32 s2, s75, 0x30006
	s_and_b32 s1, s1, 0xffff
	s_cmp_gt_u32 s1, 6
	s_cselect_b64 s[4:5], -1, 0
	v_addc_co_u32_e32 v11, vcc, v27, v3, vcc
	v_lshlrev_b64 v[2:3], v26, -1
	v_writelane_b32 v49, s4, 57
	s_and_b32 s0, s0, 0x3f8
	v_writelane_b32 v49, s5, 58
	s_cmp_lg_u32 s2, 0
	v_not_b32_e32 v25, v2
	v_lshrrev_b32_e32 v2, 1, v0
	v_writelane_b32 v49, s2, 59
	s_cselect_b64 s[2:3], -1, 0
	v_and_b32_e32 v2, 0x1e0, v2
	v_writelane_b32 v49, s2, 60
	v_cmp_eq_u32_e64 s[94:95], 0, v26
	v_lshlrev_b32_e32 v14, 2, v0
	v_lshlrev_b32_e32 v4, 2, v26
	v_or_b32_e32 v29, 0xc00, v2
	v_writelane_b32 v49, s3, 61
	v_mov_b32_e32 v2, 0xc00
	v_mov_b32_e32 v19, s62
                                        ; implicit-def: $vgpr48 : SGPR spill to VGPR lane
	v_mov_b32_e32 v18, 0
	v_mov_b32_e32 v15, v13
	v_add_u32_e32 v28, 0xc00, v14
	v_and_b32_e32 v23, 0x100, v4
	v_not_b32_e32 v24, v3
	v_lshlrev_b32_e32 v31, 4, v0
	v_lshl_or_b32 v32, v26, 3, v2
	s_lshl_b32 s1, s75, 2
	s_mov_b32 s72, 30
	s_mov_b64 s[82:83], 0
	v_mov_b32_e32 v20, s63
	v_mov_b32_e32 v16, 1
	;; [unrolled: 1-line block ×6, first 2 shown]
	v_writelane_b32 v49, s94, 62
	v_writelane_b32 v48, s92, 0
                                        ; implicit-def: $sgpr84_sgpr85
                                        ; implicit-def: $sgpr2_sgpr3
                                        ; implicit-def: $sgpr66_sgpr67
                                        ; implicit-def: $sgpr68_sgpr69
                                        ; implicit-def: $sgpr64_sgpr65
                                        ; implicit-def: $sgpr70_sgpr71
                                        ; implicit-def: $sgpr56_sgpr57
                                        ; implicit-def: $sgpr86_sgpr87
                                        ; implicit-def: $sgpr76_sgpr77
                                        ; implicit-def: $sgpr78_sgpr79
	v_writelane_b32 v49, s95, 63
	v_writelane_b32 v48, s93, 1
	s_branch .LBB150_18
.LBB150_16:                             ;   in Loop: Header=BB150_18 Depth=1
	s_or_b64 exec, exec, s[10:11]
	s_andn2_b64 s[10:11], s[78:79], exec
	s_and_b64 s[8:9], s[8:9], exec
	v_mov_b32_e32 v20, v3
	s_or_b64 s[78:79], s[10:11], s[8:9]
	s_andn2_b64 s[76:77], s[76:77], exec
	s_andn2_b64 s[86:87], s[86:87], exec
	;; [unrolled: 1-line block ×4, first 2 shown]
	s_orn2_b64 s[6:7], s[6:7], exec
	v_mov_b32_e32 v19, v2
.LBB150_17:                             ;   in Loop: Header=BB150_18 Depth=1
	s_or_b64 exec, exec, s[4:5]
	s_and_b64 s[4:5], exec, s[6:7]
	s_or_b64 s[82:83], s[4:5], s[82:83]
	s_andn2_b64 s[4:5], s[64:65], exec
	s_and_b64 s[6:7], s[78:79], exec
	s_or_b64 s[64:65], s[4:5], s[6:7]
	s_andn2_b64 s[4:5], s[68:69], exec
	s_and_b64 s[6:7], s[76:77], exec
	s_or_b64 s[68:69], s[4:5], s[6:7]
	s_andn2_b64 s[4:5], s[66:67], exec
	s_and_b64 s[6:7], s[86:87], exec
	s_or_b64 s[66:67], s[4:5], s[6:7]
	s_andn2_b64 s[2:3], s[2:3], exec
	s_and_b64 s[4:5], s[56:57], exec
	s_or_b64 s[2:3], s[2:3], s[4:5]
	s_andn2_b64 s[4:5], s[84:85], exec
	s_and_b64 s[6:7], s[70:71], exec
	s_or_b64 s[84:85], s[4:5], s[6:7]
	s_andn2_b64 exec, exec, s[82:83]
	s_cbranch_execz .LBB150_476
.LBB150_18:                             ; =>This Loop Header: Depth=1
                                        ;     Child Loop BB150_24 Depth 2
                                        ;     Child Loop BB150_37 Depth 2
	;; [unrolled: 1-line block ×24, first 2 shown]
	ds_read_b128 v[2:5], v13 offset:5120
	s_waitcnt lgkmcnt(0)
	v_readfirstlane_b32 s31, v3
	v_readfirstlane_b32 s30, v2
	s_cmp_lg_u64 s[30:31], 0
	s_cbranch_scc1 .LBB150_45
; %bb.19:                               ;   in Loop: Header=BB150_18 Depth=1
	v_readlane_b32 s4, v49, 42
	v_readlane_b32 s5, v49, 43
	s_and_b64 vcc, exec, s[4:5]
	s_cbranch_vccz .LBB150_32
; %bb.20:                               ;   in Loop: Header=BB150_18 Depth=1
	s_mov_b64 s[4:5], 0x301
	v_cmp_gt_u64_e32 vcc, s[4:5], v[4:5]
	s_mov_b64 s[4:5], 0
	s_mov_b64 s[6:7], 0
	s_cbranch_vccz .LBB150_33
; %bb.21:                               ;   in Loop: Header=BB150_18 Depth=1
	s_mov_b64 s[8:9], exec
	v_readlane_b32 s6, v49, 44
	v_readlane_b32 s7, v49, 45
	s_and_b64 s[6:7], s[8:9], s[6:7]
	s_mov_b64 exec, s[6:7]
	s_cbranch_execz .LBB150_100
; %bb.22:                               ;   in Loop: Header=BB150_18 Depth=1
	v_readlane_b32 s6, v49, 55
	v_readlane_b32 s7, v49, 56
	global_load_dword v5, v[10:11], off
	v_mov_b32_e32 v3, v1
	s_mov_b64 s[10:11], 0
	v_mov_b32_e32 v2, v0
	s_nop 0
	global_load_ushort v4, v13, s[6:7]
	s_branch .LBB150_24
.LBB150_23:                             ;   in Loop: Header=BB150_24 Depth=2
	s_or_b64 exec, exec, s[6:7]
	s_waitcnt vmcnt(0)
	v_mov_b32_e32 v5, v6
	s_andn2_b64 exec, exec, s[10:11]
	s_cbranch_execz .LBB150_100
.LBB150_24:                             ;   Parent Loop BB150_18 Depth=1
                                        ; =>  This Inner Loop Header: Depth=2
	s_waitcnt vmcnt(0)
	v_add_co_u32_sdwa v2, vcc, v2, v4 dst_sel:DWORD dst_unused:UNUSED_PAD src0_sel:DWORD src1_sel:WORD_0
	v_addc_co_u32_e32 v3, vcc, 0, v3, vcc
	v_cmp_gt_u64_e64 s[6:7], s[60:61], v[2:3]
	v_cmp_le_u64_e32 vcc, s[60:61], v[2:3]
	s_waitcnt lgkmcnt(0)
	v_mov_b32_e32 v7, 0
	v_mov_b32_e32 v6, 0
	s_and_saveexec_b64 s[12:13], s[6:7]
	s_cbranch_execz .LBB150_26
; %bb.25:                               ;   in Loop: Header=BB150_24 Depth=2
	v_mul_lo_u32 v6, v3, s58
	v_mul_lo_u32 v12, v2, s59
	v_mad_u64_u32 v[8:9], s[6:7], v2, s58, 0
	v_add3_u32 v9, v9, v12, v6
	v_lshlrev_b64 v[8:9], 2, v[8:9]
	v_add_co_u32_e64 v8, s[6:7], s33, v8
	v_addc_co_u32_e64 v9, s[6:7], v27, v9, s[6:7]
	global_load_dword v6, v[8:9], off
.LBB150_26:                             ;   in Loop: Header=BB150_24 Depth=2
	s_or_b64 exec, exec, s[12:13]
	v_xor_b32_e32 v8, 0x80000000, v5
	v_and_b32_e32 v8, v8, v35
	v_cmp_eq_u32_e64 s[14:15], v8, v30
	s_cmp_lg_u64 s[14:15], 0
	s_cselect_b64 s[6:7], -1, 0
	s_and_b64 s[6:7], s[94:95], s[6:7]
	s_and_saveexec_b64 s[12:13], s[6:7]
	s_cbranch_execz .LBB150_30
; %bb.27:                               ;   in Loop: Header=BB150_24 Depth=2
	s_mov_b64 s[18:19], exec
	v_mbcnt_lo_u32_b32 v7, s18, 0
	v_mbcnt_hi_u32_b32 v7, s19, v7
	s_bcnt1_i32_b64 s20, s[14:15]
	v_cmp_eq_u32_e64 s[6:7], 0, v7
                                        ; implicit-def: $vgpr8
	s_and_saveexec_b64 s[16:17], s[6:7]
; %bb.28:                               ;   in Loop: Header=BB150_24 Depth=2
	s_bcnt1_i32_b64 s6, s[18:19]
	s_mul_i32 s6, s20, s6
	v_mov_b32_e32 v8, s6
	ds_add_rtn_u32 v8, v13, v8 offset:5144
; %bb.29:                               ;   in Loop: Header=BB150_24 Depth=2
	s_or_b64 exec, exec, s[16:17]
	s_waitcnt lgkmcnt(0)
	v_readfirstlane_b32 s6, v8
	v_mov_b32_e32 v8, s6
	v_mad_u32_u24 v7, s20, v7, v8
.LBB150_30:                             ;   in Loop: Header=BB150_24 Depth=2
	s_or_b64 exec, exec, s[12:13]
	ds_bpermute_b32 v7, v23, v7
	s_and_b64 s[6:7], exec, vcc
	s_or_b64 s[10:11], s[6:7], s[10:11]
	s_and_saveexec_b64 s[6:7], s[14:15]
	s_cbranch_execz .LBB150_23
; %bb.31:                               ;   in Loop: Header=BB150_24 Depth=2
	v_and_b32_e32 v9, s14, v25
	v_and_b32_e32 v8, s15, v24
	v_bcnt_u32_b32 v9, v9, 0
	v_bcnt_u32_b32 v8, v8, v9
	v_lshlrev_b32_e32 v8, 2, v8
	s_waitcnt lgkmcnt(0)
	v_lshl_add_u32 v7, v7, 2, v8
	ds_write_b32 v7, v5
	s_branch .LBB150_23
.LBB150_32:                             ;   in Loop: Header=BB150_18 Depth=1
	s_mov_b64 s[4:5], -1
	s_mov_b64 s[6:7], 0
.LBB150_33:                             ;   in Loop: Header=BB150_18 Depth=1
	s_and_b64 vcc, exec, s[4:5]
	s_cbranch_vccz .LBB150_43
.LBB150_34:                             ;   in Loop: Header=BB150_18 Depth=1
	s_mov_b64 s[4:5], exec
	v_readlane_b32 s6, v49, 44
	v_readlane_b32 s7, v49, 45
	s_and_b64 s[6:7], s[4:5], s[6:7]
	s_mov_b64 exec, s[6:7]
	s_cbranch_execz .LBB150_40
; %bb.35:                               ;   in Loop: Header=BB150_18 Depth=1
	v_readlane_b32 s6, v49, 55
	v_readlane_b32 s7, v49, 56
	s_nop 4
	global_load_ushort v2, v13, s[6:7]
	global_load_dword v7, v[10:11], off
	s_waitcnt vmcnt(1)
	v_and_b32_e32 v6, 0xffff, v2
	v_add_u32_e32 v12, v6, v0
	v_cmp_gt_u64_e32 vcc, s[60:61], v[12:13]
	v_mov_b32_e32 v2, v0
	s_and_saveexec_b64 s[6:7], vcc
	s_cbranch_execz .LBB150_39
; %bb.36:                               ;   in Loop: Header=BB150_18 Depth=1
	v_mov_b32_e32 v4, v12
	v_mov_b32_e32 v3, v1
	s_mov_b64 s[8:9], 0
	v_mov_b32_e32 v5, v13
	v_mov_b32_e32 v2, v0
.LBB150_37:                             ;   Parent Loop BB150_18 Depth=1
                                        ; =>  This Inner Loop Header: Depth=2
	v_mov_b32_e32 v22, v5
	v_mov_b32_e32 v21, v4
	v_mul_lo_u32 v5, v22, s58
	v_mul_lo_u32 v8, v21, s59
	v_mad_u64_u32 v[3:4], s[10:11], v21, s58, 0
	v_mov_b32_e32 v9, s74
	v_lshlrev_b32_e32 v2, 2, v2
	v_add3_u32 v4, v4, v8, v5
	v_lshlrev_b64 v[3:4], 2, v[3:4]
	s_waitcnt vmcnt(0)
	ds_write_b32 v2, v7
	v_add_co_u32_e32 v3, vcc, s33, v3
	v_addc_co_u32_e32 v4, vcc, v9, v4, vcc
	global_load_dword v8, v[3:4], off
	v_add_co_u32_e32 v4, vcc, v21, v6
	v_addc_co_u32_e32 v5, vcc, 0, v22, vcc
	v_cmp_le_u64_e32 vcc, s[60:61], v[4:5]
	v_mov_b32_e32 v2, v21
	s_or_b64 s[8:9], vcc, s[8:9]
	v_mov_b32_e32 v3, v22
	s_waitcnt vmcnt(0)
	v_mov_b32_e32 v7, v8
	s_andn2_b64 exec, exec, s[8:9]
	s_cbranch_execnz .LBB150_37
; %bb.38:                               ;   in Loop: Header=BB150_18 Depth=1
	s_or_b64 exec, exec, s[8:9]
	v_sub_u32_e32 v2, v4, v6
	v_mov_b32_e32 v7, v8
.LBB150_39:                             ;   in Loop: Header=BB150_18 Depth=1
	s_or_b64 exec, exec, s[6:7]
	v_lshlrev_b32_e32 v2, 2, v2
	s_waitcnt vmcnt(0)
	ds_write_b32 v2, v7
.LBB150_40:                             ;   in Loop: Header=BB150_18 Depth=1
	s_or_b64 exec, exec, s[4:5]
	s_waitcnt lgkmcnt(0)
	s_barrier
	s_mov_b64 s[4:5], exec
	v_readlane_b32 s6, v49, 32
	v_readlane_b32 s7, v49, 33
	s_and_b64 s[6:7], s[4:5], s[6:7]
	s_mov_b64 exec, s[6:7]
; %bb.41:                               ;   in Loop: Header=BB150_18 Depth=1
	v_mov_b32_e32 v2, s60
	v_mov_b32_e32 v3, s61
	ds_write_b64 v13, v[2:3] offset:5120
; %bb.42:                               ;   in Loop: Header=BB150_18 Depth=1
	s_or_b64 exec, exec, s[4:5]
	s_mov_b64 s[6:7], -1
	s_waitcnt lgkmcnt(0)
	s_barrier
.LBB150_43:                             ;   in Loop: Header=BB150_18 Depth=1
	s_mov_b64 s[30:31], 0
	s_and_b64 vcc, exec, s[6:7]
	s_cbranch_vccz .LBB150_45
; %bb.44:                               ;   in Loop: Header=BB150_18 Depth=1
	ds_read_b64 v[2:3], v13 offset:5120
	s_waitcnt lgkmcnt(0)
	v_readfirstlane_b32 s30, v2
.LBB150_45:                             ;   in Loop: Header=BB150_18 Depth=1
	s_cmp_lt_i32 s30, 1
	s_mov_b64 s[4:5], -1
                                        ; implicit-def: $vgpr2_vgpr3
                                        ; implicit-def: $vgpr6_vgpr7
	s_cbranch_scc1 .LBB150_55
; %bb.46:                               ;   in Loop: Header=BB150_18 Depth=1
	s_and_b64 vcc, exec, s[4:5]
	s_cbranch_vccnz .LBB150_69
.LBB150_47:                             ;   in Loop: Header=BB150_18 Depth=1
	v_lshlrev_b32_e32 v12, 6, v34
	s_and_saveexec_b64 s[4:5], s[94:95]
	s_cbranch_execz .LBB150_49
.LBB150_48:                             ;   in Loop: Header=BB150_18 Depth=1
	v_lshl_add_u32 v17, v12, 3, v29
	ds_write_b128 v17, v[2:5]
	ds_write_b128 v17, v[6:9] offset:16
.LBB150_49:                             ;   in Loop: Header=BB150_18 Depth=1
	s_or_b64 exec, exec, s[4:5]
	s_waitcnt lgkmcnt(0)
	s_barrier
	s_mov_b64 s[4:5], exec
	v_readlane_b32 s6, v49, 40
	v_readlane_b32 s7, v49, 41
	s_and_b64 s[6:7], s[4:5], s[6:7]
	s_mov_b64 exec, s[6:7]
	s_cbranch_execz .LBB150_84
; %bb.50:                               ;   in Loop: Header=BB150_18 Depth=1
	v_readlane_b32 s6, v49, 48
	v_mov_b32_e32 v2, 0
	v_readlane_b32 s7, v49, 49
	v_mov_b32_e32 v3, 0
	s_andn2_b64 vcc, exec, s[6:7]
	s_cbranch_vccnz .LBB150_83
; %bb.51:                               ;   in Loop: Header=BB150_18 Depth=1
	v_readlane_b32 s6, v49, 57
	v_readlane_b32 s7, v49, 58
	s_andn2_b64 vcc, exec, s[6:7]
	s_cbranch_vccnz .LBB150_79
; %bb.52:                               ;   in Loop: Header=BB150_18 Depth=1
	v_mov_b32_e32 v2, 0
	v_lshl_add_u32 v4, v34, 9, v32
	v_mov_b32_e32 v3, 0
	s_mov_b32 s6, 0
.LBB150_53:                             ;   Parent Loop BB150_18 Depth=1
                                        ; =>  This Inner Loop Header: Depth=2
	ds_read2_b64 v[5:8], v4 offset1:4
	ds_read2_b64 v[36:39], v4 offset0:8 offset1:12
	ds_read2_b64 v[40:43], v4 offset0:16 offset1:20
	;; [unrolled: 1-line block ×3, first 2 shown]
	s_add_i32 s6, s6, 8
	s_waitcnt lgkmcnt(3)
	v_add_co_u32_e32 v2, vcc, v5, v2
	v_addc_co_u32_e32 v3, vcc, v6, v3, vcc
	v_add_co_u32_e32 v2, vcc, v7, v2
	v_addc_co_u32_e32 v3, vcc, v8, v3, vcc
	s_waitcnt lgkmcnt(2)
	v_add_co_u32_e32 v2, vcc, v36, v2
	v_addc_co_u32_e32 v3, vcc, v37, v3, vcc
	v_add_co_u32_e32 v2, vcc, v38, v2
	v_addc_co_u32_e32 v3, vcc, v39, v3, vcc
	;; [unrolled: 5-line block ×3, first 2 shown]
	s_waitcnt lgkmcnt(0)
	v_add_co_u32_e32 v2, vcc, v44, v2
	v_addc_co_u32_e32 v3, vcc, v45, v3, vcc
	v_add_co_u32_e32 v2, vcc, v46, v2
	v_add_u32_e32 v4, 0x100, v4
	s_cmp_eq_u32 s0, s6
	v_addc_co_u32_e32 v3, vcc, v47, v3, vcc
	s_cbranch_scc0 .LBB150_53
; %bb.54:                               ;   in Loop: Header=BB150_18 Depth=1
	s_mov_b32 s6, s0
	s_branch .LBB150_80
.LBB150_55:                             ;   in Loop: Header=BB150_18 Depth=1
	v_readlane_b32 s4, v49, 55
	v_readlane_b32 s5, v49, 56
	s_nop 4
	global_load_ushort v12, v13, s[4:5]
	s_mov_b32 s4, s91
	s_waitcnt vmcnt(0)
	v_readfirstlane_b32 s5, v12
	s_and_b32 s5, 0xffff, s5
	s_lshl_b32 s31, s5, 2
	s_mov_b32 s5, s61
	s_cmp_lg_u64 s[4:5], 0
	s_cbranch_scc0 .LBB150_78
; %bb.56:                               ;   in Loop: Header=BB150_18 Depth=1
	v_cvt_f32_u32_e32 v2, s31
	s_sub_u32 s6, 0, s31
	s_subb_u32 s7, 0, 0
	v_mac_f32_e32 v2, 0, v33
	v_rcp_f32_e32 v2, v2
	v_mul_f32_e32 v2, 0x5f7ffffc, v2
	v_mul_f32_e32 v3, 0x2f800000, v2
	v_trunc_f32_e32 v3, v3
	v_mac_f32_e32 v2, 0xcf800000, v3
	v_cvt_u32_f32_e32 v3, v3
	v_cvt_u32_f32_e32 v2, v2
	v_readfirstlane_b32 s8, v3
	v_readfirstlane_b32 s4, v2
	s_mul_i32 s5, s6, s8
	s_mul_hi_u32 s10, s6, s4
	s_mul_i32 s9, s7, s4
	s_add_i32 s5, s10, s5
	s_mul_i32 s11, s6, s4
	s_add_i32 s5, s5, s9
	s_mul_hi_u32 s10, s4, s11
	s_mul_i32 s12, s4, s5
	s_mul_hi_u32 s9, s4, s5
	s_add_u32 s10, s10, s12
	s_addc_u32 s9, 0, s9
	s_mul_hi_u32 s13, s8, s11
	s_mul_i32 s11, s8, s11
	s_add_u32 s10, s10, s11
	s_mul_hi_u32 s12, s8, s5
	s_addc_u32 s9, s9, s13
	s_addc_u32 s10, s12, 0
	s_mul_i32 s5, s8, s5
	s_add_u32 s5, s9, s5
	s_addc_u32 s9, 0, s10
	s_add_u32 s10, s4, s5
	s_cselect_b64 s[4:5], -1, 0
	s_cmp_lg_u64 s[4:5], 0
	s_addc_u32 s8, s8, s9
	s_mul_i32 s4, s6, s8
	s_mul_hi_u32 s5, s6, s10
	s_add_i32 s4, s5, s4
	s_mul_i32 s7, s7, s10
	s_add_i32 s4, s4, s7
	s_mul_i32 s6, s6, s10
	s_mul_hi_u32 s7, s8, s6
	s_mul_i32 s9, s8, s6
	s_mul_i32 s12, s10, s4
	s_mul_hi_u32 s6, s10, s6
	s_mul_hi_u32 s11, s10, s4
	s_add_u32 s6, s6, s12
	s_addc_u32 s11, 0, s11
	s_add_u32 s6, s6, s9
	s_mul_hi_u32 s5, s8, s4
	s_addc_u32 s6, s11, s7
	s_addc_u32 s5, s5, 0
	s_mul_i32 s4, s8, s4
	s_add_u32 s4, s6, s4
	s_addc_u32 s6, 0, s5
	s_add_u32 s7, s10, s4
	s_cselect_b64 s[4:5], -1, 0
	s_cmp_lg_u64 s[4:5], 0
	s_addc_u32 s4, s8, s6
	s_mul_i32 s6, s60, s4
	s_mul_hi_u32 s8, s60, s7
	s_mul_hi_u32 s5, s60, s4
	s_add_u32 s6, s8, s6
	s_addc_u32 s5, 0, s5
	s_mul_hi_u32 s9, s61, s7
	s_mul_i32 s7, s61, s7
	s_add_u32 s6, s6, s7
	s_mul_hi_u32 s8, s61, s4
	s_addc_u32 s5, s5, s9
	s_addc_u32 s6, s8, 0
	s_mul_i32 s4, s61, s4
	s_add_u32 s4, s5, s4
	s_addc_u32 s5, 0, s6
	s_mul_i32 s5, s31, s5
	s_mul_hi_u32 s6, s31, s4
	s_add_i32 s6, s6, s5
	s_mul_i32 s4, s31, s4
	s_sub_u32 s7, s60, s4
	s_cselect_b64 s[4:5], -1, 0
	s_cmp_lg_u64 s[4:5], 0
	s_subb_u32 s6, s61, s6
	s_sub_u32 s8, s7, s31
	s_cselect_b64 s[4:5], -1, 0
	s_cmp_lg_u64 s[4:5], 0
	s_subb_u32 s9, s6, 0
	;; [unrolled: 4-line block ×3, first 2 shown]
	s_cmp_ge_u32 s8, s31
	s_cselect_b32 s5, -1, 0
	s_cmp_eq_u32 s9, 0
	s_cselect_b32 s5, s5, -1
	s_cmp_lg_u32 s5, 0
	s_cselect_b32 s4, s4, s9
	s_cselect_b32 s8, s10, s8
	s_cmp_ge_u32 s7, s31
	s_cselect_b32 s5, -1, 0
	s_cmp_eq_u32 s6, 0
	s_cselect_b32 s5, s5, -1
	s_cmp_lg_u32 s5, 0
	s_cselect_b32 s5, s4, s6
	s_cselect_b32 s4, s8, s7
	s_cbranch_execnz .LBB150_58
.LBB150_57:                             ;   in Loop: Header=BB150_18 Depth=1
	v_cvt_f32_u32_e32 v2, s31
	s_sub_i32 s4, 0, s31
	v_rcp_iflag_f32_e32 v2, v2
	v_mul_f32_e32 v2, 0x4f7ffffe, v2
	v_cvt_u32_f32_e32 v2, v2
	v_readfirstlane_b32 s5, v2
	s_mul_i32 s4, s4, s5
	s_mul_hi_u32 s4, s5, s4
	s_add_i32 s5, s5, s4
	s_mul_hi_u32 s4, s60, s5
	s_mul_i32 s4, s4, s31
	s_sub_i32 s4, s60, s4
	s_sub_i32 s5, s4, s31
	s_cmp_ge_u32 s4, s31
	s_cselect_b32 s4, s5, s4
	s_sub_i32 s5, s4, s31
	s_cmp_ge_u32 s4, s31
	s_cselect_b32 s90, s5, s4
	s_mov_b64 s[4:5], s[90:91]
.LBB150_58:                             ;   in Loop: Header=BB150_18 Depth=1
	s_sub_u32 s54, s60, s4
	s_subb_u32 s55, s61, s5
	v_cmp_gt_u64_e32 vcc, s[54:55], v[14:15]
	v_mov_b32_e32 v2, 0
	v_mov_b32_e32 v4, 0
	v_mov_b32_e32 v6, 0
	v_mov_b32_e32 v8, 0
	v_mov_b32_e32 v3, 0
	v_mov_b32_e32 v5, 0
	v_mov_b32_e32 v7, 0
	v_mov_b32_e32 v9, 0
	s_and_saveexec_b64 s[8:9], vcc
	s_cbranch_execz .LBB150_62
; %bb.59:                               ;   in Loop: Header=BB150_18 Depth=1
	v_mov_b32_e32 v22, v15
	s_mov_b64 s[10:11], 0
	s_mov_b64 s[80:81], 0
	;; [unrolled: 1-line block ×5, first 2 shown]
	v_mov_b32_e32 v21, v14
.LBB150_60:                             ;   Parent Loop BB150_18 Depth=1
                                        ; =>  This Inner Loop Header: Depth=2
	v_mul_lo_u32 v4, v22, s58
	v_mul_lo_u32 v5, v21, s59
	v_mad_u64_u32 v[2:3], s[4:5], v21, s58, 0
	v_mov_b32_e32 v6, s74
	s_lshl_b64 s[4:5], s[58:59], 2
	v_add3_u32 v3, v3, v5, v4
	v_lshlrev_b64 v[2:3], 2, v[2:3]
	v_mov_b32_e32 v7, s5
	v_add_co_u32_e64 v2, s[6:7], s33, v2
	v_addc_co_u32_e64 v3, s[6:7], v6, v3, s[6:7]
	v_add_co_u32_e64 v4, s[6:7], s4, v2
	v_addc_co_u32_e64 v5, s[6:7], v3, v7, s[6:7]
	global_load_dword v6, v[2:3], off
	global_load_dword v8, v[4:5], off
	v_add_co_u32_e64 v2, s[6:7], s4, v4
	v_addc_co_u32_e64 v3, s[6:7], v5, v7, s[6:7]
	global_load_dword v4, v[2:3], off
	v_add_co_u32_e64 v2, s[6:7], s4, v2
	v_addc_co_u32_e64 v3, s[6:7], v3, v7, s[6:7]
	global_load_dword v2, v[2:3], off
	v_add_co_u32_e32 v21, vcc, s31, v21
	v_addc_co_u32_e32 v22, vcc, 0, v22, vcc
	v_cmp_le_u64_e32 vcc, s[54:55], v[21:22]
	s_waitcnt vmcnt(3)
	v_xor_b32_e32 v3, 0x80000000, v6
	s_waitcnt vmcnt(2)
	v_xor_b32_e32 v5, 0x80000000, v8
	v_and_b32_e32 v6, v3, v35
	v_bfe_u32 v3, v3, s72, 2
	v_cmp_eq_u32_e64 s[14:15], v6, v30
	v_and_b32_e32 v6, v5, v35
	s_waitcnt vmcnt(1)
	v_xor_b32_e32 v4, 0x80000000, v4
	v_bfe_u32 v5, v5, s72, 2
	v_cmp_eq_u32_e64 s[6:7], 0, v3
	v_cmp_eq_u32_e64 s[34:35], 1, v3
	;; [unrolled: 1-line block ×4, first 2 shown]
	s_waitcnt vmcnt(0)
	v_xor_b32_e32 v2, 0x80000000, v2
	v_cmp_eq_u32_e64 s[16:17], v6, v30
	v_and_b32_e32 v3, v4, v35
	v_bfe_u32 v4, v4, s72, 2
	v_cmp_eq_u32_e64 s[26:27], 0, v5
	s_and_b64 s[4:5], s[14:15], s[6:7]
	v_cmp_eq_u32_e64 s[38:39], 1, v5
	v_cmp_eq_u32_e64 s[40:41], 2, v5
	;; [unrolled: 1-line block ×3, first 2 shown]
	v_cndmask_b32_e64 v5, 0, 1, s[4:5]
	v_cmp_eq_u32_e64 s[22:23], v3, v30
	v_and_b32_e32 v3, v2, v35
	v_bfe_u32 v2, v2, s72, 2
	v_cmp_eq_u32_e64 s[6:7], 0, v4
	s_and_b64 s[4:5], s[16:17], s[26:27]
	v_cmp_eq_u32_e64 s[42:43], 1, v4
	v_cmp_eq_u32_e64 s[44:45], 2, v4
	;; [unrolled: 1-line block ×3, first 2 shown]
	v_cndmask_b32_e64 v4, 0, 1, s[4:5]
	v_cmp_eq_u32_e64 s[26:27], v3, v30
	v_cmp_eq_u32_e64 s[48:49], 0, v2
	s_and_b64 s[4:5], s[22:23], s[6:7]
	v_cmp_eq_u32_e64 s[50:51], 1, v2
	v_cmp_eq_u32_e64 s[52:53], 2, v2
	;; [unrolled: 1-line block ×3, first 2 shown]
	v_cndmask_b32_e64 v2, 0, 1, s[4:5]
	s_and_b64 s[4:5], s[26:27], s[48:49]
	v_cmp_ne_u32_e64 s[46:47], 0, v5
	v_cmp_ne_u32_e64 s[6:7], 0, v2
	v_cndmask_b32_e64 v2, 0, 1, s[4:5]
	s_bcnt1_i32_b64 s73, s[46:47]
	v_cmp_ne_u32_e64 s[46:47], 0, v4
	s_bcnt1_i32_b64 s4, s[6:7]
	v_cmp_ne_u32_e64 s[6:7], 0, v2
	s_bcnt1_i32_b64 s46, s[46:47]
	s_bcnt1_i32_b64 s5, s[6:7]
	s_add_u32 s6, s73, s92
	s_addc_u32 s7, 0, s93
	s_add_u32 s6, s6, s46
	s_addc_u32 s7, s7, 0
	s_add_u32 s4, s6, s4
	s_addc_u32 s6, s7, 0
	s_add_u32 s92, s4, s5
	s_addc_u32 s93, s6, 0
	s_and_b64 s[4:5], s[14:15], s[34:35]
	v_cndmask_b32_e64 v4, 0, 1, s[4:5]
	s_and_b64 s[4:5], s[16:17], s[38:39]
	v_cndmask_b32_e64 v5, 0, 1, s[4:5]
	s_and_b64 s[4:5], s[22:23], s[42:43]
	v_cndmask_b32_e64 v6, 0, 1, s[4:5]
	s_and_b64 s[4:5], s[26:27], s[50:51]
	v_cndmask_b32_e64 v7, 0, 1, s[4:5]
	v_cmp_ne_u32_e64 s[6:7], 0, v4
	v_cmp_ne_u32_e64 s[34:35], 0, v5
	v_cmp_ne_u32_e64 s[38:39], 0, v6
	v_cmp_ne_u32_e64 s[42:43], 0, v7
	s_bcnt1_i32_b64 s4, s[6:7]
	s_bcnt1_i32_b64 s5, s[34:35]
	s_bcnt1_i32_b64 s6, s[38:39]
	s_bcnt1_i32_b64 s7, s[42:43]
	s_add_u32 s4, s4, s12
	s_addc_u32 s12, 0, s13
	s_add_u32 s4, s4, s5
	s_addc_u32 s5, s12, 0
	s_add_u32 s4, s4, s6
	s_addc_u32 s5, s5, 0
	s_add_u32 s12, s4, s7
	s_addc_u32 s13, s5, 0
	s_and_b64 s[4:5], s[14:15], s[36:37]
	v_cndmask_b32_e64 v6, 0, 1, s[4:5]
	s_and_b64 s[4:5], s[16:17], s[40:41]
	v_cndmask_b32_e64 v7, 0, 1, s[4:5]
	s_and_b64 s[4:5], s[22:23], s[44:45]
	v_cndmask_b32_e64 v8, 0, 1, s[4:5]
	s_and_b64 s[4:5], s[26:27], s[52:53]
	v_cndmask_b32_e64 v9, 0, 1, s[4:5]
	v_cmp_ne_u32_e64 s[6:7], 0, v6
	v_cmp_ne_u32_e64 s[34:35], 0, v7
	v_cmp_ne_u32_e64 s[36:37], 0, v8
	v_cmp_ne_u32_e64 s[38:39], 0, v9
	s_bcnt1_i32_b64 s4, s[6:7]
	s_bcnt1_i32_b64 s5, s[34:35]
	;; [unrolled: 24-line block ×3, first 2 shown]
	s_bcnt1_i32_b64 s6, s[16:17]
	s_bcnt1_i32_b64 s7, s[18:19]
	s_add_u32 s4, s4, s80
	s_addc_u32 s14, 0, s81
	s_add_u32 s4, s4, s5
	s_addc_u32 s5, s14, 0
	;; [unrolled: 2-line block ×3, first 2 shown]
	s_add_u32 s80, s4, s7
	v_mov_b32_e32 v2, s92
	v_mov_b32_e32 v4, s12
	;; [unrolled: 1-line block ×3, first 2 shown]
	s_addc_u32 s81, s5, 0
	v_mov_b32_e32 v8, s80
	v_mov_b32_e32 v3, s93
	;; [unrolled: 1-line block ×4, first 2 shown]
	s_or_b64 s[10:11], vcc, s[10:11]
	v_mov_b32_e32 v9, s81
	s_andn2_b64 exec, exec, s[10:11]
	s_cbranch_execnz .LBB150_60
; %bb.61:                               ;   in Loop: Header=BB150_18 Depth=1
	s_or_b64 exec, exec, s[10:11]
	v_readlane_b32 s94, v49, 62
	v_readlane_b32 s92, v48, 0
	;; [unrolled: 1-line block ×4, first 2 shown]
.LBB150_62:                             ;   in Loop: Header=BB150_18 Depth=1
	s_or_b64 exec, exec, s[8:9]
	v_mov_b32_e32 v17, s55
	v_add_co_u32_e32 v21, vcc, s54, v0
	v_addc_co_u32_e32 v22, vcc, 0, v17, vcc
	v_cmp_gt_u64_e32 vcc, s[60:61], v[21:22]
	s_and_saveexec_b64 s[4:5], vcc
	s_cbranch_execz .LBB150_68
; %bb.63:                               ;   in Loop: Header=BB150_18 Depth=1
	v_mul_lo_u32 v17, v22, s58
	v_mul_lo_u32 v38, v21, s59
	v_mad_u64_u32 v[36:37], s[6:7], v21, s58, 0
	s_mov_b64 s[8:9], 0
	v_add3_u32 v37, v37, v38, v17
	v_lshlrev_b64 v[36:37], 2, v[36:37]
	v_mov_b32_e32 v17, s74
	v_add_co_u32_e32 v36, vcc, s33, v36
	v_addc_co_u32_e32 v37, vcc, v17, v37, vcc
	global_load_dword v36, v[36:37], off
	s_branch .LBB150_65
.LBB150_64:                             ;   in Loop: Header=BB150_65 Depth=2
	s_or_b64 exec, exec, s[10:11]
	s_waitcnt vmcnt(0)
	v_xor_b32_e32 v36, 0x80000000, v36
	s_and_b64 s[6:7], exec, vcc
	v_and_b32_e32 v37, v36, v35
	v_bfe_u32 v36, v36, s72, 2
	s_or_b64 s[8:9], s[6:7], s[8:9]
	v_cmp_eq_u32_e32 vcc, v37, v30
	v_cmp_eq_u32_e64 s[6:7], 0, v36
	s_and_b64 s[6:7], vcc, s[6:7]
	v_cndmask_b32_e64 v37, 0, 1, s[6:7]
	v_cmp_ne_u32_e64 s[6:7], 0, v37
	s_bcnt1_i32_b64 s6, s[6:7]
	v_add_co_u32_e64 v2, s[6:7], s6, v2
	v_addc_co_u32_e64 v3, s[6:7], 0, v3, s[6:7]
	v_cmp_eq_u32_e64 s[6:7], 1, v36
	s_and_b64 s[6:7], vcc, s[6:7]
	v_cndmask_b32_e64 v37, 0, 1, s[6:7]
	v_cmp_ne_u32_e64 s[6:7], 0, v37
	s_bcnt1_i32_b64 s6, s[6:7]
	v_add_co_u32_e64 v4, s[6:7], s6, v4
	v_addc_co_u32_e64 v5, s[6:7], 0, v5, s[6:7]
	;; [unrolled: 7-line block ×3, first 2 shown]
	v_cmp_eq_u32_e64 s[6:7], 3, v36
	s_and_b64 s[6:7], vcc, s[6:7]
	v_cndmask_b32_e64 v36, 0, 1, s[6:7]
	v_cmp_ne_u32_e32 vcc, 0, v36
	s_bcnt1_i32_b64 s6, vcc
	v_add_co_u32_e32 v8, vcc, s6, v8
	v_addc_co_u32_e32 v9, vcc, 0, v9, vcc
	v_mov_b32_e32 v36, v17
	s_andn2_b64 exec, exec, s[8:9]
	s_cbranch_execz .LBB150_67
.LBB150_65:                             ;   Parent Loop BB150_18 Depth=1
                                        ; =>  This Inner Loop Header: Depth=2
	v_add_co_u32_sdwa v21, vcc, v21, v12 dst_sel:DWORD dst_unused:UNUSED_PAD src0_sel:DWORD src1_sel:WORD_0
	v_addc_co_u32_e32 v22, vcc, 0, v22, vcc
	v_cmp_gt_u64_e64 s[6:7], s[60:61], v[21:22]
	v_cmp_le_u64_e32 vcc, s[60:61], v[21:22]
	v_mov_b32_e32 v17, 0
	s_and_saveexec_b64 s[10:11], s[6:7]
	s_cbranch_execz .LBB150_64
; %bb.66:                               ;   in Loop: Header=BB150_65 Depth=2
	v_mul_lo_u32 v17, v22, s58
	v_mul_lo_u32 v39, v21, s59
	v_mad_u64_u32 v[37:38], s[6:7], v21, s58, 0
	v_add3_u32 v38, v38, v39, v17
	v_lshlrev_b64 v[37:38], 2, v[37:38]
	v_mov_b32_e32 v17, s74
	v_add_co_u32_e64 v37, s[6:7], s33, v37
	v_addc_co_u32_e64 v38, s[6:7], v17, v38, s[6:7]
	global_load_dword v17, v[37:38], off
	s_branch .LBB150_64
.LBB150_67:                             ;   in Loop: Header=BB150_18 Depth=1
	s_or_b64 exec, exec, s[8:9]
.LBB150_68:                             ;   in Loop: Header=BB150_18 Depth=1
	s_or_b64 exec, exec, s[4:5]
	s_branch .LBB150_47
.LBB150_69:                             ;   in Loop: Header=BB150_18 Depth=1
	v_readlane_b32 s4, v49, 55
	v_readlane_b32 s5, v49, 56
	v_mov_b32_e32 v6, 0
	v_mov_b32_e32 v7, 0
	s_nop 2
	global_load_ushort v12, v13, s[4:5]
	s_waitcnt vmcnt(0)
	v_readfirstlane_b32 s4, v12
	s_and_b32 s4, 0xffff, s4
	s_lshl_b32 s31, s4, 2
	v_cvt_f32_u32_e32 v2, s31
	s_sub_i32 s5, 0, s31
	v_rcp_iflag_f32_e32 v4, v2
	v_mov_b32_e32 v2, 0
	v_mov_b32_e32 v3, 0
	v_mul_f32_e32 v4, 0x4f7ffffe, v4
	v_cvt_u32_f32_e32 v8, v4
	v_mov_b32_e32 v4, 0
	v_mov_b32_e32 v5, 0
	v_readfirstlane_b32 s6, v8
	s_mul_i32 s5, s5, s6
	s_mul_hi_u32 s5, s6, s5
	s_add_i32 s6, s6, s5
	s_mul_hi_u32 s5, s30, s6
	s_mul_i32 s6, s5, s31
	s_sub_i32 s6, s30, s6
	s_add_i32 s7, s5, 1
	s_sub_i32 s8, s6, s31
	s_cmp_ge_u32 s6, s31
	s_cselect_b32 s5, s7, s5
	s_cselect_b32 s6, s8, s6
	s_add_i32 s7, s5, 1
	s_cmp_ge_u32 s6, s31
	s_cselect_b32 s5, s7, s5
	s_mul_hi_u32 s9, s4, s5
	s_mul_i32 s8, s4, s5
	s_lshl_b64 s[10:11], s[8:9], 2
	v_cmp_gt_u64_e32 vcc, s[10:11], v[14:15]
	v_mov_b32_e32 v8, 0
	v_mov_b32_e32 v9, 0
	s_and_saveexec_b64 s[12:13], vcc
	s_cbranch_execz .LBB150_73
; %bb.70:                               ;   in Loop: Header=BB150_18 Depth=1
	v_mov_b32_e32 v22, v15
	s_lshl_b32 s9, s4, 4
	s_mov_b64 s[80:81], 0
	v_mov_b32_e32 v17, v31
	s_mov_b64 s[92:93], 0
	s_mov_b64 s[94:95], 0
	;; [unrolled: 1-line block ×4, first 2 shown]
	v_mov_b32_e32 v21, v14
.LBB150_71:                             ;   Parent Loop BB150_18 Depth=1
                                        ; =>  This Inner Loop Header: Depth=2
	ds_read_b128 v[2:5], v17
	v_add_co_u32_e32 v21, vcc, s31, v21
	v_addc_co_u32_e32 v22, vcc, 0, v22, vcc
	s_waitcnt lgkmcnt(0)
	v_xor_b32_e32 v2, 0x80000000, v2
	v_xor_b32_e32 v3, 0x80000000, v3
	v_and_b32_e32 v6, v2, v35
	v_bfe_u32 v2, v2, s72, 2
	v_xor_b32_e32 v4, 0x80000000, v4
	v_and_b32_e32 v7, v3, v35
	v_bfe_u32 v3, v3, s72, 2
	v_cmp_eq_u32_e64 s[20:21], v6, v30
	v_cmp_eq_u32_e64 s[6:7], 0, v2
	v_xor_b32_e32 v5, 0x80000000, v5
	v_and_b32_e32 v8, v4, v35
	v_bfe_u32 v4, v4, s72, 2
	v_cmp_eq_u32_e64 s[18:19], v7, v30
	v_cmp_eq_u32_e64 s[34:35], 0, v3
	s_and_b64 s[6:7], s[20:21], s[6:7]
	v_and_b32_e32 v9, v5, v35
	v_bfe_u32 v5, v5, s72, 2
	v_cmp_eq_u32_e64 s[16:17], v8, v30
	v_cmp_eq_u32_e64 s[36:37], 0, v4
	;; [unrolled: 1-line block ×5, first 2 shown]
	v_cndmask_b32_e64 v2, 0, 1, s[6:7]
	s_and_b64 s[6:7], s[18:19], s[34:35]
	v_cmp_eq_u32_e64 s[14:15], v9, v30
	v_cmp_eq_u32_e64 s[38:39], 0, v5
	;; [unrolled: 1-line block ×5, first 2 shown]
	v_cndmask_b32_e64 v3, 0, 1, s[6:7]
	s_and_b64 s[6:7], s[16:17], s[36:37]
	v_cmp_eq_u32_e64 s[44:45], 1, v4
	v_cmp_eq_u32_e64 s[52:53], 2, v4
	;; [unrolled: 1-line block ×3, first 2 shown]
	v_cndmask_b32_e64 v4, 0, 1, s[6:7]
	s_and_b64 s[6:7], s[14:15], s[38:39]
	v_cmp_eq_u32_e64 s[46:47], 1, v5
	v_cmp_eq_u32_e64 s[54:55], 2, v5
	;; [unrolled: 1-line block ×3, first 2 shown]
	v_cndmask_b32_e64 v5, 0, 1, s[6:7]
	v_cmp_ne_u32_e64 s[6:7], 0, v2
	v_cmp_ne_u32_e64 s[34:35], 0, v3
	v_cmp_ne_u32_e64 s[36:37], 0, v4
	v_cmp_ne_u32_e64 s[38:39], 0, v5
	s_bcnt1_i32_b64 s6, s[6:7]
	s_bcnt1_i32_b64 s7, s[34:35]
	s_bcnt1_i32_b64 s34, s[36:37]
	s_bcnt1_i32_b64 s35, s[38:39]
	s_add_u32 s6, s6, s88
	s_addc_u32 s36, 0, s89
	s_add_u32 s6, s6, s7
	s_addc_u32 s7, s36, 0
	s_add_u32 s6, s6, s34
	s_addc_u32 s7, s7, 0
	s_add_u32 s88, s6, s35
	s_addc_u32 s89, s7, 0
	s_and_b64 s[6:7], s[20:21], s[40:41]
	v_cndmask_b32_e64 v4, 0, 1, s[6:7]
	s_and_b64 s[6:7], s[18:19], s[42:43]
	v_cndmask_b32_e64 v5, 0, 1, s[6:7]
	s_and_b64 s[6:7], s[16:17], s[44:45]
	v_cndmask_b32_e64 v6, 0, 1, s[6:7]
	s_and_b64 s[6:7], s[14:15], s[46:47]
	v_cndmask_b32_e64 v7, 0, 1, s[6:7]
	v_cmp_ne_u32_e64 s[6:7], 0, v4
	v_cmp_ne_u32_e64 s[34:35], 0, v5
	v_cmp_ne_u32_e64 s[36:37], 0, v6
	v_cmp_ne_u32_e64 s[38:39], 0, v7
	s_bcnt1_i32_b64 s6, s[6:7]
	s_bcnt1_i32_b64 s7, s[34:35]
	s_bcnt1_i32_b64 s34, s[36:37]
	s_bcnt1_i32_b64 s35, s[38:39]
	s_add_u32 s4, s6, s4
	s_addc_u32 s5, 0, s5
	s_add_u32 s4, s4, s7
	s_addc_u32 s5, s5, 0
	s_add_u32 s4, s4, s34
	s_addc_u32 s5, s5, 0
	s_add_u32 s4, s4, s35
	s_addc_u32 s5, s5, 0
	s_and_b64 s[6:7], s[20:21], s[48:49]
	v_cndmask_b32_e64 v6, 0, 1, s[6:7]
	s_and_b64 s[6:7], s[18:19], s[50:51]
	v_cndmask_b32_e64 v7, 0, 1, s[6:7]
	s_and_b64 s[6:7], s[16:17], s[52:53]
	v_cndmask_b32_e64 v8, 0, 1, s[6:7]
	s_and_b64 s[6:7], s[14:15], s[54:55]
	;; [unrolled: 24-line block ×3, first 2 shown]
	v_cndmask_b32_e64 v37, 0, 1, s[6:7]
	v_cmp_ne_u32_e64 s[6:7], 0, v8
	v_cmp_ne_u32_e64 s[14:15], 0, v9
	v_cmp_ne_u32_e64 s[16:17], 0, v36
	v_cmp_ne_u32_e64 s[18:19], 0, v37
	s_bcnt1_i32_b64 s6, s[6:7]
	s_bcnt1_i32_b64 s7, s[14:15]
	;; [unrolled: 1-line block ×4, first 2 shown]
	s_add_u32 s6, s6, s92
	s_addc_u32 s16, 0, s93
	s_add_u32 s6, s6, s7
	s_addc_u32 s7, s16, 0
	;; [unrolled: 2-line block ×3, first 2 shown]
	v_cmp_le_u64_e32 vcc, s[10:11], v[21:22]
	s_add_u32 s92, s6, s15
	v_mov_b32_e32 v2, s88
	v_mov_b32_e32 v4, s4
	;; [unrolled: 1-line block ×3, first 2 shown]
	s_addc_u32 s93, s7, 0
	v_mov_b32_e32 v8, s92
	v_add_u32_e32 v17, s9, v17
	v_mov_b32_e32 v3, s89
	v_mov_b32_e32 v5, s5
	v_mov_b32_e32 v7, s95
	s_or_b64 s[80:81], vcc, s[80:81]
	v_mov_b32_e32 v9, s93
	s_andn2_b64 exec, exec, s[80:81]
	s_cbranch_execnz .LBB150_71
; %bb.72:                               ;   in Loop: Header=BB150_18 Depth=1
	s_or_b64 exec, exec, s[80:81]
	v_readlane_b32 s94, v49, 62
	v_readlane_b32 s92, v48, 0
	;; [unrolled: 1-line block ×4, first 2 shown]
.LBB150_73:                             ;   in Loop: Header=BB150_18 Depth=1
	s_or_b64 exec, exec, s[12:13]
	v_mov_b32_e32 v17, s11
	v_add_co_u32_e32 v21, vcc, s10, v0
	s_and_b32 s90, s30, 0x7fffffff
	v_addc_co_u32_e32 v22, vcc, 0, v17, vcc
	v_cmp_gt_u64_e32 vcc, s[90:91], v[21:22]
	s_and_saveexec_b64 s[4:5], vcc
	s_cbranch_execz .LBB150_77
; %bb.74:                               ;   in Loop: Header=BB150_18 Depth=1
	v_lshl_add_u32 v17, s8, 4, v14
	s_mov_b64 s[8:9], 0
.LBB150_75:                             ;   Parent Loop BB150_18 Depth=1
                                        ; =>  This Inner Loop Header: Depth=2
	ds_read_b32 v36, v17
	v_add_co_u32_sdwa v21, vcc, v21, v12 dst_sel:DWORD dst_unused:UNUSED_PAD src0_sel:DWORD src1_sel:WORD_0
	v_addc_co_u32_e32 v22, vcc, 0, v22, vcc
	s_waitcnt lgkmcnt(0)
	v_xor_b32_e32 v36, 0x80000000, v36
	v_and_b32_e32 v37, v36, v35
	v_bfe_u32 v36, v36, s72, 2
	v_cmp_eq_u32_e64 s[6:7], v37, v30
	v_cmp_eq_u32_e64 s[14:15], 0, v36
	;; [unrolled: 1-line block ×3, first 2 shown]
	s_and_b64 s[10:11], s[6:7], s[14:15]
	v_cmp_eq_u32_e64 s[18:19], 2, v36
	v_cmp_eq_u32_e64 s[20:21], 3, v36
	v_cndmask_b32_e64 v36, 0, 1, s[10:11]
	s_and_b64 s[10:11], s[6:7], s[16:17]
	v_cndmask_b32_e64 v37, 0, 1, s[10:11]
	s_and_b64 s[10:11], s[6:7], s[18:19]
	s_and_b64 s[6:7], s[6:7], s[20:21]
	v_cndmask_b32_e64 v38, 0, 1, s[10:11]
	v_cndmask_b32_e64 v39, 0, 1, s[6:7]
	v_cmp_le_u64_e32 vcc, s[90:91], v[21:22]
	v_cmp_ne_u32_e64 s[6:7], 0, v36
	v_cmp_ne_u32_e64 s[14:15], 0, v37
	;; [unrolled: 1-line block ×4, first 2 shown]
	s_bcnt1_i32_b64 s6, s[6:7]
	s_bcnt1_i32_b64 s7, s[14:15]
	s_bcnt1_i32_b64 s10, s[16:17]
	s_bcnt1_i32_b64 s11, s[18:19]
	s_or_b64 s[8:9], vcc, s[8:9]
	v_add_co_u32_e32 v2, vcc, s6, v2
	v_addc_co_u32_e32 v3, vcc, 0, v3, vcc
	v_add_co_u32_e32 v4, vcc, s7, v4
	v_addc_co_u32_e32 v5, vcc, 0, v5, vcc
	;; [unrolled: 2-line block ×3, first 2 shown]
	v_add_co_u32_e32 v8, vcc, s11, v8
	v_add_u32_e32 v17, s31, v17
	v_addc_co_u32_e32 v9, vcc, 0, v9, vcc
	s_andn2_b64 exec, exec, s[8:9]
	s_cbranch_execnz .LBB150_75
; %bb.76:                               ;   in Loop: Header=BB150_18 Depth=1
	s_or_b64 exec, exec, s[8:9]
.LBB150_77:                             ;   in Loop: Header=BB150_18 Depth=1
	s_or_b64 exec, exec, s[4:5]
	v_lshlrev_b32_e32 v12, 6, v34
	s_and_saveexec_b64 s[4:5], s[94:95]
	s_cbranch_execnz .LBB150_48
	s_branch .LBB150_49
.LBB150_78:                             ;   in Loop: Header=BB150_18 Depth=1
                                        ; implicit-def: $sgpr4_sgpr5
	s_branch .LBB150_57
.LBB150_79:                             ;   in Loop: Header=BB150_18 Depth=1
	v_mov_b32_e32 v2, 0
	v_mov_b32_e32 v3, 0
	s_mov_b32 s6, 0
.LBB150_80:                             ;   in Loop: Header=BB150_18 Depth=1
	v_readlane_b32 s8, v49, 60
	v_readlane_b32 s9, v49, 61
	s_andn2_b64 vcc, exec, s[8:9]
	s_cbranch_vccnz .LBB150_83
; %bb.81:                               ;   in Loop: Header=BB150_18 Depth=1
	v_lshlrev_b32_e32 v4, 9, v34
	s_lshl_b32 s6, s6, 5
	v_add_u32_e32 v4, s6, v4
	v_add_u32_e32 v4, v32, v4
	v_readlane_b32 s6, v49, 59
.LBB150_82:                             ;   Parent Loop BB150_18 Depth=1
                                        ; =>  This Inner Loop Header: Depth=2
	ds_read_b64 v[5:6], v4
	s_add_i32 s6, s6, -1
	v_add_u32_e32 v4, 32, v4
	s_cmp_lg_u32 s6, 0
	s_waitcnt lgkmcnt(0)
	v_add_co_u32_e32 v2, vcc, v5, v2
	v_addc_co_u32_e32 v3, vcc, v6, v3, vcc
	s_cbranch_scc1 .LBB150_82
.LBB150_83:                             ;   in Loop: Header=BB150_18 Depth=1
	v_add_lshl_u32 v4, v12, v26, 3
	ds_write_b64 v4, v[2:3] offset:3072
.LBB150_84:                             ;   in Loop: Header=BB150_18 Depth=1
	s_or_b64 exec, exec, s[4:5]
	v_lshlrev_b32_e32 v6, 3, v12
	s_waitcnt lgkmcnt(0)
	s_barrier
	ds_read_b128 v[2:5], v6 offset:3072
	ds_read_b128 v[6:9], v6 offset:3088
	s_lshl_b32 s73, 3, s72
	v_cmp_eq_u64_e64 s[14:15], 1, v[19:20]
	s_not_b32 s90, s73
	s_waitcnt lgkmcnt(1)
	v_readfirstlane_b32 s17, v3
	v_readfirstlane_b32 s16, v2
	;; [unrolled: 1-line block ×4, first 2 shown]
	s_waitcnt lgkmcnt(0)
	v_readfirstlane_b32 s23, v7
	v_readfirstlane_b32 s22, v6
	;; [unrolled: 1-line block ×4, first 2 shown]
	s_mov_b64 s[38:39], -1
	s_mov_b64 s[18:19], 0
	s_andn2_b64 vcc, exec, s[92:93]
	s_mov_b64 s[28:29], 0
	s_mov_b64 s[26:27], 0
                                        ; implicit-def: $sgpr34_sgpr35
                                        ; implicit-def: $sgpr36_sgpr37
                                        ; implicit-def: $vgpr2_vgpr3
                                        ; implicit-def: $vgpr8
                                        ; implicit-def: $vgpr12
                                        ; implicit-def: $vgpr9
                                        ; implicit-def: $vgpr5
	s_cbranch_vccnz .LBB150_279
; %bb.85:                               ;   in Loop: Header=BB150_18 Depth=1
	s_cmp_eq_u64 s[16:17], 1
	s_cselect_b64 s[4:5], -1, 0
	s_and_b64 s[6:7], s[4:5], s[14:15]
	s_mov_b64 s[4:5], -1
	v_mov_b32_e32 v12, v30
	v_mov_b32_e32 v9, v35
	;; [unrolled: 1-line block ×3, first 2 shown]
                                        ; implicit-def: $sgpr36_sgpr37
                                        ; implicit-def: $sgpr34_sgpr35
	s_and_saveexec_b64 s[26:27], s[6:7]
	s_cbranch_execz .LBB150_120
; %bb.86:                               ;   in Loop: Header=BB150_18 Depth=1
	ds_read_b64 v[2:3], v13 offset:5120
	s_waitcnt lgkmcnt(0)
	s_barrier
	v_readfirstlane_b32 s8, v2
	v_readfirstlane_b32 s9, v3
	s_mov_b64 s[4:5], exec
	v_readlane_b32 s10, v49, 46
	v_readlane_b32 s11, v49, 47
	s_and_b64 s[10:11], s[4:5], s[10:11]
	s_mov_b64 exec, s[10:11]
; %bb.87:                               ;   in Loop: Header=BB150_18 Depth=1
	ds_write_b32 v28, v13
; %bb.88:                               ;   in Loop: Header=BB150_18 Depth=1
	s_or_b64 exec, exec, s[4:5]
	v_and_b32_e32 v12, s90, v30
	v_or_b32_e32 v9, s73, v35
	s_mov_b64 s[34:35], -1
	s_mov_b64 s[36:37], 0
	s_cmp_eq_u64 s[8:9], 0
	s_mov_b64 s[4:5], 0
	s_mov_b64 s[10:11], -1
	s_waitcnt lgkmcnt(0)
	s_barrier
                                        ; implicit-def: $vgpr5
	s_cbranch_scc1 .LBB150_105
; %bb.89:                               ;   in Loop: Header=BB150_18 Depth=1
	v_readlane_b32 s4, v49, 50
	s_add_u32 s28, s8, s4
	v_readlane_b32 s4, v49, 52
	s_addc_u32 s5, s9, s4
	s_mov_b32 s4, s91
	s_cmp_lg_u64 s[4:5], 0
	s_cbranch_scc0 .LBB150_146
; %bb.90:                               ;   in Loop: Header=BB150_18 Depth=1
	v_cvt_f32_u32_e32 v2, s75
	s_sub_u32 s4, 0, s75
	s_subb_u32 s12, 0, 0
	v_mac_f32_e32 v2, 0, v33
	v_rcp_f32_e32 v2, v2
	v_mul_f32_e32 v2, 0x5f7ffffc, v2
	v_mul_f32_e32 v3, 0x2f800000, v2
	v_trunc_f32_e32 v3, v3
	v_mac_f32_e32 v2, 0xcf800000, v3
	v_cvt_u32_f32_e32 v3, v3
	v_cvt_u32_f32_e32 v2, v2
	v_readfirstlane_b32 s13, v3
	v_readfirstlane_b32 s10, v2
	s_mul_i32 s11, s4, s13
	s_mul_hi_u32 s30, s4, s10
	s_mul_i32 s29, s12, s10
	s_add_i32 s11, s30, s11
	s_mul_i32 s31, s4, s10
	s_add_i32 s11, s11, s29
	s_mul_hi_u32 s30, s10, s31
	s_mul_i32 s38, s10, s11
	s_mul_hi_u32 s29, s10, s11
	s_add_u32 s30, s30, s38
	s_addc_u32 s29, 0, s29
	s_mul_hi_u32 s39, s13, s31
	s_mul_i32 s31, s13, s31
	s_add_u32 s30, s30, s31
	s_mul_hi_u32 s38, s13, s11
	s_addc_u32 s29, s29, s39
	s_addc_u32 s30, s38, 0
	s_mul_i32 s11, s13, s11
	s_add_u32 s11, s29, s11
	s_addc_u32 s29, 0, s30
	s_add_u32 s30, s10, s11
	s_cselect_b64 s[10:11], -1, 0
	s_cmp_lg_u64 s[10:11], 0
	s_addc_u32 s13, s13, s29
	s_mul_i32 s10, s4, s13
	s_mul_hi_u32 s11, s4, s30
	s_add_i32 s10, s11, s10
	s_mul_i32 s12, s12, s30
	s_add_i32 s10, s10, s12
	s_mul_i32 s4, s4, s30
	s_mul_hi_u32 s12, s13, s4
	s_mul_i32 s29, s13, s4
	s_mul_i32 s38, s30, s10
	s_mul_hi_u32 s4, s30, s4
	s_mul_hi_u32 s31, s30, s10
	s_add_u32 s4, s4, s38
	s_addc_u32 s31, 0, s31
	s_add_u32 s4, s4, s29
	s_mul_hi_u32 s11, s13, s10
	s_addc_u32 s4, s31, s12
	s_addc_u32 s11, s11, 0
	s_mul_i32 s10, s13, s10
	s_add_u32 s4, s4, s10
	s_addc_u32 s12, 0, s11
	s_add_u32 s4, s30, s4
	s_cselect_b64 s[10:11], -1, 0
	s_cmp_lg_u64 s[10:11], 0
	s_addc_u32 s10, s13, s12
	s_mul_i32 s12, s28, s10
	s_mul_hi_u32 s13, s28, s4
	s_mul_hi_u32 s11, s28, s10
	s_add_u32 s12, s13, s12
	s_addc_u32 s11, 0, s11
	s_mul_hi_u32 s29, s5, s4
	s_mul_i32 s4, s5, s4
	s_add_u32 s4, s12, s4
	s_mul_hi_u32 s13, s5, s10
	s_addc_u32 s4, s11, s29
	s_addc_u32 s11, s13, 0
	s_mul_i32 s10, s5, s10
	s_add_u32 s4, s4, s10
	s_addc_u32 s10, 0, s11
	s_mul_i32 s10, s75, s10
	s_mul_hi_u32 s11, s75, s4
	s_add_i32 s12, s11, s10
	s_mul_i32 s4, s75, s4
	s_sub_u32 s4, s28, s4
	s_cselect_b64 s[10:11], -1, 0
	s_cmp_lg_u64 s[10:11], 0
	s_subb_u32 s12, s5, s12
	s_sub_u32 s13, s4, s75
	s_cselect_b64 s[10:11], -1, 0
	s_cmp_lg_u64 s[10:11], 0
	s_subb_u32 s29, s12, 0
	;; [unrolled: 4-line block ×3, first 2 shown]
	s_cmp_ge_u32 s13, s75
	s_cselect_b32 s11, -1, 0
	s_cmp_eq_u32 s29, 0
	s_cselect_b32 s11, s11, -1
	s_cmp_lg_u32 s11, 0
	s_cselect_b32 s10, s10, s29
	s_cselect_b32 s13, s30, s13
	s_cmp_ge_u32 s4, s75
	s_cselect_b32 s11, -1, 0
	s_cmp_eq_u32 s12, 0
	s_cselect_b32 s11, s11, -1
	s_cmp_lg_u32 s11, 0
	s_cselect_b32 s11, s10, s12
	s_cselect_b32 s10, s13, s4
	s_cbranch_execnz .LBB150_92
.LBB150_91:                             ;   in Loop: Header=BB150_18 Depth=1
	v_cvt_f32_u32_e32 v2, s75
	s_sub_i32 s4, 0, s75
	s_mov_b32 s12, s90
	v_rcp_iflag_f32_e32 v2, v2
	v_mul_f32_e32 v2, 0x4f7ffffe, v2
	v_cvt_u32_f32_e32 v2, v2
	v_readfirstlane_b32 s10, v2
	s_mul_i32 s4, s4, s10
	s_mul_hi_u32 s4, s10, s4
	s_add_i32 s10, s10, s4
	s_mul_hi_u32 s4, s28, s10
	s_mul_i32 s4, s4, s75
	s_sub_i32 s4, s28, s4
	s_sub_i32 s10, s4, s75
	s_cmp_ge_u32 s4, s75
	s_cselect_b32 s4, s10, s4
	s_sub_i32 s10, s4, s75
	s_cmp_ge_u32 s4, s75
	s_cselect_b32 s90, s10, s4
	s_mov_b64 s[10:11], s[90:91]
	s_mov_b32 s90, s12
.LBB150_92:                             ;   in Loop: Header=BB150_18 Depth=1
	s_sub_u32 s28, s28, s10
	s_subb_u32 s29, s5, s11
	v_cmp_gt_u64_e32 vcc, s[28:29], v[0:1]
	s_mov_b64 s[10:11], 0
	s_mov_b64 s[4:5], 0
                                        ; implicit-def: $vgpr5
	s_and_saveexec_b64 s[12:13], vcc
	s_cbranch_execz .LBB150_104
; %bb.93:                               ;   in Loop: Header=BB150_18 Depth=1
	v_mov_b32_e32 v3, v1
	v_mov_b32_e32 v6, v14
	;; [unrolled: 1-line block ×3, first 2 shown]
                                        ; implicit-def: $sgpr30_sgpr31
	s_branch .LBB150_96
.LBB150_94:                             ;   in Loop: Header=BB150_96 Depth=2
	s_or_b64 exec, exec, s[38:39]
	s_waitcnt lgkmcnt(0)
	s_barrier
	ds_read_b64 v[4:5], v13 offset:3072
	s_mov_b64 s[38:39], -1
	s_mov_b64 s[40:41], -1
	s_waitcnt lgkmcnt(0)
	s_barrier
	v_cmp_ne_u32_e32 vcc, 0, v4
	s_cbranch_vccz .LBB150_99
.LBB150_95:                             ;   in Loop: Header=BB150_96 Depth=2
	s_and_b64 s[38:39], exec, s[38:39]
	s_or_b64 s[4:5], s[38:39], s[4:5]
	s_andn2_b64 s[30:31], s[30:31], exec
	s_and_b64 s[38:39], s[40:41], exec
	s_or_b64 s[30:31], s[30:31], s[38:39]
	s_andn2_b64 exec, exec, s[4:5]
	s_cbranch_execz .LBB150_103
.LBB150_96:                             ;   Parent Loop BB150_18 Depth=1
                                        ; =>  This Inner Loop Header: Depth=2
	v_cmp_gt_u64_e32 vcc, s[8:9], v[2:3]
	s_and_saveexec_b64 s[38:39], vcc
	s_cbranch_execz .LBB150_94
; %bb.97:                               ;   in Loop: Header=BB150_96 Depth=2
	ds_read_b32 v17, v6
	s_waitcnt lgkmcnt(0)
	v_xor_b32_e32 v4, 0x80000000, v17
	v_and_b32_e32 v4, v4, v9
	v_cmp_eq_u32_e32 vcc, v4, v12
	s_and_b64 exec, exec, vcc
	s_cbranch_execz .LBB150_94
; %bb.98:                               ;   in Loop: Header=BB150_96 Depth=2
	ds_write_b64 v13, v[16:17] offset:3072
	s_branch .LBB150_94
.LBB150_99:                             ;   in Loop: Header=BB150_96 Depth=2
	v_add_co_u32_e32 v2, vcc, s75, v2
	v_addc_co_u32_e32 v3, vcc, 0, v3, vcc
	v_cmp_le_u64_e32 vcc, s[28:29], v[2:3]
	v_add_u32_e32 v6, s1, v6
	s_mov_b64 s[40:41], 0
	s_orn2_b64 s[38:39], vcc, exec
	s_branch .LBB150_95
.LBB150_100:                            ;   in Loop: Header=BB150_18 Depth=1
	s_or_b64 exec, exec, s[8:9]
	s_waitcnt lgkmcnt(0)
	s_barrier
	s_mov_b64 s[6:7], exec
	v_readlane_b32 s8, v49, 32
	v_readlane_b32 s9, v49, 33
	s_and_b64 s[8:9], s[6:7], s[8:9]
	s_mov_b64 exec, s[8:9]
	s_cbranch_execz .LBB150_102
; %bb.101:                              ;   in Loop: Header=BB150_18 Depth=1
	ds_read_b32 v2, v13 offset:5144
	s_waitcnt lgkmcnt(0)
	v_ashrrev_i32_e32 v3, 31, v2
	ds_write_b64 v13, v[2:3] offset:5120
.LBB150_102:                            ;   in Loop: Header=BB150_18 Depth=1
	s_or_b64 exec, exec, s[6:7]
	s_waitcnt lgkmcnt(0)
	s_barrier
	s_mov_b64 s[6:7], -1
	s_and_b64 vcc, exec, s[4:5]
	s_cbranch_vccnz .LBB150_34
	s_branch .LBB150_43
.LBB150_103:                            ;   in Loop: Header=BB150_18 Depth=1
	s_or_b64 exec, exec, s[4:5]
	s_and_b64 s[4:5], s[30:31], exec
.LBB150_104:                            ;   in Loop: Header=BB150_18 Depth=1
	s_or_b64 exec, exec, s[12:13]
.LBB150_105:                            ;   in Loop: Header=BB150_18 Depth=1
	s_and_b64 vcc, exec, s[10:11]
	s_cbranch_vccz .LBB150_119
; %bb.106:                              ;   in Loop: Header=BB150_18 Depth=1
	v_readlane_b32 s34, v49, 53
	v_readlane_b32 s35, v49, 54
	s_mov_b32 s34, s91
	s_cmp_lg_u64 s[34:35], 0
	v_writelane_b32 v49, s34, 53
	v_writelane_b32 v49, s35, 54
	s_cbranch_scc0 .LBB150_147
; %bb.107:                              ;   in Loop: Header=BB150_18 Depth=1
	v_cvt_f32_u32_e32 v2, s75
	s_sub_u32 s10, 0, s75
	s_subb_u32 s11, 0, 0
	v_mac_f32_e32 v2, 0, v33
	v_rcp_f32_e32 v2, v2
	v_mul_f32_e32 v2, 0x5f7ffffc, v2
	v_mul_f32_e32 v3, 0x2f800000, v2
	v_trunc_f32_e32 v3, v3
	v_mac_f32_e32 v2, 0xcf800000, v3
	v_cvt_u32_f32_e32 v3, v3
	v_cvt_u32_f32_e32 v2, v2
	v_readfirstlane_b32 s12, v3
	v_readfirstlane_b32 s8, v2
	s_mul_i32 s9, s10, s12
	s_mul_hi_u32 s28, s10, s8
	s_mul_i32 s13, s11, s8
	s_add_i32 s9, s28, s9
	s_mul_i32 s29, s10, s8
	s_add_i32 s9, s9, s13
	s_mul_hi_u32 s28, s8, s29
	s_mul_i32 s30, s8, s9
	s_mul_hi_u32 s13, s8, s9
	s_add_u32 s28, s28, s30
	s_addc_u32 s13, 0, s13
	s_mul_hi_u32 s31, s12, s29
	s_mul_i32 s29, s12, s29
	s_add_u32 s28, s28, s29
	s_mul_hi_u32 s30, s12, s9
	s_addc_u32 s13, s13, s31
	s_addc_u32 s28, s30, 0
	s_mul_i32 s9, s12, s9
	s_add_u32 s9, s13, s9
	s_addc_u32 s13, 0, s28
	s_add_u32 s28, s8, s9
	s_cselect_b64 s[8:9], -1, 0
	s_cmp_lg_u64 s[8:9], 0
	s_addc_u32 s12, s12, s13
	s_mul_i32 s8, s10, s12
	s_mul_hi_u32 s9, s10, s28
	s_add_i32 s8, s9, s8
	s_mul_i32 s11, s11, s28
	s_add_i32 s8, s8, s11
	s_mul_i32 s10, s10, s28
	s_mul_hi_u32 s11, s12, s10
	s_mul_i32 s13, s12, s10
	s_mul_i32 s30, s28, s8
	s_mul_hi_u32 s10, s28, s10
	s_mul_hi_u32 s29, s28, s8
	s_add_u32 s10, s10, s30
	s_addc_u32 s29, 0, s29
	s_add_u32 s10, s10, s13
	s_mul_hi_u32 s9, s12, s8
	s_addc_u32 s10, s29, s11
	s_addc_u32 s9, s9, 0
	s_mul_i32 s8, s12, s8
	s_add_u32 s8, s10, s8
	s_addc_u32 s10, 0, s9
	s_add_u32 s11, s28, s8
	s_cselect_b64 s[8:9], -1, 0
	s_cmp_lg_u64 s[8:9], 0
	s_addc_u32 s8, s12, s10
	v_readlane_b32 s28, v49, 51
	s_mul_i32 s10, s28, s8
	s_mul_hi_u32 s12, s28, s11
	s_mul_hi_u32 s9, s28, s8
	s_add_u32 s10, s12, s10
	s_addc_u32 s9, 0, s9
	s_mul_hi_u32 s13, s35, s11
	s_mul_i32 s11, s35, s11
	s_add_u32 s10, s10, s11
	s_mul_hi_u32 s12, s35, s8
	s_addc_u32 s9, s9, s13
	s_addc_u32 s10, s12, 0
	s_mul_i32 s8, s35, s8
	s_add_u32 s8, s9, s8
	s_addc_u32 s9, 0, s10
	s_mul_i32 s9, s75, s9
	s_mul_hi_u32 s10, s75, s8
	s_add_i32 s10, s10, s9
	s_mul_i32 s8, s75, s8
	s_sub_u32 s11, s28, s8
	s_cselect_b64 s[8:9], -1, 0
	s_cmp_lg_u64 s[8:9], 0
	s_subb_u32 s10, s35, s10
	s_sub_u32 s12, s11, s75
	s_cselect_b64 s[8:9], -1, 0
	s_cmp_lg_u64 s[8:9], 0
	s_subb_u32 s13, s10, 0
	;; [unrolled: 4-line block ×3, first 2 shown]
	s_cmp_ge_u32 s12, s75
	s_cselect_b32 s9, -1, 0
	s_cmp_eq_u32 s13, 0
	s_cselect_b32 s9, s9, -1
	s_cmp_lg_u32 s9, 0
	s_cselect_b32 s8, s8, s13
	s_cselect_b32 s12, s28, s12
	s_cmp_ge_u32 s11, s75
	s_cselect_b32 s9, -1, 0
	s_cmp_eq_u32 s10, 0
	s_cselect_b32 s9, s9, -1
	s_cmp_lg_u32 s9, 0
	s_cselect_b32 s9, s8, s10
	s_cselect_b32 s8, s12, s11
	s_cbranch_execnz .LBB150_109
.LBB150_108:                            ;   in Loop: Header=BB150_18 Depth=1
	v_cvt_f32_u32_e32 v2, s75
	s_sub_i32 s8, 0, s75
	v_readlane_b32 s10, v49, 51
	v_rcp_iflag_f32_e32 v2, v2
	v_mul_f32_e32 v2, 0x4f7ffffe, v2
	v_cvt_u32_f32_e32 v2, v2
	v_readfirstlane_b32 s9, v2
	s_mul_i32 s8, s8, s9
	s_mul_hi_u32 s8, s9, s8
	s_add_i32 s9, s9, s8
	s_mul_hi_u32 s8, s10, s9
	s_mul_i32 s8, s8, s75
	s_sub_i32 s8, s10, s8
	s_sub_i32 s9, s8, s75
	s_cmp_ge_u32 s8, s75
	s_cselect_b32 s8, s9, s8
	s_sub_i32 s9, s8, s75
	s_cmp_ge_u32 s8, s75
	s_mov_b32 s10, s90
	s_cselect_b32 s90, s9, s8
	s_mov_b64 s[8:9], s[90:91]
	s_mov_b32 s90, s10
.LBB150_109:                            ;   in Loop: Header=BB150_18 Depth=1
	v_readlane_b32 s10, v49, 51
	v_readlane_b32 s12, v49, 53
	s_sub_u32 s10, s10, s8
	v_readlane_b32 s13, v49, 54
	s_subb_u32 s11, s13, s9
	v_cmp_gt_u64_e32 vcc, s[10:11], v[0:1]
                                        ; implicit-def: $vgpr5
	s_and_saveexec_b64 s[8:9], vcc
	s_cbranch_execz .LBB150_118
; %bb.110:                              ;   in Loop: Header=BB150_18 Depth=1
	v_mov_b32_e32 v3, v1
	s_mov_b64 s[12:13], 0
	v_mov_b32_e32 v2, v0
                                        ; implicit-def: $sgpr28_sgpr29
	s_branch .LBB150_113
.LBB150_111:                            ;   in Loop: Header=BB150_113 Depth=2
	s_or_b64 exec, exec, s[30:31]
	s_waitcnt lgkmcnt(0)
	s_barrier
	ds_read_b64 v[4:5], v13 offset:3072
	s_mov_b64 s[30:31], -1
	s_mov_b64 s[34:35], -1
	s_waitcnt lgkmcnt(0)
	s_barrier
	v_cmp_ne_u32_e32 vcc, 0, v4
	s_cbranch_vccz .LBB150_116
.LBB150_112:                            ;   in Loop: Header=BB150_113 Depth=2
	s_and_b64 s[30:31], exec, s[30:31]
	s_or_b64 s[12:13], s[30:31], s[12:13]
	s_andn2_b64 s[28:29], s[28:29], exec
	s_and_b64 s[30:31], s[34:35], exec
	s_or_b64 s[28:29], s[28:29], s[30:31]
	s_andn2_b64 exec, exec, s[12:13]
	s_cbranch_execz .LBB150_117
.LBB150_113:                            ;   Parent Loop BB150_18 Depth=1
                                        ; =>  This Inner Loop Header: Depth=2
	v_cmp_gt_u64_e32 vcc, s[60:61], v[2:3]
	s_and_saveexec_b64 s[30:31], vcc
	s_cbranch_execz .LBB150_111
; %bb.114:                              ;   in Loop: Header=BB150_113 Depth=2
	v_mul_lo_u32 v6, v3, s58
	v_mul_lo_u32 v7, v2, s59
	v_mad_u64_u32 v[4:5], s[34:35], v2, s58, 0
	v_add3_u32 v5, v5, v7, v6
	v_lshlrev_b64 v[4:5], 2, v[4:5]
	v_mov_b32_e32 v6, s74
	v_add_co_u32_e32 v4, vcc, s33, v4
	v_addc_co_u32_e32 v5, vcc, v6, v5, vcc
	global_load_dword v17, v[4:5], off
	s_waitcnt vmcnt(0)
	v_xor_b32_e32 v4, 0x80000000, v17
	v_and_b32_e32 v4, v4, v9
	v_cmp_eq_u32_e32 vcc, v4, v12
	s_and_b64 exec, exec, vcc
	s_cbranch_execz .LBB150_111
; %bb.115:                              ;   in Loop: Header=BB150_113 Depth=2
	ds_write_b64 v13, v[16:17] offset:3072
	s_branch .LBB150_111
.LBB150_116:                            ;   in Loop: Header=BB150_113 Depth=2
	v_add_co_u32_e32 v2, vcc, s75, v2
	v_addc_co_u32_e32 v3, vcc, 0, v3, vcc
	v_cmp_le_u64_e32 vcc, s[10:11], v[2:3]
	s_mov_b64 s[34:35], 0
	s_orn2_b64 s[30:31], vcc, exec
	s_branch .LBB150_112
.LBB150_117:                            ;   in Loop: Header=BB150_18 Depth=1
	s_or_b64 exec, exec, s[12:13]
	s_andn2_b64 s[4:5], s[4:5], exec
	s_and_b64 s[10:11], s[28:29], exec
	s_or_b64 s[4:5], s[4:5], s[10:11]
.LBB150_118:                            ;   in Loop: Header=BB150_18 Depth=1
	s_or_b64 exec, exec, s[8:9]
	s_mov_b64 s[34:35], 0
	s_mov_b64 s[36:37], -1
.LBB150_119:                            ;   in Loop: Header=BB150_18 Depth=1
	s_orn2_b64 s[4:5], s[4:5], exec
.LBB150_120:                            ;   in Loop: Header=BB150_18 Depth=1
	s_or_b64 exec, exec, s[26:27]
	s_mov_b64 s[38:39], 0
	s_mov_b64 s[28:29], 0
	;; [unrolled: 1-line block ×3, first 2 shown]
                                        ; implicit-def: $vgpr2_vgpr3
                                        ; implicit-def: $vgpr8
	s_and_saveexec_b64 s[40:41], s[4:5]
	s_cbranch_execz .LBB150_278
; %bb.121:                              ;   in Loop: Header=BB150_18 Depth=1
	v_mov_b32_e32 v2, 1
	s_xor_b64 s[8:9], s[6:7], -1
	v_mov_b32_e32 v8, 1
	v_mov_b32_e32 v3, 0
	s_mov_b64 s[6:7], 0
	s_and_saveexec_b64 s[4:5], s[8:9]
	s_cbranch_execz .LBB150_130
; %bb.122:                              ;   in Loop: Header=BB150_18 Depth=1
	v_cmp_ge_u64_e32 vcc, s[16:17], v[19:20]
	s_and_saveexec_b64 s[6:7], vcc
	s_xor_b64 s[6:7], exec, s[6:7]
	s_cbranch_execz .LBB150_127
; %bb.123:                              ;   in Loop: Header=BB150_18 Depth=1
	ds_read_b64 v[2:3], v13 offset:5120
	v_and_b32_e32 v12, s90, v12
	v_or_b32_e32 v9, s73, v9
	s_waitcnt lgkmcnt(0)
	v_cmp_ne_u64_e32 vcc, 0, v[2:3]
	s_cbranch_vccnz .LBB150_127
; %bb.124:                              ;   in Loop: Header=BB150_18 Depth=1
	s_mov_b64 s[8:9], exec
	v_readlane_b32 s10, v49, 32
	v_readlane_b32 s11, v49, 33
	s_and_b64 s[10:11], s[8:9], s[10:11]
	s_mov_b64 exec, s[10:11]
; %bb.125:                              ;   in Loop: Header=BB150_18 Depth=1
	v_mov_b32_e32 v2, s16
	v_mov_b32_e32 v3, s17
	ds_write_b64 v13, v[2:3] offset:5128
; %bb.126:                              ;   in Loop: Header=BB150_18 Depth=1
	s_or_b64 exec, exec, s[8:9]
	s_waitcnt lgkmcnt(0)
	s_barrier
.LBB150_127:                            ;   in Loop: Header=BB150_18 Depth=1
	s_or_saveexec_b64 s[6:7], s[6:7]
	v_mov_b32_e32 v2, v19
	s_mov_b64 s[8:9], 0
	v_mov_b32_e32 v8, 8
	v_mov_b32_e32 v3, v20
	s_xor_b64 exec, exec, s[6:7]
; %bb.128:                              ;   in Loop: Header=BB150_18 Depth=1
	v_mov_b32_e32 v3, s17
	v_subrev_co_u32_e32 v2, vcc, s16, v19
	s_mov_b64 s[8:9], exec
	v_subb_co_u32_e32 v3, vcc, v20, v3, vcc
	v_mov_b32_e32 v8, 0
; %bb.129:                              ;   in Loop: Header=BB150_18 Depth=1
	s_or_b64 exec, exec, s[6:7]
	s_and_b64 s[6:7], s[8:9], exec
.LBB150_130:                            ;   in Loop: Header=BB150_18 Depth=1
	s_or_b64 exec, exec, s[4:5]
	s_mov_b64 s[4:5], -1
                                        ; implicit-def: $sgpr26_sgpr27
                                        ; implicit-def: $sgpr28_sgpr29
	s_and_saveexec_b64 s[8:9], s[6:7]
	s_xor_b64 s[6:7], exec, s[8:9]
	s_cbranch_execz .LBB150_275
; %bb.131:                              ;   in Loop: Header=BB150_18 Depth=1
	s_cmp_eq_u64 s[20:21], 1
	v_cmp_eq_u64_e32 vcc, 1, v[2:3]
	s_cselect_b64 s[4:5], -1, 0
	s_and_b64 s[30:31], s[4:5], vcc
	s_mov_b64 s[4:5], -1
                                        ; implicit-def: $sgpr28_sgpr29
                                        ; implicit-def: $sgpr26_sgpr27
	s_and_saveexec_b64 s[42:43], s[30:31]
	s_cbranch_execz .LBB150_165
; %bb.132:                              ;   in Loop: Header=BB150_18 Depth=1
	ds_read_b64 v[4:5], v13 offset:5120
	s_waitcnt lgkmcnt(0)
	s_barrier
	v_readfirstlane_b32 s8, v4
	v_readfirstlane_b32 s9, v5
	s_mov_b64 s[4:5], exec
	v_readlane_b32 s10, v49, 46
	v_readlane_b32 s11, v49, 47
	s_and_b64 s[10:11], s[4:5], s[10:11]
	s_mov_b64 exec, s[10:11]
; %bb.133:                              ;   in Loop: Header=BB150_18 Depth=1
	ds_write_b32 v28, v13
; %bb.134:                              ;   in Loop: Header=BB150_18 Depth=1
	s_or_b64 exec, exec, s[4:5]
	v_and_b32_e32 v4, s90, v12
	v_lshl_or_b32 v12, 1, s72, v4
	v_or_b32_e32 v9, s73, v9
	s_mov_b64 s[26:27], -1
	s_mov_b64 s[28:29], 0
	s_cmp_eq_u64 s[8:9], 0
	s_mov_b64 s[4:5], 0
	s_mov_b64 s[10:11], -1
	s_waitcnt lgkmcnt(0)
	s_barrier
                                        ; implicit-def: $vgpr5
	s_cbranch_scc1 .LBB150_150
; %bb.135:                              ;   in Loop: Header=BB150_18 Depth=1
	v_readlane_b32 s4, v49, 50
	s_add_u32 s44, s8, s4
	v_readlane_b32 s4, v49, 52
	s_addc_u32 s5, s9, s4
	s_mov_b32 s4, s91
	s_cmp_lg_u64 s[4:5], 0
	s_cbranch_scc0 .LBB150_191
; %bb.136:                              ;   in Loop: Header=BB150_18 Depth=1
	v_cvt_f32_u32_e32 v4, s75
	s_sub_u32 s4, 0, s75
	s_subb_u32 s12, 0, 0
	v_mac_f32_e32 v4, 0, v33
	v_rcp_f32_e32 v4, v4
	v_mul_f32_e32 v4, 0x5f7ffffc, v4
	v_mul_f32_e32 v5, 0x2f800000, v4
	v_trunc_f32_e32 v5, v5
	v_mac_f32_e32 v4, 0xcf800000, v5
	v_cvt_u32_f32_e32 v5, v5
	v_cvt_u32_f32_e32 v4, v4
	v_readfirstlane_b32 s13, v5
	v_readfirstlane_b32 s10, v4
	s_mul_i32 s11, s4, s13
	s_mul_hi_u32 s46, s4, s10
	s_mul_i32 s45, s12, s10
	s_add_i32 s11, s46, s11
	s_mul_i32 s47, s4, s10
	s_add_i32 s11, s11, s45
	s_mul_hi_u32 s46, s10, s47
	s_mul_i32 s48, s10, s11
	s_mul_hi_u32 s45, s10, s11
	s_add_u32 s46, s46, s48
	s_addc_u32 s45, 0, s45
	s_mul_hi_u32 s49, s13, s47
	s_mul_i32 s47, s13, s47
	s_add_u32 s46, s46, s47
	s_mul_hi_u32 s48, s13, s11
	s_addc_u32 s45, s45, s49
	s_addc_u32 s46, s48, 0
	s_mul_i32 s11, s13, s11
	s_add_u32 s11, s45, s11
	s_addc_u32 s45, 0, s46
	s_add_u32 s46, s10, s11
	s_cselect_b64 s[10:11], -1, 0
	s_cmp_lg_u64 s[10:11], 0
	s_addc_u32 s13, s13, s45
	s_mul_i32 s10, s4, s13
	s_mul_hi_u32 s11, s4, s46
	s_add_i32 s10, s11, s10
	s_mul_i32 s12, s12, s46
	s_add_i32 s10, s10, s12
	s_mul_i32 s4, s4, s46
	s_mul_hi_u32 s12, s13, s4
	s_mul_i32 s45, s13, s4
	s_mul_i32 s48, s46, s10
	s_mul_hi_u32 s4, s46, s4
	s_mul_hi_u32 s47, s46, s10
	s_add_u32 s4, s4, s48
	s_addc_u32 s47, 0, s47
	s_add_u32 s4, s4, s45
	s_mul_hi_u32 s11, s13, s10
	s_addc_u32 s4, s47, s12
	s_addc_u32 s11, s11, 0
	s_mul_i32 s10, s13, s10
	s_add_u32 s4, s4, s10
	s_addc_u32 s12, 0, s11
	s_add_u32 s4, s46, s4
	s_cselect_b64 s[10:11], -1, 0
	s_cmp_lg_u64 s[10:11], 0
	s_addc_u32 s10, s13, s12
	s_mul_i32 s12, s44, s10
	s_mul_hi_u32 s13, s44, s4
	s_mul_hi_u32 s11, s44, s10
	s_add_u32 s12, s13, s12
	s_addc_u32 s11, 0, s11
	s_mul_hi_u32 s45, s5, s4
	s_mul_i32 s4, s5, s4
	s_add_u32 s4, s12, s4
	s_mul_hi_u32 s13, s5, s10
	s_addc_u32 s4, s11, s45
	s_addc_u32 s11, s13, 0
	s_mul_i32 s10, s5, s10
	s_add_u32 s4, s4, s10
	s_addc_u32 s10, 0, s11
	s_mul_i32 s10, s75, s10
	s_mul_hi_u32 s11, s75, s4
	s_add_i32 s12, s11, s10
	s_mul_i32 s4, s75, s4
	s_sub_u32 s4, s44, s4
	s_cselect_b64 s[10:11], -1, 0
	s_cmp_lg_u64 s[10:11], 0
	s_subb_u32 s12, s5, s12
	s_sub_u32 s13, s4, s75
	s_cselect_b64 s[10:11], -1, 0
	s_cmp_lg_u64 s[10:11], 0
	s_subb_u32 s45, s12, 0
	;; [unrolled: 4-line block ×3, first 2 shown]
	s_cmp_ge_u32 s13, s75
	s_cselect_b32 s11, -1, 0
	s_cmp_eq_u32 s45, 0
	s_cselect_b32 s11, s11, -1
	s_cmp_lg_u32 s11, 0
	s_cselect_b32 s10, s10, s45
	s_cselect_b32 s13, s46, s13
	s_cmp_ge_u32 s4, s75
	s_cselect_b32 s11, -1, 0
	s_cmp_eq_u32 s12, 0
	s_cselect_b32 s11, s11, -1
	s_cmp_lg_u32 s11, 0
	s_cselect_b32 s11, s10, s12
	s_cselect_b32 s10, s13, s4
	s_cbranch_execnz .LBB150_138
.LBB150_137:                            ;   in Loop: Header=BB150_18 Depth=1
	v_cvt_f32_u32_e32 v4, s75
	s_sub_i32 s4, 0, s75
	s_mov_b32 s12, s90
	v_rcp_iflag_f32_e32 v4, v4
	v_mul_f32_e32 v4, 0x4f7ffffe, v4
	v_cvt_u32_f32_e32 v4, v4
	v_readfirstlane_b32 s10, v4
	s_mul_i32 s4, s4, s10
	s_mul_hi_u32 s4, s10, s4
	s_add_i32 s10, s10, s4
	s_mul_hi_u32 s4, s44, s10
	s_mul_i32 s4, s4, s75
	s_sub_i32 s4, s44, s4
	s_sub_i32 s10, s4, s75
	s_cmp_ge_u32 s4, s75
	s_cselect_b32 s4, s10, s4
	s_sub_i32 s10, s4, s75
	s_cmp_ge_u32 s4, s75
	s_cselect_b32 s90, s10, s4
	s_mov_b64 s[10:11], s[90:91]
	s_mov_b32 s90, s12
.LBB150_138:                            ;   in Loop: Header=BB150_18 Depth=1
	s_sub_u32 s44, s44, s10
	s_subb_u32 s45, s5, s11
	v_cmp_gt_u64_e32 vcc, s[44:45], v[0:1]
	s_mov_b64 s[10:11], 0
	s_mov_b64 s[4:5], 0
                                        ; implicit-def: $vgpr5
	s_and_saveexec_b64 s[12:13], vcc
	s_cbranch_execz .LBB150_149
; %bb.139:                              ;   in Loop: Header=BB150_18 Depth=1
	v_mov_b32_e32 v7, v1
	v_mov_b32_e32 v21, v14
	v_mov_b32_e32 v6, v0
                                        ; implicit-def: $sgpr46_sgpr47
	s_branch .LBB150_142
.LBB150_140:                            ;   in Loop: Header=BB150_142 Depth=2
	s_or_b64 exec, exec, s[48:49]
	s_waitcnt lgkmcnt(0)
	s_barrier
	ds_read_b64 v[4:5], v13 offset:3072
	s_mov_b64 s[48:49], -1
	s_mov_b64 s[50:51], -1
	s_waitcnt lgkmcnt(0)
	s_barrier
	v_cmp_ne_u32_e32 vcc, 0, v4
	s_cbranch_vccz .LBB150_145
.LBB150_141:                            ;   in Loop: Header=BB150_142 Depth=2
	s_and_b64 s[48:49], exec, s[48:49]
	s_or_b64 s[4:5], s[48:49], s[4:5]
	s_andn2_b64 s[46:47], s[46:47], exec
	s_and_b64 s[48:49], s[50:51], exec
	s_or_b64 s[46:47], s[46:47], s[48:49]
	s_andn2_b64 exec, exec, s[4:5]
	s_cbranch_execz .LBB150_148
.LBB150_142:                            ;   Parent Loop BB150_18 Depth=1
                                        ; =>  This Inner Loop Header: Depth=2
	v_cmp_gt_u64_e32 vcc, s[8:9], v[6:7]
	s_and_saveexec_b64 s[48:49], vcc
	s_cbranch_execz .LBB150_140
; %bb.143:                              ;   in Loop: Header=BB150_142 Depth=2
	ds_read_b32 v17, v21
	s_waitcnt lgkmcnt(0)
	v_xor_b32_e32 v4, 0x80000000, v17
	v_and_b32_e32 v4, v4, v9
	v_cmp_eq_u32_e32 vcc, v4, v12
	s_and_b64 exec, exec, vcc
	s_cbranch_execz .LBB150_140
; %bb.144:                              ;   in Loop: Header=BB150_142 Depth=2
	ds_write_b64 v13, v[16:17] offset:3072
	s_branch .LBB150_140
.LBB150_145:                            ;   in Loop: Header=BB150_142 Depth=2
	v_add_co_u32_e32 v6, vcc, s75, v6
	v_addc_co_u32_e32 v7, vcc, 0, v7, vcc
	v_cmp_le_u64_e32 vcc, s[44:45], v[6:7]
	v_add_u32_e32 v21, s1, v21
	s_mov_b64 s[50:51], 0
	s_orn2_b64 s[48:49], vcc, exec
	s_branch .LBB150_141
.LBB150_146:                            ;   in Loop: Header=BB150_18 Depth=1
                                        ; implicit-def: $sgpr10_sgpr11
	s_branch .LBB150_91
.LBB150_147:                            ;   in Loop: Header=BB150_18 Depth=1
                                        ; implicit-def: $sgpr8_sgpr9
	s_branch .LBB150_108
.LBB150_148:                            ;   in Loop: Header=BB150_18 Depth=1
	s_or_b64 exec, exec, s[4:5]
	s_and_b64 s[4:5], s[46:47], exec
.LBB150_149:                            ;   in Loop: Header=BB150_18 Depth=1
	s_or_b64 exec, exec, s[12:13]
.LBB150_150:                            ;   in Loop: Header=BB150_18 Depth=1
	s_and_b64 vcc, exec, s[10:11]
	s_cbranch_vccz .LBB150_164
; %bb.151:                              ;   in Loop: Header=BB150_18 Depth=1
	v_readlane_b32 s44, v49, 53
	v_readlane_b32 s45, v49, 54
	s_mov_b32 s44, s91
	s_cmp_lg_u64 s[44:45], 0
	v_writelane_b32 v49, s44, 53
	v_writelane_b32 v49, s45, 54
	s_cbranch_scc0 .LBB150_192
; %bb.152:                              ;   in Loop: Header=BB150_18 Depth=1
	v_cvt_f32_u32_e32 v4, s75
	s_sub_u32 s10, 0, s75
	s_subb_u32 s11, 0, 0
	v_mac_f32_e32 v4, 0, v33
	v_rcp_f32_e32 v4, v4
	v_mul_f32_e32 v4, 0x5f7ffffc, v4
	v_mul_f32_e32 v5, 0x2f800000, v4
	v_trunc_f32_e32 v5, v5
	v_mac_f32_e32 v4, 0xcf800000, v5
	v_cvt_u32_f32_e32 v5, v5
	v_cvt_u32_f32_e32 v4, v4
	v_readfirstlane_b32 s12, v5
	v_readfirstlane_b32 s8, v4
	s_mul_i32 s9, s10, s12
	s_mul_hi_u32 s26, s10, s8
	s_mul_i32 s13, s11, s8
	s_add_i32 s9, s26, s9
	s_mul_i32 s27, s10, s8
	s_add_i32 s9, s9, s13
	s_mul_hi_u32 s26, s8, s27
	s_mul_i32 s28, s8, s9
	s_mul_hi_u32 s13, s8, s9
	s_add_u32 s26, s26, s28
	s_addc_u32 s13, 0, s13
	s_mul_hi_u32 s29, s12, s27
	s_mul_i32 s27, s12, s27
	s_add_u32 s26, s26, s27
	s_mul_hi_u32 s28, s12, s9
	s_addc_u32 s13, s13, s29
	s_addc_u32 s26, s28, 0
	s_mul_i32 s9, s12, s9
	s_add_u32 s9, s13, s9
	s_addc_u32 s13, 0, s26
	s_add_u32 s26, s8, s9
	s_cselect_b64 s[8:9], -1, 0
	s_cmp_lg_u64 s[8:9], 0
	s_addc_u32 s12, s12, s13
	s_mul_i32 s8, s10, s12
	s_mul_hi_u32 s9, s10, s26
	s_add_i32 s8, s9, s8
	s_mul_i32 s11, s11, s26
	s_add_i32 s8, s8, s11
	s_mul_i32 s10, s10, s26
	s_mul_hi_u32 s11, s12, s10
	s_mul_i32 s13, s12, s10
	s_mul_i32 s28, s26, s8
	s_mul_hi_u32 s10, s26, s10
	s_mul_hi_u32 s27, s26, s8
	s_add_u32 s10, s10, s28
	s_addc_u32 s27, 0, s27
	s_add_u32 s10, s10, s13
	s_mul_hi_u32 s9, s12, s8
	s_addc_u32 s10, s27, s11
	s_addc_u32 s9, s9, 0
	s_mul_i32 s8, s12, s8
	s_add_u32 s8, s10, s8
	s_addc_u32 s10, 0, s9
	s_add_u32 s11, s26, s8
	s_cselect_b64 s[8:9], -1, 0
	s_cmp_lg_u64 s[8:9], 0
	s_addc_u32 s8, s12, s10
	v_readlane_b32 s26, v49, 51
	s_mul_i32 s10, s26, s8
	s_mul_hi_u32 s12, s26, s11
	s_mul_hi_u32 s9, s26, s8
	s_add_u32 s10, s12, s10
	s_addc_u32 s9, 0, s9
	s_mul_hi_u32 s13, s45, s11
	s_mul_i32 s11, s45, s11
	s_add_u32 s10, s10, s11
	s_mul_hi_u32 s12, s45, s8
	s_addc_u32 s9, s9, s13
	s_addc_u32 s10, s12, 0
	s_mul_i32 s8, s45, s8
	s_add_u32 s8, s9, s8
	s_addc_u32 s9, 0, s10
	s_mul_i32 s9, s75, s9
	s_mul_hi_u32 s10, s75, s8
	s_add_i32 s10, s10, s9
	s_mul_i32 s8, s75, s8
	s_sub_u32 s11, s26, s8
	s_cselect_b64 s[8:9], -1, 0
	s_cmp_lg_u64 s[8:9], 0
	s_subb_u32 s10, s45, s10
	s_sub_u32 s12, s11, s75
	s_cselect_b64 s[8:9], -1, 0
	s_cmp_lg_u64 s[8:9], 0
	s_subb_u32 s13, s10, 0
	;; [unrolled: 4-line block ×3, first 2 shown]
	s_cmp_ge_u32 s12, s75
	s_cselect_b32 s9, -1, 0
	s_cmp_eq_u32 s13, 0
	s_cselect_b32 s9, s9, -1
	s_cmp_lg_u32 s9, 0
	s_cselect_b32 s8, s8, s13
	s_cselect_b32 s12, s26, s12
	s_cmp_ge_u32 s11, s75
	s_cselect_b32 s9, -1, 0
	s_cmp_eq_u32 s10, 0
	s_cselect_b32 s9, s9, -1
	s_cmp_lg_u32 s9, 0
	s_cselect_b32 s9, s8, s10
	s_cselect_b32 s8, s12, s11
	s_cbranch_execnz .LBB150_154
.LBB150_153:                            ;   in Loop: Header=BB150_18 Depth=1
	v_cvt_f32_u32_e32 v4, s75
	s_sub_i32 s8, 0, s75
	v_readlane_b32 s10, v49, 51
	v_rcp_iflag_f32_e32 v4, v4
	v_mul_f32_e32 v4, 0x4f7ffffe, v4
	v_cvt_u32_f32_e32 v4, v4
	v_readfirstlane_b32 s9, v4
	s_mul_i32 s8, s8, s9
	s_mul_hi_u32 s8, s9, s8
	s_add_i32 s9, s9, s8
	s_mul_hi_u32 s8, s10, s9
	s_mul_i32 s8, s8, s75
	s_sub_i32 s8, s10, s8
	s_sub_i32 s9, s8, s75
	s_cmp_ge_u32 s8, s75
	s_cselect_b32 s8, s9, s8
	s_sub_i32 s9, s8, s75
	s_cmp_ge_u32 s8, s75
	s_mov_b32 s10, s90
	s_cselect_b32 s90, s9, s8
	s_mov_b64 s[8:9], s[90:91]
	s_mov_b32 s90, s10
.LBB150_154:                            ;   in Loop: Header=BB150_18 Depth=1
	v_readlane_b32 s10, v49, 51
	v_readlane_b32 s12, v49, 53
	s_sub_u32 s10, s10, s8
	v_readlane_b32 s13, v49, 54
	s_subb_u32 s11, s13, s9
	v_cmp_gt_u64_e32 vcc, s[10:11], v[0:1]
                                        ; implicit-def: $vgpr5
	s_and_saveexec_b64 s[8:9], vcc
	s_cbranch_execz .LBB150_163
; %bb.155:                              ;   in Loop: Header=BB150_18 Depth=1
	v_mov_b32_e32 v7, v1
	s_mov_b64 s[12:13], 0
	v_mov_b32_e32 v6, v0
                                        ; implicit-def: $sgpr26_sgpr27
	s_branch .LBB150_158
.LBB150_156:                            ;   in Loop: Header=BB150_158 Depth=2
	s_or_b64 exec, exec, s[28:29]
	s_waitcnt lgkmcnt(0)
	s_barrier
	ds_read_b64 v[4:5], v13 offset:3072
	s_mov_b64 s[28:29], -1
	s_mov_b64 s[44:45], -1
	s_waitcnt lgkmcnt(0)
	s_barrier
	v_cmp_eq_u32_e32 vcc, 0, v4
	s_cbranch_vccnz .LBB150_161
.LBB150_157:                            ;   in Loop: Header=BB150_158 Depth=2
	s_and_b64 s[28:29], exec, s[28:29]
	s_or_b64 s[12:13], s[28:29], s[12:13]
	s_andn2_b64 s[26:27], s[26:27], exec
	s_and_b64 s[28:29], s[44:45], exec
	s_or_b64 s[26:27], s[26:27], s[28:29]
	s_andn2_b64 exec, exec, s[12:13]
	s_cbranch_execz .LBB150_162
.LBB150_158:                            ;   Parent Loop BB150_18 Depth=1
                                        ; =>  This Inner Loop Header: Depth=2
	v_cmp_gt_u64_e32 vcc, s[60:61], v[6:7]
	s_and_saveexec_b64 s[28:29], vcc
	s_cbranch_execz .LBB150_156
; %bb.159:                              ;   in Loop: Header=BB150_158 Depth=2
	v_mul_lo_u32 v17, v7, s58
	v_mul_lo_u32 v21, v6, s59
	v_mad_u64_u32 v[4:5], s[44:45], v6, s58, 0
	v_add3_u32 v5, v5, v21, v17
	v_lshlrev_b64 v[4:5], 2, v[4:5]
	v_mov_b32_e32 v17, s74
	v_add_co_u32_e32 v4, vcc, s33, v4
	v_addc_co_u32_e32 v5, vcc, v17, v5, vcc
	global_load_dword v17, v[4:5], off
	s_waitcnt vmcnt(0)
	v_xor_b32_e32 v4, 0x80000000, v17
	v_and_b32_e32 v4, v4, v9
	v_cmp_eq_u32_e32 vcc, v4, v12
	s_and_b64 exec, exec, vcc
	s_cbranch_execz .LBB150_156
; %bb.160:                              ;   in Loop: Header=BB150_158 Depth=2
	ds_write_b64 v13, v[16:17] offset:3072
	s_branch .LBB150_156
.LBB150_161:                            ;   in Loop: Header=BB150_158 Depth=2
	v_add_co_u32_e32 v6, vcc, s75, v6
	v_addc_co_u32_e32 v7, vcc, 0, v7, vcc
	v_cmp_le_u64_e32 vcc, s[10:11], v[6:7]
	s_mov_b64 s[44:45], 0
	s_orn2_b64 s[28:29], vcc, exec
	s_branch .LBB150_157
.LBB150_162:                            ;   in Loop: Header=BB150_18 Depth=1
	s_or_b64 exec, exec, s[12:13]
	s_andn2_b64 s[4:5], s[4:5], exec
	s_and_b64 s[10:11], s[26:27], exec
	s_or_b64 s[4:5], s[4:5], s[10:11]
.LBB150_163:                            ;   in Loop: Header=BB150_18 Depth=1
	s_or_b64 exec, exec, s[8:9]
	s_mov_b64 s[26:27], 0
	s_mov_b64 s[28:29], -1
.LBB150_164:                            ;   in Loop: Header=BB150_18 Depth=1
	s_orn2_b64 s[4:5], s[4:5], exec
.LBB150_165:                            ;   in Loop: Header=BB150_18 Depth=1
	s_or_b64 exec, exec, s[42:43]
	s_mov_b64 s[8:9], 0
	s_and_saveexec_b64 s[42:43], s[4:5]
	s_cbranch_execz .LBB150_274
; %bb.166:                              ;   in Loop: Header=BB150_18 Depth=1
	v_mov_b32_e32 v6, 1
	s_xor_b64 s[10:11], s[30:31], -1
	v_mov_b32_e32 v8, 1
	v_mov_b32_e32 v7, 0
	s_and_saveexec_b64 s[4:5], s[10:11]
	s_cbranch_execz .LBB150_175
; %bb.167:                              ;   in Loop: Header=BB150_18 Depth=1
	v_cmp_ge_u64_e32 vcc, s[20:21], v[2:3]
	s_and_saveexec_b64 s[8:9], vcc
	s_xor_b64 s[8:9], exec, s[8:9]
	s_cbranch_execz .LBB150_172
; %bb.168:                              ;   in Loop: Header=BB150_18 Depth=1
	ds_read_b64 v[6:7], v13 offset:5120
	v_and_b32_e32 v4, s90, v12
	v_lshl_or_b32 v12, 1, s72, v4
	v_or_b32_e32 v9, s73, v9
	s_waitcnt lgkmcnt(0)
	v_cmp_ne_u64_e32 vcc, 0, v[6:7]
	s_cbranch_vccnz .LBB150_172
; %bb.169:                              ;   in Loop: Header=BB150_18 Depth=1
	s_mov_b64 s[10:11], exec
	v_readlane_b32 s12, v49, 32
	v_readlane_b32 s13, v49, 33
	s_and_b64 s[12:13], s[10:11], s[12:13]
	s_mov_b64 exec, s[12:13]
; %bb.170:                              ;   in Loop: Header=BB150_18 Depth=1
	v_mov_b32_e32 v6, s20
	v_mov_b32_e32 v7, s21
	ds_write_b64 v13, v[6:7] offset:5128
; %bb.171:                              ;   in Loop: Header=BB150_18 Depth=1
	s_or_b64 exec, exec, s[10:11]
	s_waitcnt lgkmcnt(0)
	s_barrier
.LBB150_172:                            ;   in Loop: Header=BB150_18 Depth=1
	s_or_saveexec_b64 s[8:9], s[8:9]
	s_mov_b64 s[10:11], 0
	v_mov_b32_e32 v8, 8
	s_xor_b64 exec, exec, s[8:9]
; %bb.173:                              ;   in Loop: Header=BB150_18 Depth=1
	v_mov_b32_e32 v4, s21
	v_subrev_co_u32_e32 v2, vcc, s20, v2
	s_mov_b64 s[10:11], exec
	v_subb_co_u32_e32 v3, vcc, v3, v4, vcc
	v_mov_b32_e32 v8, 0
; %bb.174:                              ;   in Loop: Header=BB150_18 Depth=1
	s_or_b64 exec, exec, s[8:9]
	v_mov_b32_e32 v7, v3
	s_and_b64 s[8:9], s[10:11], exec
	v_mov_b32_e32 v6, v2
.LBB150_175:                            ;   in Loop: Header=BB150_18 Depth=1
	s_or_b64 exec, exec, s[4:5]
	s_mov_b64 s[4:5], -1
                                        ; implicit-def: $sgpr46_sgpr47
                                        ; implicit-def: $sgpr48_sgpr49
	s_and_saveexec_b64 s[44:45], s[8:9]
	s_cbranch_execz .LBB150_273
; %bb.176:                              ;   in Loop: Header=BB150_18 Depth=1
	s_cmp_eq_u64 s[22:23], 1
	v_cmp_eq_u64_e32 vcc, 1, v[6:7]
	s_cselect_b64 s[4:5], -1, 0
	s_and_b64 s[50:51], s[4:5], vcc
	s_mov_b64 s[4:5], -1
                                        ; implicit-def: $sgpr48_sgpr49
                                        ; implicit-def: $sgpr46_sgpr47
	s_and_saveexec_b64 s[30:31], s[50:51]
	s_cbranch_execz .LBB150_210
; %bb.177:                              ;   in Loop: Header=BB150_18 Depth=1
	ds_read_b64 v[2:3], v13 offset:5120
	s_waitcnt lgkmcnt(0)
	s_barrier
	v_readfirstlane_b32 s8, v2
	v_readfirstlane_b32 s9, v3
	s_mov_b64 s[4:5], exec
	v_readlane_b32 s10, v49, 46
	v_readlane_b32 s11, v49, 47
	s_and_b64 s[10:11], s[4:5], s[10:11]
	s_mov_b64 exec, s[10:11]
; %bb.178:                              ;   in Loop: Header=BB150_18 Depth=1
	ds_write_b32 v28, v13
; %bb.179:                              ;   in Loop: Header=BB150_18 Depth=1
	s_or_b64 exec, exec, s[4:5]
	v_and_b32_e32 v2, s90, v12
	v_lshl_or_b32 v12, 2, s72, v2
	v_or_b32_e32 v9, s73, v9
	s_mov_b64 s[46:47], -1
	s_mov_b64 s[48:49], 0
	s_cmp_eq_u64 s[8:9], 0
	s_mov_b64 s[4:5], 0
	s_mov_b64 s[10:11], -1
	s_waitcnt lgkmcnt(0)
	s_barrier
                                        ; implicit-def: $vgpr5
	s_cbranch_scc1 .LBB150_195
; %bb.180:                              ;   in Loop: Header=BB150_18 Depth=1
	v_readlane_b32 s4, v49, 50
	s_add_u32 s52, s8, s4
	v_readlane_b32 s4, v49, 52
	s_addc_u32 s5, s9, s4
	s_mov_b32 s4, s91
	s_cmp_lg_u64 s[4:5], 0
	s_cbranch_scc0 .LBB150_227
; %bb.181:                              ;   in Loop: Header=BB150_18 Depth=1
	v_cvt_f32_u32_e32 v2, s75
	s_sub_u32 s4, 0, s75
	s_subb_u32 s12, 0, 0
	v_mac_f32_e32 v2, 0, v33
	v_rcp_f32_e32 v2, v2
	v_mul_f32_e32 v2, 0x5f7ffffc, v2
	v_mul_f32_e32 v3, 0x2f800000, v2
	v_trunc_f32_e32 v3, v3
	v_mac_f32_e32 v2, 0xcf800000, v3
	v_cvt_u32_f32_e32 v3, v3
	v_cvt_u32_f32_e32 v2, v2
	v_readfirstlane_b32 s13, v3
	v_readfirstlane_b32 s10, v2
	s_mul_i32 s11, s4, s13
	s_mul_hi_u32 s54, s4, s10
	s_mul_i32 s53, s12, s10
	s_add_i32 s11, s54, s11
	s_mul_i32 s55, s4, s10
	s_add_i32 s11, s11, s53
	s_mul_hi_u32 s54, s10, s55
	s_mul_i32 s80, s10, s11
	s_mul_hi_u32 s53, s10, s11
	s_add_u32 s54, s54, s80
	s_addc_u32 s53, 0, s53
	s_mul_hi_u32 s81, s13, s55
	s_mul_i32 s55, s13, s55
	s_add_u32 s54, s54, s55
	s_mul_hi_u32 s80, s13, s11
	s_addc_u32 s53, s53, s81
	s_addc_u32 s54, s80, 0
	s_mul_i32 s11, s13, s11
	s_add_u32 s11, s53, s11
	s_addc_u32 s53, 0, s54
	s_add_u32 s54, s10, s11
	s_cselect_b64 s[10:11], -1, 0
	s_cmp_lg_u64 s[10:11], 0
	s_addc_u32 s13, s13, s53
	s_mul_i32 s10, s4, s13
	s_mul_hi_u32 s11, s4, s54
	s_add_i32 s10, s11, s10
	s_mul_i32 s12, s12, s54
	s_add_i32 s10, s10, s12
	s_mul_i32 s4, s4, s54
	s_mul_hi_u32 s12, s13, s4
	s_mul_i32 s53, s13, s4
	s_mul_i32 s80, s54, s10
	s_mul_hi_u32 s4, s54, s4
	s_mul_hi_u32 s55, s54, s10
	s_add_u32 s4, s4, s80
	s_addc_u32 s55, 0, s55
	s_add_u32 s4, s4, s53
	s_mul_hi_u32 s11, s13, s10
	s_addc_u32 s4, s55, s12
	s_addc_u32 s11, s11, 0
	s_mul_i32 s10, s13, s10
	s_add_u32 s4, s4, s10
	s_addc_u32 s12, 0, s11
	s_add_u32 s4, s54, s4
	s_cselect_b64 s[10:11], -1, 0
	s_cmp_lg_u64 s[10:11], 0
	s_addc_u32 s10, s13, s12
	s_mul_i32 s12, s52, s10
	s_mul_hi_u32 s13, s52, s4
	s_mul_hi_u32 s11, s52, s10
	s_add_u32 s12, s13, s12
	s_addc_u32 s11, 0, s11
	s_mul_hi_u32 s53, s5, s4
	s_mul_i32 s4, s5, s4
	s_add_u32 s4, s12, s4
	s_mul_hi_u32 s13, s5, s10
	s_addc_u32 s4, s11, s53
	s_addc_u32 s11, s13, 0
	s_mul_i32 s10, s5, s10
	s_add_u32 s4, s4, s10
	s_addc_u32 s10, 0, s11
	s_mul_i32 s10, s75, s10
	s_mul_hi_u32 s11, s75, s4
	s_add_i32 s12, s11, s10
	s_mul_i32 s4, s75, s4
	s_sub_u32 s4, s52, s4
	s_cselect_b64 s[10:11], -1, 0
	s_cmp_lg_u64 s[10:11], 0
	s_subb_u32 s12, s5, s12
	s_sub_u32 s13, s4, s75
	s_cselect_b64 s[10:11], -1, 0
	s_cmp_lg_u64 s[10:11], 0
	s_subb_u32 s53, s12, 0
	;; [unrolled: 4-line block ×3, first 2 shown]
	s_cmp_ge_u32 s13, s75
	s_cselect_b32 s11, -1, 0
	s_cmp_eq_u32 s53, 0
	s_cselect_b32 s11, s11, -1
	s_cmp_lg_u32 s11, 0
	s_cselect_b32 s10, s10, s53
	s_cselect_b32 s13, s54, s13
	s_cmp_ge_u32 s4, s75
	s_cselect_b32 s11, -1, 0
	s_cmp_eq_u32 s12, 0
	s_cselect_b32 s11, s11, -1
	s_cmp_lg_u32 s11, 0
	s_cselect_b32 s11, s10, s12
	s_cselect_b32 s10, s13, s4
	s_cbranch_execnz .LBB150_183
.LBB150_182:                            ;   in Loop: Header=BB150_18 Depth=1
	v_cvt_f32_u32_e32 v2, s75
	s_sub_i32 s4, 0, s75
	s_mov_b32 s12, s90
	v_rcp_iflag_f32_e32 v2, v2
	v_mul_f32_e32 v2, 0x4f7ffffe, v2
	v_cvt_u32_f32_e32 v2, v2
	v_readfirstlane_b32 s10, v2
	s_mul_i32 s4, s4, s10
	s_mul_hi_u32 s4, s10, s4
	s_add_i32 s10, s10, s4
	s_mul_hi_u32 s4, s52, s10
	s_mul_i32 s4, s4, s75
	s_sub_i32 s4, s52, s4
	s_sub_i32 s10, s4, s75
	s_cmp_ge_u32 s4, s75
	s_cselect_b32 s4, s10, s4
	s_sub_i32 s10, s4, s75
	s_cmp_ge_u32 s4, s75
	s_cselect_b32 s90, s10, s4
	s_mov_b64 s[10:11], s[90:91]
	s_mov_b32 s90, s12
.LBB150_183:                            ;   in Loop: Header=BB150_18 Depth=1
	s_sub_u32 s52, s52, s10
	s_subb_u32 s53, s5, s11
	v_cmp_gt_u64_e32 vcc, s[52:53], v[0:1]
	s_mov_b64 s[10:11], 0
	s_mov_b64 s[4:5], 0
                                        ; implicit-def: $vgpr5
	s_and_saveexec_b64 s[12:13], vcc
	s_cbranch_execz .LBB150_194
; %bb.184:                              ;   in Loop: Header=BB150_18 Depth=1
	v_mov_b32_e32 v3, v1
	v_mov_b32_e32 v21, v14
	;; [unrolled: 1-line block ×3, first 2 shown]
                                        ; implicit-def: $sgpr54_sgpr55
	s_branch .LBB150_187
.LBB150_185:                            ;   in Loop: Header=BB150_187 Depth=2
	s_or_b64 exec, exec, s[80:81]
	s_waitcnt lgkmcnt(0)
	s_barrier
	ds_read_b64 v[4:5], v13 offset:3072
	s_mov_b64 s[80:81], -1
	s_mov_b64 s[88:89], -1
	s_waitcnt lgkmcnt(0)
	s_barrier
	v_cmp_ne_u32_e32 vcc, 0, v4
	s_cbranch_vccz .LBB150_190
.LBB150_186:                            ;   in Loop: Header=BB150_187 Depth=2
	s_and_b64 s[80:81], exec, s[80:81]
	s_or_b64 s[4:5], s[80:81], s[4:5]
	s_andn2_b64 s[54:55], s[54:55], exec
	s_and_b64 s[80:81], s[88:89], exec
	s_or_b64 s[54:55], s[54:55], s[80:81]
	s_andn2_b64 exec, exec, s[4:5]
	s_cbranch_execz .LBB150_193
.LBB150_187:                            ;   Parent Loop BB150_18 Depth=1
                                        ; =>  This Inner Loop Header: Depth=2
	v_cmp_gt_u64_e32 vcc, s[8:9], v[2:3]
	s_and_saveexec_b64 s[80:81], vcc
	s_cbranch_execz .LBB150_185
; %bb.188:                              ;   in Loop: Header=BB150_187 Depth=2
	ds_read_b32 v17, v21
	s_waitcnt lgkmcnt(0)
	v_xor_b32_e32 v4, 0x80000000, v17
	v_and_b32_e32 v4, v4, v9
	v_cmp_eq_u32_e32 vcc, v4, v12
	s_and_b64 exec, exec, vcc
	s_cbranch_execz .LBB150_185
; %bb.189:                              ;   in Loop: Header=BB150_187 Depth=2
	ds_write_b64 v13, v[16:17] offset:3072
	s_branch .LBB150_185
.LBB150_190:                            ;   in Loop: Header=BB150_187 Depth=2
	v_add_co_u32_e32 v2, vcc, s75, v2
	v_addc_co_u32_e32 v3, vcc, 0, v3, vcc
	v_cmp_le_u64_e32 vcc, s[52:53], v[2:3]
	v_add_u32_e32 v21, s1, v21
	s_mov_b64 s[88:89], 0
	s_orn2_b64 s[80:81], vcc, exec
	s_branch .LBB150_186
.LBB150_191:                            ;   in Loop: Header=BB150_18 Depth=1
                                        ; implicit-def: $sgpr10_sgpr11
	s_branch .LBB150_137
.LBB150_192:                            ;   in Loop: Header=BB150_18 Depth=1
                                        ; implicit-def: $sgpr8_sgpr9
	s_branch .LBB150_153
.LBB150_193:                            ;   in Loop: Header=BB150_18 Depth=1
	s_or_b64 exec, exec, s[4:5]
	s_and_b64 s[4:5], s[54:55], exec
.LBB150_194:                            ;   in Loop: Header=BB150_18 Depth=1
	s_or_b64 exec, exec, s[12:13]
.LBB150_195:                            ;   in Loop: Header=BB150_18 Depth=1
	s_and_b64 vcc, exec, s[10:11]
	s_cbranch_vccz .LBB150_209
; %bb.196:                              ;   in Loop: Header=BB150_18 Depth=1
	v_readlane_b32 s52, v49, 53
	v_readlane_b32 s53, v49, 54
	s_mov_b32 s52, s91
	s_cmp_lg_u64 s[52:53], 0
	v_writelane_b32 v49, s52, 53
	v_writelane_b32 v49, s53, 54
	s_cbranch_scc0 .LBB150_228
; %bb.197:                              ;   in Loop: Header=BB150_18 Depth=1
	v_cvt_f32_u32_e32 v2, s75
	s_sub_u32 s10, 0, s75
	s_subb_u32 s11, 0, 0
	v_mac_f32_e32 v2, 0, v33
	v_rcp_f32_e32 v2, v2
	v_mul_f32_e32 v2, 0x5f7ffffc, v2
	v_mul_f32_e32 v3, 0x2f800000, v2
	v_trunc_f32_e32 v3, v3
	v_mac_f32_e32 v2, 0xcf800000, v3
	v_cvt_u32_f32_e32 v3, v3
	v_cvt_u32_f32_e32 v2, v2
	v_readfirstlane_b32 s12, v3
	v_readfirstlane_b32 s8, v2
	s_mul_i32 s9, s10, s12
	s_mul_hi_u32 s46, s10, s8
	s_mul_i32 s13, s11, s8
	s_add_i32 s9, s46, s9
	s_mul_i32 s47, s10, s8
	s_add_i32 s9, s9, s13
	s_mul_hi_u32 s46, s8, s47
	s_mul_i32 s48, s8, s9
	s_mul_hi_u32 s13, s8, s9
	s_add_u32 s46, s46, s48
	s_addc_u32 s13, 0, s13
	s_mul_hi_u32 s49, s12, s47
	s_mul_i32 s47, s12, s47
	s_add_u32 s46, s46, s47
	s_mul_hi_u32 s48, s12, s9
	s_addc_u32 s13, s13, s49
	s_addc_u32 s46, s48, 0
	s_mul_i32 s9, s12, s9
	s_add_u32 s9, s13, s9
	s_addc_u32 s13, 0, s46
	s_add_u32 s46, s8, s9
	s_cselect_b64 s[8:9], -1, 0
	s_cmp_lg_u64 s[8:9], 0
	s_addc_u32 s12, s12, s13
	s_mul_i32 s8, s10, s12
	s_mul_hi_u32 s9, s10, s46
	s_add_i32 s8, s9, s8
	s_mul_i32 s11, s11, s46
	s_add_i32 s8, s8, s11
	s_mul_i32 s10, s10, s46
	s_mul_hi_u32 s11, s12, s10
	s_mul_i32 s13, s12, s10
	s_mul_i32 s48, s46, s8
	s_mul_hi_u32 s10, s46, s10
	s_mul_hi_u32 s47, s46, s8
	s_add_u32 s10, s10, s48
	s_addc_u32 s47, 0, s47
	s_add_u32 s10, s10, s13
	s_mul_hi_u32 s9, s12, s8
	s_addc_u32 s10, s47, s11
	s_addc_u32 s9, s9, 0
	s_mul_i32 s8, s12, s8
	s_add_u32 s8, s10, s8
	s_addc_u32 s10, 0, s9
	s_add_u32 s11, s46, s8
	s_cselect_b64 s[8:9], -1, 0
	s_cmp_lg_u64 s[8:9], 0
	s_addc_u32 s8, s12, s10
	v_readlane_b32 s46, v49, 51
	s_mul_i32 s10, s46, s8
	s_mul_hi_u32 s12, s46, s11
	s_mul_hi_u32 s9, s46, s8
	s_add_u32 s10, s12, s10
	s_addc_u32 s9, 0, s9
	s_mul_hi_u32 s13, s53, s11
	s_mul_i32 s11, s53, s11
	s_add_u32 s10, s10, s11
	s_mul_hi_u32 s12, s53, s8
	s_addc_u32 s9, s9, s13
	s_addc_u32 s10, s12, 0
	s_mul_i32 s8, s53, s8
	s_add_u32 s8, s9, s8
	s_addc_u32 s9, 0, s10
	s_mul_i32 s9, s75, s9
	s_mul_hi_u32 s10, s75, s8
	s_add_i32 s10, s10, s9
	s_mul_i32 s8, s75, s8
	s_sub_u32 s11, s46, s8
	s_cselect_b64 s[8:9], -1, 0
	s_cmp_lg_u64 s[8:9], 0
	s_subb_u32 s10, s53, s10
	s_sub_u32 s12, s11, s75
	s_cselect_b64 s[8:9], -1, 0
	s_cmp_lg_u64 s[8:9], 0
	s_subb_u32 s13, s10, 0
	;; [unrolled: 4-line block ×3, first 2 shown]
	s_cmp_ge_u32 s12, s75
	s_cselect_b32 s9, -1, 0
	s_cmp_eq_u32 s13, 0
	s_cselect_b32 s9, s9, -1
	s_cmp_lg_u32 s9, 0
	s_cselect_b32 s8, s8, s13
	s_cselect_b32 s12, s46, s12
	s_cmp_ge_u32 s11, s75
	s_cselect_b32 s9, -1, 0
	s_cmp_eq_u32 s10, 0
	s_cselect_b32 s9, s9, -1
	s_cmp_lg_u32 s9, 0
	s_cselect_b32 s9, s8, s10
	s_cselect_b32 s8, s12, s11
	s_cbranch_execnz .LBB150_199
.LBB150_198:                            ;   in Loop: Header=BB150_18 Depth=1
	v_cvt_f32_u32_e32 v2, s75
	s_sub_i32 s8, 0, s75
	v_readlane_b32 s10, v49, 51
	v_rcp_iflag_f32_e32 v2, v2
	v_mul_f32_e32 v2, 0x4f7ffffe, v2
	v_cvt_u32_f32_e32 v2, v2
	v_readfirstlane_b32 s9, v2
	s_mul_i32 s8, s8, s9
	s_mul_hi_u32 s8, s9, s8
	s_add_i32 s9, s9, s8
	s_mul_hi_u32 s8, s10, s9
	s_mul_i32 s8, s8, s75
	s_sub_i32 s8, s10, s8
	s_sub_i32 s9, s8, s75
	s_cmp_ge_u32 s8, s75
	s_cselect_b32 s8, s9, s8
	s_sub_i32 s9, s8, s75
	s_cmp_ge_u32 s8, s75
	s_mov_b32 s10, s90
	s_cselect_b32 s90, s9, s8
	s_mov_b64 s[8:9], s[90:91]
	s_mov_b32 s90, s10
.LBB150_199:                            ;   in Loop: Header=BB150_18 Depth=1
	v_readlane_b32 s10, v49, 51
	v_readlane_b32 s12, v49, 53
	s_sub_u32 s10, s10, s8
	v_readlane_b32 s13, v49, 54
	s_subb_u32 s11, s13, s9
	v_cmp_gt_u64_e32 vcc, s[10:11], v[0:1]
                                        ; implicit-def: $vgpr5
	s_and_saveexec_b64 s[8:9], vcc
	s_cbranch_execz .LBB150_208
; %bb.200:                              ;   in Loop: Header=BB150_18 Depth=1
	v_mov_b32_e32 v3, v1
	s_mov_b64 s[12:13], 0
	v_mov_b32_e32 v2, v0
                                        ; implicit-def: $sgpr46_sgpr47
	s_branch .LBB150_203
.LBB150_201:                            ;   in Loop: Header=BB150_203 Depth=2
	s_or_b64 exec, exec, s[48:49]
	s_waitcnt lgkmcnt(0)
	s_barrier
	ds_read_b64 v[4:5], v13 offset:3072
	s_mov_b64 s[48:49], -1
	s_mov_b64 s[52:53], -1
	s_waitcnt lgkmcnt(0)
	s_barrier
	v_cmp_eq_u32_e32 vcc, 0, v4
	s_cbranch_vccnz .LBB150_206
.LBB150_202:                            ;   in Loop: Header=BB150_203 Depth=2
	s_and_b64 s[48:49], exec, s[48:49]
	s_or_b64 s[12:13], s[48:49], s[12:13]
	s_andn2_b64 s[46:47], s[46:47], exec
	s_and_b64 s[48:49], s[52:53], exec
	s_or_b64 s[46:47], s[46:47], s[48:49]
	s_andn2_b64 exec, exec, s[12:13]
	s_cbranch_execz .LBB150_207
.LBB150_203:                            ;   Parent Loop BB150_18 Depth=1
                                        ; =>  This Inner Loop Header: Depth=2
	v_cmp_gt_u64_e32 vcc, s[60:61], v[2:3]
	s_and_saveexec_b64 s[48:49], vcc
	s_cbranch_execz .LBB150_201
; %bb.204:                              ;   in Loop: Header=BB150_203 Depth=2
	v_mul_lo_u32 v17, v3, s58
	v_mul_lo_u32 v21, v2, s59
	v_mad_u64_u32 v[4:5], s[52:53], v2, s58, 0
	v_add3_u32 v5, v5, v21, v17
	v_lshlrev_b64 v[4:5], 2, v[4:5]
	v_mov_b32_e32 v17, s74
	v_add_co_u32_e32 v4, vcc, s33, v4
	v_addc_co_u32_e32 v5, vcc, v17, v5, vcc
	global_load_dword v17, v[4:5], off
	s_waitcnt vmcnt(0)
	v_xor_b32_e32 v4, 0x80000000, v17
	v_and_b32_e32 v4, v4, v9
	v_cmp_eq_u32_e32 vcc, v4, v12
	s_and_b64 exec, exec, vcc
	s_cbranch_execz .LBB150_201
; %bb.205:                              ;   in Loop: Header=BB150_203 Depth=2
	ds_write_b64 v13, v[16:17] offset:3072
	s_branch .LBB150_201
.LBB150_206:                            ;   in Loop: Header=BB150_203 Depth=2
	v_add_co_u32_e32 v2, vcc, s75, v2
	v_addc_co_u32_e32 v3, vcc, 0, v3, vcc
	v_cmp_le_u64_e32 vcc, s[10:11], v[2:3]
	s_mov_b64 s[52:53], 0
	s_orn2_b64 s[48:49], vcc, exec
	s_branch .LBB150_202
.LBB150_207:                            ;   in Loop: Header=BB150_18 Depth=1
	s_or_b64 exec, exec, s[12:13]
	s_andn2_b64 s[4:5], s[4:5], exec
	s_and_b64 s[10:11], s[46:47], exec
	s_or_b64 s[4:5], s[4:5], s[10:11]
.LBB150_208:                            ;   in Loop: Header=BB150_18 Depth=1
	s_or_b64 exec, exec, s[8:9]
	s_mov_b64 s[46:47], 0
	s_mov_b64 s[48:49], -1
.LBB150_209:                            ;   in Loop: Header=BB150_18 Depth=1
	s_orn2_b64 s[4:5], s[4:5], exec
.LBB150_210:                            ;   in Loop: Header=BB150_18 Depth=1
	s_or_b64 exec, exec, s[30:31]
	s_mov_b64 s[8:9], 0
	s_and_saveexec_b64 s[30:31], s[4:5]
	s_cbranch_execz .LBB150_272
; %bb.211:                              ;   in Loop: Header=BB150_18 Depth=1
	v_mov_b32_e32 v2, 1
	s_xor_b64 s[10:11], s[50:51], -1
	v_mov_b32_e32 v8, 1
	v_mov_b32_e32 v3, 0
	s_and_saveexec_b64 s[4:5], s[10:11]
	s_cbranch_execz .LBB150_220
; %bb.212:                              ;   in Loop: Header=BB150_18 Depth=1
	v_cmp_ge_u64_e32 vcc, s[22:23], v[6:7]
	s_and_saveexec_b64 s[8:9], vcc
	s_xor_b64 s[8:9], exec, s[8:9]
	s_cbranch_execz .LBB150_217
; %bb.213:                              ;   in Loop: Header=BB150_18 Depth=1
	ds_read_b64 v[2:3], v13 offset:5120
	v_and_b32_e32 v4, s90, v12
	v_lshl_or_b32 v12, 2, s72, v4
	v_or_b32_e32 v9, s73, v9
	s_waitcnt lgkmcnt(0)
	v_cmp_ne_u64_e32 vcc, 0, v[2:3]
	s_cbranch_vccnz .LBB150_217
; %bb.214:                              ;   in Loop: Header=BB150_18 Depth=1
	s_mov_b64 s[10:11], exec
	v_readlane_b32 s12, v49, 32
	v_readlane_b32 s13, v49, 33
	s_and_b64 s[12:13], s[10:11], s[12:13]
	s_mov_b64 exec, s[12:13]
; %bb.215:                              ;   in Loop: Header=BB150_18 Depth=1
	v_mov_b32_e32 v2, s22
	v_mov_b32_e32 v3, s23
	ds_write_b64 v13, v[2:3] offset:5128
; %bb.216:                              ;   in Loop: Header=BB150_18 Depth=1
	s_or_b64 exec, exec, s[10:11]
	s_waitcnt lgkmcnt(0)
	s_barrier
.LBB150_217:                            ;   in Loop: Header=BB150_18 Depth=1
	s_or_saveexec_b64 s[8:9], s[8:9]
	s_mov_b64 s[10:11], 0
	v_mov_b32_e32 v8, 8
	s_xor_b64 exec, exec, s[8:9]
; %bb.218:                              ;   in Loop: Header=BB150_18 Depth=1
	v_mov_b32_e32 v2, s23
	v_subrev_co_u32_e32 v6, vcc, s22, v6
	s_mov_b64 s[10:11], exec
	v_subb_co_u32_e32 v7, vcc, v7, v2, vcc
	v_mov_b32_e32 v8, 0
; %bb.219:                              ;   in Loop: Header=BB150_18 Depth=1
	s_or_b64 exec, exec, s[8:9]
	v_mov_b32_e32 v2, v6
	s_and_b64 s[8:9], s[10:11], exec
	v_mov_b32_e32 v3, v7
.LBB150_220:                            ;   in Loop: Header=BB150_18 Depth=1
	s_or_b64 exec, exec, s[4:5]
	s_mov_b64 s[4:5], -1
                                        ; implicit-def: $sgpr54_sgpr55
                                        ; implicit-def: $sgpr52_sgpr53
	s_and_saveexec_b64 s[50:51], s[8:9]
	s_cbranch_execz .LBB150_271
; %bb.221:                              ;   in Loop: Header=BB150_18 Depth=1
	s_cmp_eq_u64 s[24:25], 1
	v_cmp_eq_u64_e32 vcc, 1, v[2:3]
	s_cselect_b64 s[4:5], -1, 0
	s_mov_b64 s[8:9], -1
	s_and_b64 s[4:5], s[4:5], vcc
                                        ; implicit-def: $sgpr54_sgpr55
                                        ; implicit-def: $sgpr52_sgpr53
	s_mov_b64 s[10:11], exec
	v_writelane_b32 v48, s4, 2
	v_writelane_b32 v48, s5, 3
	;; [unrolled: 1-line block ×3, first 2 shown]
	s_and_b64 s[4:5], s[10:11], s[4:5]
	v_writelane_b32 v48, s11, 5
	s_mov_b64 exec, s[4:5]
	s_cbranch_execz .LBB150_259
; %bb.222:                              ;   in Loop: Header=BB150_18 Depth=1
	ds_read_b64 v[4:5], v13 offset:5120
	s_waitcnt lgkmcnt(0)
	s_barrier
	v_readfirstlane_b32 s8, v4
	v_readfirstlane_b32 s9, v5
	s_mov_b64 s[4:5], exec
	v_readlane_b32 s10, v49, 46
	v_readlane_b32 s11, v49, 47
	s_and_b64 s[10:11], s[4:5], s[10:11]
	s_mov_b64 exec, s[10:11]
; %bb.223:                              ;   in Loop: Header=BB150_18 Depth=1
	ds_write_b32 v28, v13
; %bb.224:                              ;   in Loop: Header=BB150_18 Depth=1
	s_or_b64 exec, exec, s[4:5]
	v_or_b32_e32 v12, s73, v12
	v_or_b32_e32 v9, s73, v9
	s_mov_b64 s[52:53], -1
	s_mov_b64 s[54:55], 0
	s_cmp_eq_u64 s[8:9], 0
	s_mov_b64 s[4:5], 0
	s_mov_b64 s[10:11], -1
	s_waitcnt lgkmcnt(0)
	s_barrier
                                        ; implicit-def: $vgpr5
	s_cbranch_scc1 .LBB150_242
; %bb.225:                              ;   in Loop: Header=BB150_18 Depth=1
	v_readlane_b32 s4, v49, 50
	s_add_u32 s80, s8, s4
	v_readlane_b32 s4, v49, 52
	s_addc_u32 s5, s9, s4
	s_mov_b32 s4, s91
	s_mov_b32 s93, s90
	s_cmp_lg_u64 s[4:5], 0
	s_cbranch_scc0 .LBB150_229
; %bb.226:                              ;   in Loop: Header=BB150_18 Depth=1
	v_cvt_f32_u32_e32 v4, s75
	s_sub_u32 s4, 0, s75
	s_subb_u32 s12, 0, 0
	v_mac_f32_e32 v4, 0, v33
	v_rcp_f32_e32 v4, v4
	v_mul_f32_e32 v4, 0x5f7ffffc, v4
	v_mul_f32_e32 v5, 0x2f800000, v4
	v_trunc_f32_e32 v5, v5
	v_mac_f32_e32 v4, 0xcf800000, v5
	v_cvt_u32_f32_e32 v5, v5
	v_cvt_u32_f32_e32 v4, v4
	v_readfirstlane_b32 s13, v5
	v_readfirstlane_b32 s10, v4
	s_mul_i32 s11, s4, s13
	s_mul_hi_u32 s88, s4, s10
	s_mul_i32 s81, s12, s10
	s_add_i32 s11, s88, s11
	s_mul_i32 s89, s4, s10
	s_add_i32 s11, s11, s81
	s_mul_hi_u32 s88, s10, s89
	s_mul_i32 s90, s10, s11
	s_mul_hi_u32 s81, s10, s11
	s_add_u32 s88, s88, s90
	s_addc_u32 s81, 0, s81
	s_mul_hi_u32 s92, s13, s89
	s_mul_i32 s89, s13, s89
	s_add_u32 s88, s88, s89
	s_mul_hi_u32 s90, s13, s11
	s_addc_u32 s81, s81, s92
	s_addc_u32 s88, s90, 0
	s_mul_i32 s11, s13, s11
	s_add_u32 s11, s81, s11
	s_addc_u32 s81, 0, s88
	s_add_u32 s88, s10, s11
	s_cselect_b64 s[10:11], -1, 0
	s_cmp_lg_u64 s[10:11], 0
	s_addc_u32 s13, s13, s81
	s_mul_i32 s10, s4, s13
	s_mul_hi_u32 s11, s4, s88
	s_add_i32 s10, s11, s10
	s_mul_i32 s12, s12, s88
	s_add_i32 s10, s10, s12
	s_mul_i32 s4, s4, s88
	s_mul_hi_u32 s12, s13, s4
	s_mul_i32 s81, s13, s4
	s_mul_i32 s90, s88, s10
	s_mul_hi_u32 s4, s88, s4
	s_mul_hi_u32 s89, s88, s10
	s_add_u32 s4, s4, s90
	s_addc_u32 s89, 0, s89
	s_add_u32 s4, s4, s81
	s_mul_hi_u32 s11, s13, s10
	s_addc_u32 s4, s89, s12
	s_addc_u32 s11, s11, 0
	s_mul_i32 s10, s13, s10
	s_add_u32 s4, s4, s10
	s_addc_u32 s12, 0, s11
	s_add_u32 s4, s88, s4
	s_cselect_b64 s[10:11], -1, 0
	s_cmp_lg_u64 s[10:11], 0
	s_addc_u32 s10, s13, s12
	s_mul_i32 s12, s80, s10
	s_mul_hi_u32 s13, s80, s4
	s_mul_hi_u32 s11, s80, s10
	s_add_u32 s12, s13, s12
	s_addc_u32 s11, 0, s11
	s_mul_hi_u32 s81, s5, s4
	s_mul_i32 s4, s5, s4
	s_add_u32 s4, s12, s4
	s_mul_hi_u32 s13, s5, s10
	s_addc_u32 s4, s11, s81
	s_addc_u32 s11, s13, 0
	s_mul_i32 s10, s5, s10
	s_add_u32 s4, s4, s10
	s_addc_u32 s10, 0, s11
	s_mul_i32 s10, s75, s10
	s_mul_hi_u32 s11, s75, s4
	s_add_i32 s12, s11, s10
	s_mul_i32 s4, s75, s4
	s_sub_u32 s4, s80, s4
	s_cselect_b64 s[10:11], -1, 0
	s_cmp_lg_u64 s[10:11], 0
	s_subb_u32 s12, s5, s12
	s_sub_u32 s13, s4, s75
	s_cselect_b64 s[10:11], -1, 0
	s_cmp_lg_u64 s[10:11], 0
	s_subb_u32 s81, s12, 0
	;; [unrolled: 4-line block ×3, first 2 shown]
	s_cmp_ge_u32 s13, s75
	s_cselect_b32 s11, -1, 0
	s_cmp_eq_u32 s81, 0
	s_cselect_b32 s11, s11, -1
	s_cmp_lg_u32 s11, 0
	s_cselect_b32 s10, s10, s81
	s_cselect_b32 s13, s88, s13
	s_cmp_ge_u32 s4, s75
	s_cselect_b32 s11, -1, 0
	s_cmp_eq_u32 s12, 0
	s_cselect_b32 s11, s11, -1
	s_cmp_lg_u32 s11, 0
	s_cselect_b32 s11, s10, s12
	s_cselect_b32 s10, s13, s4
	s_mov_b64 s[12:13], 0
	s_branch .LBB150_230
.LBB150_227:                            ;   in Loop: Header=BB150_18 Depth=1
                                        ; implicit-def: $sgpr10_sgpr11
	s_branch .LBB150_182
.LBB150_228:                            ;   in Loop: Header=BB150_18 Depth=1
                                        ; implicit-def: $sgpr8_sgpr9
	s_branch .LBB150_198
.LBB150_229:                            ;   in Loop: Header=BB150_18 Depth=1
	s_mov_b64 s[12:13], -1
                                        ; implicit-def: $sgpr10_sgpr11
.LBB150_230:                            ;   in Loop: Header=BB150_18 Depth=1
	s_andn2_b64 vcc, exec, s[12:13]
	s_cbranch_vccnz .LBB150_232
; %bb.231:                              ;   in Loop: Header=BB150_18 Depth=1
	v_cvt_f32_u32_e32 v4, s75
	s_sub_i32 s4, 0, s75
	v_rcp_iflag_f32_e32 v4, v4
	v_mul_f32_e32 v4, 0x4f7ffffe, v4
	v_cvt_u32_f32_e32 v4, v4
	v_readfirstlane_b32 s10, v4
	s_mul_i32 s4, s4, s10
	s_mul_hi_u32 s4, s10, s4
	s_add_i32 s10, s10, s4
	s_mul_hi_u32 s4, s80, s10
	s_mul_i32 s4, s4, s75
	s_sub_i32 s4, s80, s4
	s_sub_i32 s10, s4, s75
	s_cmp_ge_u32 s4, s75
	s_cselect_b32 s4, s10, s4
	s_sub_i32 s10, s4, s75
	s_cmp_ge_u32 s4, s75
	s_cselect_b32 s90, s10, s4
	s_mov_b64 s[10:11], s[90:91]
.LBB150_232:                            ;   in Loop: Header=BB150_18 Depth=1
	s_sub_u32 s80, s80, s10
	s_subb_u32 s81, s5, s11
	v_cmp_gt_u64_e32 vcc, s[80:81], v[0:1]
	s_mov_b64 s[10:11], 0
	s_mov_b64 s[4:5], 0
                                        ; implicit-def: $vgpr5
	s_and_saveexec_b64 s[12:13], vcc
	s_mov_b32 s90, s93
	s_cbranch_execz .LBB150_241
; %bb.233:                              ;   in Loop: Header=BB150_18 Depth=1
	v_mov_b32_e32 v7, v1
	v_mov_b32_e32 v21, v14
	;; [unrolled: 1-line block ×3, first 2 shown]
                                        ; implicit-def: $sgpr88_sgpr89
	s_branch .LBB150_236
.LBB150_234:                            ;   in Loop: Header=BB150_236 Depth=2
	s_or_b64 exec, exec, s[92:93]
	s_waitcnt lgkmcnt(0)
	s_barrier
	ds_read_b64 v[4:5], v13 offset:3072
	s_mov_b64 s[92:93], -1
	s_mov_b64 s[94:95], -1
	s_waitcnt lgkmcnt(0)
	s_barrier
	v_cmp_ne_u32_e32 vcc, 0, v4
	s_cbranch_vccz .LBB150_239
.LBB150_235:                            ;   in Loop: Header=BB150_236 Depth=2
	s_and_b64 s[92:93], exec, s[92:93]
	s_or_b64 s[4:5], s[92:93], s[4:5]
	s_andn2_b64 s[88:89], s[88:89], exec
	s_and_b64 s[92:93], s[94:95], exec
	s_or_b64 s[88:89], s[88:89], s[92:93]
	s_andn2_b64 exec, exec, s[4:5]
	s_cbranch_execz .LBB150_240
.LBB150_236:                            ;   Parent Loop BB150_18 Depth=1
                                        ; =>  This Inner Loop Header: Depth=2
	v_cmp_gt_u64_e32 vcc, s[8:9], v[6:7]
	s_and_saveexec_b64 s[92:93], vcc
	s_cbranch_execz .LBB150_234
; %bb.237:                              ;   in Loop: Header=BB150_236 Depth=2
	ds_read_b32 v17, v21
	s_waitcnt lgkmcnt(0)
	v_xor_b32_e32 v4, 0x80000000, v17
	v_and_b32_e32 v4, v4, v9
	v_cmp_eq_u32_e32 vcc, v4, v12
	s_and_b64 exec, exec, vcc
	s_cbranch_execz .LBB150_234
; %bb.238:                              ;   in Loop: Header=BB150_236 Depth=2
	ds_write_b64 v13, v[16:17] offset:3072
	s_branch .LBB150_234
.LBB150_239:                            ;   in Loop: Header=BB150_236 Depth=2
	v_add_co_u32_e32 v6, vcc, s75, v6
	v_addc_co_u32_e32 v7, vcc, 0, v7, vcc
	v_cmp_le_u64_e32 vcc, s[80:81], v[6:7]
	v_add_u32_e32 v21, s1, v21
	s_mov_b64 s[94:95], 0
	s_orn2_b64 s[92:93], vcc, exec
	s_branch .LBB150_235
.LBB150_240:                            ;   in Loop: Header=BB150_18 Depth=1
	s_or_b64 exec, exec, s[4:5]
	v_readlane_b32 s94, v49, 62
	s_and_b64 s[4:5], s[88:89], exec
	v_readlane_b32 s95, v49, 63
.LBB150_241:                            ;   in Loop: Header=BB150_18 Depth=1
	s_or_b64 exec, exec, s[12:13]
	v_readlane_b32 s92, v48, 0
	v_readlane_b32 s93, v48, 1
.LBB150_242:                            ;   in Loop: Header=BB150_18 Depth=1
	s_and_b64 vcc, exec, s[10:11]
	s_cbranch_vccz .LBB150_258
; %bb.243:                              ;   in Loop: Header=BB150_18 Depth=1
	v_readlane_b32 s80, v49, 53
	v_readlane_b32 s81, v49, 54
	s_mov_b32 s80, s91
	s_cmp_lg_u64 s[80:81], 0
	v_writelane_b32 v49, s80, 53
	v_writelane_b32 v49, s81, 54
	s_cbranch_scc0 .LBB150_245
; %bb.244:                              ;   in Loop: Header=BB150_18 Depth=1
	v_cvt_f32_u32_e32 v4, s75
	s_sub_u32 s10, 0, s75
	s_subb_u32 s11, 0, 0
	v_mac_f32_e32 v4, 0, v33
	v_rcp_f32_e32 v4, v4
	v_mul_f32_e32 v4, 0x5f7ffffc, v4
	v_mul_f32_e32 v5, 0x2f800000, v4
	v_trunc_f32_e32 v5, v5
	v_mac_f32_e32 v4, 0xcf800000, v5
	v_cvt_u32_f32_e32 v5, v5
	v_cvt_u32_f32_e32 v4, v4
	v_readfirstlane_b32 s12, v5
	v_readfirstlane_b32 s8, v4
	s_mul_i32 s9, s10, s12
	s_mul_hi_u32 s52, s10, s8
	s_mul_i32 s13, s11, s8
	s_add_i32 s9, s52, s9
	s_mul_i32 s53, s10, s8
	s_add_i32 s9, s9, s13
	s_mul_hi_u32 s52, s8, s53
	s_mul_i32 s54, s8, s9
	s_mul_hi_u32 s13, s8, s9
	s_add_u32 s52, s52, s54
	s_addc_u32 s13, 0, s13
	s_mul_hi_u32 s55, s12, s53
	s_mul_i32 s53, s12, s53
	s_add_u32 s52, s52, s53
	s_mul_hi_u32 s54, s12, s9
	s_addc_u32 s13, s13, s55
	s_addc_u32 s52, s54, 0
	s_mul_i32 s9, s12, s9
	s_add_u32 s9, s13, s9
	s_addc_u32 s13, 0, s52
	s_add_u32 s52, s8, s9
	s_cselect_b64 s[8:9], -1, 0
	s_cmp_lg_u64 s[8:9], 0
	s_addc_u32 s12, s12, s13
	s_mul_i32 s8, s10, s12
	s_mul_hi_u32 s9, s10, s52
	s_add_i32 s8, s9, s8
	s_mul_i32 s11, s11, s52
	s_add_i32 s8, s8, s11
	s_mul_i32 s10, s10, s52
	s_mul_hi_u32 s11, s12, s10
	s_mul_i32 s13, s12, s10
	s_mul_i32 s54, s52, s8
	s_mul_hi_u32 s10, s52, s10
	s_mul_hi_u32 s53, s52, s8
	s_add_u32 s10, s10, s54
	s_addc_u32 s53, 0, s53
	s_add_u32 s10, s10, s13
	s_mul_hi_u32 s9, s12, s8
	s_addc_u32 s10, s53, s11
	s_addc_u32 s9, s9, 0
	s_mul_i32 s8, s12, s8
	s_add_u32 s8, s10, s8
	s_addc_u32 s10, 0, s9
	s_add_u32 s11, s52, s8
	s_cselect_b64 s[8:9], -1, 0
	s_cmp_lg_u64 s[8:9], 0
	s_addc_u32 s8, s12, s10
	v_readlane_b32 s52, v49, 51
	s_mul_i32 s10, s52, s8
	s_mul_hi_u32 s12, s52, s11
	s_mul_hi_u32 s9, s52, s8
	s_add_u32 s10, s12, s10
	s_addc_u32 s9, 0, s9
	s_mul_hi_u32 s13, s81, s11
	s_mul_i32 s11, s81, s11
	s_add_u32 s10, s10, s11
	s_mul_hi_u32 s12, s81, s8
	s_addc_u32 s9, s9, s13
	s_addc_u32 s10, s12, 0
	s_mul_i32 s8, s81, s8
	s_add_u32 s8, s9, s8
	s_addc_u32 s9, 0, s10
	s_mul_i32 s9, s75, s9
	s_mul_hi_u32 s10, s75, s8
	s_add_i32 s10, s10, s9
	s_mul_i32 s8, s75, s8
	s_sub_u32 s11, s52, s8
	s_cselect_b64 s[8:9], -1, 0
	s_cmp_lg_u64 s[8:9], 0
	s_subb_u32 s10, s81, s10
	s_sub_u32 s12, s11, s75
	s_cselect_b64 s[8:9], -1, 0
	s_cmp_lg_u64 s[8:9], 0
	s_subb_u32 s13, s10, 0
	;; [unrolled: 4-line block ×3, first 2 shown]
	s_cmp_ge_u32 s12, s75
	s_cselect_b32 s9, -1, 0
	s_cmp_eq_u32 s13, 0
	s_cselect_b32 s9, s9, -1
	s_cmp_lg_u32 s9, 0
	s_cselect_b32 s8, s8, s13
	s_cselect_b32 s12, s52, s12
	s_cmp_ge_u32 s11, s75
	s_cselect_b32 s9, -1, 0
	s_cmp_eq_u32 s10, 0
	s_cselect_b32 s9, s9, -1
	s_cmp_lg_u32 s9, 0
	s_cselect_b32 s9, s8, s10
	s_cselect_b32 s8, s12, s11
	s_mov_b64 s[10:11], 0
	s_branch .LBB150_246
.LBB150_245:                            ;   in Loop: Header=BB150_18 Depth=1
	s_mov_b64 s[10:11], -1
                                        ; implicit-def: $sgpr8_sgpr9
.LBB150_246:                            ;   in Loop: Header=BB150_18 Depth=1
	s_andn2_b64 vcc, exec, s[10:11]
	s_cbranch_vccnz .LBB150_248
; %bb.247:                              ;   in Loop: Header=BB150_18 Depth=1
	v_cvt_f32_u32_e32 v4, s75
	s_sub_i32 s8, 0, s75
	v_readlane_b32 s10, v49, 51
	v_rcp_iflag_f32_e32 v4, v4
	v_mul_f32_e32 v4, 0x4f7ffffe, v4
	v_cvt_u32_f32_e32 v4, v4
	v_readfirstlane_b32 s9, v4
	s_mul_i32 s8, s8, s9
	s_mul_hi_u32 s8, s9, s8
	s_add_i32 s9, s9, s8
	s_mul_hi_u32 s8, s10, s9
	s_mul_i32 s8, s8, s75
	s_sub_i32 s8, s10, s8
	s_sub_i32 s9, s8, s75
	s_cmp_ge_u32 s8, s75
	s_cselect_b32 s8, s9, s8
	s_sub_i32 s9, s8, s75
	s_cmp_ge_u32 s8, s75
	s_mov_b32 s10, s90
	s_cselect_b32 s90, s9, s8
	s_mov_b64 s[8:9], s[90:91]
	s_mov_b32 s90, s10
.LBB150_248:                            ;   in Loop: Header=BB150_18 Depth=1
	v_readlane_b32 s10, v49, 51
	v_readlane_b32 s12, v49, 53
	s_sub_u32 s10, s10, s8
	v_readlane_b32 s13, v49, 54
	s_subb_u32 s11, s13, s9
	v_cmp_gt_u64_e32 vcc, s[10:11], v[0:1]
                                        ; implicit-def: $vgpr5
	s_and_saveexec_b64 s[8:9], vcc
	s_cbranch_execz .LBB150_257
; %bb.249:                              ;   in Loop: Header=BB150_18 Depth=1
	v_mov_b32_e32 v7, v1
	s_mov_b64 s[12:13], 0
	v_mov_b32_e32 v6, v0
                                        ; implicit-def: $sgpr52_sgpr53
	s_branch .LBB150_252
.LBB150_250:                            ;   in Loop: Header=BB150_252 Depth=2
	s_or_b64 exec, exec, s[54:55]
	s_waitcnt lgkmcnt(0)
	s_barrier
	ds_read_b64 v[4:5], v13 offset:3072
	s_mov_b64 s[54:55], -1
	s_mov_b64 s[80:81], -1
	s_waitcnt lgkmcnt(0)
	s_barrier
	v_cmp_eq_u32_e32 vcc, 0, v4
	s_cbranch_vccnz .LBB150_255
.LBB150_251:                            ;   in Loop: Header=BB150_252 Depth=2
	s_and_b64 s[54:55], exec, s[54:55]
	s_or_b64 s[12:13], s[54:55], s[12:13]
	s_andn2_b64 s[52:53], s[52:53], exec
	s_and_b64 s[54:55], s[80:81], exec
	s_or_b64 s[52:53], s[52:53], s[54:55]
	s_andn2_b64 exec, exec, s[12:13]
	s_cbranch_execz .LBB150_256
.LBB150_252:                            ;   Parent Loop BB150_18 Depth=1
                                        ; =>  This Inner Loop Header: Depth=2
	v_cmp_gt_u64_e32 vcc, s[60:61], v[6:7]
	s_and_saveexec_b64 s[54:55], vcc
	s_cbranch_execz .LBB150_250
; %bb.253:                              ;   in Loop: Header=BB150_252 Depth=2
	v_mul_lo_u32 v17, v7, s58
	v_mul_lo_u32 v21, v6, s59
	v_mad_u64_u32 v[4:5], s[80:81], v6, s58, 0
	v_add3_u32 v5, v5, v21, v17
	v_lshlrev_b64 v[4:5], 2, v[4:5]
	v_mov_b32_e32 v17, s74
	v_add_co_u32_e32 v4, vcc, s33, v4
	v_addc_co_u32_e32 v5, vcc, v17, v5, vcc
	global_load_dword v17, v[4:5], off
	s_waitcnt vmcnt(0)
	v_xor_b32_e32 v4, 0x80000000, v17
	v_and_b32_e32 v4, v4, v9
	v_cmp_eq_u32_e32 vcc, v4, v12
	s_and_b64 exec, exec, vcc
	s_cbranch_execz .LBB150_250
; %bb.254:                              ;   in Loop: Header=BB150_252 Depth=2
	ds_write_b64 v13, v[16:17] offset:3072
	s_branch .LBB150_250
.LBB150_255:                            ;   in Loop: Header=BB150_252 Depth=2
	v_add_co_u32_e32 v6, vcc, s75, v6
	v_addc_co_u32_e32 v7, vcc, 0, v7, vcc
	v_cmp_le_u64_e32 vcc, s[10:11], v[6:7]
	s_mov_b64 s[80:81], 0
	s_orn2_b64 s[54:55], vcc, exec
	s_branch .LBB150_251
.LBB150_256:                            ;   in Loop: Header=BB150_18 Depth=1
	s_or_b64 exec, exec, s[12:13]
	s_andn2_b64 s[4:5], s[4:5], exec
	s_and_b64 s[10:11], s[52:53], exec
	s_or_b64 s[4:5], s[4:5], s[10:11]
.LBB150_257:                            ;   in Loop: Header=BB150_18 Depth=1
	s_or_b64 exec, exec, s[8:9]
	s_mov_b64 s[52:53], 0
	s_mov_b64 s[54:55], -1
.LBB150_258:                            ;   in Loop: Header=BB150_18 Depth=1
	s_orn2_b64 s[8:9], s[4:5], exec
.LBB150_259:                            ;   in Loop: Header=BB150_18 Depth=1
	v_readlane_b32 s4, v48, 4
	v_readlane_b32 s5, v48, 5
	s_or_b64 exec, exec, s[4:5]
	s_mov_b64 s[10:11], 0
	s_and_saveexec_b64 s[4:5], s[8:9]
	s_cbranch_execz .LBB150_270
; %bb.260:                              ;   in Loop: Header=BB150_18 Depth=1
	v_readlane_b32 s8, v48, 2
	v_readlane_b32 s9, v48, 3
	v_mov_b32_e32 v6, 1
	s_xor_b64 s[10:11], s[8:9], -1
	v_mov_b32_e32 v7, 0
	v_mov_b32_e32 v8, 1
	s_and_saveexec_b64 s[8:9], s[10:11]
	s_cbranch_execz .LBB150_269
; %bb.261:                              ;   in Loop: Header=BB150_18 Depth=1
	v_cmp_ge_u64_e32 vcc, s[24:25], v[2:3]
	s_and_saveexec_b64 s[10:11], vcc
	s_xor_b64 s[10:11], exec, s[10:11]
	s_cbranch_execz .LBB150_266
; %bb.262:                              ;   in Loop: Header=BB150_18 Depth=1
	ds_read_b64 v[6:7], v13 offset:5120
	v_or_b32_e32 v12, s73, v12
	v_or_b32_e32 v9, s73, v9
	s_waitcnt lgkmcnt(0)
	v_cmp_ne_u64_e32 vcc, 0, v[6:7]
	s_cbranch_vccnz .LBB150_266
; %bb.263:                              ;   in Loop: Header=BB150_18 Depth=1
	s_mov_b64 s[12:13], exec
	v_readlane_b32 s80, v49, 32
	v_readlane_b32 s81, v49, 33
	s_and_b64 s[80:81], s[12:13], s[80:81]
	s_mov_b64 exec, s[80:81]
; %bb.264:                              ;   in Loop: Header=BB150_18 Depth=1
	v_mov_b32_e32 v6, s24
	v_mov_b32_e32 v7, s25
	ds_write_b64 v13, v[6:7] offset:5128
; %bb.265:                              ;   in Loop: Header=BB150_18 Depth=1
	s_or_b64 exec, exec, s[12:13]
	s_waitcnt lgkmcnt(0)
	s_barrier
.LBB150_266:                            ;   in Loop: Header=BB150_18 Depth=1
	s_andn2_saveexec_b64 s[10:11], s[10:11]
; %bb.267:                              ;   in Loop: Header=BB150_18 Depth=1
	v_mov_b32_e32 v4, s25
	v_subrev_co_u32_e32 v2, vcc, s24, v2
	v_subb_co_u32_e32 v3, vcc, v3, v4, vcc
; %bb.268:                              ;   in Loop: Header=BB150_18 Depth=1
	s_or_b64 exec, exec, s[10:11]
	v_mov_b32_e32 v7, v3
	v_mov_b32_e32 v8, 8
	;; [unrolled: 1-line block ×3, first 2 shown]
.LBB150_269:                            ;   in Loop: Header=BB150_18 Depth=1
	s_or_b64 exec, exec, s[8:9]
	v_mov_b32_e32 v2, v6
	s_mov_b64 s[10:11], exec
	v_mov_b32_e32 v3, v7
.LBB150_270:                            ;   in Loop: Header=BB150_18 Depth=1
	s_or_b64 exec, exec, s[4:5]
	s_orn2_b64 s[4:5], s[10:11], exec
.LBB150_271:                            ;   in Loop: Header=BB150_18 Depth=1
	s_or_b64 exec, exec, s[50:51]
	s_andn2_b64 s[8:9], s[48:49], exec
	s_and_b64 s[10:11], s[54:55], exec
	s_or_b64 s[48:49], s[8:9], s[10:11]
	s_andn2_b64 s[8:9], s[46:47], exec
	s_and_b64 s[10:11], s[52:53], exec
	v_mov_b32_e32 v7, v3
	s_or_b64 s[46:47], s[8:9], s[10:11]
	s_and_b64 s[8:9], s[4:5], exec
	v_mov_b32_e32 v6, v2
.LBB150_272:                            ;   in Loop: Header=BB150_18 Depth=1
	s_or_b64 exec, exec, s[30:31]
	s_orn2_b64 s[4:5], s[8:9], exec
.LBB150_273:                            ;   in Loop: Header=BB150_18 Depth=1
	s_or_b64 exec, exec, s[44:45]
	s_andn2_b64 s[8:9], s[28:29], exec
	s_and_b64 s[10:11], s[48:49], exec
	s_or_b64 s[28:29], s[8:9], s[10:11]
	s_andn2_b64 s[8:9], s[26:27], exec
	s_and_b64 s[10:11], s[46:47], exec
	v_mov_b32_e32 v2, v6
	s_or_b64 s[26:27], s[8:9], s[10:11]
	s_and_b64 s[8:9], s[4:5], exec
	v_mov_b32_e32 v3, v7
.LBB150_274:                            ;   in Loop: Header=BB150_18 Depth=1
	s_or_b64 exec, exec, s[42:43]
	s_orn2_b64 s[4:5], s[8:9], exec
.LBB150_275:                            ;   in Loop: Header=BB150_18 Depth=1
	s_or_b64 exec, exec, s[6:7]
	s_mov_b64 s[6:7], 0
	s_mov_b64 s[8:9], 0
	s_and_saveexec_b64 s[10:11], s[4:5]
	s_xor_b64 s[4:5], exec, s[10:11]
; %bb.276:                              ;   in Loop: Header=BB150_18 Depth=1
	v_cmp_eq_u32_e32 vcc, 8, v8
	v_cmp_ne_u32_e64 s[6:7], 8, v8
	s_and_b64 s[8:9], s[6:7], exec
	s_and_b64 s[6:7], vcc, exec
; %bb.277:                              ;   in Loop: Header=BB150_18 Depth=1
	s_or_b64 exec, exec, s[4:5]
	s_andn2_b64 s[4:5], s[36:37], exec
	s_and_b64 s[10:11], s[28:29], exec
	s_or_b64 s[36:37], s[4:5], s[10:11]
	s_andn2_b64 s[4:5], s[34:35], exec
	s_and_b64 s[10:11], s[26:27], exec
	s_or_b64 s[34:35], s[4:5], s[10:11]
	s_and_b64 s[26:27], s[8:9], exec
	s_and_b64 s[28:29], s[6:7], exec
.LBB150_278:                            ;   in Loop: Header=BB150_18 Depth=1
	s_or_b64 exec, exec, s[40:41]
.LBB150_279:                            ;   in Loop: Header=BB150_18 Depth=1
	s_and_b64 vcc, exec, s[38:39]
	s_cbranch_vccz .LBB150_295
; %bb.280:                              ;   in Loop: Header=BB150_18 Depth=1
	s_cmp_eq_u64 s[24:25], 1
	s_cselect_b64 s[4:5], -1, 0
	s_and_b64 s[6:7], s[4:5], s[14:15]
	s_mov_b64 s[4:5], -1
                                        ; implicit-def: $sgpr14_sgpr15
                                        ; implicit-def: $sgpr18_sgpr19
	s_and_saveexec_b64 s[30:31], s[6:7]
	s_cbranch_execz .LBB150_313
; %bb.281:                              ;   in Loop: Header=BB150_18 Depth=1
	ds_read_b64 v[2:3], v13 offset:5120
	s_waitcnt lgkmcnt(0)
	s_barrier
	v_readfirstlane_b32 s8, v2
	v_readfirstlane_b32 s9, v3
	s_mov_b64 s[4:5], exec
	v_readlane_b32 s10, v49, 46
	v_readlane_b32 s11, v49, 47
	s_and_b64 s[10:11], s[4:5], s[10:11]
	s_mov_b64 exec, s[10:11]
; %bb.282:                              ;   in Loop: Header=BB150_18 Depth=1
	ds_write_b32 v28, v13
; %bb.283:                              ;   in Loop: Header=BB150_18 Depth=1
	s_or_b64 exec, exec, s[4:5]
	v_or_b32_e32 v30, s73, v30
	v_or_b32_e32 v35, s73, v35
	s_mov_b64 s[18:19], -1
	s_mov_b64 s[14:15], 0
	s_cmp_eq_u64 s[8:9], 0
	s_mov_b64 s[4:5], 0
	s_mov_b64 s[10:11], -1
	s_waitcnt lgkmcnt(0)
	s_barrier
                                        ; implicit-def: $vgpr18
	s_cbranch_scc1 .LBB150_298
; %bb.284:                              ;   in Loop: Header=BB150_18 Depth=1
	v_readlane_b32 s4, v49, 50
	s_add_u32 s34, s8, s4
	v_readlane_b32 s4, v49, 52
	s_addc_u32 s5, s9, s4
	s_mov_b32 s4, s91
	s_cmp_lg_u64 s[4:5], 0
	s_cbranch_scc0 .LBB150_339
; %bb.285:                              ;   in Loop: Header=BB150_18 Depth=1
	v_cvt_f32_u32_e32 v2, s75
	s_sub_u32 s4, 0, s75
	s_subb_u32 s12, 0, 0
	v_mac_f32_e32 v2, 0, v33
	v_rcp_f32_e32 v2, v2
	v_mul_f32_e32 v2, 0x5f7ffffc, v2
	v_mul_f32_e32 v3, 0x2f800000, v2
	v_trunc_f32_e32 v3, v3
	v_mac_f32_e32 v2, 0xcf800000, v3
	v_cvt_u32_f32_e32 v3, v3
	v_cvt_u32_f32_e32 v2, v2
	v_readfirstlane_b32 s13, v3
	v_readfirstlane_b32 s10, v2
	s_mul_i32 s11, s4, s13
	s_mul_hi_u32 s36, s4, s10
	s_mul_i32 s35, s12, s10
	s_add_i32 s11, s36, s11
	s_mul_i32 s37, s4, s10
	s_add_i32 s11, s11, s35
	s_mul_hi_u32 s36, s10, s37
	s_mul_i32 s38, s10, s11
	s_mul_hi_u32 s35, s10, s11
	s_add_u32 s36, s36, s38
	s_addc_u32 s35, 0, s35
	s_mul_hi_u32 s39, s13, s37
	s_mul_i32 s37, s13, s37
	s_add_u32 s36, s36, s37
	s_mul_hi_u32 s38, s13, s11
	s_addc_u32 s35, s35, s39
	s_addc_u32 s36, s38, 0
	s_mul_i32 s11, s13, s11
	s_add_u32 s11, s35, s11
	s_addc_u32 s35, 0, s36
	s_add_u32 s36, s10, s11
	s_cselect_b64 s[10:11], -1, 0
	s_cmp_lg_u64 s[10:11], 0
	s_addc_u32 s13, s13, s35
	s_mul_i32 s10, s4, s13
	s_mul_hi_u32 s11, s4, s36
	s_add_i32 s10, s11, s10
	s_mul_i32 s12, s12, s36
	s_add_i32 s10, s10, s12
	s_mul_i32 s4, s4, s36
	s_mul_hi_u32 s12, s13, s4
	s_mul_i32 s35, s13, s4
	s_mul_i32 s38, s36, s10
	s_mul_hi_u32 s4, s36, s4
	s_mul_hi_u32 s37, s36, s10
	s_add_u32 s4, s4, s38
	s_addc_u32 s37, 0, s37
	s_add_u32 s4, s4, s35
	s_mul_hi_u32 s11, s13, s10
	s_addc_u32 s4, s37, s12
	s_addc_u32 s11, s11, 0
	s_mul_i32 s10, s13, s10
	s_add_u32 s4, s4, s10
	s_addc_u32 s12, 0, s11
	s_add_u32 s4, s36, s4
	s_cselect_b64 s[10:11], -1, 0
	s_cmp_lg_u64 s[10:11], 0
	s_addc_u32 s10, s13, s12
	s_mul_i32 s12, s34, s10
	s_mul_hi_u32 s13, s34, s4
	s_mul_hi_u32 s11, s34, s10
	s_add_u32 s12, s13, s12
	s_addc_u32 s11, 0, s11
	s_mul_hi_u32 s35, s5, s4
	s_mul_i32 s4, s5, s4
	s_add_u32 s4, s12, s4
	s_mul_hi_u32 s13, s5, s10
	s_addc_u32 s4, s11, s35
	s_addc_u32 s11, s13, 0
	s_mul_i32 s10, s5, s10
	s_add_u32 s4, s4, s10
	s_addc_u32 s10, 0, s11
	s_mul_i32 s10, s75, s10
	s_mul_hi_u32 s11, s75, s4
	s_add_i32 s12, s11, s10
	s_mul_i32 s4, s75, s4
	s_sub_u32 s4, s34, s4
	s_cselect_b64 s[10:11], -1, 0
	s_cmp_lg_u64 s[10:11], 0
	s_subb_u32 s12, s5, s12
	s_sub_u32 s13, s4, s75
	s_cselect_b64 s[10:11], -1, 0
	s_cmp_lg_u64 s[10:11], 0
	s_subb_u32 s35, s12, 0
	;; [unrolled: 4-line block ×3, first 2 shown]
	s_cmp_ge_u32 s13, s75
	s_cselect_b32 s11, -1, 0
	s_cmp_eq_u32 s35, 0
	s_cselect_b32 s11, s11, -1
	s_cmp_lg_u32 s11, 0
	s_cselect_b32 s10, s10, s35
	s_cselect_b32 s13, s36, s13
	s_cmp_ge_u32 s4, s75
	s_cselect_b32 s11, -1, 0
	s_cmp_eq_u32 s12, 0
	s_cselect_b32 s11, s11, -1
	s_cmp_lg_u32 s11, 0
	s_cselect_b32 s11, s10, s12
	s_cselect_b32 s10, s13, s4
	s_cbranch_execnz .LBB150_287
.LBB150_286:                            ;   in Loop: Header=BB150_18 Depth=1
	v_cvt_f32_u32_e32 v2, s75
	s_sub_i32 s4, 0, s75
	s_mov_b32 s12, s90
	v_rcp_iflag_f32_e32 v2, v2
	v_mul_f32_e32 v2, 0x4f7ffffe, v2
	v_cvt_u32_f32_e32 v2, v2
	v_readfirstlane_b32 s10, v2
	s_mul_i32 s4, s4, s10
	s_mul_hi_u32 s4, s10, s4
	s_add_i32 s10, s10, s4
	s_mul_hi_u32 s4, s34, s10
	s_mul_i32 s4, s4, s75
	s_sub_i32 s4, s34, s4
	s_sub_i32 s10, s4, s75
	s_cmp_ge_u32 s4, s75
	s_cselect_b32 s4, s10, s4
	s_sub_i32 s10, s4, s75
	s_cmp_ge_u32 s4, s75
	s_cselect_b32 s90, s10, s4
	s_mov_b64 s[10:11], s[90:91]
	s_mov_b32 s90, s12
.LBB150_287:                            ;   in Loop: Header=BB150_18 Depth=1
	s_sub_u32 s34, s34, s10
	s_subb_u32 s35, s5, s11
	v_cmp_gt_u64_e32 vcc, s[34:35], v[0:1]
	s_mov_b64 s[10:11], 0
	s_mov_b64 s[4:5], 0
                                        ; implicit-def: $vgpr18
	s_and_saveexec_b64 s[12:13], vcc
	s_cbranch_execz .LBB150_297
; %bb.288:                              ;   in Loop: Header=BB150_18 Depth=1
	v_mov_b32_e32 v3, v1
	v_mov_b32_e32 v4, v14
	v_mov_b32_e32 v2, v0
                                        ; implicit-def: $sgpr36_sgpr37
	s_branch .LBB150_291
.LBB150_289:                            ;   in Loop: Header=BB150_291 Depth=2
	s_or_b64 exec, exec, s[38:39]
	s_waitcnt lgkmcnt(0)
	s_barrier
	ds_read_b64 v[17:18], v13 offset:3072
	s_mov_b64 s[38:39], -1
	s_mov_b64 s[40:41], -1
	s_waitcnt lgkmcnt(0)
	s_barrier
	v_cmp_ne_u32_e32 vcc, 0, v17
	s_cbranch_vccz .LBB150_294
.LBB150_290:                            ;   in Loop: Header=BB150_291 Depth=2
	s_and_b64 s[38:39], exec, s[38:39]
	s_or_b64 s[4:5], s[38:39], s[4:5]
	s_andn2_b64 s[36:37], s[36:37], exec
	s_and_b64 s[38:39], s[40:41], exec
	s_or_b64 s[36:37], s[36:37], s[38:39]
	s_andn2_b64 exec, exec, s[4:5]
	s_cbranch_execz .LBB150_296
.LBB150_291:                            ;   Parent Loop BB150_18 Depth=1
                                        ; =>  This Inner Loop Header: Depth=2
	v_cmp_gt_u64_e32 vcc, s[8:9], v[2:3]
	s_and_saveexec_b64 s[38:39], vcc
	s_cbranch_execz .LBB150_289
; %bb.292:                              ;   in Loop: Header=BB150_291 Depth=2
	ds_read_b32 v17, v4
	s_waitcnt lgkmcnt(0)
	v_xor_b32_e32 v5, 0x80000000, v17
	v_and_b32_e32 v5, v5, v35
	v_cmp_eq_u32_e32 vcc, v5, v30
	s_and_b64 exec, exec, vcc
	s_cbranch_execz .LBB150_289
; %bb.293:                              ;   in Loop: Header=BB150_291 Depth=2
	ds_write_b64 v13, v[16:17] offset:3072
	s_branch .LBB150_289
.LBB150_294:                            ;   in Loop: Header=BB150_291 Depth=2
	v_add_co_u32_e32 v2, vcc, s75, v2
	v_addc_co_u32_e32 v3, vcc, 0, v3, vcc
	v_cmp_le_u64_e32 vcc, s[34:35], v[2:3]
	v_add_u32_e32 v4, s1, v4
	s_mov_b64 s[40:41], 0
	s_orn2_b64 s[38:39], vcc, exec
	s_branch .LBB150_290
.LBB150_295:                            ;   in Loop: Header=BB150_18 Depth=1
	s_mov_b64 s[14:15], 0
	v_mov_b32_e32 v30, v12
	v_mov_b32_e32 v35, v9
	;; [unrolled: 1-line block ×3, first 2 shown]
	s_and_saveexec_b64 s[4:5], s[28:29]
	s_cbranch_execnz .LBB150_472
	s_branch .LBB150_473
.LBB150_296:                            ;   in Loop: Header=BB150_18 Depth=1
	s_or_b64 exec, exec, s[4:5]
	s_and_b64 s[4:5], s[36:37], exec
.LBB150_297:                            ;   in Loop: Header=BB150_18 Depth=1
	s_or_b64 exec, exec, s[12:13]
.LBB150_298:                            ;   in Loop: Header=BB150_18 Depth=1
	s_and_b64 vcc, exec, s[10:11]
	s_cbranch_vccz .LBB150_312
; %bb.299:                              ;   in Loop: Header=BB150_18 Depth=1
	v_readlane_b32 s34, v49, 53
	v_readlane_b32 s35, v49, 54
	s_mov_b32 s34, s91
	s_cmp_lg_u64 s[34:35], 0
	v_writelane_b32 v49, s34, 53
	v_writelane_b32 v49, s35, 54
	s_cbranch_scc0 .LBB150_340
; %bb.300:                              ;   in Loop: Header=BB150_18 Depth=1
	v_cvt_f32_u32_e32 v2, s75
	s_sub_u32 s10, 0, s75
	s_subb_u32 s11, 0, 0
	v_mac_f32_e32 v2, 0, v33
	v_rcp_f32_e32 v2, v2
	v_mul_f32_e32 v2, 0x5f7ffffc, v2
	v_mul_f32_e32 v3, 0x2f800000, v2
	v_trunc_f32_e32 v3, v3
	v_mac_f32_e32 v2, 0xcf800000, v3
	v_cvt_u32_f32_e32 v3, v3
	v_cvt_u32_f32_e32 v2, v2
	v_readfirstlane_b32 s12, v3
	v_readfirstlane_b32 s8, v2
	s_mul_i32 s9, s10, s12
	s_mul_hi_u32 s14, s10, s8
	s_mul_i32 s13, s11, s8
	s_add_i32 s9, s14, s9
	s_mul_i32 s15, s10, s8
	s_add_i32 s9, s9, s13
	s_mul_hi_u32 s14, s8, s15
	s_mul_i32 s18, s8, s9
	s_mul_hi_u32 s13, s8, s9
	s_add_u32 s14, s14, s18
	s_addc_u32 s13, 0, s13
	s_mul_hi_u32 s19, s12, s15
	s_mul_i32 s15, s12, s15
	s_add_u32 s14, s14, s15
	s_mul_hi_u32 s18, s12, s9
	s_addc_u32 s13, s13, s19
	s_addc_u32 s14, s18, 0
	s_mul_i32 s9, s12, s9
	s_add_u32 s9, s13, s9
	s_addc_u32 s13, 0, s14
	s_add_u32 s14, s8, s9
	s_cselect_b64 s[8:9], -1, 0
	s_cmp_lg_u64 s[8:9], 0
	s_addc_u32 s12, s12, s13
	s_mul_i32 s8, s10, s12
	s_mul_hi_u32 s9, s10, s14
	s_add_i32 s8, s9, s8
	s_mul_i32 s11, s11, s14
	s_add_i32 s8, s8, s11
	s_mul_i32 s10, s10, s14
	s_mul_hi_u32 s11, s12, s10
	s_mul_i32 s13, s12, s10
	s_mul_i32 s18, s14, s8
	s_mul_hi_u32 s10, s14, s10
	s_mul_hi_u32 s15, s14, s8
	s_add_u32 s10, s10, s18
	s_addc_u32 s15, 0, s15
	s_add_u32 s10, s10, s13
	s_mul_hi_u32 s9, s12, s8
	s_addc_u32 s10, s15, s11
	s_addc_u32 s9, s9, 0
	s_mul_i32 s8, s12, s8
	s_add_u32 s8, s10, s8
	s_addc_u32 s10, 0, s9
	s_add_u32 s11, s14, s8
	s_cselect_b64 s[8:9], -1, 0
	s_cmp_lg_u64 s[8:9], 0
	s_addc_u32 s8, s12, s10
	v_readlane_b32 s14, v49, 51
	s_mul_i32 s10, s14, s8
	s_mul_hi_u32 s12, s14, s11
	s_mul_hi_u32 s9, s14, s8
	s_add_u32 s10, s12, s10
	s_addc_u32 s9, 0, s9
	s_mul_hi_u32 s13, s35, s11
	s_mul_i32 s11, s35, s11
	s_add_u32 s10, s10, s11
	s_mul_hi_u32 s12, s35, s8
	s_addc_u32 s9, s9, s13
	s_addc_u32 s10, s12, 0
	s_mul_i32 s8, s35, s8
	s_add_u32 s8, s9, s8
	s_addc_u32 s9, 0, s10
	s_mul_i32 s9, s75, s9
	s_mul_hi_u32 s10, s75, s8
	s_add_i32 s10, s10, s9
	s_mul_i32 s8, s75, s8
	s_sub_u32 s11, s14, s8
	s_cselect_b64 s[8:9], -1, 0
	s_cmp_lg_u64 s[8:9], 0
	s_subb_u32 s10, s35, s10
	s_sub_u32 s12, s11, s75
	s_cselect_b64 s[8:9], -1, 0
	s_cmp_lg_u64 s[8:9], 0
	s_subb_u32 s13, s10, 0
	s_sub_u32 s14, s12, s75
	s_cselect_b64 s[8:9], -1, 0
	s_cmp_lg_u64 s[8:9], 0
	s_subb_u32 s8, s13, 0
	s_cmp_ge_u32 s12, s75
	s_cselect_b32 s9, -1, 0
	s_cmp_eq_u32 s13, 0
	s_cselect_b32 s9, s9, -1
	s_cmp_lg_u32 s9, 0
	s_cselect_b32 s8, s8, s13
	s_cselect_b32 s12, s14, s12
	s_cmp_ge_u32 s11, s75
	s_cselect_b32 s9, -1, 0
	s_cmp_eq_u32 s10, 0
	s_cselect_b32 s9, s9, -1
	s_cmp_lg_u32 s9, 0
	s_cselect_b32 s9, s8, s10
	s_cselect_b32 s8, s12, s11
	s_cbranch_execnz .LBB150_302
.LBB150_301:                            ;   in Loop: Header=BB150_18 Depth=1
	v_cvt_f32_u32_e32 v2, s75
	s_sub_i32 s8, 0, s75
	v_readlane_b32 s10, v49, 51
	v_rcp_iflag_f32_e32 v2, v2
	v_mul_f32_e32 v2, 0x4f7ffffe, v2
	v_cvt_u32_f32_e32 v2, v2
	v_readfirstlane_b32 s9, v2
	s_mul_i32 s8, s8, s9
	s_mul_hi_u32 s8, s9, s8
	s_add_i32 s9, s9, s8
	s_mul_hi_u32 s8, s10, s9
	s_mul_i32 s8, s8, s75
	s_sub_i32 s8, s10, s8
	s_sub_i32 s9, s8, s75
	s_cmp_ge_u32 s8, s75
	s_cselect_b32 s8, s9, s8
	s_sub_i32 s9, s8, s75
	s_cmp_ge_u32 s8, s75
	s_mov_b32 s10, s90
	s_cselect_b32 s90, s9, s8
	s_mov_b64 s[8:9], s[90:91]
	s_mov_b32 s90, s10
.LBB150_302:                            ;   in Loop: Header=BB150_18 Depth=1
	v_readlane_b32 s10, v49, 51
	v_readlane_b32 s12, v49, 53
	s_sub_u32 s10, s10, s8
	v_readlane_b32 s13, v49, 54
	s_subb_u32 s11, s13, s9
	v_cmp_gt_u64_e32 vcc, s[10:11], v[0:1]
                                        ; implicit-def: $vgpr18
	s_and_saveexec_b64 s[8:9], vcc
	s_cbranch_execz .LBB150_311
; %bb.303:                              ;   in Loop: Header=BB150_18 Depth=1
	v_mov_b32_e32 v3, v1
	s_mov_b64 s[12:13], 0
	v_mov_b32_e32 v2, v0
                                        ; implicit-def: $sgpr14_sgpr15
	s_branch .LBB150_306
.LBB150_304:                            ;   in Loop: Header=BB150_306 Depth=2
	s_or_b64 exec, exec, s[18:19]
	s_waitcnt lgkmcnt(0)
	s_barrier
	ds_read_b64 v[17:18], v13 offset:3072
	s_mov_b64 s[18:19], -1
	s_mov_b64 s[34:35], -1
	s_waitcnt lgkmcnt(0)
	s_barrier
	v_cmp_ne_u32_e32 vcc, 0, v17
	s_cbranch_vccz .LBB150_309
.LBB150_305:                            ;   in Loop: Header=BB150_306 Depth=2
	s_and_b64 s[18:19], exec, s[18:19]
	s_or_b64 s[12:13], s[18:19], s[12:13]
	s_andn2_b64 s[14:15], s[14:15], exec
	s_and_b64 s[18:19], s[34:35], exec
	s_or_b64 s[14:15], s[14:15], s[18:19]
	s_andn2_b64 exec, exec, s[12:13]
	s_cbranch_execz .LBB150_310
.LBB150_306:                            ;   Parent Loop BB150_18 Depth=1
                                        ; =>  This Inner Loop Header: Depth=2
	v_cmp_gt_u64_e32 vcc, s[60:61], v[2:3]
	s_and_saveexec_b64 s[18:19], vcc
	s_cbranch_execz .LBB150_304
; %bb.307:                              ;   in Loop: Header=BB150_306 Depth=2
	v_mul_lo_u32 v6, v3, s58
	v_mul_lo_u32 v7, v2, s59
	v_mad_u64_u32 v[4:5], s[34:35], v2, s58, 0
	v_add3_u32 v5, v5, v7, v6
	v_lshlrev_b64 v[4:5], 2, v[4:5]
	v_mov_b32_e32 v6, s74
	v_add_co_u32_e32 v4, vcc, s33, v4
	v_addc_co_u32_e32 v5, vcc, v6, v5, vcc
	global_load_dword v17, v[4:5], off
	s_waitcnt vmcnt(0)
	v_xor_b32_e32 v4, 0x80000000, v17
	v_and_b32_e32 v4, v4, v35
	v_cmp_eq_u32_e32 vcc, v4, v30
	s_and_b64 exec, exec, vcc
	s_cbranch_execz .LBB150_304
; %bb.308:                              ;   in Loop: Header=BB150_306 Depth=2
	ds_write_b64 v13, v[16:17] offset:3072
	s_branch .LBB150_304
.LBB150_309:                            ;   in Loop: Header=BB150_306 Depth=2
	v_add_co_u32_e32 v2, vcc, s75, v2
	v_addc_co_u32_e32 v3, vcc, 0, v3, vcc
	v_cmp_le_u64_e32 vcc, s[10:11], v[2:3]
	s_mov_b64 s[34:35], 0
	s_orn2_b64 s[18:19], vcc, exec
	s_branch .LBB150_305
.LBB150_310:                            ;   in Loop: Header=BB150_18 Depth=1
	s_or_b64 exec, exec, s[12:13]
	s_andn2_b64 s[4:5], s[4:5], exec
	s_and_b64 s[10:11], s[14:15], exec
	s_or_b64 s[4:5], s[4:5], s[10:11]
.LBB150_311:                            ;   in Loop: Header=BB150_18 Depth=1
	s_or_b64 exec, exec, s[8:9]
	s_mov_b64 s[18:19], 0
	s_mov_b64 s[14:15], -1
.LBB150_312:                            ;   in Loop: Header=BB150_18 Depth=1
	s_orn2_b64 s[4:5], s[4:5], exec
.LBB150_313:                            ;   in Loop: Header=BB150_18 Depth=1
	s_or_b64 exec, exec, s[30:31]
                                        ; implicit-def: $vgpr2_vgpr3
                                        ; implicit-def: $vgpr8
	s_and_saveexec_b64 s[34:35], s[4:5]
	s_cbranch_execz .LBB150_471
; %bb.314:                              ;   in Loop: Header=BB150_18 Depth=1
	v_mov_b32_e32 v2, 1
	s_xor_b64 s[8:9], s[6:7], -1
	v_mov_b32_e32 v8, 1
	v_mov_b32_e32 v3, 0
	s_mov_b64 s[6:7], 0
	s_and_saveexec_b64 s[4:5], s[8:9]
	s_cbranch_execz .LBB150_323
; %bb.315:                              ;   in Loop: Header=BB150_18 Depth=1
	v_cmp_ge_u64_e32 vcc, s[24:25], v[19:20]
	s_and_saveexec_b64 s[6:7], vcc
	s_xor_b64 s[6:7], exec, s[6:7]
	s_cbranch_execz .LBB150_320
; %bb.316:                              ;   in Loop: Header=BB150_18 Depth=1
	ds_read_b64 v[2:3], v13 offset:5120
	v_or_b32_e32 v30, s73, v30
	v_or_b32_e32 v35, s73, v35
	s_waitcnt lgkmcnt(0)
	v_cmp_ne_u64_e32 vcc, 0, v[2:3]
	s_cbranch_vccnz .LBB150_320
; %bb.317:                              ;   in Loop: Header=BB150_18 Depth=1
	s_mov_b64 s[8:9], exec
	v_readlane_b32 s10, v49, 32
	v_readlane_b32 s11, v49, 33
	s_and_b64 s[10:11], s[8:9], s[10:11]
	s_mov_b64 exec, s[10:11]
; %bb.318:                              ;   in Loop: Header=BB150_18 Depth=1
	v_mov_b32_e32 v2, s24
	v_mov_b32_e32 v3, s25
	ds_write_b64 v13, v[2:3] offset:5128
; %bb.319:                              ;   in Loop: Header=BB150_18 Depth=1
	s_or_b64 exec, exec, s[8:9]
	s_waitcnt lgkmcnt(0)
	s_barrier
.LBB150_320:                            ;   in Loop: Header=BB150_18 Depth=1
	s_or_saveexec_b64 s[6:7], s[6:7]
	s_mov_b64 s[8:9], 0
	v_mov_b32_e32 v8, 5
	s_xor_b64 exec, exec, s[6:7]
; %bb.321:                              ;   in Loop: Header=BB150_18 Depth=1
	v_mov_b32_e32 v2, s25
	v_subrev_co_u32_e32 v19, vcc, s24, v19
	s_mov_b64 s[8:9], exec
	v_subb_co_u32_e32 v20, vcc, v20, v2, vcc
	v_mov_b32_e32 v8, 0
; %bb.322:                              ;   in Loop: Header=BB150_18 Depth=1
	s_or_b64 exec, exec, s[6:7]
	v_mov_b32_e32 v2, v19
	s_and_b64 s[6:7], s[8:9], exec
	v_mov_b32_e32 v3, v20
.LBB150_323:                            ;   in Loop: Header=BB150_18 Depth=1
	s_or_b64 exec, exec, s[4:5]
	s_mov_b64 s[4:5], -1
                                        ; implicit-def: $sgpr24_sgpr25
                                        ; implicit-def: $sgpr36_sgpr37
	s_and_saveexec_b64 s[8:9], s[6:7]
	s_xor_b64 s[6:7], exec, s[8:9]
	s_cbranch_execz .LBB150_468
; %bb.324:                              ;   in Loop: Header=BB150_18 Depth=1
	s_cmp_eq_u64 s[22:23], 1
	v_cmp_eq_u64_e32 vcc, 1, v[2:3]
	s_cselect_b64 s[4:5], -1, 0
	s_and_b64 s[30:31], s[4:5], vcc
	s_mov_b64 s[4:5], -1
                                        ; implicit-def: $sgpr36_sgpr37
                                        ; implicit-def: $sgpr24_sgpr25
	s_and_saveexec_b64 s[38:39], s[30:31]
	s_cbranch_execz .LBB150_358
; %bb.325:                              ;   in Loop: Header=BB150_18 Depth=1
	ds_read_b64 v[4:5], v13 offset:5120
	s_waitcnt lgkmcnt(0)
	s_barrier
	v_readfirstlane_b32 s8, v4
	v_readfirstlane_b32 s9, v5
	s_mov_b64 s[4:5], exec
	v_readlane_b32 s10, v49, 46
	v_readlane_b32 s11, v49, 47
	s_and_b64 s[10:11], s[4:5], s[10:11]
	s_mov_b64 exec, s[10:11]
; %bb.326:                              ;   in Loop: Header=BB150_18 Depth=1
	ds_write_b32 v28, v13
; %bb.327:                              ;   in Loop: Header=BB150_18 Depth=1
	s_or_b64 exec, exec, s[4:5]
	v_and_b32_e32 v4, s90, v30
	v_lshl_or_b32 v30, 2, s72, v4
	v_or_b32_e32 v35, s73, v35
	s_mov_b64 s[24:25], -1
	s_mov_b64 s[36:37], 0
	s_cmp_eq_u64 s[8:9], 0
	s_mov_b64 s[4:5], 0
	s_mov_b64 s[10:11], -1
	s_waitcnt lgkmcnt(0)
	s_barrier
                                        ; implicit-def: $vgpr18
	s_cbranch_scc1 .LBB150_343
; %bb.328:                              ;   in Loop: Header=BB150_18 Depth=1
	v_readlane_b32 s4, v49, 50
	s_add_u32 s40, s8, s4
	v_readlane_b32 s4, v49, 52
	s_addc_u32 s5, s9, s4
	s_mov_b32 s4, s91
	s_cmp_lg_u64 s[4:5], 0
	s_cbranch_scc0 .LBB150_384
; %bb.329:                              ;   in Loop: Header=BB150_18 Depth=1
	v_cvt_f32_u32_e32 v4, s75
	s_sub_u32 s4, 0, s75
	s_subb_u32 s12, 0, 0
	v_mac_f32_e32 v4, 0, v33
	v_rcp_f32_e32 v4, v4
	v_mul_f32_e32 v4, 0x5f7ffffc, v4
	v_mul_f32_e32 v5, 0x2f800000, v4
	v_trunc_f32_e32 v5, v5
	v_mac_f32_e32 v4, 0xcf800000, v5
	v_cvt_u32_f32_e32 v5, v5
	v_cvt_u32_f32_e32 v4, v4
	v_readfirstlane_b32 s13, v5
	v_readfirstlane_b32 s10, v4
	s_mul_i32 s11, s4, s13
	s_mul_hi_u32 s42, s4, s10
	s_mul_i32 s41, s12, s10
	s_add_i32 s11, s42, s11
	s_mul_i32 s43, s4, s10
	s_add_i32 s11, s11, s41
	s_mul_hi_u32 s42, s10, s43
	s_mul_i32 s44, s10, s11
	s_mul_hi_u32 s41, s10, s11
	s_add_u32 s42, s42, s44
	s_addc_u32 s41, 0, s41
	s_mul_hi_u32 s45, s13, s43
	s_mul_i32 s43, s13, s43
	s_add_u32 s42, s42, s43
	s_mul_hi_u32 s44, s13, s11
	s_addc_u32 s41, s41, s45
	s_addc_u32 s42, s44, 0
	s_mul_i32 s11, s13, s11
	s_add_u32 s11, s41, s11
	s_addc_u32 s41, 0, s42
	s_add_u32 s42, s10, s11
	s_cselect_b64 s[10:11], -1, 0
	s_cmp_lg_u64 s[10:11], 0
	s_addc_u32 s13, s13, s41
	s_mul_i32 s10, s4, s13
	s_mul_hi_u32 s11, s4, s42
	s_add_i32 s10, s11, s10
	s_mul_i32 s12, s12, s42
	s_add_i32 s10, s10, s12
	s_mul_i32 s4, s4, s42
	s_mul_hi_u32 s12, s13, s4
	s_mul_i32 s41, s13, s4
	s_mul_i32 s44, s42, s10
	s_mul_hi_u32 s4, s42, s4
	s_mul_hi_u32 s43, s42, s10
	s_add_u32 s4, s4, s44
	s_addc_u32 s43, 0, s43
	s_add_u32 s4, s4, s41
	s_mul_hi_u32 s11, s13, s10
	s_addc_u32 s4, s43, s12
	s_addc_u32 s11, s11, 0
	s_mul_i32 s10, s13, s10
	s_add_u32 s4, s4, s10
	s_addc_u32 s12, 0, s11
	s_add_u32 s4, s42, s4
	s_cselect_b64 s[10:11], -1, 0
	s_cmp_lg_u64 s[10:11], 0
	s_addc_u32 s10, s13, s12
	s_mul_i32 s12, s40, s10
	s_mul_hi_u32 s13, s40, s4
	s_mul_hi_u32 s11, s40, s10
	s_add_u32 s12, s13, s12
	s_addc_u32 s11, 0, s11
	s_mul_hi_u32 s41, s5, s4
	s_mul_i32 s4, s5, s4
	s_add_u32 s4, s12, s4
	s_mul_hi_u32 s13, s5, s10
	s_addc_u32 s4, s11, s41
	s_addc_u32 s11, s13, 0
	s_mul_i32 s10, s5, s10
	s_add_u32 s4, s4, s10
	s_addc_u32 s10, 0, s11
	s_mul_i32 s10, s75, s10
	s_mul_hi_u32 s11, s75, s4
	s_add_i32 s12, s11, s10
	s_mul_i32 s4, s75, s4
	s_sub_u32 s4, s40, s4
	s_cselect_b64 s[10:11], -1, 0
	s_cmp_lg_u64 s[10:11], 0
	s_subb_u32 s12, s5, s12
	s_sub_u32 s13, s4, s75
	s_cselect_b64 s[10:11], -1, 0
	s_cmp_lg_u64 s[10:11], 0
	s_subb_u32 s41, s12, 0
	;; [unrolled: 4-line block ×3, first 2 shown]
	s_cmp_ge_u32 s13, s75
	s_cselect_b32 s11, -1, 0
	s_cmp_eq_u32 s41, 0
	s_cselect_b32 s11, s11, -1
	s_cmp_lg_u32 s11, 0
	s_cselect_b32 s10, s10, s41
	s_cselect_b32 s13, s42, s13
	s_cmp_ge_u32 s4, s75
	s_cselect_b32 s11, -1, 0
	s_cmp_eq_u32 s12, 0
	s_cselect_b32 s11, s11, -1
	s_cmp_lg_u32 s11, 0
	s_cselect_b32 s11, s10, s12
	s_cselect_b32 s10, s13, s4
	s_cbranch_execnz .LBB150_331
.LBB150_330:                            ;   in Loop: Header=BB150_18 Depth=1
	v_cvt_f32_u32_e32 v4, s75
	s_sub_i32 s4, 0, s75
	s_mov_b32 s12, s90
	v_rcp_iflag_f32_e32 v4, v4
	v_mul_f32_e32 v4, 0x4f7ffffe, v4
	v_cvt_u32_f32_e32 v4, v4
	v_readfirstlane_b32 s10, v4
	s_mul_i32 s4, s4, s10
	s_mul_hi_u32 s4, s10, s4
	s_add_i32 s10, s10, s4
	s_mul_hi_u32 s4, s40, s10
	s_mul_i32 s4, s4, s75
	s_sub_i32 s4, s40, s4
	s_sub_i32 s10, s4, s75
	s_cmp_ge_u32 s4, s75
	s_cselect_b32 s4, s10, s4
	s_sub_i32 s10, s4, s75
	s_cmp_ge_u32 s4, s75
	s_cselect_b32 s90, s10, s4
	s_mov_b64 s[10:11], s[90:91]
	s_mov_b32 s90, s12
.LBB150_331:                            ;   in Loop: Header=BB150_18 Depth=1
	s_sub_u32 s40, s40, s10
	s_subb_u32 s41, s5, s11
	v_cmp_gt_u64_e32 vcc, s[40:41], v[0:1]
	s_mov_b64 s[10:11], 0
	s_mov_b64 s[4:5], 0
                                        ; implicit-def: $vgpr18
	s_and_saveexec_b64 s[12:13], vcc
	s_cbranch_execz .LBB150_342
; %bb.332:                              ;   in Loop: Header=BB150_18 Depth=1
	v_mov_b32_e32 v5, v1
	v_mov_b32_e32 v6, v14
	;; [unrolled: 1-line block ×3, first 2 shown]
                                        ; implicit-def: $sgpr42_sgpr43
	s_branch .LBB150_335
.LBB150_333:                            ;   in Loop: Header=BB150_335 Depth=2
	s_or_b64 exec, exec, s[44:45]
	s_waitcnt lgkmcnt(0)
	s_barrier
	ds_read_b64 v[17:18], v13 offset:3072
	s_mov_b64 s[44:45], -1
	s_mov_b64 s[46:47], -1
	s_waitcnt lgkmcnt(0)
	s_barrier
	v_cmp_ne_u32_e32 vcc, 0, v17
	s_cbranch_vccz .LBB150_338
.LBB150_334:                            ;   in Loop: Header=BB150_335 Depth=2
	s_and_b64 s[44:45], exec, s[44:45]
	s_or_b64 s[4:5], s[44:45], s[4:5]
	s_andn2_b64 s[42:43], s[42:43], exec
	s_and_b64 s[44:45], s[46:47], exec
	s_or_b64 s[42:43], s[42:43], s[44:45]
	s_andn2_b64 exec, exec, s[4:5]
	s_cbranch_execz .LBB150_341
.LBB150_335:                            ;   Parent Loop BB150_18 Depth=1
                                        ; =>  This Inner Loop Header: Depth=2
	v_cmp_gt_u64_e32 vcc, s[8:9], v[4:5]
	s_and_saveexec_b64 s[44:45], vcc
	s_cbranch_execz .LBB150_333
; %bb.336:                              ;   in Loop: Header=BB150_335 Depth=2
	ds_read_b32 v17, v6
	s_waitcnt lgkmcnt(0)
	v_xor_b32_e32 v7, 0x80000000, v17
	v_and_b32_e32 v7, v7, v35
	v_cmp_eq_u32_e32 vcc, v7, v30
	s_and_b64 exec, exec, vcc
	s_cbranch_execz .LBB150_333
; %bb.337:                              ;   in Loop: Header=BB150_335 Depth=2
	ds_write_b64 v13, v[16:17] offset:3072
	s_branch .LBB150_333
.LBB150_338:                            ;   in Loop: Header=BB150_335 Depth=2
	v_add_co_u32_e32 v4, vcc, s75, v4
	v_addc_co_u32_e32 v5, vcc, 0, v5, vcc
	v_cmp_le_u64_e32 vcc, s[40:41], v[4:5]
	v_add_u32_e32 v6, s1, v6
	s_mov_b64 s[46:47], 0
	s_orn2_b64 s[44:45], vcc, exec
	s_branch .LBB150_334
.LBB150_339:                            ;   in Loop: Header=BB150_18 Depth=1
                                        ; implicit-def: $sgpr10_sgpr11
	s_branch .LBB150_286
.LBB150_340:                            ;   in Loop: Header=BB150_18 Depth=1
                                        ; implicit-def: $sgpr8_sgpr9
	s_branch .LBB150_301
.LBB150_341:                            ;   in Loop: Header=BB150_18 Depth=1
	s_or_b64 exec, exec, s[4:5]
	s_and_b64 s[4:5], s[42:43], exec
.LBB150_342:                            ;   in Loop: Header=BB150_18 Depth=1
	s_or_b64 exec, exec, s[12:13]
.LBB150_343:                            ;   in Loop: Header=BB150_18 Depth=1
	s_and_b64 vcc, exec, s[10:11]
	s_cbranch_vccz .LBB150_357
; %bb.344:                              ;   in Loop: Header=BB150_18 Depth=1
	v_readlane_b32 s40, v49, 53
	v_readlane_b32 s41, v49, 54
	s_mov_b32 s40, s91
	s_cmp_lg_u64 s[40:41], 0
	v_writelane_b32 v49, s40, 53
	v_writelane_b32 v49, s41, 54
	s_cbranch_scc0 .LBB150_385
; %bb.345:                              ;   in Loop: Header=BB150_18 Depth=1
	v_cvt_f32_u32_e32 v4, s75
	s_sub_u32 s10, 0, s75
	s_subb_u32 s11, 0, 0
	v_mac_f32_e32 v4, 0, v33
	v_rcp_f32_e32 v4, v4
	v_mul_f32_e32 v4, 0x5f7ffffc, v4
	v_mul_f32_e32 v5, 0x2f800000, v4
	v_trunc_f32_e32 v5, v5
	v_mac_f32_e32 v4, 0xcf800000, v5
	v_cvt_u32_f32_e32 v5, v5
	v_cvt_u32_f32_e32 v4, v4
	v_readfirstlane_b32 s12, v5
	v_readfirstlane_b32 s8, v4
	s_mul_i32 s9, s10, s12
	s_mul_hi_u32 s24, s10, s8
	s_mul_i32 s13, s11, s8
	s_add_i32 s9, s24, s9
	s_mul_i32 s25, s10, s8
	s_add_i32 s9, s9, s13
	s_mul_hi_u32 s24, s8, s25
	s_mul_i32 s36, s8, s9
	s_mul_hi_u32 s13, s8, s9
	s_add_u32 s24, s24, s36
	s_addc_u32 s13, 0, s13
	s_mul_hi_u32 s37, s12, s25
	s_mul_i32 s25, s12, s25
	s_add_u32 s24, s24, s25
	s_mul_hi_u32 s36, s12, s9
	s_addc_u32 s13, s13, s37
	s_addc_u32 s24, s36, 0
	s_mul_i32 s9, s12, s9
	s_add_u32 s9, s13, s9
	s_addc_u32 s13, 0, s24
	s_add_u32 s24, s8, s9
	s_cselect_b64 s[8:9], -1, 0
	s_cmp_lg_u64 s[8:9], 0
	s_addc_u32 s12, s12, s13
	s_mul_i32 s8, s10, s12
	s_mul_hi_u32 s9, s10, s24
	s_add_i32 s8, s9, s8
	s_mul_i32 s11, s11, s24
	s_add_i32 s8, s8, s11
	s_mul_i32 s10, s10, s24
	s_mul_hi_u32 s11, s12, s10
	s_mul_i32 s13, s12, s10
	s_mul_i32 s36, s24, s8
	s_mul_hi_u32 s10, s24, s10
	s_mul_hi_u32 s25, s24, s8
	s_add_u32 s10, s10, s36
	s_addc_u32 s25, 0, s25
	s_add_u32 s10, s10, s13
	s_mul_hi_u32 s9, s12, s8
	s_addc_u32 s10, s25, s11
	s_addc_u32 s9, s9, 0
	s_mul_i32 s8, s12, s8
	s_add_u32 s8, s10, s8
	s_addc_u32 s10, 0, s9
	s_add_u32 s11, s24, s8
	s_cselect_b64 s[8:9], -1, 0
	s_cmp_lg_u64 s[8:9], 0
	s_addc_u32 s8, s12, s10
	v_readlane_b32 s24, v49, 51
	s_mul_i32 s10, s24, s8
	s_mul_hi_u32 s12, s24, s11
	s_mul_hi_u32 s9, s24, s8
	s_add_u32 s10, s12, s10
	s_addc_u32 s9, 0, s9
	s_mul_hi_u32 s13, s41, s11
	s_mul_i32 s11, s41, s11
	s_add_u32 s10, s10, s11
	s_mul_hi_u32 s12, s41, s8
	s_addc_u32 s9, s9, s13
	s_addc_u32 s10, s12, 0
	s_mul_i32 s8, s41, s8
	s_add_u32 s8, s9, s8
	s_addc_u32 s9, 0, s10
	s_mul_i32 s9, s75, s9
	s_mul_hi_u32 s10, s75, s8
	s_add_i32 s10, s10, s9
	s_mul_i32 s8, s75, s8
	s_sub_u32 s11, s24, s8
	s_cselect_b64 s[8:9], -1, 0
	s_cmp_lg_u64 s[8:9], 0
	s_subb_u32 s10, s41, s10
	s_sub_u32 s12, s11, s75
	s_cselect_b64 s[8:9], -1, 0
	s_cmp_lg_u64 s[8:9], 0
	s_subb_u32 s13, s10, 0
	;; [unrolled: 4-line block ×3, first 2 shown]
	s_cmp_ge_u32 s12, s75
	s_cselect_b32 s9, -1, 0
	s_cmp_eq_u32 s13, 0
	s_cselect_b32 s9, s9, -1
	s_cmp_lg_u32 s9, 0
	s_cselect_b32 s8, s8, s13
	s_cselect_b32 s12, s24, s12
	s_cmp_ge_u32 s11, s75
	s_cselect_b32 s9, -1, 0
	s_cmp_eq_u32 s10, 0
	s_cselect_b32 s9, s9, -1
	s_cmp_lg_u32 s9, 0
	s_cselect_b32 s9, s8, s10
	s_cselect_b32 s8, s12, s11
	s_cbranch_execnz .LBB150_347
.LBB150_346:                            ;   in Loop: Header=BB150_18 Depth=1
	v_cvt_f32_u32_e32 v4, s75
	s_sub_i32 s8, 0, s75
	v_readlane_b32 s10, v49, 51
	v_rcp_iflag_f32_e32 v4, v4
	v_mul_f32_e32 v4, 0x4f7ffffe, v4
	v_cvt_u32_f32_e32 v4, v4
	v_readfirstlane_b32 s9, v4
	s_mul_i32 s8, s8, s9
	s_mul_hi_u32 s8, s9, s8
	s_add_i32 s9, s9, s8
	s_mul_hi_u32 s8, s10, s9
	s_mul_i32 s8, s8, s75
	s_sub_i32 s8, s10, s8
	s_sub_i32 s9, s8, s75
	s_cmp_ge_u32 s8, s75
	s_cselect_b32 s8, s9, s8
	s_sub_i32 s9, s8, s75
	s_cmp_ge_u32 s8, s75
	s_mov_b32 s10, s90
	s_cselect_b32 s90, s9, s8
	s_mov_b64 s[8:9], s[90:91]
	s_mov_b32 s90, s10
.LBB150_347:                            ;   in Loop: Header=BB150_18 Depth=1
	v_readlane_b32 s10, v49, 51
	v_readlane_b32 s12, v49, 53
	s_sub_u32 s10, s10, s8
	v_readlane_b32 s13, v49, 54
	s_subb_u32 s11, s13, s9
	v_cmp_gt_u64_e32 vcc, s[10:11], v[0:1]
                                        ; implicit-def: $vgpr18
	s_and_saveexec_b64 s[8:9], vcc
	s_cbranch_execz .LBB150_356
; %bb.348:                              ;   in Loop: Header=BB150_18 Depth=1
	v_mov_b32_e32 v5, v1
	s_mov_b64 s[12:13], 0
	v_mov_b32_e32 v4, v0
                                        ; implicit-def: $sgpr24_sgpr25
	s_branch .LBB150_351
.LBB150_349:                            ;   in Loop: Header=BB150_351 Depth=2
	s_or_b64 exec, exec, s[36:37]
	s_waitcnt lgkmcnt(0)
	s_barrier
	ds_read_b64 v[17:18], v13 offset:3072
	s_mov_b64 s[36:37], -1
	s_mov_b64 s[40:41], -1
	s_waitcnt lgkmcnt(0)
	s_barrier
	v_cmp_eq_u32_e32 vcc, 0, v17
	s_cbranch_vccnz .LBB150_354
.LBB150_350:                            ;   in Loop: Header=BB150_351 Depth=2
	s_and_b64 s[36:37], exec, s[36:37]
	s_or_b64 s[12:13], s[36:37], s[12:13]
	s_andn2_b64 s[24:25], s[24:25], exec
	s_and_b64 s[36:37], s[40:41], exec
	s_or_b64 s[24:25], s[24:25], s[36:37]
	s_andn2_b64 exec, exec, s[12:13]
	s_cbranch_execz .LBB150_355
.LBB150_351:                            ;   Parent Loop BB150_18 Depth=1
                                        ; =>  This Inner Loop Header: Depth=2
	v_cmp_gt_u64_e32 vcc, s[60:61], v[4:5]
	s_and_saveexec_b64 s[36:37], vcc
	s_cbranch_execz .LBB150_349
; %bb.352:                              ;   in Loop: Header=BB150_351 Depth=2
	v_mul_lo_u32 v9, v5, s58
	v_mul_lo_u32 v12, v4, s59
	v_mad_u64_u32 v[6:7], s[40:41], v4, s58, 0
	v_add3_u32 v7, v7, v12, v9
	v_lshlrev_b64 v[6:7], 2, v[6:7]
	v_mov_b32_e32 v9, s74
	v_add_co_u32_e32 v6, vcc, s33, v6
	v_addc_co_u32_e32 v7, vcc, v9, v7, vcc
	global_load_dword v17, v[6:7], off
	s_waitcnt vmcnt(0)
	v_xor_b32_e32 v6, 0x80000000, v17
	v_and_b32_e32 v6, v6, v35
	v_cmp_eq_u32_e32 vcc, v6, v30
	s_and_b64 exec, exec, vcc
	s_cbranch_execz .LBB150_349
; %bb.353:                              ;   in Loop: Header=BB150_351 Depth=2
	ds_write_b64 v13, v[16:17] offset:3072
	s_branch .LBB150_349
.LBB150_354:                            ;   in Loop: Header=BB150_351 Depth=2
	v_add_co_u32_e32 v4, vcc, s75, v4
	v_addc_co_u32_e32 v5, vcc, 0, v5, vcc
	v_cmp_le_u64_e32 vcc, s[10:11], v[4:5]
	s_mov_b64 s[40:41], 0
	s_orn2_b64 s[36:37], vcc, exec
	s_branch .LBB150_350
.LBB150_355:                            ;   in Loop: Header=BB150_18 Depth=1
	s_or_b64 exec, exec, s[12:13]
	s_andn2_b64 s[4:5], s[4:5], exec
	s_and_b64 s[10:11], s[24:25], exec
	s_or_b64 s[4:5], s[4:5], s[10:11]
.LBB150_356:                            ;   in Loop: Header=BB150_18 Depth=1
	s_or_b64 exec, exec, s[8:9]
	s_mov_b64 s[24:25], 0
	s_mov_b64 s[36:37], -1
.LBB150_357:                            ;   in Loop: Header=BB150_18 Depth=1
	s_orn2_b64 s[4:5], s[4:5], exec
.LBB150_358:                            ;   in Loop: Header=BB150_18 Depth=1
	s_or_b64 exec, exec, s[38:39]
	s_mov_b64 s[8:9], 0
	s_and_saveexec_b64 s[38:39], s[4:5]
	s_cbranch_execz .LBB150_467
; %bb.359:                              ;   in Loop: Header=BB150_18 Depth=1
	v_mov_b32_e32 v4, 1
	s_xor_b64 s[10:11], s[30:31], -1
	v_mov_b32_e32 v8, 1
	v_mov_b32_e32 v5, 0
	s_and_saveexec_b64 s[4:5], s[10:11]
	s_cbranch_execz .LBB150_368
; %bb.360:                              ;   in Loop: Header=BB150_18 Depth=1
	v_cmp_ge_u64_e32 vcc, s[22:23], v[2:3]
	s_and_saveexec_b64 s[8:9], vcc
	s_xor_b64 s[8:9], exec, s[8:9]
	s_cbranch_execz .LBB150_365
; %bb.361:                              ;   in Loop: Header=BB150_18 Depth=1
	ds_read_b64 v[4:5], v13 offset:5120
	v_and_b32_e32 v6, s90, v30
	v_lshl_or_b32 v30, 2, s72, v6
	v_or_b32_e32 v35, s73, v35
	s_waitcnt lgkmcnt(0)
	v_cmp_ne_u64_e32 vcc, 0, v[4:5]
	s_cbranch_vccnz .LBB150_365
; %bb.362:                              ;   in Loop: Header=BB150_18 Depth=1
	s_mov_b64 s[10:11], exec
	v_readlane_b32 s12, v49, 32
	v_readlane_b32 s13, v49, 33
	s_and_b64 s[12:13], s[10:11], s[12:13]
	s_mov_b64 exec, s[12:13]
; %bb.363:                              ;   in Loop: Header=BB150_18 Depth=1
	v_mov_b32_e32 v4, s22
	v_mov_b32_e32 v5, s23
	ds_write_b64 v13, v[4:5] offset:5128
; %bb.364:                              ;   in Loop: Header=BB150_18 Depth=1
	s_or_b64 exec, exec, s[10:11]
	s_waitcnt lgkmcnt(0)
	s_barrier
.LBB150_365:                            ;   in Loop: Header=BB150_18 Depth=1
	s_or_saveexec_b64 s[8:9], s[8:9]
	s_mov_b64 s[10:11], 0
	v_mov_b32_e32 v8, 5
	s_xor_b64 exec, exec, s[8:9]
; %bb.366:                              ;   in Loop: Header=BB150_18 Depth=1
	v_mov_b32_e32 v4, s23
	v_subrev_co_u32_e32 v2, vcc, s22, v2
	s_mov_b64 s[10:11], exec
	v_subb_co_u32_e32 v3, vcc, v3, v4, vcc
	v_mov_b32_e32 v8, 0
; %bb.367:                              ;   in Loop: Header=BB150_18 Depth=1
	s_or_b64 exec, exec, s[8:9]
	v_mov_b32_e32 v5, v3
	s_and_b64 s[8:9], s[10:11], exec
	v_mov_b32_e32 v4, v2
.LBB150_368:                            ;   in Loop: Header=BB150_18 Depth=1
	s_or_b64 exec, exec, s[4:5]
	s_mov_b64 s[4:5], -1
                                        ; implicit-def: $sgpr40_sgpr41
                                        ; implicit-def: $sgpr42_sgpr43
	s_and_saveexec_b64 s[22:23], s[8:9]
	s_cbranch_execz .LBB150_466
; %bb.369:                              ;   in Loop: Header=BB150_18 Depth=1
	s_cmp_eq_u64 s[20:21], 1
	v_cmp_eq_u64_e32 vcc, 1, v[4:5]
	s_cselect_b64 s[4:5], -1, 0
	s_and_b64 s[44:45], s[4:5], vcc
	s_mov_b64 s[4:5], -1
                                        ; implicit-def: $sgpr42_sgpr43
                                        ; implicit-def: $sgpr40_sgpr41
	s_and_saveexec_b64 s[30:31], s[44:45]
	s_cbranch_execz .LBB150_403
; %bb.370:                              ;   in Loop: Header=BB150_18 Depth=1
	ds_read_b64 v[2:3], v13 offset:5120
	s_waitcnt lgkmcnt(0)
	s_barrier
	v_readfirstlane_b32 s8, v2
	v_readfirstlane_b32 s9, v3
	s_mov_b64 s[4:5], exec
	v_readlane_b32 s10, v49, 46
	v_readlane_b32 s11, v49, 47
	s_and_b64 s[10:11], s[4:5], s[10:11]
	s_mov_b64 exec, s[10:11]
; %bb.371:                              ;   in Loop: Header=BB150_18 Depth=1
	ds_write_b32 v28, v13
; %bb.372:                              ;   in Loop: Header=BB150_18 Depth=1
	s_or_b64 exec, exec, s[4:5]
	v_and_b32_e32 v2, s90, v30
	v_lshl_or_b32 v30, 1, s72, v2
	v_or_b32_e32 v35, s73, v35
	s_mov_b64 s[40:41], -1
	s_mov_b64 s[42:43], 0
	s_cmp_eq_u64 s[8:9], 0
	s_mov_b64 s[4:5], 0
	s_mov_b64 s[10:11], -1
	s_waitcnt lgkmcnt(0)
	s_barrier
                                        ; implicit-def: $vgpr18
	s_cbranch_scc1 .LBB150_388
; %bb.373:                              ;   in Loop: Header=BB150_18 Depth=1
	v_readlane_b32 s4, v49, 50
	s_add_u32 s46, s8, s4
	v_readlane_b32 s4, v49, 52
	s_addc_u32 s5, s9, s4
	s_mov_b32 s4, s91
	s_cmp_lg_u64 s[4:5], 0
	s_cbranch_scc0 .LBB150_420
; %bb.374:                              ;   in Loop: Header=BB150_18 Depth=1
	v_cvt_f32_u32_e32 v2, s75
	s_sub_u32 s4, 0, s75
	s_subb_u32 s12, 0, 0
	v_mac_f32_e32 v2, 0, v33
	v_rcp_f32_e32 v2, v2
	v_mul_f32_e32 v2, 0x5f7ffffc, v2
	v_mul_f32_e32 v3, 0x2f800000, v2
	v_trunc_f32_e32 v3, v3
	v_mac_f32_e32 v2, 0xcf800000, v3
	v_cvt_u32_f32_e32 v3, v3
	v_cvt_u32_f32_e32 v2, v2
	v_readfirstlane_b32 s13, v3
	v_readfirstlane_b32 s10, v2
	s_mul_i32 s11, s4, s13
	s_mul_hi_u32 s48, s4, s10
	s_mul_i32 s47, s12, s10
	s_add_i32 s11, s48, s11
	s_mul_i32 s49, s4, s10
	s_add_i32 s11, s11, s47
	s_mul_hi_u32 s48, s10, s49
	s_mul_i32 s50, s10, s11
	s_mul_hi_u32 s47, s10, s11
	s_add_u32 s48, s48, s50
	s_addc_u32 s47, 0, s47
	s_mul_hi_u32 s51, s13, s49
	s_mul_i32 s49, s13, s49
	s_add_u32 s48, s48, s49
	s_mul_hi_u32 s50, s13, s11
	s_addc_u32 s47, s47, s51
	s_addc_u32 s48, s50, 0
	s_mul_i32 s11, s13, s11
	s_add_u32 s11, s47, s11
	s_addc_u32 s47, 0, s48
	s_add_u32 s48, s10, s11
	s_cselect_b64 s[10:11], -1, 0
	s_cmp_lg_u64 s[10:11], 0
	s_addc_u32 s13, s13, s47
	s_mul_i32 s10, s4, s13
	s_mul_hi_u32 s11, s4, s48
	s_add_i32 s10, s11, s10
	s_mul_i32 s12, s12, s48
	s_add_i32 s10, s10, s12
	s_mul_i32 s4, s4, s48
	s_mul_hi_u32 s12, s13, s4
	s_mul_i32 s47, s13, s4
	s_mul_i32 s50, s48, s10
	s_mul_hi_u32 s4, s48, s4
	s_mul_hi_u32 s49, s48, s10
	s_add_u32 s4, s4, s50
	s_addc_u32 s49, 0, s49
	s_add_u32 s4, s4, s47
	s_mul_hi_u32 s11, s13, s10
	s_addc_u32 s4, s49, s12
	s_addc_u32 s11, s11, 0
	s_mul_i32 s10, s13, s10
	s_add_u32 s4, s4, s10
	s_addc_u32 s12, 0, s11
	s_add_u32 s4, s48, s4
	s_cselect_b64 s[10:11], -1, 0
	s_cmp_lg_u64 s[10:11], 0
	s_addc_u32 s10, s13, s12
	s_mul_i32 s12, s46, s10
	s_mul_hi_u32 s13, s46, s4
	s_mul_hi_u32 s11, s46, s10
	s_add_u32 s12, s13, s12
	s_addc_u32 s11, 0, s11
	s_mul_hi_u32 s47, s5, s4
	s_mul_i32 s4, s5, s4
	s_add_u32 s4, s12, s4
	s_mul_hi_u32 s13, s5, s10
	s_addc_u32 s4, s11, s47
	s_addc_u32 s11, s13, 0
	s_mul_i32 s10, s5, s10
	s_add_u32 s4, s4, s10
	s_addc_u32 s10, 0, s11
	s_mul_i32 s10, s75, s10
	s_mul_hi_u32 s11, s75, s4
	s_add_i32 s12, s11, s10
	s_mul_i32 s4, s75, s4
	s_sub_u32 s4, s46, s4
	s_cselect_b64 s[10:11], -1, 0
	s_cmp_lg_u64 s[10:11], 0
	s_subb_u32 s12, s5, s12
	s_sub_u32 s13, s4, s75
	s_cselect_b64 s[10:11], -1, 0
	s_cmp_lg_u64 s[10:11], 0
	s_subb_u32 s47, s12, 0
	;; [unrolled: 4-line block ×3, first 2 shown]
	s_cmp_ge_u32 s13, s75
	s_cselect_b32 s11, -1, 0
	s_cmp_eq_u32 s47, 0
	s_cselect_b32 s11, s11, -1
	s_cmp_lg_u32 s11, 0
	s_cselect_b32 s10, s10, s47
	s_cselect_b32 s13, s48, s13
	s_cmp_ge_u32 s4, s75
	s_cselect_b32 s11, -1, 0
	s_cmp_eq_u32 s12, 0
	s_cselect_b32 s11, s11, -1
	s_cmp_lg_u32 s11, 0
	s_cselect_b32 s11, s10, s12
	s_cselect_b32 s10, s13, s4
	s_cbranch_execnz .LBB150_376
.LBB150_375:                            ;   in Loop: Header=BB150_18 Depth=1
	v_cvt_f32_u32_e32 v2, s75
	s_sub_i32 s4, 0, s75
	s_mov_b32 s12, s90
	v_rcp_iflag_f32_e32 v2, v2
	v_mul_f32_e32 v2, 0x4f7ffffe, v2
	v_cvt_u32_f32_e32 v2, v2
	v_readfirstlane_b32 s10, v2
	s_mul_i32 s4, s4, s10
	s_mul_hi_u32 s4, s10, s4
	s_add_i32 s10, s10, s4
	s_mul_hi_u32 s4, s46, s10
	s_mul_i32 s4, s4, s75
	s_sub_i32 s4, s46, s4
	s_sub_i32 s10, s4, s75
	s_cmp_ge_u32 s4, s75
	s_cselect_b32 s4, s10, s4
	s_sub_i32 s10, s4, s75
	s_cmp_ge_u32 s4, s75
	s_cselect_b32 s90, s10, s4
	s_mov_b64 s[10:11], s[90:91]
	s_mov_b32 s90, s12
.LBB150_376:                            ;   in Loop: Header=BB150_18 Depth=1
	s_sub_u32 s46, s46, s10
	s_subb_u32 s47, s5, s11
	v_cmp_gt_u64_e32 vcc, s[46:47], v[0:1]
	s_mov_b64 s[10:11], 0
	s_mov_b64 s[4:5], 0
                                        ; implicit-def: $vgpr18
	s_and_saveexec_b64 s[12:13], vcc
	s_cbranch_execz .LBB150_387
; %bb.377:                              ;   in Loop: Header=BB150_18 Depth=1
	v_mov_b32_e32 v3, v1
	v_mov_b32_e32 v6, v14
	;; [unrolled: 1-line block ×3, first 2 shown]
                                        ; implicit-def: $sgpr48_sgpr49
	s_branch .LBB150_380
.LBB150_378:                            ;   in Loop: Header=BB150_380 Depth=2
	s_or_b64 exec, exec, s[50:51]
	s_waitcnt lgkmcnt(0)
	s_barrier
	ds_read_b64 v[17:18], v13 offset:3072
	s_mov_b64 s[50:51], -1
	s_mov_b64 s[52:53], -1
	s_waitcnt lgkmcnt(0)
	s_barrier
	v_cmp_ne_u32_e32 vcc, 0, v17
	s_cbranch_vccz .LBB150_383
.LBB150_379:                            ;   in Loop: Header=BB150_380 Depth=2
	s_and_b64 s[50:51], exec, s[50:51]
	s_or_b64 s[4:5], s[50:51], s[4:5]
	s_andn2_b64 s[48:49], s[48:49], exec
	s_and_b64 s[50:51], s[52:53], exec
	s_or_b64 s[48:49], s[48:49], s[50:51]
	s_andn2_b64 exec, exec, s[4:5]
	s_cbranch_execz .LBB150_386
.LBB150_380:                            ;   Parent Loop BB150_18 Depth=1
                                        ; =>  This Inner Loop Header: Depth=2
	v_cmp_gt_u64_e32 vcc, s[8:9], v[2:3]
	s_and_saveexec_b64 s[50:51], vcc
	s_cbranch_execz .LBB150_378
; %bb.381:                              ;   in Loop: Header=BB150_380 Depth=2
	ds_read_b32 v17, v6
	s_waitcnt lgkmcnt(0)
	v_xor_b32_e32 v7, 0x80000000, v17
	v_and_b32_e32 v7, v7, v35
	v_cmp_eq_u32_e32 vcc, v7, v30
	s_and_b64 exec, exec, vcc
	s_cbranch_execz .LBB150_378
; %bb.382:                              ;   in Loop: Header=BB150_380 Depth=2
	ds_write_b64 v13, v[16:17] offset:3072
	s_branch .LBB150_378
.LBB150_383:                            ;   in Loop: Header=BB150_380 Depth=2
	v_add_co_u32_e32 v2, vcc, s75, v2
	v_addc_co_u32_e32 v3, vcc, 0, v3, vcc
	v_cmp_le_u64_e32 vcc, s[46:47], v[2:3]
	v_add_u32_e32 v6, s1, v6
	s_mov_b64 s[52:53], 0
	s_orn2_b64 s[50:51], vcc, exec
	s_branch .LBB150_379
.LBB150_384:                            ;   in Loop: Header=BB150_18 Depth=1
                                        ; implicit-def: $sgpr10_sgpr11
	s_branch .LBB150_330
.LBB150_385:                            ;   in Loop: Header=BB150_18 Depth=1
                                        ; implicit-def: $sgpr8_sgpr9
	s_branch .LBB150_346
.LBB150_386:                            ;   in Loop: Header=BB150_18 Depth=1
	s_or_b64 exec, exec, s[4:5]
	s_and_b64 s[4:5], s[48:49], exec
.LBB150_387:                            ;   in Loop: Header=BB150_18 Depth=1
	s_or_b64 exec, exec, s[12:13]
.LBB150_388:                            ;   in Loop: Header=BB150_18 Depth=1
	s_and_b64 vcc, exec, s[10:11]
	s_cbranch_vccz .LBB150_402
; %bb.389:                              ;   in Loop: Header=BB150_18 Depth=1
	v_readlane_b32 s46, v49, 53
	v_readlane_b32 s47, v49, 54
	s_mov_b32 s46, s91
	s_cmp_lg_u64 s[46:47], 0
	v_writelane_b32 v49, s46, 53
	v_writelane_b32 v49, s47, 54
	s_cbranch_scc0 .LBB150_421
; %bb.390:                              ;   in Loop: Header=BB150_18 Depth=1
	v_cvt_f32_u32_e32 v2, s75
	s_sub_u32 s10, 0, s75
	s_subb_u32 s11, 0, 0
	v_mac_f32_e32 v2, 0, v33
	v_rcp_f32_e32 v2, v2
	v_mul_f32_e32 v2, 0x5f7ffffc, v2
	v_mul_f32_e32 v3, 0x2f800000, v2
	v_trunc_f32_e32 v3, v3
	v_mac_f32_e32 v2, 0xcf800000, v3
	v_cvt_u32_f32_e32 v3, v3
	v_cvt_u32_f32_e32 v2, v2
	v_readfirstlane_b32 s12, v3
	v_readfirstlane_b32 s8, v2
	s_mul_i32 s9, s10, s12
	s_mul_hi_u32 s40, s10, s8
	s_mul_i32 s13, s11, s8
	s_add_i32 s9, s40, s9
	s_mul_i32 s41, s10, s8
	s_add_i32 s9, s9, s13
	s_mul_hi_u32 s40, s8, s41
	s_mul_i32 s42, s8, s9
	s_mul_hi_u32 s13, s8, s9
	s_add_u32 s40, s40, s42
	s_addc_u32 s13, 0, s13
	s_mul_hi_u32 s43, s12, s41
	s_mul_i32 s41, s12, s41
	s_add_u32 s40, s40, s41
	s_mul_hi_u32 s42, s12, s9
	s_addc_u32 s13, s13, s43
	s_addc_u32 s40, s42, 0
	s_mul_i32 s9, s12, s9
	s_add_u32 s9, s13, s9
	s_addc_u32 s13, 0, s40
	s_add_u32 s40, s8, s9
	s_cselect_b64 s[8:9], -1, 0
	s_cmp_lg_u64 s[8:9], 0
	s_addc_u32 s12, s12, s13
	s_mul_i32 s8, s10, s12
	s_mul_hi_u32 s9, s10, s40
	s_add_i32 s8, s9, s8
	s_mul_i32 s11, s11, s40
	s_add_i32 s8, s8, s11
	s_mul_i32 s10, s10, s40
	s_mul_hi_u32 s11, s12, s10
	s_mul_i32 s13, s12, s10
	s_mul_i32 s42, s40, s8
	s_mul_hi_u32 s10, s40, s10
	s_mul_hi_u32 s41, s40, s8
	s_add_u32 s10, s10, s42
	s_addc_u32 s41, 0, s41
	s_add_u32 s10, s10, s13
	s_mul_hi_u32 s9, s12, s8
	s_addc_u32 s10, s41, s11
	s_addc_u32 s9, s9, 0
	s_mul_i32 s8, s12, s8
	s_add_u32 s8, s10, s8
	s_addc_u32 s10, 0, s9
	s_add_u32 s11, s40, s8
	s_cselect_b64 s[8:9], -1, 0
	s_cmp_lg_u64 s[8:9], 0
	s_addc_u32 s8, s12, s10
	v_readlane_b32 s40, v49, 51
	s_mul_i32 s10, s40, s8
	s_mul_hi_u32 s12, s40, s11
	s_mul_hi_u32 s9, s40, s8
	s_add_u32 s10, s12, s10
	s_addc_u32 s9, 0, s9
	s_mul_hi_u32 s13, s47, s11
	s_mul_i32 s11, s47, s11
	s_add_u32 s10, s10, s11
	s_mul_hi_u32 s12, s47, s8
	s_addc_u32 s9, s9, s13
	s_addc_u32 s10, s12, 0
	s_mul_i32 s8, s47, s8
	s_add_u32 s8, s9, s8
	s_addc_u32 s9, 0, s10
	s_mul_i32 s9, s75, s9
	s_mul_hi_u32 s10, s75, s8
	s_add_i32 s10, s10, s9
	s_mul_i32 s8, s75, s8
	s_sub_u32 s11, s40, s8
	s_cselect_b64 s[8:9], -1, 0
	s_cmp_lg_u64 s[8:9], 0
	s_subb_u32 s10, s47, s10
	s_sub_u32 s12, s11, s75
	s_cselect_b64 s[8:9], -1, 0
	s_cmp_lg_u64 s[8:9], 0
	s_subb_u32 s13, s10, 0
	;; [unrolled: 4-line block ×3, first 2 shown]
	s_cmp_ge_u32 s12, s75
	s_cselect_b32 s9, -1, 0
	s_cmp_eq_u32 s13, 0
	s_cselect_b32 s9, s9, -1
	s_cmp_lg_u32 s9, 0
	s_cselect_b32 s8, s8, s13
	s_cselect_b32 s12, s40, s12
	s_cmp_ge_u32 s11, s75
	s_cselect_b32 s9, -1, 0
	s_cmp_eq_u32 s10, 0
	s_cselect_b32 s9, s9, -1
	s_cmp_lg_u32 s9, 0
	s_cselect_b32 s9, s8, s10
	s_cselect_b32 s8, s12, s11
	s_cbranch_execnz .LBB150_392
.LBB150_391:                            ;   in Loop: Header=BB150_18 Depth=1
	v_cvt_f32_u32_e32 v2, s75
	s_sub_i32 s8, 0, s75
	v_readlane_b32 s10, v49, 51
	v_rcp_iflag_f32_e32 v2, v2
	v_mul_f32_e32 v2, 0x4f7ffffe, v2
	v_cvt_u32_f32_e32 v2, v2
	v_readfirstlane_b32 s9, v2
	s_mul_i32 s8, s8, s9
	s_mul_hi_u32 s8, s9, s8
	s_add_i32 s9, s9, s8
	s_mul_hi_u32 s8, s10, s9
	s_mul_i32 s8, s8, s75
	s_sub_i32 s8, s10, s8
	s_sub_i32 s9, s8, s75
	s_cmp_ge_u32 s8, s75
	s_cselect_b32 s8, s9, s8
	s_sub_i32 s9, s8, s75
	s_cmp_ge_u32 s8, s75
	s_mov_b32 s10, s90
	s_cselect_b32 s90, s9, s8
	s_mov_b64 s[8:9], s[90:91]
	s_mov_b32 s90, s10
.LBB150_392:                            ;   in Loop: Header=BB150_18 Depth=1
	v_readlane_b32 s10, v49, 51
	v_readlane_b32 s12, v49, 53
	s_sub_u32 s10, s10, s8
	v_readlane_b32 s13, v49, 54
	s_subb_u32 s11, s13, s9
	v_cmp_gt_u64_e32 vcc, s[10:11], v[0:1]
                                        ; implicit-def: $vgpr18
	s_and_saveexec_b64 s[8:9], vcc
	s_cbranch_execz .LBB150_401
; %bb.393:                              ;   in Loop: Header=BB150_18 Depth=1
	v_mov_b32_e32 v3, v1
	s_mov_b64 s[12:13], 0
	v_mov_b32_e32 v2, v0
                                        ; implicit-def: $sgpr40_sgpr41
	s_branch .LBB150_396
.LBB150_394:                            ;   in Loop: Header=BB150_396 Depth=2
	s_or_b64 exec, exec, s[42:43]
	s_waitcnt lgkmcnt(0)
	s_barrier
	ds_read_b64 v[17:18], v13 offset:3072
	s_mov_b64 s[42:43], -1
	s_mov_b64 s[46:47], -1
	s_waitcnt lgkmcnt(0)
	s_barrier
	v_cmp_eq_u32_e32 vcc, 0, v17
	s_cbranch_vccnz .LBB150_399
.LBB150_395:                            ;   in Loop: Header=BB150_396 Depth=2
	s_and_b64 s[42:43], exec, s[42:43]
	s_or_b64 s[12:13], s[42:43], s[12:13]
	s_andn2_b64 s[40:41], s[40:41], exec
	s_and_b64 s[42:43], s[46:47], exec
	s_or_b64 s[40:41], s[40:41], s[42:43]
	s_andn2_b64 exec, exec, s[12:13]
	s_cbranch_execz .LBB150_400
.LBB150_396:                            ;   Parent Loop BB150_18 Depth=1
                                        ; =>  This Inner Loop Header: Depth=2
	v_cmp_gt_u64_e32 vcc, s[60:61], v[2:3]
	s_and_saveexec_b64 s[42:43], vcc
	s_cbranch_execz .LBB150_394
; %bb.397:                              ;   in Loop: Header=BB150_396 Depth=2
	v_mul_lo_u32 v9, v3, s58
	v_mul_lo_u32 v12, v2, s59
	v_mad_u64_u32 v[6:7], s[46:47], v2, s58, 0
	v_add3_u32 v7, v7, v12, v9
	v_lshlrev_b64 v[6:7], 2, v[6:7]
	v_mov_b32_e32 v9, s74
	v_add_co_u32_e32 v6, vcc, s33, v6
	v_addc_co_u32_e32 v7, vcc, v9, v7, vcc
	global_load_dword v17, v[6:7], off
	s_waitcnt vmcnt(0)
	v_xor_b32_e32 v6, 0x80000000, v17
	v_and_b32_e32 v6, v6, v35
	v_cmp_eq_u32_e32 vcc, v6, v30
	s_and_b64 exec, exec, vcc
	s_cbranch_execz .LBB150_394
; %bb.398:                              ;   in Loop: Header=BB150_396 Depth=2
	ds_write_b64 v13, v[16:17] offset:3072
	s_branch .LBB150_394
.LBB150_399:                            ;   in Loop: Header=BB150_396 Depth=2
	v_add_co_u32_e32 v2, vcc, s75, v2
	v_addc_co_u32_e32 v3, vcc, 0, v3, vcc
	v_cmp_le_u64_e32 vcc, s[10:11], v[2:3]
	s_mov_b64 s[46:47], 0
	s_orn2_b64 s[42:43], vcc, exec
	s_branch .LBB150_395
.LBB150_400:                            ;   in Loop: Header=BB150_18 Depth=1
	s_or_b64 exec, exec, s[12:13]
	s_andn2_b64 s[4:5], s[4:5], exec
	s_and_b64 s[10:11], s[40:41], exec
	s_or_b64 s[4:5], s[4:5], s[10:11]
.LBB150_401:                            ;   in Loop: Header=BB150_18 Depth=1
	s_or_b64 exec, exec, s[8:9]
	s_mov_b64 s[40:41], 0
	s_mov_b64 s[42:43], -1
.LBB150_402:                            ;   in Loop: Header=BB150_18 Depth=1
	s_orn2_b64 s[4:5], s[4:5], exec
.LBB150_403:                            ;   in Loop: Header=BB150_18 Depth=1
	s_or_b64 exec, exec, s[30:31]
	s_mov_b64 s[8:9], 0
	s_and_saveexec_b64 s[30:31], s[4:5]
	s_cbranch_execz .LBB150_465
; %bb.404:                              ;   in Loop: Header=BB150_18 Depth=1
	v_mov_b32_e32 v2, 1
	s_xor_b64 s[10:11], s[44:45], -1
	v_mov_b32_e32 v8, 1
	v_mov_b32_e32 v3, 0
	s_and_saveexec_b64 s[4:5], s[10:11]
	s_cbranch_execz .LBB150_413
; %bb.405:                              ;   in Loop: Header=BB150_18 Depth=1
	v_cmp_ge_u64_e32 vcc, s[20:21], v[4:5]
	s_and_saveexec_b64 s[8:9], vcc
	s_xor_b64 s[8:9], exec, s[8:9]
	s_cbranch_execz .LBB150_410
; %bb.406:                              ;   in Loop: Header=BB150_18 Depth=1
	ds_read_b64 v[2:3], v13 offset:5120
	v_and_b32_e32 v6, s90, v30
	v_lshl_or_b32 v30, 1, s72, v6
	v_or_b32_e32 v35, s73, v35
	s_waitcnt lgkmcnt(0)
	v_cmp_ne_u64_e32 vcc, 0, v[2:3]
	s_cbranch_vccnz .LBB150_410
; %bb.407:                              ;   in Loop: Header=BB150_18 Depth=1
	s_mov_b64 s[10:11], exec
	v_readlane_b32 s12, v49, 32
	v_readlane_b32 s13, v49, 33
	s_and_b64 s[12:13], s[10:11], s[12:13]
	s_mov_b64 exec, s[12:13]
; %bb.408:                              ;   in Loop: Header=BB150_18 Depth=1
	v_mov_b32_e32 v2, s20
	v_mov_b32_e32 v3, s21
	ds_write_b64 v13, v[2:3] offset:5128
; %bb.409:                              ;   in Loop: Header=BB150_18 Depth=1
	s_or_b64 exec, exec, s[10:11]
	s_waitcnt lgkmcnt(0)
	s_barrier
.LBB150_410:                            ;   in Loop: Header=BB150_18 Depth=1
	s_or_saveexec_b64 s[8:9], s[8:9]
	s_mov_b64 s[10:11], 0
	v_mov_b32_e32 v8, 5
	s_xor_b64 exec, exec, s[8:9]
; %bb.411:                              ;   in Loop: Header=BB150_18 Depth=1
	v_mov_b32_e32 v2, s21
	v_subrev_co_u32_e32 v4, vcc, s20, v4
	s_mov_b64 s[10:11], exec
	v_subb_co_u32_e32 v5, vcc, v5, v2, vcc
	v_mov_b32_e32 v8, 0
; %bb.412:                              ;   in Loop: Header=BB150_18 Depth=1
	s_or_b64 exec, exec, s[8:9]
	v_mov_b32_e32 v2, v4
	s_and_b64 s[8:9], s[10:11], exec
	v_mov_b32_e32 v3, v5
.LBB150_413:                            ;   in Loop: Header=BB150_18 Depth=1
	s_or_b64 exec, exec, s[4:5]
	s_mov_b64 s[4:5], -1
                                        ; implicit-def: $sgpr50_sgpr51
                                        ; implicit-def: $sgpr48_sgpr49
	s_and_saveexec_b64 s[20:21], s[8:9]
	s_cbranch_execz .LBB150_464
; %bb.414:                              ;   in Loop: Header=BB150_18 Depth=1
	s_cmp_eq_u64 s[16:17], 1
	v_cmp_eq_u64_e32 vcc, 1, v[2:3]
	s_cselect_b64 s[4:5], -1, 0
	s_and_b64 s[44:45], s[4:5], vcc
	s_mov_b64 s[8:9], -1
                                        ; implicit-def: $sgpr50_sgpr51
                                        ; implicit-def: $sgpr48_sgpr49
	s_and_saveexec_b64 s[46:47], s[44:45]
	s_cbranch_execz .LBB150_452
; %bb.415:                              ;   in Loop: Header=BB150_18 Depth=1
	ds_read_b64 v[4:5], v13 offset:5120
	s_waitcnt lgkmcnt(0)
	s_barrier
	v_readfirstlane_b32 s8, v4
	v_readfirstlane_b32 s9, v5
	s_mov_b64 s[4:5], exec
	v_readlane_b32 s10, v49, 46
	v_readlane_b32 s11, v49, 47
	s_and_b64 s[10:11], s[4:5], s[10:11]
	s_mov_b64 exec, s[10:11]
; %bb.416:                              ;   in Loop: Header=BB150_18 Depth=1
	ds_write_b32 v28, v13
; %bb.417:                              ;   in Loop: Header=BB150_18 Depth=1
	s_or_b64 exec, exec, s[4:5]
	v_and_b32_e32 v30, s90, v30
	v_or_b32_e32 v35, s73, v35
	s_mov_b64 s[48:49], -1
	s_mov_b64 s[50:51], 0
	s_cmp_eq_u64 s[8:9], 0
	s_mov_b64 s[4:5], 0
	s_mov_b64 s[10:11], -1
	s_waitcnt lgkmcnt(0)
	s_barrier
                                        ; implicit-def: $vgpr18
	s_cbranch_scc1 .LBB150_435
; %bb.418:                              ;   in Loop: Header=BB150_18 Depth=1
	v_readlane_b32 s4, v49, 50
	s_add_u32 s52, s8, s4
	v_readlane_b32 s4, v49, 52
	s_addc_u32 s5, s9, s4
	s_mov_b32 s4, s91
	s_cmp_lg_u64 s[4:5], 0
	s_cbranch_scc0 .LBB150_422
; %bb.419:                              ;   in Loop: Header=BB150_18 Depth=1
	v_cvt_f32_u32_e32 v4, s75
	s_sub_u32 s4, 0, s75
	s_subb_u32 s12, 0, 0
	v_mac_f32_e32 v4, 0, v33
	v_rcp_f32_e32 v4, v4
	v_mul_f32_e32 v4, 0x5f7ffffc, v4
	v_mul_f32_e32 v5, 0x2f800000, v4
	v_trunc_f32_e32 v5, v5
	v_mac_f32_e32 v4, 0xcf800000, v5
	v_cvt_u32_f32_e32 v5, v5
	v_cvt_u32_f32_e32 v4, v4
	v_readfirstlane_b32 s13, v5
	v_readfirstlane_b32 s10, v4
	s_mul_i32 s11, s4, s13
	s_mul_hi_u32 s54, s4, s10
	s_mul_i32 s53, s12, s10
	s_add_i32 s11, s54, s11
	s_mul_i32 s55, s4, s10
	s_add_i32 s11, s11, s53
	s_mul_hi_u32 s54, s10, s55
	s_mul_i32 s80, s10, s11
	s_mul_hi_u32 s53, s10, s11
	s_add_u32 s54, s54, s80
	s_addc_u32 s53, 0, s53
	s_mul_hi_u32 s81, s13, s55
	s_mul_i32 s55, s13, s55
	s_add_u32 s54, s54, s55
	s_mul_hi_u32 s80, s13, s11
	s_addc_u32 s53, s53, s81
	s_addc_u32 s54, s80, 0
	s_mul_i32 s11, s13, s11
	s_add_u32 s11, s53, s11
	s_addc_u32 s53, 0, s54
	s_add_u32 s54, s10, s11
	s_cselect_b64 s[10:11], -1, 0
	s_cmp_lg_u64 s[10:11], 0
	s_addc_u32 s13, s13, s53
	s_mul_i32 s10, s4, s13
	s_mul_hi_u32 s11, s4, s54
	s_add_i32 s10, s11, s10
	s_mul_i32 s12, s12, s54
	s_add_i32 s10, s10, s12
	s_mul_i32 s4, s4, s54
	s_mul_hi_u32 s12, s13, s4
	s_mul_i32 s53, s13, s4
	s_mul_i32 s80, s54, s10
	s_mul_hi_u32 s4, s54, s4
	s_mul_hi_u32 s55, s54, s10
	s_add_u32 s4, s4, s80
	s_addc_u32 s55, 0, s55
	s_add_u32 s4, s4, s53
	s_mul_hi_u32 s11, s13, s10
	s_addc_u32 s4, s55, s12
	s_addc_u32 s11, s11, 0
	s_mul_i32 s10, s13, s10
	s_add_u32 s4, s4, s10
	s_addc_u32 s12, 0, s11
	s_add_u32 s4, s54, s4
	s_cselect_b64 s[10:11], -1, 0
	s_cmp_lg_u64 s[10:11], 0
	s_addc_u32 s10, s13, s12
	s_mul_i32 s12, s52, s10
	s_mul_hi_u32 s13, s52, s4
	s_mul_hi_u32 s11, s52, s10
	s_add_u32 s12, s13, s12
	s_addc_u32 s11, 0, s11
	s_mul_hi_u32 s53, s5, s4
	s_mul_i32 s4, s5, s4
	s_add_u32 s4, s12, s4
	s_mul_hi_u32 s13, s5, s10
	s_addc_u32 s4, s11, s53
	s_addc_u32 s11, s13, 0
	s_mul_i32 s10, s5, s10
	s_add_u32 s4, s4, s10
	s_addc_u32 s10, 0, s11
	s_mul_i32 s10, s75, s10
	s_mul_hi_u32 s11, s75, s4
	s_add_i32 s12, s11, s10
	s_mul_i32 s4, s75, s4
	s_sub_u32 s4, s52, s4
	s_cselect_b64 s[10:11], -1, 0
	s_cmp_lg_u64 s[10:11], 0
	s_subb_u32 s12, s5, s12
	s_sub_u32 s13, s4, s75
	s_cselect_b64 s[10:11], -1, 0
	s_cmp_lg_u64 s[10:11], 0
	s_subb_u32 s53, s12, 0
	;; [unrolled: 4-line block ×3, first 2 shown]
	s_cmp_ge_u32 s13, s75
	s_cselect_b32 s11, -1, 0
	s_cmp_eq_u32 s53, 0
	s_cselect_b32 s11, s11, -1
	s_cmp_lg_u32 s11, 0
	s_cselect_b32 s10, s10, s53
	s_cselect_b32 s13, s54, s13
	s_cmp_ge_u32 s4, s75
	s_cselect_b32 s11, -1, 0
	s_cmp_eq_u32 s12, 0
	s_cselect_b32 s11, s11, -1
	s_cmp_lg_u32 s11, 0
	s_cselect_b32 s11, s10, s12
	s_cselect_b32 s10, s13, s4
	s_mov_b64 s[12:13], 0
	s_branch .LBB150_423
.LBB150_420:                            ;   in Loop: Header=BB150_18 Depth=1
                                        ; implicit-def: $sgpr10_sgpr11
	s_branch .LBB150_375
.LBB150_421:                            ;   in Loop: Header=BB150_18 Depth=1
                                        ; implicit-def: $sgpr8_sgpr9
	s_branch .LBB150_391
.LBB150_422:                            ;   in Loop: Header=BB150_18 Depth=1
	s_mov_b64 s[12:13], -1
                                        ; implicit-def: $sgpr10_sgpr11
.LBB150_423:                            ;   in Loop: Header=BB150_18 Depth=1
	s_andn2_b64 vcc, exec, s[12:13]
	s_cbranch_vccnz .LBB150_425
; %bb.424:                              ;   in Loop: Header=BB150_18 Depth=1
	v_cvt_f32_u32_e32 v4, s75
	s_sub_i32 s4, 0, s75
	s_mov_b32 s12, s90
	v_rcp_iflag_f32_e32 v4, v4
	v_mul_f32_e32 v4, 0x4f7ffffe, v4
	v_cvt_u32_f32_e32 v4, v4
	v_readfirstlane_b32 s10, v4
	s_mul_i32 s4, s4, s10
	s_mul_hi_u32 s4, s10, s4
	s_add_i32 s10, s10, s4
	s_mul_hi_u32 s4, s52, s10
	s_mul_i32 s4, s4, s75
	s_sub_i32 s4, s52, s4
	s_sub_i32 s10, s4, s75
	s_cmp_ge_u32 s4, s75
	s_cselect_b32 s4, s10, s4
	s_sub_i32 s10, s4, s75
	s_cmp_ge_u32 s4, s75
	s_cselect_b32 s90, s10, s4
	s_mov_b64 s[10:11], s[90:91]
	s_mov_b32 s90, s12
.LBB150_425:                            ;   in Loop: Header=BB150_18 Depth=1
	s_sub_u32 s52, s52, s10
	s_subb_u32 s53, s5, s11
	v_cmp_gt_u64_e32 vcc, s[52:53], v[0:1]
	s_mov_b64 s[10:11], 0
	s_mov_b64 s[4:5], 0
                                        ; implicit-def: $vgpr18
	s_and_saveexec_b64 s[12:13], vcc
	s_cbranch_execz .LBB150_434
; %bb.426:                              ;   in Loop: Header=BB150_18 Depth=1
	v_mov_b32_e32 v5, v1
	v_mov_b32_e32 v6, v14
	;; [unrolled: 1-line block ×3, first 2 shown]
                                        ; implicit-def: $sgpr54_sgpr55
	s_branch .LBB150_429
.LBB150_427:                            ;   in Loop: Header=BB150_429 Depth=2
	s_or_b64 exec, exec, s[80:81]
	s_waitcnt lgkmcnt(0)
	s_barrier
	ds_read_b64 v[17:18], v13 offset:3072
	s_mov_b64 s[80:81], -1
	s_mov_b64 s[88:89], -1
	s_waitcnt lgkmcnt(0)
	s_barrier
	v_cmp_ne_u32_e32 vcc, 0, v17
	s_cbranch_vccz .LBB150_432
.LBB150_428:                            ;   in Loop: Header=BB150_429 Depth=2
	s_and_b64 s[80:81], exec, s[80:81]
	s_or_b64 s[4:5], s[80:81], s[4:5]
	s_andn2_b64 s[54:55], s[54:55], exec
	s_and_b64 s[80:81], s[88:89], exec
	s_or_b64 s[54:55], s[54:55], s[80:81]
	s_andn2_b64 exec, exec, s[4:5]
	s_cbranch_execz .LBB150_433
.LBB150_429:                            ;   Parent Loop BB150_18 Depth=1
                                        ; =>  This Inner Loop Header: Depth=2
	v_cmp_gt_u64_e32 vcc, s[8:9], v[4:5]
	s_and_saveexec_b64 s[80:81], vcc
	s_cbranch_execz .LBB150_427
; %bb.430:                              ;   in Loop: Header=BB150_429 Depth=2
	ds_read_b32 v17, v6
	s_waitcnt lgkmcnt(0)
	v_xor_b32_e32 v7, 0x80000000, v17
	v_and_b32_e32 v7, v7, v35
	v_cmp_eq_u32_e32 vcc, v7, v30
	s_and_b64 exec, exec, vcc
	s_cbranch_execz .LBB150_427
; %bb.431:                              ;   in Loop: Header=BB150_429 Depth=2
	ds_write_b64 v13, v[16:17] offset:3072
	s_branch .LBB150_427
.LBB150_432:                            ;   in Loop: Header=BB150_429 Depth=2
	v_add_co_u32_e32 v4, vcc, s75, v4
	v_addc_co_u32_e32 v5, vcc, 0, v5, vcc
	v_cmp_le_u64_e32 vcc, s[52:53], v[4:5]
	v_add_u32_e32 v6, s1, v6
	s_mov_b64 s[88:89], 0
	s_orn2_b64 s[80:81], vcc, exec
	s_branch .LBB150_428
.LBB150_433:                            ;   in Loop: Header=BB150_18 Depth=1
	s_or_b64 exec, exec, s[4:5]
	s_and_b64 s[4:5], s[54:55], exec
.LBB150_434:                            ;   in Loop: Header=BB150_18 Depth=1
	s_or_b64 exec, exec, s[12:13]
.LBB150_435:                            ;   in Loop: Header=BB150_18 Depth=1
	s_and_b64 vcc, exec, s[10:11]
	s_cbranch_vccz .LBB150_451
; %bb.436:                              ;   in Loop: Header=BB150_18 Depth=1
	v_readlane_b32 s52, v49, 53
	v_readlane_b32 s53, v49, 54
	s_mov_b32 s52, s91
	s_cmp_lg_u64 s[52:53], 0
	v_writelane_b32 v49, s52, 53
	v_writelane_b32 v49, s53, 54
	s_cbranch_scc0 .LBB150_438
; %bb.437:                              ;   in Loop: Header=BB150_18 Depth=1
	v_cvt_f32_u32_e32 v4, s75
	s_sub_u32 s10, 0, s75
	s_subb_u32 s11, 0, 0
	v_mac_f32_e32 v4, 0, v33
	v_rcp_f32_e32 v4, v4
	v_mul_f32_e32 v4, 0x5f7ffffc, v4
	v_mul_f32_e32 v5, 0x2f800000, v4
	v_trunc_f32_e32 v5, v5
	v_mac_f32_e32 v4, 0xcf800000, v5
	v_cvt_u32_f32_e32 v5, v5
	v_cvt_u32_f32_e32 v4, v4
	v_readfirstlane_b32 s12, v5
	v_readfirstlane_b32 s8, v4
	s_mul_i32 s9, s10, s12
	s_mul_hi_u32 s48, s10, s8
	s_mul_i32 s13, s11, s8
	s_add_i32 s9, s48, s9
	s_mul_i32 s49, s10, s8
	s_add_i32 s9, s9, s13
	s_mul_hi_u32 s48, s8, s49
	s_mul_i32 s50, s8, s9
	s_mul_hi_u32 s13, s8, s9
	s_add_u32 s48, s48, s50
	s_addc_u32 s13, 0, s13
	s_mul_hi_u32 s51, s12, s49
	s_mul_i32 s49, s12, s49
	s_add_u32 s48, s48, s49
	s_mul_hi_u32 s50, s12, s9
	s_addc_u32 s13, s13, s51
	s_addc_u32 s48, s50, 0
	s_mul_i32 s9, s12, s9
	s_add_u32 s9, s13, s9
	s_addc_u32 s13, 0, s48
	s_add_u32 s48, s8, s9
	s_cselect_b64 s[8:9], -1, 0
	s_cmp_lg_u64 s[8:9], 0
	s_addc_u32 s12, s12, s13
	s_mul_i32 s8, s10, s12
	s_mul_hi_u32 s9, s10, s48
	s_add_i32 s8, s9, s8
	s_mul_i32 s11, s11, s48
	s_add_i32 s8, s8, s11
	s_mul_i32 s10, s10, s48
	s_mul_hi_u32 s11, s12, s10
	s_mul_i32 s13, s12, s10
	s_mul_i32 s50, s48, s8
	s_mul_hi_u32 s10, s48, s10
	s_mul_hi_u32 s49, s48, s8
	s_add_u32 s10, s10, s50
	s_addc_u32 s49, 0, s49
	s_add_u32 s10, s10, s13
	s_mul_hi_u32 s9, s12, s8
	s_addc_u32 s10, s49, s11
	s_addc_u32 s9, s9, 0
	s_mul_i32 s8, s12, s8
	s_add_u32 s8, s10, s8
	s_addc_u32 s10, 0, s9
	s_add_u32 s11, s48, s8
	s_cselect_b64 s[8:9], -1, 0
	s_cmp_lg_u64 s[8:9], 0
	s_addc_u32 s8, s12, s10
	v_readlane_b32 s48, v49, 51
	s_mul_i32 s10, s48, s8
	s_mul_hi_u32 s12, s48, s11
	s_mul_hi_u32 s9, s48, s8
	s_add_u32 s10, s12, s10
	s_addc_u32 s9, 0, s9
	s_mul_hi_u32 s13, s53, s11
	s_mul_i32 s11, s53, s11
	s_add_u32 s10, s10, s11
	s_mul_hi_u32 s12, s53, s8
	s_addc_u32 s9, s9, s13
	s_addc_u32 s10, s12, 0
	s_mul_i32 s8, s53, s8
	s_add_u32 s8, s9, s8
	s_addc_u32 s9, 0, s10
	s_mul_i32 s9, s75, s9
	s_mul_hi_u32 s10, s75, s8
	s_add_i32 s10, s10, s9
	s_mul_i32 s8, s75, s8
	s_sub_u32 s11, s48, s8
	s_cselect_b64 s[8:9], -1, 0
	s_cmp_lg_u64 s[8:9], 0
	s_subb_u32 s10, s53, s10
	s_sub_u32 s12, s11, s75
	s_cselect_b64 s[8:9], -1, 0
	s_cmp_lg_u64 s[8:9], 0
	s_subb_u32 s13, s10, 0
	;; [unrolled: 4-line block ×3, first 2 shown]
	s_cmp_ge_u32 s12, s75
	s_cselect_b32 s9, -1, 0
	s_cmp_eq_u32 s13, 0
	s_cselect_b32 s9, s9, -1
	s_cmp_lg_u32 s9, 0
	s_cselect_b32 s8, s8, s13
	s_cselect_b32 s12, s48, s12
	s_cmp_ge_u32 s11, s75
	s_cselect_b32 s9, -1, 0
	s_cmp_eq_u32 s10, 0
	s_cselect_b32 s9, s9, -1
	s_cmp_lg_u32 s9, 0
	s_cselect_b32 s9, s8, s10
	s_cselect_b32 s8, s12, s11
	s_mov_b64 s[10:11], 0
	s_branch .LBB150_439
.LBB150_438:                            ;   in Loop: Header=BB150_18 Depth=1
	s_mov_b64 s[10:11], -1
                                        ; implicit-def: $sgpr8_sgpr9
.LBB150_439:                            ;   in Loop: Header=BB150_18 Depth=1
	s_andn2_b64 vcc, exec, s[10:11]
	s_cbranch_vccnz .LBB150_441
; %bb.440:                              ;   in Loop: Header=BB150_18 Depth=1
	v_cvt_f32_u32_e32 v4, s75
	s_sub_i32 s8, 0, s75
	v_readlane_b32 s10, v49, 51
	v_rcp_iflag_f32_e32 v4, v4
	v_mul_f32_e32 v4, 0x4f7ffffe, v4
	v_cvt_u32_f32_e32 v4, v4
	v_readfirstlane_b32 s9, v4
	s_mul_i32 s8, s8, s9
	s_mul_hi_u32 s8, s9, s8
	s_add_i32 s9, s9, s8
	s_mul_hi_u32 s8, s10, s9
	s_mul_i32 s8, s8, s75
	s_sub_i32 s8, s10, s8
	s_sub_i32 s9, s8, s75
	s_cmp_ge_u32 s8, s75
	s_cselect_b32 s8, s9, s8
	s_sub_i32 s9, s8, s75
	s_cmp_ge_u32 s8, s75
	s_mov_b32 s10, s90
	s_cselect_b32 s90, s9, s8
	s_mov_b64 s[8:9], s[90:91]
	s_mov_b32 s90, s10
.LBB150_441:                            ;   in Loop: Header=BB150_18 Depth=1
	v_readlane_b32 s10, v49, 51
	v_readlane_b32 s12, v49, 53
	s_sub_u32 s10, s10, s8
	v_readlane_b32 s13, v49, 54
	s_subb_u32 s11, s13, s9
	v_cmp_gt_u64_e32 vcc, s[10:11], v[0:1]
                                        ; implicit-def: $vgpr18
	s_and_saveexec_b64 s[8:9], vcc
	s_cbranch_execz .LBB150_450
; %bb.442:                              ;   in Loop: Header=BB150_18 Depth=1
	v_mov_b32_e32 v5, v1
	s_mov_b64 s[12:13], 0
	v_mov_b32_e32 v4, v0
                                        ; implicit-def: $sgpr48_sgpr49
	s_branch .LBB150_445
.LBB150_443:                            ;   in Loop: Header=BB150_445 Depth=2
	s_or_b64 exec, exec, s[50:51]
	s_waitcnt lgkmcnt(0)
	s_barrier
	ds_read_b64 v[17:18], v13 offset:3072
	s_mov_b64 s[50:51], -1
	s_mov_b64 s[52:53], -1
	s_waitcnt lgkmcnt(0)
	s_barrier
	v_cmp_eq_u32_e32 vcc, 0, v17
	s_cbranch_vccnz .LBB150_448
.LBB150_444:                            ;   in Loop: Header=BB150_445 Depth=2
	s_and_b64 s[50:51], exec, s[50:51]
	s_or_b64 s[12:13], s[50:51], s[12:13]
	s_andn2_b64 s[48:49], s[48:49], exec
	s_and_b64 s[50:51], s[52:53], exec
	s_or_b64 s[48:49], s[48:49], s[50:51]
	s_andn2_b64 exec, exec, s[12:13]
	s_cbranch_execz .LBB150_449
.LBB150_445:                            ;   Parent Loop BB150_18 Depth=1
                                        ; =>  This Inner Loop Header: Depth=2
	v_cmp_gt_u64_e32 vcc, s[60:61], v[4:5]
	s_and_saveexec_b64 s[50:51], vcc
	s_cbranch_execz .LBB150_443
; %bb.446:                              ;   in Loop: Header=BB150_445 Depth=2
	v_mul_lo_u32 v9, v5, s58
	v_mul_lo_u32 v12, v4, s59
	v_mad_u64_u32 v[6:7], s[52:53], v4, s58, 0
	v_add3_u32 v7, v7, v12, v9
	v_lshlrev_b64 v[6:7], 2, v[6:7]
	v_mov_b32_e32 v9, s74
	v_add_co_u32_e32 v6, vcc, s33, v6
	v_addc_co_u32_e32 v7, vcc, v9, v7, vcc
	global_load_dword v17, v[6:7], off
	s_waitcnt vmcnt(0)
	v_xor_b32_e32 v6, 0x80000000, v17
	v_and_b32_e32 v6, v6, v35
	v_cmp_eq_u32_e32 vcc, v6, v30
	s_and_b64 exec, exec, vcc
	s_cbranch_execz .LBB150_443
; %bb.447:                              ;   in Loop: Header=BB150_445 Depth=2
	ds_write_b64 v13, v[16:17] offset:3072
	s_branch .LBB150_443
.LBB150_448:                            ;   in Loop: Header=BB150_445 Depth=2
	v_add_co_u32_e32 v4, vcc, s75, v4
	v_addc_co_u32_e32 v5, vcc, 0, v5, vcc
	v_cmp_le_u64_e32 vcc, s[10:11], v[4:5]
	s_mov_b64 s[52:53], 0
	s_orn2_b64 s[50:51], vcc, exec
	s_branch .LBB150_444
.LBB150_449:                            ;   in Loop: Header=BB150_18 Depth=1
	s_or_b64 exec, exec, s[12:13]
	s_andn2_b64 s[4:5], s[4:5], exec
	s_and_b64 s[10:11], s[48:49], exec
	s_or_b64 s[4:5], s[4:5], s[10:11]
.LBB150_450:                            ;   in Loop: Header=BB150_18 Depth=1
	s_or_b64 exec, exec, s[8:9]
	s_mov_b64 s[48:49], 0
	s_mov_b64 s[50:51], -1
.LBB150_451:                            ;   in Loop: Header=BB150_18 Depth=1
	s_orn2_b64 s[8:9], s[4:5], exec
.LBB150_452:                            ;   in Loop: Header=BB150_18 Depth=1
	s_or_b64 exec, exec, s[46:47]
	s_mov_b64 s[10:11], 0
	s_and_saveexec_b64 s[4:5], s[8:9]
	s_cbranch_execz .LBB150_463
; %bb.453:                              ;   in Loop: Header=BB150_18 Depth=1
	v_mov_b32_e32 v4, 1
	s_xor_b64 s[10:11], s[44:45], -1
	v_mov_b32_e32 v5, 0
	v_mov_b32_e32 v8, 1
	s_and_saveexec_b64 s[8:9], s[10:11]
	s_cbranch_execz .LBB150_462
; %bb.454:                              ;   in Loop: Header=BB150_18 Depth=1
	v_cmp_ge_u64_e32 vcc, s[16:17], v[2:3]
	s_and_saveexec_b64 s[10:11], vcc
	s_xor_b64 s[10:11], exec, s[10:11]
	s_cbranch_execz .LBB150_459
; %bb.455:                              ;   in Loop: Header=BB150_18 Depth=1
	ds_read_b64 v[4:5], v13 offset:5120
	v_and_b32_e32 v30, s90, v30
	v_or_b32_e32 v35, s73, v35
	s_waitcnt lgkmcnt(0)
	v_cmp_ne_u64_e32 vcc, 0, v[4:5]
	s_cbranch_vccnz .LBB150_459
; %bb.456:                              ;   in Loop: Header=BB150_18 Depth=1
	s_mov_b64 s[12:13], exec
	v_readlane_b32 s44, v49, 32
	v_readlane_b32 s45, v49, 33
	s_and_b64 s[44:45], s[12:13], s[44:45]
	s_mov_b64 exec, s[44:45]
; %bb.457:                              ;   in Loop: Header=BB150_18 Depth=1
	v_mov_b32_e32 v4, s16
	v_mov_b32_e32 v5, s17
	ds_write_b64 v13, v[4:5] offset:5128
; %bb.458:                              ;   in Loop: Header=BB150_18 Depth=1
	s_or_b64 exec, exec, s[12:13]
	s_waitcnt lgkmcnt(0)
	s_barrier
.LBB150_459:                            ;   in Loop: Header=BB150_18 Depth=1
	s_andn2_saveexec_b64 s[10:11], s[10:11]
; %bb.460:                              ;   in Loop: Header=BB150_18 Depth=1
	v_mov_b32_e32 v4, s17
	v_subrev_co_u32_e32 v2, vcc, s16, v2
	v_subb_co_u32_e32 v3, vcc, v3, v4, vcc
; %bb.461:                              ;   in Loop: Header=BB150_18 Depth=1
	s_or_b64 exec, exec, s[10:11]
	v_mov_b32_e32 v5, v3
	v_mov_b32_e32 v8, 5
	;; [unrolled: 1-line block ×3, first 2 shown]
.LBB150_462:                            ;   in Loop: Header=BB150_18 Depth=1
	s_or_b64 exec, exec, s[8:9]
	v_mov_b32_e32 v2, v4
	s_mov_b64 s[10:11], exec
	v_mov_b32_e32 v3, v5
.LBB150_463:                            ;   in Loop: Header=BB150_18 Depth=1
	s_or_b64 exec, exec, s[4:5]
	s_orn2_b64 s[4:5], s[10:11], exec
.LBB150_464:                            ;   in Loop: Header=BB150_18 Depth=1
	s_or_b64 exec, exec, s[20:21]
	s_andn2_b64 s[8:9], s[42:43], exec
	s_and_b64 s[10:11], s[50:51], exec
	s_or_b64 s[42:43], s[8:9], s[10:11]
	s_andn2_b64 s[8:9], s[40:41], exec
	s_and_b64 s[10:11], s[48:49], exec
	v_mov_b32_e32 v5, v3
	s_or_b64 s[40:41], s[8:9], s[10:11]
	s_and_b64 s[8:9], s[4:5], exec
	v_mov_b32_e32 v4, v2
.LBB150_465:                            ;   in Loop: Header=BB150_18 Depth=1
	s_or_b64 exec, exec, s[30:31]
	s_orn2_b64 s[4:5], s[8:9], exec
.LBB150_466:                            ;   in Loop: Header=BB150_18 Depth=1
	s_or_b64 exec, exec, s[22:23]
	s_andn2_b64 s[8:9], s[36:37], exec
	s_and_b64 s[10:11], s[42:43], exec
	s_or_b64 s[36:37], s[8:9], s[10:11]
	s_andn2_b64 s[8:9], s[24:25], exec
	s_and_b64 s[10:11], s[40:41], exec
	v_mov_b32_e32 v2, v4
	s_or_b64 s[24:25], s[8:9], s[10:11]
	s_and_b64 s[8:9], s[4:5], exec
	v_mov_b32_e32 v3, v5
.LBB150_467:                            ;   in Loop: Header=BB150_18 Depth=1
	s_or_b64 exec, exec, s[38:39]
	s_orn2_b64 s[4:5], s[8:9], exec
.LBB150_468:                            ;   in Loop: Header=BB150_18 Depth=1
	s_or_b64 exec, exec, s[6:7]
	s_mov_b64 s[6:7], s[28:29]
	s_mov_b64 s[8:9], s[26:27]
	s_and_saveexec_b64 s[10:11], s[4:5]
; %bb.469:                              ;   in Loop: Header=BB150_18 Depth=1
	v_cmp_ne_u32_e64 s[6:7], 5, v8
	v_cmp_eq_u32_e32 vcc, 5, v8
	s_andn2_b64 s[4:5], s[26:27], exec
	s_and_b64 s[6:7], s[6:7], exec
	s_or_b64 s[8:9], s[4:5], s[6:7]
	s_andn2_b64 s[4:5], s[28:29], exec
	s_and_b64 s[6:7], vcc, exec
	s_or_b64 s[6:7], s[4:5], s[6:7]
; %bb.470:                              ;   in Loop: Header=BB150_18 Depth=1
	s_or_b64 exec, exec, s[10:11]
	s_andn2_b64 s[4:5], s[14:15], exec
	s_and_b64 s[10:11], s[36:37], exec
	s_or_b64 s[14:15], s[4:5], s[10:11]
	s_andn2_b64 s[4:5], s[18:19], exec
	s_and_b64 s[10:11], s[24:25], exec
	s_or_b64 s[18:19], s[4:5], s[10:11]
	s_andn2_b64 s[4:5], s[26:27], exec
	s_and_b64 s[8:9], s[8:9], exec
	s_or_b64 s[26:27], s[4:5], s[8:9]
	s_andn2_b64 s[4:5], s[28:29], exec
	s_and_b64 s[6:7], s[6:7], exec
	s_or_b64 s[28:29], s[4:5], s[6:7]
.LBB150_471:                            ;   in Loop: Header=BB150_18 Depth=1
	s_or_b64 exec, exec, s[34:35]
	s_mov_b64 s[34:35], 0
	s_mov_b64 s[36:37], 0
	s_and_saveexec_b64 s[4:5], s[28:29]
.LBB150_472:                            ;   in Loop: Header=BB150_18 Depth=1
	v_mov_b32_e32 v8, 0
	s_or_b64 s[26:27], s[26:27], exec
.LBB150_473:                            ;   in Loop: Header=BB150_18 Depth=1
	s_or_b64 exec, exec, s[4:5]
	s_andn2_b64 s[4:5], s[76:77], exec
	s_and_b64 s[8:9], s[14:15], exec
	s_or_b64 s[76:77], s[4:5], s[8:9]
	s_andn2_b64 s[4:5], s[86:87], exec
	s_and_b64 s[8:9], s[18:19], exec
	s_or_b64 s[86:87], s[4:5], s[8:9]
	;; [unrolled: 3-line block ×3, first 2 shown]
	s_andn2_b64 s[4:5], s[70:71], exec
	s_and_b64 s[8:9], s[34:35], exec
	v_mov_b32_e32 v20, v3
	s_mov_b64 s[6:7], -1
	s_andn2_b64 s[78:79], s[78:79], exec
	s_or_b64 s[70:71], s[4:5], s[8:9]
	v_mov_b32_e32 v19, v2
	s_and_saveexec_b64 s[4:5], s[26:27]
	s_xor_b64 s[4:5], exec, s[4:5]
	s_cbranch_execz .LBB150_17
; %bb.474:                              ;   in Loop: Header=BB150_18 Depth=1
	v_cmp_eq_u32_e32 vcc, 0, v8
	s_mov_b64 s[8:9], -1
	s_and_saveexec_b64 s[10:11], vcc
	s_cbranch_execz .LBB150_16
; %bb.475:                              ;   in Loop: Header=BB150_18 Depth=1
	s_add_i32 s12, s72, -2
	s_cmp_eq_u32 s72, 0
	s_cselect_b64 s[6:7], -1, 0
	v_xor_b32_e32 v34, 1, v34
	s_xor_b64 s[8:9], exec, -1
	s_orn2_b64 s[6:7], s[6:7], exec
	s_mov_b32 s72, s12
	s_branch .LBB150_16
.LBB150_476:
	s_or_b64 exec, exec, s[82:83]
	s_xor_b64 s[4:5], s[68:69], -1
	s_xor_b64 s[8:9], s[66:67], -1
	;; [unrolled: 1-line block ×5, first 2 shown]
	s_mov_b64 s[6:7], 0
	s_and_saveexec_b64 s[10:11], s[0:1]
	s_xor_b64 s[10:11], exec, s[10:11]
	s_cbranch_execnz .LBB150_481
; %bb.477:
	s_andn2_saveexec_b64 s[0:1], s[10:11]
	s_cbranch_execnz .LBB150_500
.LBB150_478:
	s_or_b64 exec, exec, s[0:1]
	s_and_saveexec_b64 s[0:1], s[6:7]
.LBB150_479:
	; divergent unreachable
.LBB150_480:
	s_endpgm
.LBB150_481:
	s_and_saveexec_b64 s[0:1], s[12:13]
	s_xor_b64 s[12:13], exec, s[0:1]
	s_cbranch_execz .LBB150_498
; %bb.482:
	s_and_saveexec_b64 s[0:1], s[8:9]
	s_xor_b64 s[14:15], exec, s[0:1]
	s_cbranch_execz .LBB150_496
; %bb.483:
	;; [unrolled: 4-line block ×3, first 2 shown]
	s_and_saveexec_b64 s[0:1], s[2:3]
	s_xor_b64 s[2:3], exec, s[0:1]
; %bb.485:
	v_xor_b32_e32 v18, 0x80000000, v30
; %bb.486:
	s_or_b64 exec, exec, s[2:3]
	s_mov_b64 s[2:3], exec
	v_readlane_b32 s0, v49, 32
	v_readlane_b32 s1, v49, 33
	;; [unrolled: 1-line block ×4, first 2 shown]
	s_and_b64 s[0:1], s[2:3], s[0:1]
	v_readlane_b32 s23, v49, 37
	v_readlane_b32 s18, v49, 34
	;; [unrolled: 1-line block ×4, first 2 shown]
	s_mov_b64 exec, s[0:1]
; %bb.487:
	v_mov_b32_e32 v2, 0
	v_mov_b32_e32 v3, v2
	ds_write_b64 v2, v[2:3] offset:5136
; %bb.488:
	s_or_b64 exec, exec, s[2:3]
	v_mov_b32_e32 v14, 0
	s_waitcnt lgkmcnt(0)
	s_barrier
	s_mov_b64 s[2:3], exec
	v_readlane_b32 s0, v49, 44
	v_readlane_b32 s1, v49, 45
	;; [unrolled: 1-line block ×3, first 2 shown]
	s_and_b64 s[0:1], s[2:3], s[0:1]
	v_readlane_b32 s5, v49, 23
	s_mov_b64 exec, s[0:1]
	s_cbranch_execz .LBB150_490
; %bb.489:
	global_load_dword v14, v[10:11], off
.LBB150_490:
	s_or_b64 exec, exec, s[2:3]
	v_readlane_b32 s28, v49, 24
	s_add_u32 s0, s60, 63
	v_readlane_b32 s30, v49, 26
	v_readlane_b32 s31, v49, 27
	s_addc_u32 s9, s61, 0
	s_and_b32 s8, s0, 0xffffffc0
	s_mul_i32 s0, s4, s31
	s_mul_hi_u32 s1, s4, s30
	s_add_i32 s1, s1, s0
	s_mul_i32 s0, s4, s30
	v_readlane_b32 s6, v49, 10
	s_sub_u32 s0, s18, s0
	v_readlane_b32 s7, v49, 11
	s_subb_u32 s1, 0, s1
	s_mul_i32 s2, s0, s7
	s_mul_hi_u32 s3, s0, s6
	s_add_i32 s2, s3, s2
	s_mul_i32 s1, s1, s6
	s_add_i32 s3, s2, s1
	s_mul_i32 s2, s0, s6
	v_readlane_b32 s24, v49, 4
	v_readlane_b32 s0, v49, 0
	;; [unrolled: 1-line block ×4, first 2 shown]
	s_mov_b32 s6, s0
	s_mul_i32 s0, s0, s25
	s_mul_hi_u32 s1, s6, s24
	s_add_i32 s1, s1, s0
	s_mul_i32 s0, s6, s24
	v_readlane_b32 s20, v49, 2
	v_readlane_b32 s36, v49, 18
	;; [unrolled: 1-line block ×3, first 2 shown]
	s_sub_u32 s0, s20, s0
	v_readlane_b32 s38, v49, 20
	v_readlane_b32 s39, v49, 21
	s_subb_u32 s1, s21, s1
	s_mov_b64 s[30:31], s[4:5]
	s_mul_i32 s4, s0, s39
	s_mul_hi_u32 s5, s0, s38
	v_readlane_b32 s37, v49, 19
	s_add_i32 s4, s5, s4
	s_mul_i32 s1, s1, s38
	v_readlane_b32 s26, v49, 6
	v_readlane_b32 s27, v49, 7
	s_add_i32 s1, s4, s1
	s_mul_i32 s4, s6, s37
	s_mul_hi_u32 s5, s6, s36
	s_add_i32 s5, s5, s4
	s_mul_i32 s4, s6, s36
	s_mul_i32 s6, s20, s27
	s_mul_hi_u32 s7, s20, s26
	s_add_i32 s7, s7, s6
	s_mul_i32 s6, s20, s26
	v_readlane_b32 s20, v49, 16
	s_sub_u32 s6, s18, s6
	v_readlane_b32 s21, v49, 17
	s_subb_u32 s7, 0, s7
	s_mul_i32 s18, s6, s21
	s_mul_hi_u32 s19, s6, s20
	s_add_i32 s18, s19, s18
	s_mul_i32 s7, s7, s20
	s_add_i32 s7, s18, s7
	v_readlane_b32 s18, v49, 8
	v_readlane_b32 s29, v49, 25
	;; [unrolled: 1-line block ×3, first 2 shown]
	s_mov_b32 s24, s18
	s_mul_i32 s18, s18, s29
	s_mul_hi_u32 s19, s24, s28
	s_add_i32 s19, s19, s18
	s_mul_i32 s18, s24, s28
	s_sub_u32 s18, s30, s18
	s_subb_u32 s19, s31, s19
	v_readlane_b32 s28, v49, 12
	v_readlane_b32 s30, v49, 14
	;; [unrolled: 1-line block ×3, first 2 shown]
	s_mul_i32 s6, s6, s20
	s_mul_i32 s20, s18, s31
	s_mul_hi_u32 s21, s18, s30
	v_readlane_b32 s29, v49, 13
	s_add_i32 s20, s21, s20
	s_mul_i32 s19, s19, s30
	s_add_i32 s19, s20, s19
	s_mul_i32 s20, s24, s29
	s_mul_hi_u32 s21, s24, s28
	s_add_i32 s21, s21, s20
	s_mul_i32 s20, s24, s28
	s_lshl_b64 s[4:5], s[4:5], 2
	v_readlane_b32 s24, v49, 30
	s_mul_i32 s0, s0, s38
	v_readlane_b32 s25, v49, 31
	s_add_u32 s4, s24, s4
	s_addc_u32 s5, s25, s5
	s_lshl_b64 s[0:1], s[0:1], 2
	s_add_u32 s4, s4, s0
	s_addc_u32 s5, s5, s1
	s_lshl_b64 s[0:1], s[6:7], 2
	;; [unrolled: 3-line block ×3, first 2 shown]
	v_readlane_b32 s6, v49, 28
	s_mul_i32 s18, s18, s30
	v_readlane_b32 s7, v49, 29
	s_add_u32 s6, s6, s4
	s_addc_u32 s7, s7, s5
	s_lshl_b64 s[4:5], s[18:19], 3
	s_load_dwordx2 s[18:19], s[22:23], 0x368
	s_load_dwordx2 s[20:21], s[22:23], 0x510
	s_add_u32 s4, s6, s4
	s_addc_u32 s5, s7, s5
	s_lshl_b64 s[2:3], s[2:3], 3
	s_add_u32 s38, s4, s2
	v_cmp_gt_u64_e32 vcc, s[8:9], v[0:1]
	s_addc_u32 s39, s5, s3
	s_mov_b64 s[24:25], -1
	s_mov_b64 s[2:3], 0
	s_mov_b64 s[4:5], 0
	s_and_saveexec_b64 s[22:23], vcc
	s_cbranch_execnz .LBB150_501
; %bb.491:
	s_or_b64 exec, exec, s[22:23]
	s_and_saveexec_b64 s[6:7], s[24:25]
	s_cbranch_execnz .LBB150_516
.LBB150_492:
	s_or_b64 exec, exec, s[6:7]
	s_and_saveexec_b64 s[0:1], s[4:5]
	s_xor_b64 s[0:1], exec, s[0:1]
	s_cbranch_execnz .LBB150_539
.LBB150_493:
	s_or_b64 exec, exec, s[0:1]
	s_and_b64 s[6:7], s[2:3], exec
.LBB150_494:
	s_andn2_saveexec_b64 s[0:1], s[16:17]
	s_cbranch_execnz .LBB150_541
.LBB150_495:
	s_or_b64 exec, exec, s[0:1]
	s_and_b64 s[6:7], s[6:7], exec
.LBB150_496:
	s_andn2_saveexec_b64 s[0:1], s[14:15]
	s_cbranch_execnz .LBB150_540
.LBB150_497:
	s_or_b64 exec, exec, s[0:1]
	s_and_b64 s[6:7], s[6:7], exec
.LBB150_498:
	s_andn2_saveexec_b64 s[0:1], s[12:13]
	s_cbranch_execnz .LBB150_535
.LBB150_499:
	s_or_b64 exec, exec, s[0:1]
	s_and_b64 s[6:7], s[6:7], exec
	s_andn2_saveexec_b64 s[0:1], s[10:11]
	s_cbranch_execz .LBB150_478
.LBB150_500:
	s_or_b64 s[6:7], s[6:7], exec
	s_trap 2
	s_or_b64 exec, exec, s[0:1]
	s_and_saveexec_b64 s[0:1], s[6:7]
	s_cbranch_execnz .LBB150_479
	s_branch .LBB150_480
.LBB150_501:
	v_mov_b32_e32 v9, v1
	v_xor_b32_e32 v15, 0x80000000, v18
	s_mov_b64 s[24:25], 0
	v_mov_b32_e32 v3, 0
	v_mov_b32_e32 v8, v0
                                        ; implicit-def: $sgpr26_sgpr27
                                        ; implicit-def: $vgpr6_vgpr7
	s_branch .LBB150_503
.LBB150_502:                            ;   in Loop: Header=BB150_503 Depth=1
	s_or_b64 exec, exec, s[30:31]
	s_xor_b64 s[4:5], s[28:29], -1
	s_and_b64 s[6:7], exec, s[6:7]
	s_or_b64 s[24:25], s[6:7], s[24:25]
	s_andn2_b64 s[6:7], s[26:27], exec
	s_and_b64 s[4:5], s[4:5], exec
	v_mov_b32_e32 v9, v5
	s_or_b64 s[26:27], s[6:7], s[4:5]
	v_mov_b32_e32 v14, v16
	v_mov_b32_e32 v8, v4
	s_andn2_b64 exec, exec, s[24:25]
	s_cbranch_execz .LBB150_515
.LBB150_503:                            ; =>This Inner Loop Header: Depth=1
	v_add_co_u32_e64 v4, s[4:5], s75, v8
	v_addc_co_u32_e64 v5, s[4:5], 0, v9, s[4:5]
	v_cmp_gt_u64_e64 s[4:5], s[60:61], v[4:5]
	v_mov_b32_e32 v16, 0
	s_and_saveexec_b64 s[6:7], s[4:5]
	s_cbranch_execz .LBB150_505
; %bb.504:                              ;   in Loop: Header=BB150_503 Depth=1
	v_mul_lo_u32 v2, v5, s58
	v_mul_lo_u32 v16, v4, s59
	v_mad_u64_u32 v[12:13], s[4:5], v4, s58, 0
	v_add3_u32 v13, v13, v16, v2
	v_lshlrev_b64 v[12:13], 2, v[12:13]
	v_mov_b32_e32 v2, s74
	v_add_co_u32_e64 v12, s[4:5], s33, v12
	v_addc_co_u32_e64 v13, s[4:5], v2, v13, s[4:5]
	global_load_dword v16, v[12:13], off
.LBB150_505:                            ;   in Loop: Header=BB150_503 Depth=1
	s_or_b64 exec, exec, s[6:7]
	s_waitcnt vmcnt(0)
	v_xor_b32_e32 v2, 0x80000000, v14
	v_cmp_gt_u32_e64 s[6:7], v2, v15
	v_cndmask_b32_e64 v12, 0, 1, s[6:7]
	v_cmp_lt_u32_e64 s[6:7], v2, v15
	v_cndmask_b32_e64 v2, 0, 1, s[6:7]
	v_cndmask_b32_e64 v2, v2, v12, s[42:43]
	v_cmp_gt_u64_e64 s[4:5], s[60:61], v[8:9]
	v_and_b32_e32 v2, 1, v2
	v_cmp_eq_u32_e64 s[6:7], 1, v2
	s_and_b64 s[30:31], s[4:5], s[6:7]
	v_cndmask_b32_e64 v2, 0, 1, s[30:31]
	v_cmp_ne_u32_e64 s[4:5], 0, v2
	s_cmp_lg_u64 s[4:5], 0
	s_cselect_b64 s[6:7], -1, 0
	s_and_b64 s[6:7], s[94:95], s[6:7]
	s_and_saveexec_b64 s[28:29], s[6:7]
	s_cbranch_execz .LBB150_509
; %bb.506:                              ;   in Loop: Header=BB150_503 Depth=1
	s_mov_b64 s[36:37], exec
	v_mbcnt_lo_u32_b32 v2, s36, 0
	v_mbcnt_hi_u32_b32 v12, s37, v2
	s_bcnt1_i32_b64 s40, s[4:5]
	v_cmp_eq_u32_e64 s[6:7], 0, v12
                                        ; implicit-def: $vgpr6_vgpr7
	s_and_saveexec_b64 s[34:35], s[6:7]
	s_cbranch_execz .LBB150_508
; %bb.507:                              ;   in Loop: Header=BB150_503 Depth=1
	s_bcnt1_i32_b64 s6, s[36:37]
	s_mul_i32 s6, s40, s6
	v_mov_b32_e32 v2, s6
	s_waitcnt lgkmcnt(0)
	ds_add_rtn_u64 v[6:7], v3, v[2:3] offset:5136
.LBB150_508:                            ;   in Loop: Header=BB150_503 Depth=1
	s_or_b64 exec, exec, s[34:35]
	s_waitcnt lgkmcnt(0)
	v_readfirstlane_b32 s6, v7
	v_readfirstlane_b32 s7, v6
	v_mov_b32_e32 v6, s7
	v_mov_b32_e32 v7, s6
	v_mad_u64_u32 v[6:7], s[6:7], s40, v12, v[6:7]
.LBB150_509:                            ;   in Loop: Header=BB150_503 Depth=1
	s_or_b64 exec, exec, s[28:29]
	s_waitcnt lgkmcnt(0)
	ds_bpermute_b32 v6, v23, v6
	ds_bpermute_b32 v7, v23, v7
	s_mov_b64 s[6:7], -1
	s_mov_b64 s[34:35], -1
	s_and_saveexec_b64 s[28:29], s[30:31]
	s_cbranch_execz .LBB150_513
; %bb.510:                              ;   in Loop: Header=BB150_503 Depth=1
	v_and_b32_e32 v12, s4, v25
	v_and_b32_e32 v2, s5, v24
	v_bcnt_u32_b32 v12, v12, 0
	v_bcnt_u32_b32 v2, v2, v12
	s_waitcnt lgkmcnt(0)
	v_add_co_u32_e64 v12, s[4:5], v6, v2
	v_addc_co_u32_e64 v13, s[4:5], 0, v7, s[4:5]
	v_cmp_gt_u64_e64 s[4:5], s[62:63], v[12:13]
	s_mov_b64 s[30:31], 0
	s_and_saveexec_b64 s[34:35], s[4:5]
; %bb.511:                              ;   in Loop: Header=BB150_503 Depth=1
	v_mul_lo_u32 v2, v13, s18
	v_mul_lo_u32 v17, v12, s19
	v_mad_u64_u32 v[19:20], s[4:5], v12, s18, 0
	v_mul_lo_u32 v21, v13, s20
	v_mul_lo_u32 v22, v12, s21
	v_mad_u64_u32 v[12:13], s[4:5], v12, s20, 0
	v_add3_u32 v20, v20, v17, v2
	v_lshlrev_b64 v[19:20], 2, v[19:20]
	v_add3_u32 v13, v13, v22, v21
	v_mov_b32_e32 v2, s1
	v_add_co_u32_e64 v19, s[4:5], s0, v19
	v_lshlrev_b64 v[12:13], 3, v[12:13]
	v_addc_co_u32_e64 v20, s[4:5], v2, v20, s[4:5]
	v_mov_b32_e32 v2, s39
	v_add_co_u32_e64 v12, s[4:5], s38, v12
	s_mov_b64 s[30:31], exec
	v_addc_co_u32_e64 v13, s[4:5], v2, v13, s[4:5]
	global_store_dword v[19:20], v14, off
	global_store_dwordx2 v[12:13], v[8:9], off
; %bb.512:                              ;   in Loop: Header=BB150_503 Depth=1
	s_or_b64 exec, exec, s[34:35]
	s_orn2_b64 s[34:35], s[30:31], exec
.LBB150_513:                            ;   in Loop: Header=BB150_503 Depth=1
	s_or_b64 exec, exec, s[28:29]
	s_mov_b64 s[28:29], -1
	s_and_saveexec_b64 s[30:31], s[34:35]
	s_cbranch_execz .LBB150_502
; %bb.514:                              ;   in Loop: Header=BB150_503 Depth=1
	v_cmp_le_u64_e64 s[4:5], s[8:9], v[4:5]
	s_xor_b64 s[28:29], exec, -1
	s_orn2_b64 s[6:7], s[4:5], exec
	s_branch .LBB150_502
.LBB150_515:
	s_or_b64 exec, exec, s[24:25]
	s_mov_b64 s[4:5], exec
	s_orn2_b64 s[24:25], s[26:27], exec
	s_or_b64 exec, exec, s[22:23]
	s_and_saveexec_b64 s[6:7], s[24:25]
	s_cbranch_execz .LBB150_492
.LBB150_516:
	v_mov_b32_e32 v2, 0
	s_waitcnt vmcnt(0) lgkmcnt(0)
	s_barrier
	s_mov_b64 s[2:3], exec
	v_readlane_b32 s22, v49, 44
	v_readlane_b32 s23, v49, 45
	s_and_b64 s[22:23], s[2:3], s[22:23]
	s_mov_b64 exec, s[22:23]
	s_cbranch_execz .LBB150_518
; %bb.517:
	global_load_dword v2, v[10:11], off
.LBB150_518:
	s_or_b64 exec, exec, s[2:3]
	s_mov_b64 s[2:3], 0
	s_and_saveexec_b64 s[22:23], vcc
	s_cbranch_execz .LBB150_538
; %bb.519:
	s_mov_b64 s[24:25], 0
	v_mov_b32_e32 v3, 0
                                        ; implicit-def: $sgpr26_sgpr27
                                        ; implicit-def: $vgpr6_vgpr7
	s_branch .LBB150_522
.LBB150_520:                            ;   in Loop: Header=BB150_522 Depth=1
	s_or_b64 exec, exec, s[30:31]
	s_orn2_b64 s[34:35], s[36:37], exec
	s_orn2_b64 s[30:31], s[28:29], exec
.LBB150_521:                            ;   in Loop: Header=BB150_522 Depth=1
	s_or_b64 exec, exec, s[2:3]
	s_xor_b64 s[2:3], s[34:35], -1
	s_and_b64 s[28:29], exec, s[30:31]
	s_or_b64 s[24:25], s[28:29], s[24:25]
	s_andn2_b64 s[26:27], s[26:27], exec
	s_and_b64 s[2:3], s[2:3], exec
	v_mov_b32_e32 v0, v4
	s_or_b64 s[26:27], s[26:27], s[2:3]
	v_mov_b32_e32 v1, v5
	v_mov_b32_e32 v2, v10
	s_andn2_b64 exec, exec, s[24:25]
	s_cbranch_execz .LBB150_536
.LBB150_522:                            ; =>This Inner Loop Header: Depth=1
	v_add_co_u32_e32 v4, vcc, s75, v0
	v_addc_co_u32_e32 v5, vcc, 0, v1, vcc
	v_cmp_gt_u64_e32 vcc, s[60:61], v[4:5]
	v_mov_b32_e32 v10, 0
	s_and_saveexec_b64 s[2:3], vcc
	s_cbranch_execz .LBB150_524
; %bb.523:                              ;   in Loop: Header=BB150_522 Depth=1
	v_mul_lo_u32 v10, v5, s58
	v_mul_lo_u32 v11, v4, s59
	v_mad_u64_u32 v[8:9], s[28:29], v4, s58, 0
	v_add3_u32 v9, v9, v11, v10
	v_lshlrev_b64 v[8:9], 2, v[8:9]
	v_mov_b32_e32 v10, s74
	v_add_co_u32_e32 v8, vcc, s33, v8
	v_addc_co_u32_e32 v9, vcc, v10, v9, vcc
	global_load_dword v10, v[8:9], off
.LBB150_524:                            ;   in Loop: Header=BB150_522 Depth=1
	s_or_b64 exec, exec, s[2:3]
	v_cmp_gt_u64_e32 vcc, s[60:61], v[0:1]
	s_waitcnt vmcnt(0)
	v_cmp_eq_u32_e64 s[2:3], v2, v18
	s_and_b64 s[28:29], vcc, s[2:3]
	v_cndmask_b32_e64 v2, 0, 1, s[28:29]
	v_cmp_ne_u32_e32 vcc, 0, v2
	s_cmp_lg_u64 vcc, 0
	s_cselect_b64 s[2:3], -1, 0
	s_and_b64 s[2:3], s[94:95], s[2:3]
	s_and_saveexec_b64 s[30:31], s[2:3]
	s_cbranch_execz .LBB150_528
; %bb.525:                              ;   in Loop: Header=BB150_522 Depth=1
	s_mov_b64 s[36:37], exec
	v_mbcnt_lo_u32_b32 v2, s36, 0
	v_mbcnt_hi_u32_b32 v8, s37, v2
	s_bcnt1_i32_b64 s40, vcc
	v_cmp_eq_u32_e64 s[2:3], 0, v8
                                        ; implicit-def: $vgpr6_vgpr7
	s_and_saveexec_b64 s[34:35], s[2:3]
; %bb.526:                              ;   in Loop: Header=BB150_522 Depth=1
	s_bcnt1_i32_b64 s2, s[36:37]
	s_mul_i32 s2, s40, s2
	v_mov_b32_e32 v2, s2
	ds_add_rtn_u64 v[6:7], v3, v[2:3] offset:5136
; %bb.527:                              ;   in Loop: Header=BB150_522 Depth=1
	s_or_b64 exec, exec, s[34:35]
	s_waitcnt lgkmcnt(0)
	v_readfirstlane_b32 s2, v7
	v_readfirstlane_b32 s3, v6
	v_mov_b32_e32 v6, s3
	v_mov_b32_e32 v7, s2
	v_mad_u64_u32 v[6:7], s[2:3], s40, v8, v[6:7]
.LBB150_528:                            ;   in Loop: Header=BB150_522 Depth=1
	s_or_b64 exec, exec, s[30:31]
	ds_bpermute_b32 v6, v23, v6
	ds_bpermute_b32 v7, v23, v7
	s_cmp_eq_u64 vcc, 0
	s_cselect_b64 s[34:35], -1, 0
	s_mov_b64 s[30:31], -1
	s_waitcnt lgkmcnt(0)
	v_cmp_gt_u64_e64 s[2:3], s[62:63], v[6:7]
	s_or_b64 s[36:37], s[34:35], s[2:3]
	s_mov_b64 s[34:35], -1
	s_and_saveexec_b64 s[2:3], s[36:37]
	s_cbranch_execz .LBB150_521
; %bb.529:                              ;   in Loop: Header=BB150_522 Depth=1
	v_and_b32_e32 v8, vcc_lo, v25
	v_and_b32_e32 v2, vcc_hi, v24
	v_bcnt_u32_b32 v8, v8, 0
	v_bcnt_u32_b32 v2, v2, v8
	v_mov_b32_e32 v9, s63
	v_sub_co_u32_e32 v8, vcc, s62, v6
	v_subb_co_u32_e32 v9, vcc, v9, v7, vcc
	v_cmp_gt_u64_e32 vcc, v[8:9], v[2:3]
	s_mov_b64 s[36:37], -1
	s_and_b64 s[40:41], s[28:29], vcc
	s_mov_b64 s[28:29], -1
	s_and_saveexec_b64 s[30:31], s[40:41]
	s_cbranch_execz .LBB150_533
; %bb.530:                              ;   in Loop: Header=BB150_522 Depth=1
	v_add_co_u32_e32 v8, vcc, v6, v2
	v_addc_co_u32_e32 v9, vcc, 0, v7, vcc
	v_cmp_gt_u64_e32 vcc, s[62:63], v[8:9]
	s_mov_b64 s[34:35], 0
	s_and_saveexec_b64 s[36:37], vcc
; %bb.531:                              ;   in Loop: Header=BB150_522 Depth=1
	v_mul_lo_u32 v2, v9, s18
	v_mul_lo_u32 v13, v8, s19
	v_mad_u64_u32 v[11:12], s[40:41], v8, s18, 0
	v_mul_lo_u32 v14, v9, s20
	v_mul_lo_u32 v15, v8, s21
	v_mad_u64_u32 v[8:9], s[40:41], v8, s20, 0
	v_add3_u32 v12, v12, v13, v2
	v_lshlrev_b64 v[11:12], 2, v[11:12]
	v_add3_u32 v9, v9, v15, v14
	v_mov_b32_e32 v2, s1
	v_add_co_u32_e32 v11, vcc, s0, v11
	v_lshlrev_b64 v[8:9], 3, v[8:9]
	v_addc_co_u32_e32 v12, vcc, v2, v12, vcc
	v_mov_b32_e32 v2, s39
	v_add_co_u32_e32 v8, vcc, s38, v8
	s_mov_b64 s[34:35], exec
	v_addc_co_u32_e32 v9, vcc, v2, v9, vcc
	global_store_dword v[11:12], v18, off
	global_store_dwordx2 v[8:9], v[0:1], off
; %bb.532:                              ;   in Loop: Header=BB150_522 Depth=1
	s_or_b64 exec, exec, s[36:37]
	s_xor_b64 s[36:37], exec, -1
	s_orn2_b64 s[34:35], s[34:35], exec
.LBB150_533:                            ;   in Loop: Header=BB150_522 Depth=1
	s_or_b64 exec, exec, s[30:31]
	s_and_saveexec_b64 s[30:31], s[34:35]
	s_cbranch_execz .LBB150_520
; %bb.534:                              ;   in Loop: Header=BB150_522 Depth=1
	v_cmp_le_u64_e32 vcc, s[8:9], v[4:5]
	s_or_b64 s[36:37], s[36:37], exec
	s_orn2_b64 s[28:29], vcc, exec
	s_branch .LBB150_520
.LBB150_535:
	s_or_b64 s[6:7], s[6:7], exec
	s_trap 2
	s_branch .LBB150_499
.LBB150_536:
	s_or_b64 exec, exec, s[24:25]
	s_mov_b64 s[0:1], 0
	s_and_saveexec_b64 s[2:3], s[26:27]
	s_xor_b64 s[2:3], exec, s[2:3]
	s_cbranch_execnz .LBB150_542
.LBB150_537:
	s_or_b64 exec, exec, s[2:3]
	s_and_b64 s[2:3], s[0:1], exec
.LBB150_538:
	s_or_b64 exec, exec, s[22:23]
	s_and_b64 s[2:3], s[2:3], exec
	s_andn2_b64 s[4:5], s[4:5], exec
	s_or_b64 exec, exec, s[6:7]
	s_and_saveexec_b64 s[0:1], s[4:5]
	s_xor_b64 s[0:1], exec, s[0:1]
	s_cbranch_execz .LBB150_493
.LBB150_539:
	s_trap 2
	s_or_b64 s[2:3], s[2:3], exec
	s_branch .LBB150_493
.LBB150_540:
	s_or_b64 s[6:7], s[6:7], exec
	s_trap 2
	s_branch .LBB150_497
.LBB150_541:
	s_trap 2
	s_or_b64 s[6:7], s[6:7], exec
	s_branch .LBB150_495
.LBB150_542:
	s_mov_b64 s[0:1], exec
	s_trap 2
	s_branch .LBB150_537
	.section	.rodata,"a",@progbits
	.p2align	6, 0x0
	.amdhsa_kernel _ZN2at6native6sbtopk10gatherTopKIimLi3ELb0EEEvNS_4cuda6detail10TensorInfoIKT_T0_EES8_S8_bS8_S8_NS5_IS6_S8_EES8_NS5_IlS8_EES8_PS6_
		.amdhsa_group_segment_fixed_size 5152
		.amdhsa_private_segment_fixed_size 0
		.amdhsa_kernarg_size 1568
		.amdhsa_user_sgpr_count 6
		.amdhsa_user_sgpr_private_segment_buffer 1
		.amdhsa_user_sgpr_dispatch_ptr 0
		.amdhsa_user_sgpr_queue_ptr 0
		.amdhsa_user_sgpr_kernarg_segment_ptr 1
		.amdhsa_user_sgpr_dispatch_id 0
		.amdhsa_user_sgpr_flat_scratch_init 0
		.amdhsa_user_sgpr_private_segment_size 0
		.amdhsa_uses_dynamic_stack 0
		.amdhsa_system_sgpr_private_segment_wavefront_offset 0
		.amdhsa_system_sgpr_workgroup_id_x 1
		.amdhsa_system_sgpr_workgroup_id_y 1
		.amdhsa_system_sgpr_workgroup_id_z 1
		.amdhsa_system_sgpr_workgroup_info 0
		.amdhsa_system_vgpr_workitem_id 0
		.amdhsa_next_free_vgpr 50
		.amdhsa_next_free_sgpr 96
		.amdhsa_reserve_vcc 1
		.amdhsa_reserve_flat_scratch 0
		.amdhsa_float_round_mode_32 0
		.amdhsa_float_round_mode_16_64 0
		.amdhsa_float_denorm_mode_32 3
		.amdhsa_float_denorm_mode_16_64 3
		.amdhsa_dx10_clamp 1
		.amdhsa_ieee_mode 1
		.amdhsa_fp16_overflow 0
		.amdhsa_exception_fp_ieee_invalid_op 0
		.amdhsa_exception_fp_denorm_src 0
		.amdhsa_exception_fp_ieee_div_zero 0
		.amdhsa_exception_fp_ieee_overflow 0
		.amdhsa_exception_fp_ieee_underflow 0
		.amdhsa_exception_fp_ieee_inexact 0
		.amdhsa_exception_int_div_zero 0
	.end_amdhsa_kernel
	.section	.text._ZN2at6native6sbtopk10gatherTopKIimLi3ELb0EEEvNS_4cuda6detail10TensorInfoIKT_T0_EES8_S8_bS8_S8_NS5_IS6_S8_EES8_NS5_IlS8_EES8_PS6_,"axG",@progbits,_ZN2at6native6sbtopk10gatherTopKIimLi3ELb0EEEvNS_4cuda6detail10TensorInfoIKT_T0_EES8_S8_bS8_S8_NS5_IS6_S8_EES8_NS5_IlS8_EES8_PS6_,comdat
.Lfunc_end150:
	.size	_ZN2at6native6sbtopk10gatherTopKIimLi3ELb0EEEvNS_4cuda6detail10TensorInfoIKT_T0_EES8_S8_bS8_S8_NS5_IS6_S8_EES8_NS5_IlS8_EES8_PS6_, .Lfunc_end150-_ZN2at6native6sbtopk10gatherTopKIimLi3ELb0EEEvNS_4cuda6detail10TensorInfoIKT_T0_EES8_S8_bS8_S8_NS5_IS6_S8_EES8_NS5_IlS8_EES8_PS6_
                                        ; -- End function
	.set _ZN2at6native6sbtopk10gatherTopKIimLi3ELb0EEEvNS_4cuda6detail10TensorInfoIKT_T0_EES8_S8_bS8_S8_NS5_IS6_S8_EES8_NS5_IlS8_EES8_PS6_.num_vgpr, 50
	.set _ZN2at6native6sbtopk10gatherTopKIimLi3ELb0EEEvNS_4cuda6detail10TensorInfoIKT_T0_EES8_S8_bS8_S8_NS5_IS6_S8_EES8_NS5_IlS8_EES8_PS6_.num_agpr, 0
	.set _ZN2at6native6sbtopk10gatherTopKIimLi3ELb0EEEvNS_4cuda6detail10TensorInfoIKT_T0_EES8_S8_bS8_S8_NS5_IS6_S8_EES8_NS5_IlS8_EES8_PS6_.numbered_sgpr, 96
	.set _ZN2at6native6sbtopk10gatherTopKIimLi3ELb0EEEvNS_4cuda6detail10TensorInfoIKT_T0_EES8_S8_bS8_S8_NS5_IS6_S8_EES8_NS5_IlS8_EES8_PS6_.num_named_barrier, 0
	.set _ZN2at6native6sbtopk10gatherTopKIimLi3ELb0EEEvNS_4cuda6detail10TensorInfoIKT_T0_EES8_S8_bS8_S8_NS5_IS6_S8_EES8_NS5_IlS8_EES8_PS6_.private_seg_size, 0
	.set _ZN2at6native6sbtopk10gatherTopKIimLi3ELb0EEEvNS_4cuda6detail10TensorInfoIKT_T0_EES8_S8_bS8_S8_NS5_IS6_S8_EES8_NS5_IlS8_EES8_PS6_.uses_vcc, 1
	.set _ZN2at6native6sbtopk10gatherTopKIimLi3ELb0EEEvNS_4cuda6detail10TensorInfoIKT_T0_EES8_S8_bS8_S8_NS5_IS6_S8_EES8_NS5_IlS8_EES8_PS6_.uses_flat_scratch, 0
	.set _ZN2at6native6sbtopk10gatherTopKIimLi3ELb0EEEvNS_4cuda6detail10TensorInfoIKT_T0_EES8_S8_bS8_S8_NS5_IS6_S8_EES8_NS5_IlS8_EES8_PS6_.has_dyn_sized_stack, 0
	.set _ZN2at6native6sbtopk10gatherTopKIimLi3ELb0EEEvNS_4cuda6detail10TensorInfoIKT_T0_EES8_S8_bS8_S8_NS5_IS6_S8_EES8_NS5_IlS8_EES8_PS6_.has_recursion, 0
	.set _ZN2at6native6sbtopk10gatherTopKIimLi3ELb0EEEvNS_4cuda6detail10TensorInfoIKT_T0_EES8_S8_bS8_S8_NS5_IS6_S8_EES8_NS5_IlS8_EES8_PS6_.has_indirect_call, 0
	.section	.AMDGPU.csdata,"",@progbits
; Kernel info:
; codeLenInByte = 26588
; TotalNumSgprs: 100
; NumVgprs: 50
; ScratchSize: 0
; MemoryBound: 0
; FloatMode: 240
; IeeeMode: 1
; LDSByteSize: 5152 bytes/workgroup (compile time only)
; SGPRBlocks: 12
; VGPRBlocks: 12
; NumSGPRsForWavesPerEU: 100
; NumVGPRsForWavesPerEU: 50
; Occupancy: 4
; WaveLimiterHint : 1
; COMPUTE_PGM_RSRC2:SCRATCH_EN: 0
; COMPUTE_PGM_RSRC2:USER_SGPR: 6
; COMPUTE_PGM_RSRC2:TRAP_HANDLER: 0
; COMPUTE_PGM_RSRC2:TGID_X_EN: 1
; COMPUTE_PGM_RSRC2:TGID_Y_EN: 1
; COMPUTE_PGM_RSRC2:TGID_Z_EN: 1
; COMPUTE_PGM_RSRC2:TIDIG_COMP_CNT: 0
	.section	.text._ZN2at6native6mbtopk23computeBlockDigitCountsIimjLin1EEEvNS_4cuda6detail10TensorInfoIKT_T0_EEjPjjS8_iijT1_PSB_Ps,"axG",@progbits,_ZN2at6native6mbtopk23computeBlockDigitCountsIimjLin1EEEvNS_4cuda6detail10TensorInfoIKT_T0_EEjPjjS8_iijT1_PSB_Ps,comdat
	.protected	_ZN2at6native6mbtopk23computeBlockDigitCountsIimjLin1EEEvNS_4cuda6detail10TensorInfoIKT_T0_EEjPjjS8_iijT1_PSB_Ps ; -- Begin function _ZN2at6native6mbtopk23computeBlockDigitCountsIimjLin1EEEvNS_4cuda6detail10TensorInfoIKT_T0_EEjPjjS8_iijT1_PSB_Ps
	.globl	_ZN2at6native6mbtopk23computeBlockDigitCountsIimjLin1EEEvNS_4cuda6detail10TensorInfoIKT_T0_EEjPjjS8_iijT1_PSB_Ps
	.p2align	8
	.type	_ZN2at6native6mbtopk23computeBlockDigitCountsIimjLin1EEEvNS_4cuda6detail10TensorInfoIKT_T0_EEjPjjS8_iijT1_PSB_Ps,@function
_ZN2at6native6mbtopk23computeBlockDigitCountsIimjLin1EEEvNS_4cuda6detail10TensorInfoIKT_T0_EEjPjjS8_iijT1_PSB_Ps: ; @_ZN2at6native6mbtopk23computeBlockDigitCountsIimjLin1EEEvNS_4cuda6detail10TensorInfoIKT_T0_EEjPjjS8_iijT1_PSB_Ps
; %bb.0:
	s_load_dwordx4 s[0:3], s[4:5], 0x1c0
	s_load_dword s9, s[4:5], 0x1b0
	s_load_dwordx2 s[10:11], s[4:5], 0x1e0
	s_mov_b32 s13, 0
	s_waitcnt lgkmcnt(0)
	v_cvt_f32_u32_e32 v1, s2
	s_mul_i32 s8, s11, s8
	s_add_i32 s7, s8, s7
	v_rcp_iflag_f32_e32 v1, v1
	s_mul_i32 s24, s7, s10
	s_sub_i32 s11, 0, s2
	s_add_i32 s24, s24, s6
	v_mul_f32_e32 v1, 0x4f7ffffe, v1
	v_cvt_u32_f32_e32 v1, v1
	v_readfirstlane_b32 s6, v1
	s_mul_i32 s11, s11, s6
	s_mul_hi_u32 s7, s6, s11
	s_add_i32 s6, s6, s7
	s_mul_hi_u32 s6, s24, s6
	s_mul_i32 s7, s6, s2
	s_sub_i32 s7, s24, s7
	s_add_i32 s8, s6, 1
	s_sub_i32 s10, s7, s2
	s_cmp_ge_u32 s7, s2
	s_cselect_b32 s6, s8, s6
	s_cselect_b32 s7, s10, s7
	s_add_i32 s8, s6, 1
	s_cmp_ge_u32 s7, s2
	s_cselect_b32 s12, s8, s6
	s_cmp_ge_u32 s12, s9
	s_cbranch_scc1 .LBB151_28
; %bb.1:
	s_load_dwordx4 s[8:11], s[4:5], 0x1d0
	s_load_dword s14, s[4:5], 0x198
	s_lshl_b64 s[6:7], s[12:13], 2
	s_mov_b64 s[20:21], s[12:13]
	s_waitcnt lgkmcnt(0)
	s_add_u32 s8, s8, s6
	s_addc_u32 s9, s9, s7
	s_cmp_lt_i32 s14, 2
	s_mov_b64 s[6:7], 0
	s_cbranch_scc1 .LBB151_7
; %bb.2:
	s_add_i32 s16, s14, -1
	s_mov_b32 s17, 0
	s_add_i32 s13, s14, 1
	s_lshl_b64 s[6:7], s[16:17], 3
	s_add_u32 s6, s4, s6
	s_addc_u32 s7, s5, s7
	s_add_u32 s18, s6, 8
	s_addc_u32 s19, s7, 0
	s_mov_b64 s[6:7], 0
.LBB151_3:                              ; =>This Inner Loop Header: Depth=1
	s_load_dwordx2 s[22:23], s[18:19], 0x0
	s_mov_b64 s[14:15], 0
	s_waitcnt lgkmcnt(0)
	v_mov_b32_e32 v1, s22
	v_mov_b32_e32 v2, s23
	v_cmp_lt_u64_e32 vcc, s[20:21], v[1:2]
	s_cbranch_vccnz .LBB151_5
; %bb.4:                                ;   in Loop: Header=BB151_3 Depth=1
	v_cvt_f32_u32_e32 v1, s22
	s_sub_i32 s14, 0, s22
	v_rcp_iflag_f32_e32 v1, v1
	v_mul_f32_e32 v1, 0x4f7ffffe, v1
	v_cvt_u32_f32_e32 v1, v1
	v_readfirstlane_b32 s15, v1
	s_mul_i32 s14, s14, s15
	s_mul_hi_u32 s14, s15, s14
	s_add_i32 s15, s15, s14
	s_mul_hi_u32 s14, s20, s15
	s_mul_i32 s16, s14, s22
	s_sub_i32 s16, s20, s16
	s_add_i32 s15, s14, 1
	s_sub_i32 s25, s16, s22
	s_cmp_ge_u32 s16, s22
	s_cselect_b32 s14, s15, s14
	s_cselect_b32 s16, s25, s16
	s_add_i32 s15, s14, 1
	s_cmp_ge_u32 s16, s22
	s_cselect_b32 s16, s15, s14
	s_mov_b64 s[14:15], s[16:17]
.LBB151_5:                              ;   in Loop: Header=BB151_3 Depth=1
	s_load_dwordx2 s[26:27], s[18:19], 0xc8
	s_mul_i32 s16, s14, s23
	s_mul_hi_u32 s23, s14, s22
	s_add_i32 s23, s23, s16
	s_mul_i32 s16, s14, s22
	s_sub_u32 s16, s20, s16
	s_subb_u32 s20, s21, s23
	s_waitcnt lgkmcnt(0)
	s_mul_i32 s20, s26, s20
	s_mul_hi_u32 s21, s26, s16
	s_add_i32 s20, s21, s20
	s_mul_i32 s21, s27, s16
	s_add_i32 s20, s20, s21
	s_mul_i32 s16, s26, s16
	s_add_u32 s6, s16, s6
	s_addc_u32 s7, s20, s7
	s_add_i32 s13, s13, -1
	s_add_u32 s18, s18, -8
	s_addc_u32 s19, s19, -1
	s_cmp_gt_u32 s13, 2
	s_cbranch_scc0 .LBB151_8
; %bb.6:                                ;   in Loop: Header=BB151_3 Depth=1
	s_mov_b64 s[20:21], s[14:15]
	s_branch .LBB151_3
.LBB151_7:
	s_mov_b64 s[14:15], s[20:21]
.LBB151_8:
	s_load_dword s13, s[8:9], 0x0
	s_movk_i32 s8, 0x100
	v_cmp_gt_u32_e32 vcc, s8, v0
	v_lshlrev_b32_e32 v1, 2, v0
	s_and_saveexec_b64 s[8:9], vcc
; %bb.9:
	v_mov_b32_e32 v2, 0
	ds_write_b32 v1, v2
; %bb.10:
	s_or_b64 exec, exec, s[8:9]
	s_load_dword s15, s[4:5], 0x1a0
	s_mul_i32 s8, s12, s2
	s_sub_i32 s8, s24, s8
	s_add_i32 s12, s8, 1
	s_mul_i32 s8, s1, s8
	s_lshl_b32 s16, s8, 8
	s_waitcnt lgkmcnt(0)
	s_sub_i32 s8, s15, s16
	s_add_u32 s8, s8, 0xff
	s_addc_u32 s9, 0, 0
	s_lshr_b64 s[8:9], s[8:9], 8
	s_cmp_lt_u32 s12, s2
	s_cselect_b32 s12, s1, s8
	s_cmp_lt_i32 s12, 1
	s_mov_b32 s1, 0
	s_barrier
	s_cbranch_scc1 .LBB151_26
; %bb.11:
	s_load_dwordx2 s[18:19], s[4:5], 0xd0
	s_load_dwordx2 s[8:9], s[4:5], 0x1b8
	;; [unrolled: 1-line block ×3, first 2 shown]
	v_add_u32_e32 v2, s16, v0
	s_waitcnt lgkmcnt(0)
	s_mul_i32 s2, s19, s14
	s_mul_hi_u32 s5, s18, s14
	s_mul_i32 s4, s18, s14
	s_add_i32 s5, s5, s2
	s_lshl_b64 s[4:5], s[4:5], 2
	s_add_u32 s2, s20, s4
	s_addc_u32 s14, s21, s5
	s_lshl_b64 s[4:5], s[6:7], 2
	s_add_u32 s6, s2, s4
	s_addc_u32 s7, s14, s5
	s_and_b32 s2, s0, 0xff
	s_cmp_eq_u32 s12, 1
	s_cbranch_scc1 .LBB151_21
; %bb.12:
	s_and_b32 s14, s12, 0x7ffffffe
	s_mov_b32 s16, 0
	v_mov_b32_e32 v3, 1
	v_mov_b32_e32 v4, v2
	s_branch .LBB151_14
.LBB151_13:                             ;   in Loop: Header=BB151_14 Depth=1
	s_or_b64 exec, exec, s[4:5]
	s_add_i32 s16, s16, 2
	s_cmp_eq_u32 s14, s16
	v_add_u32_e32 v4, 0x200, v4
	s_cbranch_scc1 .LBB151_20
.LBB151_14:                             ; =>This Inner Loop Header: Depth=1
	v_cmp_gt_u32_e64 s[0:1], s15, v4
	s_and_saveexec_b64 s[4:5], s[0:1]
	s_cbranch_execz .LBB151_17
; %bb.15:                               ;   in Loop: Header=BB151_14 Depth=1
	v_mad_u64_u32 v[5:6], s[0:1], s8, v4, 0
	v_mad_u64_u32 v[6:7], s[0:1], s9, v4, v[6:7]
	v_mov_b32_e32 v7, s7
	v_lshlrev_b64 v[5:6], 2, v[5:6]
	v_add_co_u32_e64 v5, s[0:1], s6, v5
	v_addc_co_u32_e64 v6, s[0:1], v7, v6, s[0:1]
	global_load_dword v5, v[5:6], off
	s_waitcnt vmcnt(0)
	v_xor_b32_e32 v5, 0x80000000, v5
	v_xor_b32_e32 v6, s13, v5
	v_and_b32_e32 v6, s3, v6
	v_cmp_eq_u32_e64 s[0:1], 0, v6
	s_and_b64 exec, exec, s[0:1]
; %bb.16:                               ;   in Loop: Header=BB151_14 Depth=1
	v_bfe_u32 v5, v5, s2, 8
	v_lshlrev_b32_e32 v5, 2, v5
	ds_add_u32 v5, v3
.LBB151_17:                             ;   in Loop: Header=BB151_14 Depth=1
	s_or_b64 exec, exec, s[4:5]
	v_add_u32_e32 v5, 0x100, v4
	v_cmp_gt_u32_e64 s[0:1], s15, v5
	s_and_saveexec_b64 s[4:5], s[0:1]
	s_cbranch_execz .LBB151_13
; %bb.18:                               ;   in Loop: Header=BB151_14 Depth=1
	v_mad_u64_u32 v[6:7], s[0:1], s8, v5, 0
	v_mad_u64_u32 v[7:8], s[0:1], s9, v5, v[7:8]
	v_mov_b32_e32 v8, s7
	v_lshlrev_b64 v[5:6], 2, v[6:7]
	v_add_co_u32_e64 v5, s[0:1], s6, v5
	v_addc_co_u32_e64 v6, s[0:1], v8, v6, s[0:1]
	global_load_dword v5, v[5:6], off
	s_waitcnt vmcnt(0)
	v_xor_b32_e32 v5, 0x80000000, v5
	v_xor_b32_e32 v6, s13, v5
	v_and_b32_e32 v6, s3, v6
	v_cmp_eq_u32_e64 s[0:1], 0, v6
	s_and_b64 exec, exec, s[0:1]
	s_cbranch_execz .LBB151_13
; %bb.19:                               ;   in Loop: Header=BB151_14 Depth=1
	v_bfe_u32 v5, v5, s2, 8
	v_lshlrev_b32_e32 v5, 2, v5
	ds_add_u32 v5, v3
	s_branch .LBB151_13
.LBB151_20:
	s_lshl_b32 s1, s14, 8
.LBB151_21:
	s_bitcmp0_b32 s12, 0
	s_cbranch_scc1 .LBB151_26
; %bb.22:
	v_add_u32_e32 v2, s1, v2
	v_cmp_gt_u32_e64 s[0:1], s15, v2
	s_and_saveexec_b64 s[4:5], s[0:1]
	s_cbranch_execz .LBB151_25
; %bb.23:
	v_mad_u64_u32 v[3:4], s[0:1], s8, v2, 0
	v_mad_u64_u32 v[4:5], s[0:1], s9, v2, v[4:5]
	v_mov_b32_e32 v5, s7
	v_lshlrev_b64 v[2:3], 2, v[3:4]
	v_add_co_u32_e64 v2, s[0:1], s6, v2
	v_addc_co_u32_e64 v3, s[0:1], v5, v3, s[0:1]
	global_load_dword v2, v[2:3], off
	s_waitcnt vmcnt(0)
	v_xor_b32_e32 v2, 0x80000000, v2
	v_xor_b32_e32 v3, s13, v2
	v_and_b32_e32 v3, s3, v3
	v_cmp_eq_u32_e64 s[0:1], 0, v3
	s_and_b64 exec, exec, s[0:1]
; %bb.24:
	v_bfe_u32 v2, v2, s2, 8
	v_lshlrev_b32_e32 v2, 2, v2
	v_mov_b32_e32 v3, 1
	ds_add_u32 v2, v3
.LBB151_25:
	s_or_b64 exec, exec, s[4:5]
.LBB151_26:
	s_waitcnt lgkmcnt(0)
	s_barrier
	s_and_saveexec_b64 s[0:1], vcc
	s_cbranch_execz .LBB151_28
; %bb.27:
	v_lshl_or_b32 v2, s24, 8, v0
	v_mov_b32_e32 v3, 0
	ds_read_b32 v5, v1
	v_lshlrev_b64 v[2:3], 1, v[2:3]
	v_mov_b32_e32 v4, s11
	v_add_co_u32_e32 v0, vcc, s10, v2
	v_addc_co_u32_e32 v1, vcc, v4, v3, vcc
	s_waitcnt lgkmcnt(0)
	global_store_short v[0:1], v5, off
.LBB151_28:
	s_endpgm
	.section	.rodata,"a",@progbits
	.p2align	6, 0x0
	.amdhsa_kernel _ZN2at6native6mbtopk23computeBlockDigitCountsIimjLin1EEEvNS_4cuda6detail10TensorInfoIKT_T0_EEjPjjS8_iijT1_PSB_Ps
		.amdhsa_group_segment_fixed_size 1024
		.amdhsa_private_segment_fixed_size 0
		.amdhsa_kernarg_size 736
		.amdhsa_user_sgpr_count 6
		.amdhsa_user_sgpr_private_segment_buffer 1
		.amdhsa_user_sgpr_dispatch_ptr 0
		.amdhsa_user_sgpr_queue_ptr 0
		.amdhsa_user_sgpr_kernarg_segment_ptr 1
		.amdhsa_user_sgpr_dispatch_id 0
		.amdhsa_user_sgpr_flat_scratch_init 0
		.amdhsa_user_sgpr_private_segment_size 0
		.amdhsa_uses_dynamic_stack 0
		.amdhsa_system_sgpr_private_segment_wavefront_offset 0
		.amdhsa_system_sgpr_workgroup_id_x 1
		.amdhsa_system_sgpr_workgroup_id_y 1
		.amdhsa_system_sgpr_workgroup_id_z 1
		.amdhsa_system_sgpr_workgroup_info 0
		.amdhsa_system_vgpr_workitem_id 0
		.amdhsa_next_free_vgpr 9
		.amdhsa_next_free_sgpr 28
		.amdhsa_reserve_vcc 1
		.amdhsa_reserve_flat_scratch 0
		.amdhsa_float_round_mode_32 0
		.amdhsa_float_round_mode_16_64 0
		.amdhsa_float_denorm_mode_32 3
		.amdhsa_float_denorm_mode_16_64 3
		.amdhsa_dx10_clamp 1
		.amdhsa_ieee_mode 1
		.amdhsa_fp16_overflow 0
		.amdhsa_exception_fp_ieee_invalid_op 0
		.amdhsa_exception_fp_denorm_src 0
		.amdhsa_exception_fp_ieee_div_zero 0
		.amdhsa_exception_fp_ieee_overflow 0
		.amdhsa_exception_fp_ieee_underflow 0
		.amdhsa_exception_fp_ieee_inexact 0
		.amdhsa_exception_int_div_zero 0
	.end_amdhsa_kernel
	.section	.text._ZN2at6native6mbtopk23computeBlockDigitCountsIimjLin1EEEvNS_4cuda6detail10TensorInfoIKT_T0_EEjPjjS8_iijT1_PSB_Ps,"axG",@progbits,_ZN2at6native6mbtopk23computeBlockDigitCountsIimjLin1EEEvNS_4cuda6detail10TensorInfoIKT_T0_EEjPjjS8_iijT1_PSB_Ps,comdat
.Lfunc_end151:
	.size	_ZN2at6native6mbtopk23computeBlockDigitCountsIimjLin1EEEvNS_4cuda6detail10TensorInfoIKT_T0_EEjPjjS8_iijT1_PSB_Ps, .Lfunc_end151-_ZN2at6native6mbtopk23computeBlockDigitCountsIimjLin1EEEvNS_4cuda6detail10TensorInfoIKT_T0_EEjPjjS8_iijT1_PSB_Ps
                                        ; -- End function
	.set _ZN2at6native6mbtopk23computeBlockDigitCountsIimjLin1EEEvNS_4cuda6detail10TensorInfoIKT_T0_EEjPjjS8_iijT1_PSB_Ps.num_vgpr, 9
	.set _ZN2at6native6mbtopk23computeBlockDigitCountsIimjLin1EEEvNS_4cuda6detail10TensorInfoIKT_T0_EEjPjjS8_iijT1_PSB_Ps.num_agpr, 0
	.set _ZN2at6native6mbtopk23computeBlockDigitCountsIimjLin1EEEvNS_4cuda6detail10TensorInfoIKT_T0_EEjPjjS8_iijT1_PSB_Ps.numbered_sgpr, 28
	.set _ZN2at6native6mbtopk23computeBlockDigitCountsIimjLin1EEEvNS_4cuda6detail10TensorInfoIKT_T0_EEjPjjS8_iijT1_PSB_Ps.num_named_barrier, 0
	.set _ZN2at6native6mbtopk23computeBlockDigitCountsIimjLin1EEEvNS_4cuda6detail10TensorInfoIKT_T0_EEjPjjS8_iijT1_PSB_Ps.private_seg_size, 0
	.set _ZN2at6native6mbtopk23computeBlockDigitCountsIimjLin1EEEvNS_4cuda6detail10TensorInfoIKT_T0_EEjPjjS8_iijT1_PSB_Ps.uses_vcc, 1
	.set _ZN2at6native6mbtopk23computeBlockDigitCountsIimjLin1EEEvNS_4cuda6detail10TensorInfoIKT_T0_EEjPjjS8_iijT1_PSB_Ps.uses_flat_scratch, 0
	.set _ZN2at6native6mbtopk23computeBlockDigitCountsIimjLin1EEEvNS_4cuda6detail10TensorInfoIKT_T0_EEjPjjS8_iijT1_PSB_Ps.has_dyn_sized_stack, 0
	.set _ZN2at6native6mbtopk23computeBlockDigitCountsIimjLin1EEEvNS_4cuda6detail10TensorInfoIKT_T0_EEjPjjS8_iijT1_PSB_Ps.has_recursion, 0
	.set _ZN2at6native6mbtopk23computeBlockDigitCountsIimjLin1EEEvNS_4cuda6detail10TensorInfoIKT_T0_EEjPjjS8_iijT1_PSB_Ps.has_indirect_call, 0
	.section	.AMDGPU.csdata,"",@progbits
; Kernel info:
; codeLenInByte = 1172
; TotalNumSgprs: 32
; NumVgprs: 9
; ScratchSize: 0
; MemoryBound: 0
; FloatMode: 240
; IeeeMode: 1
; LDSByteSize: 1024 bytes/workgroup (compile time only)
; SGPRBlocks: 3
; VGPRBlocks: 2
; NumSGPRsForWavesPerEU: 32
; NumVGPRsForWavesPerEU: 9
; Occupancy: 10
; WaveLimiterHint : 0
; COMPUTE_PGM_RSRC2:SCRATCH_EN: 0
; COMPUTE_PGM_RSRC2:USER_SGPR: 6
; COMPUTE_PGM_RSRC2:TRAP_HANDLER: 0
; COMPUTE_PGM_RSRC2:TGID_X_EN: 1
; COMPUTE_PGM_RSRC2:TGID_Y_EN: 1
; COMPUTE_PGM_RSRC2:TGID_Z_EN: 1
; COMPUTE_PGM_RSRC2:TIDIG_COMP_CNT: 0
	.section	.text._ZN2at6native6mbtopk10gatherTopKIimLin1EEEvNS_4cuda6detail10TensorInfoIKT_T0_EES8_S8_bjS8_NS5_IS6_S8_EES8_NS5_IlS8_EES8_jjPS6_PjSD_j,"axG",@progbits,_ZN2at6native6mbtopk10gatherTopKIimLin1EEEvNS_4cuda6detail10TensorInfoIKT_T0_EES8_S8_bjS8_NS5_IS6_S8_EES8_NS5_IlS8_EES8_jjPS6_PjSD_j,comdat
	.protected	_ZN2at6native6mbtopk10gatherTopKIimLin1EEEvNS_4cuda6detail10TensorInfoIKT_T0_EES8_S8_bjS8_NS5_IS6_S8_EES8_NS5_IlS8_EES8_jjPS6_PjSD_j ; -- Begin function _ZN2at6native6mbtopk10gatherTopKIimLin1EEEvNS_4cuda6detail10TensorInfoIKT_T0_EES8_S8_bjS8_NS5_IS6_S8_EES8_NS5_IlS8_EES8_jjPS6_PjSD_j
	.globl	_ZN2at6native6mbtopk10gatherTopKIimLin1EEEvNS_4cuda6detail10TensorInfoIKT_T0_EES8_S8_bjS8_NS5_IS6_S8_EES8_NS5_IlS8_EES8_jjPS6_PjSD_j
	.p2align	8
	.type	_ZN2at6native6mbtopk10gatherTopKIimLin1EEEvNS_4cuda6detail10TensorInfoIKT_T0_EES8_S8_bjS8_NS5_IS6_S8_EES8_NS5_IlS8_EES8_jjPS6_PjSD_j,@function
_ZN2at6native6mbtopk10gatherTopKIimLin1EEEvNS_4cuda6detail10TensorInfoIKT_T0_EES8_S8_bjS8_NS5_IS6_S8_EES8_NS5_IlS8_EES8_jjPS6_PjSD_j: ; @_ZN2at6native6mbtopk10gatherTopKIimLin1EEEvNS_4cuda6detail10TensorInfoIKT_T0_EES8_S8_bjS8_NS5_IS6_S8_EES8_NS5_IlS8_EES8_jjPS6_PjSD_j
; %bb.0:
	s_load_dwordx2 s[0:1], s[4:5], 0x538
	s_load_dword s3, s[4:5], 0x530
	s_waitcnt lgkmcnt(0)
	s_mul_i32 s1, s1, s8
	s_add_i32 s1, s1, s7
	s_mul_i32 s2, s1, s0
	s_add_i32 s2, s2, s6
	s_cmp_ge_u32 s2, s3
	s_cbranch_scc1 .LBB152_61
; %bb.1:
	s_load_dwordx2 s[20:21], s[4:5], 0x510
	s_load_dwordx4 s[8:11], s[4:5], 0x1a0
	s_mov_b32 s1, 0
	s_waitcnt lgkmcnt(0)
	v_cvt_f32_u32_e32 v1, s21
	s_sub_i32 s0, 0, s21
	s_lshl_b32 s3, s20, 8
	v_rcp_iflag_f32_e32 v1, v1
	v_mul_f32_e32 v1, 0x4f7ffffe, v1
	v_cvt_u32_f32_e32 v1, v1
	v_readfirstlane_b32 s6, v1
	s_mul_i32 s0, s0, s6
	s_mul_hi_u32 s0, s6, s0
	s_add_i32 s6, s6, s0
	s_mul_hi_u32 s0, s2, s6
	s_mul_i32 s6, s0, s21
	s_sub_i32 s6, s2, s6
	s_add_i32 s7, s0, 1
	s_sub_i32 s12, s6, s21
	s_cmp_ge_u32 s6, s21
	s_cselect_b32 s0, s7, s0
	s_cselect_b32 s6, s12, s6
	s_add_i32 s7, s0, 1
	s_cmp_ge_u32 s6, s21
	s_cselect_b32 s0, s7, s0
	s_mul_i32 s6, s0, s21
	s_sub_i32 s54, s2, s6
	s_add_i32 s2, s54, 1
	s_cmp_lt_u32 s2, s21
	s_mul_i32 s33, s54, s3
	s_cbranch_scc1 .LBB152_3
; %bb.2:
	s_sub_u32 s2, s8, s33
	s_subb_u32 s3, s9, 0
	s_add_u32 s2, s2, 0xff
	s_addc_u32 s3, s3, 0
	s_ashr_i32 s7, s3, 31
	s_lshr_b32 s7, s7, 24
	s_add_u32 s2, s2, s7
	s_addc_u32 s3, s3, 0
	s_lshr_b64 s[2:3], s[2:3], 8
	s_mov_b32 s20, s2
.LBB152_3:
	s_load_dword s2, s[4:5], 0x198
	s_mov_b64 s[22:23], 0
	s_mov_b64 s[24:25], s[0:1]
	s_waitcnt lgkmcnt(0)
	s_cmp_lt_i32 s2, 2
	s_cbranch_scc1 .LBB152_9
; %bb.4:
	s_add_i32 s7, s2, 1
	s_add_i32 s2, s2, -1
	s_mov_b32 s3, 0
	s_lshl_b64 s[12:13], s[2:3], 3
	s_add_u32 s2, s4, s12
	s_addc_u32 s13, s5, s13
	s_add_u32 s12, s2, 8
	s_addc_u32 s13, s13, 0
	s_mov_b64 s[14:15], s[0:1]
.LBB152_5:                              ; =>This Inner Loop Header: Depth=1
	s_load_dwordx2 s[16:17], s[12:13], 0x0
	s_mov_b64 s[24:25], 0
	s_waitcnt lgkmcnt(0)
	v_mov_b32_e32 v1, s16
	v_mov_b32_e32 v2, s17
	v_cmp_lt_u64_e32 vcc, s[14:15], v[1:2]
	s_cbranch_vccnz .LBB152_7
; %bb.6:                                ;   in Loop: Header=BB152_5 Depth=1
	v_cvt_f32_u32_e32 v1, s16
	s_sub_i32 s2, 0, s16
	v_rcp_iflag_f32_e32 v1, v1
	v_mul_f32_e32 v1, 0x4f7ffffe, v1
	v_cvt_u32_f32_e32 v1, v1
	v_readfirstlane_b32 s18, v1
	s_mul_i32 s2, s2, s18
	s_mul_hi_u32 s2, s18, s2
	s_add_i32 s18, s18, s2
	s_mul_hi_u32 s2, s14, s18
	s_mul_i32 s19, s2, s16
	s_sub_i32 s19, s14, s19
	s_add_i32 s18, s2, 1
	s_sub_i32 s24, s19, s16
	s_cmp_ge_u32 s19, s16
	s_cselect_b32 s2, s18, s2
	s_cselect_b32 s19, s24, s19
	s_add_i32 s18, s2, 1
	s_cmp_ge_u32 s19, s16
	s_cselect_b32 s2, s18, s2
	s_mov_b64 s[24:25], s[2:3]
.LBB152_7:                              ;   in Loop: Header=BB152_5 Depth=1
	s_load_dwordx2 s[18:19], s[12:13], 0xc8
	s_mul_i32 s2, s24, s17
	s_mul_hi_u32 s17, s24, s16
	s_add_i32 s17, s17, s2
	s_mul_i32 s2, s24, s16
	s_sub_u32 s2, s14, s2
	s_subb_u32 s14, s15, s17
	s_waitcnt lgkmcnt(0)
	s_mul_i32 s14, s18, s14
	s_mul_hi_u32 s15, s18, s2
	s_add_i32 s14, s15, s14
	s_mul_i32 s15, s19, s2
	s_add_i32 s14, s14, s15
	s_mul_i32 s2, s18, s2
	s_add_u32 s22, s2, s22
	s_addc_u32 s23, s14, s23
	s_add_i32 s7, s7, -1
	s_add_u32 s12, s12, -8
	s_addc_u32 s13, s13, -1
	s_cmp_gt_u32 s7, 2
	s_cbranch_scc0 .LBB152_9
; %bb.8:                                ;   in Loop: Header=BB152_5 Depth=1
	s_mov_b64 s[14:15], s[24:25]
	s_branch .LBB152_5
.LBB152_9:
	s_load_dword s12, s[4:5], 0x358
	s_load_dwordx2 s[28:29], s[4:5], 0xd0
	s_add_u32 s2, s4, 0x1c0
	s_addc_u32 s3, s5, 0
	s_mov_b64 s[26:27], 0
	s_waitcnt lgkmcnt(0)
	s_cmp_lt_i32 s12, 2
	s_mov_b64 s[30:31], s[0:1]
	s_cbranch_scc1 .LBB152_15
; %bb.10:
	s_add_i32 s7, s12, 1
	s_add_i32 s12, s12, -1
	s_mov_b32 s13, 0
	s_lshl_b64 s[14:15], s[12:13], 3
	s_add_u32 s12, s2, s14
	s_addc_u32 s15, s3, s15
	s_add_u32 s14, s12, 8
	s_addc_u32 s15, s15, 0
	s_mov_b64 s[16:17], s[0:1]
.LBB152_11:                             ; =>This Inner Loop Header: Depth=1
	s_load_dwordx2 s[18:19], s[14:15], 0x0
	s_mov_b64 s[30:31], 0
	s_waitcnt lgkmcnt(0)
	v_mov_b32_e32 v1, s18
	v_mov_b32_e32 v2, s19
	v_cmp_lt_u64_e32 vcc, s[16:17], v[1:2]
	s_cbranch_vccnz .LBB152_13
; %bb.12:                               ;   in Loop: Header=BB152_11 Depth=1
	v_cvt_f32_u32_e32 v1, s18
	s_sub_i32 s12, 0, s18
	v_rcp_iflag_f32_e32 v1, v1
	v_mul_f32_e32 v1, 0x4f7ffffe, v1
	v_cvt_u32_f32_e32 v1, v1
	v_readfirstlane_b32 s25, v1
	s_mul_i32 s12, s12, s25
	s_mul_hi_u32 s12, s25, s12
	s_add_i32 s25, s25, s12
	s_mul_hi_u32 s12, s16, s25
	s_mul_i32 s30, s12, s18
	s_sub_i32 s30, s16, s30
	s_add_i32 s25, s12, 1
	s_sub_i32 s31, s30, s18
	s_cmp_ge_u32 s30, s18
	s_cselect_b32 s12, s25, s12
	s_cselect_b32 s30, s31, s30
	s_add_i32 s25, s12, 1
	s_cmp_ge_u32 s30, s18
	s_cselect_b32 s12, s25, s12
	s_mov_b64 s[30:31], s[12:13]
.LBB152_13:                             ;   in Loop: Header=BB152_11 Depth=1
	s_load_dwordx2 s[34:35], s[14:15], 0xc8
	s_mul_i32 s12, s30, s19
	s_mul_hi_u32 s19, s30, s18
	s_add_i32 s19, s19, s12
	s_mul_i32 s12, s30, s18
	s_sub_u32 s12, s16, s12
	s_subb_u32 s16, s17, s19
	s_waitcnt lgkmcnt(0)
	s_mul_i32 s16, s34, s16
	s_mul_hi_u32 s17, s34, s12
	s_add_i32 s16, s17, s16
	s_mul_i32 s17, s35, s12
	s_add_i32 s16, s16, s17
	s_mul_i32 s12, s34, s12
	s_add_u32 s26, s12, s26
	s_addc_u32 s27, s16, s27
	s_add_i32 s7, s7, -1
	s_add_u32 s14, s14, -8
	s_addc_u32 s15, s15, -1
	s_cmp_gt_u32 s7, 2
	s_cbranch_scc0 .LBB152_15
; %bb.14:                               ;   in Loop: Header=BB152_11 Depth=1
	s_mov_b64 s[16:17], s[30:31]
	s_branch .LBB152_11
.LBB152_15:
	s_load_dword s14, s[4:5], 0x500
	s_load_dwordx2 s[36:37], s[2:3], 0xd0
	s_add_u32 s12, s4, 0x368
	s_addc_u32 s13, s5, 0
	s_mov_b64 s[34:35], 0
	s_waitcnt lgkmcnt(0)
	s_cmp_lt_i32 s14, 2
	s_cbranch_scc1 .LBB152_21
; %bb.16:
	s_add_i32 s2, s14, -1
	s_mov_b32 s3, 0
	s_add_i32 s7, s14, 1
	s_lshl_b64 s[14:15], s[2:3], 3
	s_add_u32 s2, s12, s14
	s_addc_u32 s13, s13, s15
	s_add_u32 s12, s2, 8
	s_addc_u32 s13, s13, 0
	s_mov_b64 s[14:15], s[0:1]
.LBB152_17:                             ; =>This Inner Loop Header: Depth=1
	s_load_dwordx2 s[16:17], s[12:13], 0x0
	s_mov_b64 s[38:39], 0
	s_waitcnt lgkmcnt(0)
	v_mov_b32_e32 v1, s16
	v_mov_b32_e32 v2, s17
	v_cmp_lt_u64_e32 vcc, s[14:15], v[1:2]
	s_cbranch_vccnz .LBB152_19
; %bb.18:                               ;   in Loop: Header=BB152_17 Depth=1
	v_cvt_f32_u32_e32 v1, s16
	s_sub_i32 s2, 0, s16
	v_rcp_iflag_f32_e32 v1, v1
	v_mul_f32_e32 v1, 0x4f7ffffe, v1
	v_cvt_u32_f32_e32 v1, v1
	v_readfirstlane_b32 s18, v1
	s_mul_i32 s2, s2, s18
	s_mul_hi_u32 s2, s18, s2
	s_add_i32 s18, s18, s2
	s_mul_hi_u32 s2, s14, s18
	s_mul_i32 s19, s2, s16
	s_sub_i32 s19, s14, s19
	s_add_i32 s18, s2, 1
	s_sub_i32 s25, s19, s16
	s_cmp_ge_u32 s19, s16
	s_cselect_b32 s2, s18, s2
	s_cselect_b32 s19, s25, s19
	s_add_i32 s18, s2, 1
	s_cmp_ge_u32 s19, s16
	s_cselect_b32 s2, s18, s2
	s_mov_b64 s[38:39], s[2:3]
.LBB152_19:                             ;   in Loop: Header=BB152_17 Depth=1
	s_load_dwordx2 s[18:19], s[12:13], 0xc8
	s_mul_i32 s2, s38, s17
	s_mul_hi_u32 s17, s38, s16
	s_add_i32 s17, s17, s2
	s_mul_i32 s2, s38, s16
	s_sub_u32 s2, s14, s2
	s_subb_u32 s14, s15, s17
	s_waitcnt lgkmcnt(0)
	s_mul_i32 s14, s18, s14
	s_mul_hi_u32 s15, s18, s2
	s_add_i32 s14, s15, s14
	s_mul_i32 s15, s19, s2
	s_add_i32 s14, s14, s15
	s_mul_i32 s2, s18, s2
	s_add_u32 s34, s2, s34
	s_addc_u32 s35, s14, s35
	s_add_i32 s7, s7, -1
	s_add_u32 s12, s12, -8
	s_addc_u32 s13, s13, -1
	s_cmp_gt_u32 s7, 2
	s_cbranch_scc0 .LBB152_22
; %bb.20:                               ;   in Loop: Header=BB152_17 Depth=1
	s_mov_b64 s[14:15], s[38:39]
	s_branch .LBB152_17
.LBB152_21:
	s_mov_b64 s[38:39], s[0:1]
.LBB152_22:
	s_load_dwordx4 s[12:15], s[4:5], 0x518
	s_load_dwordx2 s[46:47], s[4:5], 0x438
	s_load_dwordx2 s[44:45], s[4:5], 0x0
	;; [unrolled: 1-line block ×4, first 2 shown]
	s_lshl_b64 s[0:1], s[0:1], 2
	s_waitcnt lgkmcnt(0)
	s_add_u32 s0, s12, s0
	s_addc_u32 s1, s13, s1
	s_load_dword s25, s[0:1], 0x0
	s_mov_b32 s7, 0
	v_cmp_ne_u32_e64 s[0:1], 0, v0
	v_cmp_eq_u32_e64 s[2:3], 0, v0
	s_and_saveexec_b64 s[12:13], s[2:3]
	s_cbranch_execz .LBB152_38
; %bb.23:
	s_load_dwordx2 s[48:49], s[4:5], 0x528
	s_lshl_b64 s[50:51], s[6:7], 2
	s_add_u32 s16, s14, s50
	s_addc_u32 s17, s15, s51
	s_mov_b32 s6, 0
	s_waitcnt lgkmcnt(0)
	s_add_u32 s18, s48, s50
	s_addc_u32 s19, s49, s51
	s_mov_b32 s31, 0
	s_cmp_lt_u32 s21, 4
	s_cbranch_scc1 .LBB152_35
; %bb.24:
	s_mov_b32 s39, 0
.LBB152_25:                             ; =>This Inner Loop Header: Depth=1
	s_add_u32 s52, s14, s50
	s_addc_u32 s53, s15, s51
	s_load_dwordx4 s[16:19], s[52:53], 0x0
	s_add_u32 s52, s48, s50
	s_addc_u32 s53, s49, s51
	s_cmp_ge_u32 s39, s54
	s_cbranch_scc0 .LBB152_32
; %bb.26:                               ;   in Loop: Header=BB152_25 Depth=1
	s_add_i32 s55, s39, 1
	s_cmp_ge_u32 s55, s54
	s_cbranch_scc0 .LBB152_33
.LBB152_27:                             ;   in Loop: Header=BB152_25 Depth=1
	s_add_i32 s55, s55, 1
	s_cmp_ge_u32 s55, s54
	s_cbranch_scc0 .LBB152_34
.LBB152_28:                             ;   in Loop: Header=BB152_25 Depth=1
	s_add_i32 s55, s55, 1
	s_cmp_ge_u32 s55, s54
	s_cbranch_scc1 .LBB152_30
.LBB152_29:                             ;   in Loop: Header=BB152_25 Depth=1
	s_load_dword s52, s[52:53], 0xc
	s_waitcnt lgkmcnt(0)
	s_add_i32 s7, s7, s19
	s_add_i32 s6, s52, s6
.LBB152_30:                             ;   in Loop: Header=BB152_25 Depth=1
	s_waitcnt lgkmcnt(0)
	s_add_i32 s16, s16, s31
	s_add_i32 s16, s16, s17
	;; [unrolled: 1-line block ×4, first 2 shown]
	s_add_u32 s14, s14, 16
	s_addc_u32 s15, s15, 0
	s_add_u32 s48, s48, 16
	s_addc_u32 s49, s49, 0
	s_add_i32 s53, s55, 4
	s_add_u32 s18, s48, s50
	s_addc_u32 s19, s49, s51
	s_add_u32 s16, s14, s50
	s_addc_u32 s17, s15, s51
	s_add_i32 s52, s55, 1
	s_cmp_ge_u32 s53, s21
	s_cbranch_scc1 .LBB152_36
; %bb.31:                               ;   in Loop: Header=BB152_25 Depth=1
	s_mov_b32 s39, s52
	s_branch .LBB152_25
.LBB152_32:                             ;   in Loop: Header=BB152_25 Depth=1
	s_load_dword s55, s[52:53], 0x0
	s_waitcnt lgkmcnt(0)
	s_add_i32 s7, s16, s7
	s_add_i32 s6, s55, s6
	;; [unrolled: 1-line block ×3, first 2 shown]
	s_cmp_ge_u32 s55, s54
	s_cbranch_scc1 .LBB152_27
.LBB152_33:                             ;   in Loop: Header=BB152_25 Depth=1
	s_load_dword s56, s[52:53], 0x4
	s_waitcnt lgkmcnt(0)
	s_add_i32 s7, s7, s17
	s_add_i32 s6, s56, s6
	;; [unrolled: 1-line block ×3, first 2 shown]
	s_cmp_ge_u32 s55, s54
	s_cbranch_scc1 .LBB152_28
.LBB152_34:                             ;   in Loop: Header=BB152_25 Depth=1
	s_load_dword s56, s[52:53], 0x8
	s_waitcnt lgkmcnt(0)
	s_add_i32 s7, s7, s18
	s_add_i32 s6, s56, s6
	;; [unrolled: 1-line block ×3, first 2 shown]
	s_cmp_ge_u32 s55, s54
	s_cbranch_scc0 .LBB152_29
	s_branch .LBB152_30
.LBB152_35:
	s_mov_b32 s14, 0
	s_cmp_ge_u32 s14, s21
	s_cbranch_scc0 .LBB152_59
	s_branch .LBB152_37
.LBB152_36:
	s_add_i32 s14, s39, 4
	s_cmp_ge_u32 s14, s21
	s_cbranch_scc0 .LBB152_59
.LBB152_37:
	v_mov_b32_e32 v1, s6
	v_mov_b32_e32 v2, s31
	;; [unrolled: 1-line block ×4, first 2 shown]
	ds_write_b96 v4, v[1:3] offset:1056
.LBB152_38:
	s_or_b64 exec, exec, s[12:13]
	s_cmp_eq_u32 s20, 0
	s_waitcnt lgkmcnt(0)
	s_barrier
	s_cbranch_scc1 .LBB152_61
; %bb.39:
	s_mul_i32 s12, s29, s24
	s_mul_hi_u32 s13, s28, s24
	s_mul_i32 s6, s37, s30
	s_mul_hi_u32 s7, s36, s30
	s_add_i32 s13, s13, s12
	s_mul_i32 s12, s28, s24
	s_mul_i32 s14, s47, s38
	s_mul_hi_u32 s15, s46, s38
	s_add_i32 s7, s7, s6
	s_add_i32 s15, s15, s14
	s_lshl_b64 s[12:13], s[12:13], 2
	s_add_u32 s16, s44, s12
	s_addc_u32 s17, s45, s13
	s_lshl_b64 s[12:13], s[22:23], 2
	s_mul_i32 s6, s36, s30
	s_add_u32 s21, s16, s12
	s_addc_u32 s22, s17, s13
	s_lshl_b64 s[6:7], s[6:7], 2
	v_mov_b32_e32 v5, 0
	s_add_u32 s12, s42, s6
	ds_read_b96 v[1:3], v5 offset:1056
	s_addc_u32 s13, s43, s7
	s_lshl_b64 s[6:7], s[26:27], 2
	s_mul_i32 s14, s46, s38
	s_add_u32 s23, s12, s6
	s_addc_u32 s24, s13, s7
	s_lshl_b64 s[6:7], s[14:15], 3
	s_add_u32 s12, s40, s6
	s_addc_u32 s13, s41, s7
	s_lshl_b64 s[6:7], s[34:35], 3
	s_waitcnt lgkmcnt(0)
	v_add_u32_e32 v1, v1, v2
	v_lshrrev_b32_e32 v2, 3, v0
	s_add_u32 s26, s12, s6
	s_load_dword s6, s[4:5], 0x1b0
	v_and_b32_e32 v2, 28, v2
	s_addc_u32 s27, s13, s7
	s_load_dwordx2 s[12:13], s[4:5], 0x1b8
	s_load_dwordx2 s[14:15], s[4:5], 0x360
	;; [unrolled: 1-line block ×3, first 2 shown]
	v_lshl_add_u32 v8, v0, 2, v2
	v_lshrrev_b32_e32 v2, 1, v0
	v_and_b32_e32 v9, 0x7c, v2
	v_add_u32_e32 v2, -1, v0
	v_lshrrev_b32_e32 v4, 3, v2
	s_xor_b32 s28, s25, 0x80000000
	v_and_b32_e32 v4, 0x1ffffffc, v4
	s_waitcnt lgkmcnt(0)
	s_bitcmp1_b32 s6, 0
	v_cmp_gt_u32_e64 s[6:7], 64, v0
	v_lshlrev_b32_e32 v10, 4, v0
	v_lshl_add_u32 v11, v2, 2, v4
	v_add_u32_e32 v4, s33, v0
	v_mbcnt_lo_u32_b32 v0, -1, 0
	s_cselect_b64 s[4:5], -1, 0
	v_mbcnt_hi_u32_b32 v0, -1, v0
                                        ; implicit-def: $vgpr12
	s_branch .LBB152_42
.LBB152_40:                             ;   in Loop: Header=BB152_42 Depth=1
	s_or_b64 exec, exec, s[18:19]
	v_add_u32_e32 v1, v2, v1
.LBB152_41:                             ;   in Loop: Header=BB152_42 Depth=1
	s_add_i32 s20, s20, -1
	v_add_u32_e32 v3, v13, v3
	s_cmp_lg_u32 s20, 0
	v_add_u32_e32 v4, 0x100, v4
	s_cbranch_scc0 .LBB152_61
.LBB152_42:                             ; =>This Inner Loop Header: Depth=1
	v_cmp_gt_u64_e32 vcc, s[8:9], v[4:5]
	v_mov_b32_e32 v2, v5
	v_mov_b32_e32 v6, v5
	s_and_saveexec_b64 s[18:19], vcc
	s_cbranch_execz .LBB152_44
; %bb.43:                               ;   in Loop: Header=BB152_42 Depth=1
	v_mad_u64_u32 v[6:7], s[30:31], s12, v4, 0
	v_mov_b32_e32 v2, v7
	v_mad_u64_u32 v[12:13], s[30:31], s13, v4, v[2:3]
	v_mov_b32_e32 v2, s22
	v_mov_b32_e32 v7, v12
	v_lshlrev_b64 v[6:7], 2, v[6:7]
	v_add_co_u32_e32 v6, vcc, s21, v6
	v_addc_co_u32_e32 v7, vcc, v2, v7, vcc
	global_load_dword v12, v[6:7], off
	s_waitcnt vmcnt(0)
	v_xor_b32_e32 v2, 0x80000000, v12
	v_cmp_lt_u32_e32 vcc, s28, v2
	v_cndmask_b32_e64 v6, 0, 1, vcc
	v_cmp_gt_u32_e32 vcc, s28, v2
	v_cndmask_b32_e64 v2, 0, 1, vcc
	v_cndmask_b32_e64 v2, v2, v6, s[4:5]
	v_cmp_eq_u32_e32 vcc, s25, v12
	v_and_b32_e32 v2, 1, v2
	v_cndmask_b32_e64 v6, 0, 1, vcc
.LBB152_44:                             ;   in Loop: Header=BB152_42 Depth=1
	s_or_b64 exec, exec, s[18:19]
	ds_write_b32 v8, v2
	s_waitcnt vmcnt(0) lgkmcnt(0)
	s_barrier
	s_and_saveexec_b64 s[18:19], s[6:7]
	s_cbranch_execz .LBB152_46
; %bb.45:                               ;   in Loop: Header=BB152_42 Depth=1
	v_add_u32_e32 v7, v9, v10
	ds_read2_b32 v[13:14], v7 offset1:1
	ds_read2_b32 v[15:16], v7 offset0:2 offset1:3
	v_and_b32_e32 v17, 15, v0
	v_cmp_ne_u32_e32 vcc, 0, v17
	s_waitcnt lgkmcnt(1)
	v_add_u32_e32 v14, v14, v13
	s_waitcnt lgkmcnt(0)
	v_add3_u32 v14, v14, v15, v16
	v_bfe_i32 v16, v0, 4, 1
	; wave barrier
	s_nop 0
	v_mov_b32_dpp v15, v14 row_shr:1 row_mask:0xf bank_mask:0xf
	v_cndmask_b32_e32 v15, 0, v15, vcc
	v_add_u32_e32 v14, v15, v14
	v_cmp_lt_u32_e32 vcc, 1, v17
	s_nop 0
	v_mov_b32_dpp v15, v14 row_shr:2 row_mask:0xf bank_mask:0xf
	v_cndmask_b32_e32 v15, 0, v15, vcc
	v_add_u32_e32 v14, v14, v15
	v_cmp_lt_u32_e32 vcc, 3, v17
	;; [unrolled: 5-line block ×4, first 2 shown]
	s_nop 0
	v_mov_b32_dpp v15, v14 row_bcast:15 row_mask:0xf bank_mask:0xf
	v_and_b32_e32 v15, v16, v15
	v_add_u32_e32 v14, v14, v15
	v_and_b32_e32 v16, 64, v0
	s_nop 0
	v_mov_b32_dpp v15, v14 row_bcast:31 row_mask:0xf bank_mask:0xf
	v_cndmask_b32_e32 v15, 0, v15, vcc
	v_add_u32_e32 v14, v14, v15
	v_add_u32_e32 v15, -1, v0
	v_cmp_lt_i32_e32 vcc, v15, v16
	v_cndmask_b32_e32 v15, v15, v0, vcc
	v_lshlrev_b32_e32 v15, 2, v15
	ds_bpermute_b32 v14, v15, v14
	s_waitcnt lgkmcnt(0)
	v_add_u32_e32 v13, v14, v13
	v_cndmask_b32_e64 v15, v13, v2, s[2:3]
	ds_write_b32 v7, v15
	; wave barrier
	ds_read2_b32 v[13:14], v7 offset0:1 offset1:2
	ds_read_b32 v16, v7 offset:12
	s_waitcnt lgkmcnt(1)
	v_add_u32_e32 v13, v13, v15
	v_add_u32_e32 v14, v14, v13
	ds_write2_b32 v7, v13, v14 offset0:1 offset1:2
	s_waitcnt lgkmcnt(1)
	v_add_u32_e32 v13, v16, v14
	ds_write_b32 v7, v13 offset:12
.LBB152_46:                             ;   in Loop: Header=BB152_42 Depth=1
	s_or_b64 exec, exec, s[18:19]
	v_mov_b32_e32 v7, 0
	s_waitcnt lgkmcnt(0)
	s_barrier
	s_and_saveexec_b64 s[18:19], s[0:1]
; %bb.47:                               ;   in Loop: Header=BB152_42 Depth=1
	ds_read_b32 v7, v11
; %bb.48:                               ;   in Loop: Header=BB152_42 Depth=1
	s_or_b64 exec, exec, s[18:19]
	ds_read_b32 v13, v5 offset:1048
	v_cmp_ne_u32_e32 vcc, 0, v2
	s_waitcnt lgkmcnt(0)
	s_barrier
	s_and_saveexec_b64 s[18:19], vcc
	s_cbranch_execz .LBB152_50
; %bb.49:                               ;   in Loop: Header=BB152_42 Depth=1
	v_add_u32_e32 v7, v7, v3
	v_mad_u64_u32 v[14:15], s[30:31], s14, v7, 0
	v_mad_u64_u32 v[16:17], s[30:31], s16, v7, 0
	v_mov_b32_e32 v2, v15
	v_mad_u64_u32 v[18:19], s[30:31], s15, v7, v[2:3]
	v_mov_b32_e32 v2, v17
	v_mov_b32_e32 v19, s24
	;; [unrolled: 1-line block ×3, first 2 shown]
	v_lshlrev_b64 v[14:15], 2, v[14:15]
	v_mad_u64_u32 v[17:18], s[30:31], s17, v7, v[2:3]
	v_add_co_u32_e32 v14, vcc, s23, v14
	v_addc_co_u32_e32 v15, vcc, v19, v15, vcc
	global_store_dword v[14:15], v12, off
	v_lshlrev_b64 v[14:15], 3, v[16:17]
	v_mov_b32_e32 v2, s27
	v_add_co_u32_e32 v14, vcc, s26, v14
	v_addc_co_u32_e32 v15, vcc, v2, v15, vcc
	global_store_dwordx2 v[14:15], v[4:5], off
.LBB152_50:                             ;   in Loop: Header=BB152_42 Depth=1
	s_or_b64 exec, exec, s[18:19]
	v_mov_b32_e32 v2, v5
	v_cmp_le_u64_e32 vcc, s[10:11], v[1:2]
	s_cbranch_vccnz .LBB152_41
; %bb.51:                               ;   in Loop: Header=BB152_42 Depth=1
	ds_write_b32 v8, v6
	s_waitcnt vmcnt(0) lgkmcnt(0)
	s_barrier
	s_and_saveexec_b64 s[18:19], s[6:7]
	s_cbranch_execz .LBB152_53
; %bb.52:                               ;   in Loop: Header=BB152_42 Depth=1
	v_add_u32_e32 v2, v9, v10
	ds_read2_b32 v[14:15], v2 offset1:1
	ds_read2_b32 v[16:17], v2 offset0:2 offset1:3
	v_and_b32_e32 v7, 15, v0
	v_cmp_ne_u32_e32 vcc, 0, v7
	s_waitcnt lgkmcnt(1)
	v_add_u32_e32 v15, v15, v14
	s_waitcnt lgkmcnt(0)
	v_add3_u32 v15, v15, v16, v17
	; wave barrier
	s_nop 1
	v_mov_b32_dpp v16, v15 row_shr:1 row_mask:0xf bank_mask:0xf
	v_cndmask_b32_e32 v16, 0, v16, vcc
	v_add_u32_e32 v15, v16, v15
	v_cmp_lt_u32_e32 vcc, 1, v7
	s_nop 0
	v_mov_b32_dpp v16, v15 row_shr:2 row_mask:0xf bank_mask:0xf
	v_cndmask_b32_e32 v16, 0, v16, vcc
	v_add_u32_e32 v15, v15, v16
	v_cmp_lt_u32_e32 vcc, 3, v7
	s_nop 0
	v_mov_b32_dpp v16, v15 row_shr:4 row_mask:0xf bank_mask:0xf
	v_cndmask_b32_e32 v16, 0, v16, vcc
	v_add_u32_e32 v15, v15, v16
	v_cmp_lt_u32_e32 vcc, 7, v7
	s_nop 0
	v_mov_b32_dpp v16, v15 row_shr:8 row_mask:0xf bank_mask:0xf
	v_cndmask_b32_e32 v7, 0, v16, vcc
	v_add_u32_e32 v7, v15, v7
	v_bfe_i32 v16, v0, 4, 1
	v_cmp_lt_u32_e32 vcc, 31, v0
	v_mov_b32_dpp v15, v7 row_bcast:15 row_mask:0xf bank_mask:0xf
	v_and_b32_e32 v15, v16, v15
	v_add_u32_e32 v7, v7, v15
	v_and_b32_e32 v16, 64, v0
	s_nop 0
	v_mov_b32_dpp v15, v7 row_bcast:31 row_mask:0xf bank_mask:0xf
	v_cndmask_b32_e32 v15, 0, v15, vcc
	v_add_u32_e32 v7, v7, v15
	v_add_u32_e32 v15, -1, v0
	v_cmp_lt_i32_e32 vcc, v15, v16
	v_cndmask_b32_e32 v15, v15, v0, vcc
	v_lshlrev_b32_e32 v15, 2, v15
	ds_bpermute_b32 v7, v15, v7
	s_waitcnt lgkmcnt(0)
	v_add_u32_e32 v7, v7, v14
	v_cndmask_b32_e64 v7, v7, v6, s[2:3]
	ds_write_b32 v2, v7
	; wave barrier
	ds_read2_b32 v[14:15], v2 offset0:1 offset1:2
	ds_read_b32 v16, v2 offset:12
	s_waitcnt lgkmcnt(1)
	v_add_u32_e32 v7, v14, v7
	v_add_u32_e32 v14, v15, v7
	ds_write2_b32 v2, v7, v14 offset0:1 offset1:2
	s_waitcnt lgkmcnt(1)
	v_add_u32_e32 v7, v16, v14
	ds_write_b32 v2, v7 offset:12
.LBB152_53:                             ;   in Loop: Header=BB152_42 Depth=1
	s_or_b64 exec, exec, s[18:19]
	v_mov_b32_e32 v7, 0
	s_waitcnt lgkmcnt(0)
	s_barrier
	s_and_saveexec_b64 s[18:19], s[0:1]
; %bb.54:                               ;   in Loop: Header=BB152_42 Depth=1
	ds_read_b32 v7, v11
; %bb.55:                               ;   in Loop: Header=BB152_42 Depth=1
	s_or_b64 exec, exec, s[18:19]
	ds_read_b32 v2, v5 offset:1048
	v_cmp_ne_u32_e32 vcc, 0, v6
	s_waitcnt lgkmcnt(0)
	s_barrier
	s_and_saveexec_b64 s[18:19], vcc
	s_cbranch_execz .LBB152_40
; %bb.56:                               ;   in Loop: Header=BB152_42 Depth=1
	v_add_u32_e32 v6, v7, v1
	v_mov_b32_e32 v7, v5
	v_cmp_gt_u64_e32 vcc, s[10:11], v[6:7]
	s_and_b64 exec, exec, vcc
	s_cbranch_execz .LBB152_40
; %bb.57:                               ;   in Loop: Header=BB152_42 Depth=1
	v_mad_u64_u32 v[14:15], s[30:31], s14, v6, 0
	v_mad_u64_u32 v[16:17], s[30:31], s16, v6, 0
	v_mov_b32_e32 v7, v15
	v_mad_u64_u32 v[18:19], s[30:31], s15, v6, v[7:8]
	v_mov_b32_e32 v7, v17
	;; [unrolled: 2-line block ×3, first 2 shown]
	v_lshlrev_b64 v[14:15], 2, v[14:15]
	v_mov_b32_e32 v17, v6
	v_mov_b32_e32 v19, s24
	v_add_co_u32_e32 v14, vcc, s23, v14
	v_lshlrev_b64 v[6:7], 3, v[16:17]
	v_addc_co_u32_e32 v15, vcc, v19, v15, vcc
	global_store_dword v[14:15], v12, off
	v_mov_b32_e32 v14, s27
	v_add_co_u32_e32 v6, vcc, s26, v6
	v_addc_co_u32_e32 v7, vcc, v14, v7, vcc
	global_store_dwordx2 v[6:7], v[4:5], off
	s_branch .LBB152_40
.LBB152_58:                             ;   in Loop: Header=BB152_59 Depth=1
	s_add_u32 s16, s16, 4
	s_addc_u32 s17, s17, 0
	s_waitcnt lgkmcnt(0)
	s_add_i32 s31, s15, s31
	s_add_u32 s18, s18, 4
	s_addc_u32 s19, s19, 0
	s_add_i32 s14, s14, 1
	s_cmp_lt_u32 s14, s21
	s_cbranch_scc0 .LBB152_37
.LBB152_59:                             ; =>This Inner Loop Header: Depth=1
	s_load_dword s15, s[16:17], 0x0
	s_cmp_ge_u32 s14, s54
	s_cbranch_scc1 .LBB152_58
; %bb.60:                               ;   in Loop: Header=BB152_59 Depth=1
	s_load_dword s39, s[18:19], 0x0
	s_waitcnt lgkmcnt(0)
	s_add_i32 s7, s15, s7
	s_add_i32 s6, s39, s6
	s_branch .LBB152_58
.LBB152_61:
	s_endpgm
	.section	.rodata,"a",@progbits
	.p2align	6, 0x0
	.amdhsa_kernel _ZN2at6native6mbtopk10gatherTopKIimLin1EEEvNS_4cuda6detail10TensorInfoIKT_T0_EES8_S8_bjS8_NS5_IS6_S8_EES8_NS5_IlS8_EES8_jjPS6_PjSD_j
		.amdhsa_group_segment_fixed_size 1068
		.amdhsa_private_segment_fixed_size 0
		.amdhsa_kernarg_size 1592
		.amdhsa_user_sgpr_count 6
		.amdhsa_user_sgpr_private_segment_buffer 1
		.amdhsa_user_sgpr_dispatch_ptr 0
		.amdhsa_user_sgpr_queue_ptr 0
		.amdhsa_user_sgpr_kernarg_segment_ptr 1
		.amdhsa_user_sgpr_dispatch_id 0
		.amdhsa_user_sgpr_flat_scratch_init 0
		.amdhsa_user_sgpr_private_segment_size 0
		.amdhsa_uses_dynamic_stack 0
		.amdhsa_system_sgpr_private_segment_wavefront_offset 0
		.amdhsa_system_sgpr_workgroup_id_x 1
		.amdhsa_system_sgpr_workgroup_id_y 1
		.amdhsa_system_sgpr_workgroup_id_z 1
		.amdhsa_system_sgpr_workgroup_info 0
		.amdhsa_system_vgpr_workitem_id 0
		.amdhsa_next_free_vgpr 20
		.amdhsa_next_free_sgpr 57
		.amdhsa_reserve_vcc 1
		.amdhsa_reserve_flat_scratch 0
		.amdhsa_float_round_mode_32 0
		.amdhsa_float_round_mode_16_64 0
		.amdhsa_float_denorm_mode_32 3
		.amdhsa_float_denorm_mode_16_64 3
		.amdhsa_dx10_clamp 1
		.amdhsa_ieee_mode 1
		.amdhsa_fp16_overflow 0
		.amdhsa_exception_fp_ieee_invalid_op 0
		.amdhsa_exception_fp_denorm_src 0
		.amdhsa_exception_fp_ieee_div_zero 0
		.amdhsa_exception_fp_ieee_overflow 0
		.amdhsa_exception_fp_ieee_underflow 0
		.amdhsa_exception_fp_ieee_inexact 0
		.amdhsa_exception_int_div_zero 0
	.end_amdhsa_kernel
	.section	.text._ZN2at6native6mbtopk10gatherTopKIimLin1EEEvNS_4cuda6detail10TensorInfoIKT_T0_EES8_S8_bjS8_NS5_IS6_S8_EES8_NS5_IlS8_EES8_jjPS6_PjSD_j,"axG",@progbits,_ZN2at6native6mbtopk10gatherTopKIimLin1EEEvNS_4cuda6detail10TensorInfoIKT_T0_EES8_S8_bjS8_NS5_IS6_S8_EES8_NS5_IlS8_EES8_jjPS6_PjSD_j,comdat
.Lfunc_end152:
	.size	_ZN2at6native6mbtopk10gatherTopKIimLin1EEEvNS_4cuda6detail10TensorInfoIKT_T0_EES8_S8_bjS8_NS5_IS6_S8_EES8_NS5_IlS8_EES8_jjPS6_PjSD_j, .Lfunc_end152-_ZN2at6native6mbtopk10gatherTopKIimLin1EEEvNS_4cuda6detail10TensorInfoIKT_T0_EES8_S8_bjS8_NS5_IS6_S8_EES8_NS5_IlS8_EES8_jjPS6_PjSD_j
                                        ; -- End function
	.set _ZN2at6native6mbtopk10gatherTopKIimLin1EEEvNS_4cuda6detail10TensorInfoIKT_T0_EES8_S8_bjS8_NS5_IS6_S8_EES8_NS5_IlS8_EES8_jjPS6_PjSD_j.num_vgpr, 20
	.set _ZN2at6native6mbtopk10gatherTopKIimLin1EEEvNS_4cuda6detail10TensorInfoIKT_T0_EES8_S8_bjS8_NS5_IS6_S8_EES8_NS5_IlS8_EES8_jjPS6_PjSD_j.num_agpr, 0
	.set _ZN2at6native6mbtopk10gatherTopKIimLin1EEEvNS_4cuda6detail10TensorInfoIKT_T0_EES8_S8_bjS8_NS5_IS6_S8_EES8_NS5_IlS8_EES8_jjPS6_PjSD_j.numbered_sgpr, 57
	.set _ZN2at6native6mbtopk10gatherTopKIimLin1EEEvNS_4cuda6detail10TensorInfoIKT_T0_EES8_S8_bjS8_NS5_IS6_S8_EES8_NS5_IlS8_EES8_jjPS6_PjSD_j.num_named_barrier, 0
	.set _ZN2at6native6mbtopk10gatherTopKIimLin1EEEvNS_4cuda6detail10TensorInfoIKT_T0_EES8_S8_bjS8_NS5_IS6_S8_EES8_NS5_IlS8_EES8_jjPS6_PjSD_j.private_seg_size, 0
	.set _ZN2at6native6mbtopk10gatherTopKIimLin1EEEvNS_4cuda6detail10TensorInfoIKT_T0_EES8_S8_bjS8_NS5_IS6_S8_EES8_NS5_IlS8_EES8_jjPS6_PjSD_j.uses_vcc, 1
	.set _ZN2at6native6mbtopk10gatherTopKIimLin1EEEvNS_4cuda6detail10TensorInfoIKT_T0_EES8_S8_bjS8_NS5_IS6_S8_EES8_NS5_IlS8_EES8_jjPS6_PjSD_j.uses_flat_scratch, 0
	.set _ZN2at6native6mbtopk10gatherTopKIimLin1EEEvNS_4cuda6detail10TensorInfoIKT_T0_EES8_S8_bjS8_NS5_IS6_S8_EES8_NS5_IlS8_EES8_jjPS6_PjSD_j.has_dyn_sized_stack, 0
	.set _ZN2at6native6mbtopk10gatherTopKIimLin1EEEvNS_4cuda6detail10TensorInfoIKT_T0_EES8_S8_bjS8_NS5_IS6_S8_EES8_NS5_IlS8_EES8_jjPS6_PjSD_j.has_recursion, 0
	.set _ZN2at6native6mbtopk10gatherTopKIimLin1EEEvNS_4cuda6detail10TensorInfoIKT_T0_EES8_S8_bjS8_NS5_IS6_S8_EES8_NS5_IlS8_EES8_jjPS6_PjSD_j.has_indirect_call, 0
	.section	.AMDGPU.csdata,"",@progbits
; Kernel info:
; codeLenInByte = 3116
; TotalNumSgprs: 61
; NumVgprs: 20
; ScratchSize: 0
; MemoryBound: 0
; FloatMode: 240
; IeeeMode: 1
; LDSByteSize: 1068 bytes/workgroup (compile time only)
; SGPRBlocks: 7
; VGPRBlocks: 4
; NumSGPRsForWavesPerEU: 61
; NumVGPRsForWavesPerEU: 20
; Occupancy: 10
; WaveLimiterHint : 1
; COMPUTE_PGM_RSRC2:SCRATCH_EN: 0
; COMPUTE_PGM_RSRC2:USER_SGPR: 6
; COMPUTE_PGM_RSRC2:TRAP_HANDLER: 0
; COMPUTE_PGM_RSRC2:TGID_X_EN: 1
; COMPUTE_PGM_RSRC2:TGID_Y_EN: 1
; COMPUTE_PGM_RSRC2:TGID_Z_EN: 1
; COMPUTE_PGM_RSRC2:TIDIG_COMP_CNT: 0
	.section	.text._ZN2at6native6sbtopk10gatherTopKIimLin1ELb0EEEvNS_4cuda6detail10TensorInfoIKT_T0_EES8_S8_bS8_S8_NS5_IS6_S8_EES8_NS5_IlS8_EES8_PS6_,"axG",@progbits,_ZN2at6native6sbtopk10gatherTopKIimLin1ELb0EEEvNS_4cuda6detail10TensorInfoIKT_T0_EES8_S8_bS8_S8_NS5_IS6_S8_EES8_NS5_IlS8_EES8_PS6_,comdat
	.protected	_ZN2at6native6sbtopk10gatherTopKIimLin1ELb0EEEvNS_4cuda6detail10TensorInfoIKT_T0_EES8_S8_bS8_S8_NS5_IS6_S8_EES8_NS5_IlS8_EES8_PS6_ ; -- Begin function _ZN2at6native6sbtopk10gatherTopKIimLin1ELb0EEEvNS_4cuda6detail10TensorInfoIKT_T0_EES8_S8_bS8_S8_NS5_IS6_S8_EES8_NS5_IlS8_EES8_PS6_
	.globl	_ZN2at6native6sbtopk10gatherTopKIimLin1ELb0EEEvNS_4cuda6detail10TensorInfoIKT_T0_EES8_S8_bS8_S8_NS5_IS6_S8_EES8_NS5_IlS8_EES8_PS6_
	.p2align	8
	.type	_ZN2at6native6sbtopk10gatherTopKIimLin1ELb0EEEvNS_4cuda6detail10TensorInfoIKT_T0_EES8_S8_bS8_S8_NS5_IS6_S8_EES8_NS5_IlS8_EES8_PS6_,@function
_ZN2at6native6sbtopk10gatherTopKIimLin1ELb0EEEvNS_4cuda6detail10TensorInfoIKT_T0_EES8_S8_bS8_S8_NS5_IS6_S8_EES8_NS5_IlS8_EES8_PS6_: ; @_ZN2at6native6sbtopk10gatherTopKIimLin1ELb0EEEvNS_4cuda6detail10TensorInfoIKT_T0_EES8_S8_bS8_S8_NS5_IS6_S8_EES8_NS5_IlS8_EES8_PS6_
; %bb.0:
	s_load_dwordx2 s[34:35], s[4:5], 0x520
	s_load_dwordx4 s[56:59], s[4:5], 0x1b8
	s_add_u32 s2, s4, 0x520
	s_addc_u32 s3, s5, 0
	s_mov_b32 s9, 0
	s_waitcnt lgkmcnt(0)
	s_mul_i32 s0, s35, s8
	s_add_i32 s0, s0, s7
	s_mul_i32 s0, s0, s34
	s_add_i32 s8, s0, s6
	v_mov_b32_e32 v1, s8
	v_mov_b32_e32 v2, s9
	v_cmp_le_u64_e32 vcc, s[56:57], v[1:2]
	s_cbranch_vccnz .LBB153_493
; %bb.1:
	s_load_dword s7, s[4:5], 0x198
	s_mov_b64 s[0:1], 0
	s_mov_b64 s[10:11], s[8:9]
	s_waitcnt lgkmcnt(0)
	s_cmp_lt_i32 s7, 2
	s_cbranch_scc1 .LBB153_9
; %bb.2:
	s_mov_b32 s12, 0
	s_add_i32 s0, s7, -1
	s_mov_b32 s1, s12
	s_add_i32 s27, s7, 1
	s_lshl_b64 s[0:1], s[0:1], 3
	s_add_u32 s0, s4, s0
	s_addc_u32 s1, s5, s1
	s_add_u32 s14, s0, 8
	s_addc_u32 s15, s1, 0
	s_mov_b64 s[0:1], 0
	s_mov_b64 s[16:17], s[8:9]
.LBB153_3:                              ; =>This Inner Loop Header: Depth=1
	s_load_dwordx2 s[18:19], s[14:15], 0x0
	s_waitcnt lgkmcnt(0)
	s_or_b64 s[10:11], s[16:17], s[18:19]
	s_mov_b32 s13, s11
	s_cmp_lg_u64 s[12:13], 0
	s_cbranch_scc0 .LBB153_8
; %bb.4:                                ;   in Loop: Header=BB153_3 Depth=1
	v_cvt_f32_u32_e32 v1, s18
	v_cvt_f32_u32_e32 v2, s19
	s_sub_u32 s7, 0, s18
	s_subb_u32 s13, 0, s19
	v_mac_f32_e32 v1, 0x4f800000, v2
	v_rcp_f32_e32 v1, v1
	v_mul_f32_e32 v1, 0x5f7ffffc, v1
	v_mul_f32_e32 v2, 0x2f800000, v1
	v_trunc_f32_e32 v2, v2
	v_mac_f32_e32 v1, 0xcf800000, v2
	v_cvt_u32_f32_e32 v2, v2
	v_cvt_u32_f32_e32 v1, v1
	v_readfirstlane_b32 s20, v2
	v_readfirstlane_b32 s10, v1
	s_mul_i32 s11, s7, s20
	s_mul_hi_u32 s22, s7, s10
	s_mul_i32 s21, s13, s10
	s_add_i32 s11, s22, s11
	s_mul_i32 s23, s7, s10
	s_add_i32 s11, s11, s21
	s_mul_i32 s22, s10, s11
	s_mul_hi_u32 s24, s10, s23
	s_mul_hi_u32 s21, s10, s11
	s_add_u32 s22, s24, s22
	s_addc_u32 s21, 0, s21
	s_mul_hi_u32 s25, s20, s23
	s_mul_i32 s23, s20, s23
	s_add_u32 s22, s22, s23
	s_mul_hi_u32 s24, s20, s11
	s_addc_u32 s21, s21, s25
	s_addc_u32 s22, s24, 0
	s_mul_i32 s11, s20, s11
	s_add_u32 s11, s21, s11
	s_addc_u32 s21, 0, s22
	s_add_u32 s22, s10, s11
	s_cselect_b64 s[10:11], -1, 0
	s_cmp_lg_u64 s[10:11], 0
	s_addc_u32 s20, s20, s21
	s_mul_i32 s10, s7, s20
	s_mul_hi_u32 s11, s7, s22
	s_add_i32 s10, s11, s10
	s_mul_i32 s13, s13, s22
	s_add_i32 s10, s10, s13
	s_mul_i32 s7, s7, s22
	s_mul_hi_u32 s13, s20, s7
	s_mul_i32 s21, s20, s7
	s_mul_i32 s24, s22, s10
	s_mul_hi_u32 s7, s22, s7
	s_mul_hi_u32 s23, s22, s10
	s_add_u32 s7, s7, s24
	s_addc_u32 s23, 0, s23
	s_add_u32 s7, s7, s21
	s_mul_hi_u32 s11, s20, s10
	s_addc_u32 s7, s23, s13
	s_addc_u32 s11, s11, 0
	s_mul_i32 s10, s20, s10
	s_add_u32 s7, s7, s10
	s_addc_u32 s13, 0, s11
	s_add_u32 s7, s22, s7
	s_cselect_b64 s[10:11], -1, 0
	s_cmp_lg_u64 s[10:11], 0
	s_addc_u32 s10, s20, s13
	s_mul_i32 s13, s16, s10
	s_mul_hi_u32 s20, s16, s7
	s_mul_hi_u32 s11, s16, s10
	s_add_u32 s13, s20, s13
	s_addc_u32 s11, 0, s11
	s_mul_hi_u32 s21, s17, s7
	s_mul_i32 s7, s17, s7
	s_add_u32 s7, s13, s7
	s_mul_hi_u32 s20, s17, s10
	s_addc_u32 s7, s11, s21
	s_addc_u32 s11, s20, 0
	s_mul_i32 s10, s17, s10
	s_add_u32 s7, s7, s10
	s_addc_u32 s13, 0, s11
	s_mul_i32 s10, s18, s13
	s_mul_hi_u32 s11, s18, s7
	s_add_i32 s10, s11, s10
	s_mul_i32 s11, s19, s7
	s_add_i32 s22, s10, s11
	s_sub_i32 s20, s17, s22
	s_mul_i32 s10, s18, s7
	s_sub_u32 s23, s16, s10
	s_cselect_b64 s[10:11], -1, 0
	s_cmp_lg_u64 s[10:11], 0
	s_subb_u32 s24, s20, s19
	s_sub_u32 s25, s23, s18
	s_cselect_b64 s[20:21], -1, 0
	s_cmp_lg_u64 s[20:21], 0
	s_subb_u32 s20, s24, 0
	s_cmp_ge_u32 s20, s19
	s_cselect_b32 s21, -1, 0
	s_cmp_ge_u32 s25, s18
	s_cselect_b32 s24, -1, 0
	s_cmp_eq_u32 s20, s19
	s_cselect_b32 s20, s24, s21
	s_add_u32 s21, s7, 1
	s_addc_u32 s24, s13, 0
	s_add_u32 s25, s7, 2
	s_addc_u32 s26, s13, 0
	s_cmp_lg_u32 s20, 0
	s_cselect_b32 s20, s25, s21
	s_cselect_b32 s21, s26, s24
	s_cmp_lg_u64 s[10:11], 0
	s_subb_u32 s10, s17, s22
	s_cmp_ge_u32 s10, s19
	s_cselect_b32 s11, -1, 0
	s_cmp_ge_u32 s23, s18
	s_cselect_b32 s22, -1, 0
	s_cmp_eq_u32 s10, s19
	s_cselect_b32 s10, s22, s11
	s_cmp_lg_u32 s10, 0
	s_cselect_b32 s11, s21, s13
	s_cselect_b32 s10, s20, s7
	s_cbranch_execnz .LBB153_6
.LBB153_5:                              ;   in Loop: Header=BB153_3 Depth=1
	v_cvt_f32_u32_e32 v1, s18
	s_sub_i32 s7, 0, s18
	v_rcp_iflag_f32_e32 v1, v1
	v_mul_f32_e32 v1, 0x4f7ffffe, v1
	v_cvt_u32_f32_e32 v1, v1
	v_readfirstlane_b32 s10, v1
	s_mul_i32 s7, s7, s10
	s_mul_hi_u32 s7, s10, s7
	s_add_i32 s10, s10, s7
	s_mul_hi_u32 s7, s16, s10
	s_mul_i32 s11, s7, s18
	s_sub_i32 s11, s16, s11
	s_add_i32 s10, s7, 1
	s_sub_i32 s13, s11, s18
	s_cmp_ge_u32 s11, s18
	s_cselect_b32 s7, s10, s7
	s_cselect_b32 s11, s13, s11
	s_add_i32 s10, s7, 1
	s_cmp_ge_u32 s11, s18
	s_cselect_b32 s10, s10, s7
	s_mov_b32 s11, s12
.LBB153_6:                              ;   in Loop: Header=BB153_3 Depth=1
	s_mul_i32 s7, s10, s19
	s_mul_hi_u32 s13, s10, s18
	s_load_dwordx2 s[20:21], s[14:15], 0xc8
	s_add_i32 s7, s13, s7
	s_mul_i32 s13, s11, s18
	s_add_i32 s7, s7, s13
	s_mul_i32 s13, s10, s18
	s_sub_u32 s13, s16, s13
	s_subb_u32 s7, s17, s7
	s_waitcnt lgkmcnt(0)
	s_mul_i32 s7, s20, s7
	s_mul_hi_u32 s16, s20, s13
	s_add_i32 s7, s16, s7
	s_mul_i32 s16, s21, s13
	s_add_i32 s7, s7, s16
	s_mul_i32 s13, s20, s13
	s_add_u32 s0, s13, s0
	s_addc_u32 s1, s7, s1
	s_add_i32 s27, s27, -1
	s_add_u32 s14, s14, -8
	s_addc_u32 s15, s15, -1
	s_cmp_gt_u32 s27, 2
	s_cbranch_scc0 .LBB153_9
; %bb.7:                                ;   in Loop: Header=BB153_3 Depth=1
	s_mov_b64 s[16:17], s[10:11]
	s_branch .LBB153_3
.LBB153_8:                              ;   in Loop: Header=BB153_3 Depth=1
                                        ; implicit-def: $sgpr10_sgpr11
	s_branch .LBB153_5
.LBB153_9:
	s_load_dword s7, s[4:5], 0x360
	s_load_dwordx2 s[12:13], s[4:5], 0xd0
	s_add_u32 s14, s4, 0x1c8
	s_addc_u32 s15, s5, 0
	s_mov_b64 s[56:57], 0
	s_waitcnt lgkmcnt(0)
	s_cmp_lt_i32 s7, 2
	s_mov_b64 s[30:31], s[8:9]
	s_cbranch_scc1 .LBB153_17
; %bb.10:
	s_mov_b32 s16, 0
	s_add_i32 s18, s7, -1
	s_mov_b32 s19, s16
	s_add_i32 s35, s7, 1
	s_lshl_b64 s[18:19], s[18:19], 3
	s_add_u32 s7, s14, s18
	s_addc_u32 s17, s15, s19
	s_add_u32 s18, s7, 8
	s_addc_u32 s19, s17, 0
	s_mov_b64 s[20:21], s[8:9]
.LBB153_11:                             ; =>This Inner Loop Header: Depth=1
	s_load_dwordx2 s[22:23], s[18:19], 0x0
	s_waitcnt lgkmcnt(0)
	s_or_b64 s[24:25], s[20:21], s[22:23]
	s_mov_b32 s17, s25
	s_cmp_lg_u64 s[16:17], 0
	s_cbranch_scc0 .LBB153_16
; %bb.12:                               ;   in Loop: Header=BB153_11 Depth=1
	v_cvt_f32_u32_e32 v1, s22
	v_cvt_f32_u32_e32 v2, s23
	s_sub_u32 s7, 0, s22
	s_subb_u32 s17, 0, s23
	v_mac_f32_e32 v1, 0x4f800000, v2
	v_rcp_f32_e32 v1, v1
	v_mul_f32_e32 v1, 0x5f7ffffc, v1
	v_mul_f32_e32 v2, 0x2f800000, v1
	v_trunc_f32_e32 v2, v2
	v_mac_f32_e32 v1, 0xcf800000, v2
	v_cvt_u32_f32_e32 v2, v2
	v_cvt_u32_f32_e32 v1, v1
	v_readfirstlane_b32 s26, v2
	v_readfirstlane_b32 s24, v1
	s_mul_i32 s25, s7, s26
	s_mul_hi_u32 s28, s7, s24
	s_mul_i32 s27, s17, s24
	s_add_i32 s25, s28, s25
	s_mul_i32 s29, s7, s24
	s_add_i32 s25, s25, s27
	s_mul_i32 s28, s24, s25
	s_mul_hi_u32 s30, s24, s29
	s_mul_hi_u32 s27, s24, s25
	s_add_u32 s28, s30, s28
	s_addc_u32 s27, 0, s27
	s_mul_hi_u32 s31, s26, s29
	s_mul_i32 s29, s26, s29
	s_add_u32 s28, s28, s29
	s_mul_hi_u32 s30, s26, s25
	s_addc_u32 s27, s27, s31
	s_addc_u32 s28, s30, 0
	s_mul_i32 s25, s26, s25
	s_add_u32 s25, s27, s25
	s_addc_u32 s27, 0, s28
	s_add_u32 s28, s24, s25
	s_cselect_b64 s[24:25], -1, 0
	s_cmp_lg_u64 s[24:25], 0
	s_addc_u32 s26, s26, s27
	s_mul_i32 s24, s7, s26
	s_mul_hi_u32 s25, s7, s28
	s_add_i32 s24, s25, s24
	s_mul_i32 s17, s17, s28
	s_add_i32 s24, s24, s17
	s_mul_i32 s7, s7, s28
	s_mul_hi_u32 s25, s26, s7
	s_mul_i32 s27, s26, s7
	s_mul_i32 s30, s28, s24
	s_mul_hi_u32 s7, s28, s7
	s_mul_hi_u32 s29, s28, s24
	s_add_u32 s7, s7, s30
	s_addc_u32 s29, 0, s29
	s_add_u32 s7, s7, s27
	s_mul_hi_u32 s17, s26, s24
	s_addc_u32 s7, s29, s25
	s_addc_u32 s17, s17, 0
	s_mul_i32 s24, s26, s24
	s_add_u32 s7, s7, s24
	s_addc_u32 s17, 0, s17
	s_add_u32 s7, s28, s7
	s_cselect_b64 s[24:25], -1, 0
	s_cmp_lg_u64 s[24:25], 0
	s_addc_u32 s17, s26, s17
	s_mul_i32 s25, s20, s17
	s_mul_hi_u32 s26, s20, s7
	s_mul_hi_u32 s24, s20, s17
	s_add_u32 s25, s26, s25
	s_addc_u32 s24, 0, s24
	s_mul_hi_u32 s27, s21, s7
	s_mul_i32 s7, s21, s7
	s_add_u32 s7, s25, s7
	s_mul_hi_u32 s26, s21, s17
	s_addc_u32 s7, s24, s27
	s_addc_u32 s24, s26, 0
	s_mul_i32 s17, s21, s17
	s_add_u32 s7, s7, s17
	s_addc_u32 s17, 0, s24
	s_mul_i32 s24, s22, s17
	s_mul_hi_u32 s25, s22, s7
	s_add_i32 s24, s25, s24
	s_mul_i32 s25, s23, s7
	s_add_i32 s28, s24, s25
	s_sub_i32 s26, s21, s28
	s_mul_i32 s24, s22, s7
	s_sub_u32 s29, s20, s24
	s_cselect_b64 s[24:25], -1, 0
	s_cmp_lg_u64 s[24:25], 0
	s_subb_u32 s30, s26, s23
	s_sub_u32 s31, s29, s22
	s_cselect_b64 s[26:27], -1, 0
	s_cmp_lg_u64 s[26:27], 0
	s_subb_u32 s26, s30, 0
	s_cmp_ge_u32 s26, s23
	s_cselect_b32 s27, -1, 0
	s_cmp_ge_u32 s31, s22
	s_cselect_b32 s30, -1, 0
	s_cmp_eq_u32 s26, s23
	s_cselect_b32 s26, s30, s27
	s_add_u32 s27, s7, 1
	s_addc_u32 s30, s17, 0
	s_add_u32 s31, s7, 2
	s_addc_u32 s33, s17, 0
	s_cmp_lg_u32 s26, 0
	s_cselect_b32 s26, s31, s27
	s_cselect_b32 s27, s33, s30
	s_cmp_lg_u64 s[24:25], 0
	s_subb_u32 s24, s21, s28
	s_cmp_ge_u32 s24, s23
	s_cselect_b32 s25, -1, 0
	s_cmp_ge_u32 s29, s22
	s_cselect_b32 s28, -1, 0
	s_cmp_eq_u32 s24, s23
	s_cselect_b32 s24, s28, s25
	s_cmp_lg_u32 s24, 0
	s_cselect_b32 s31, s27, s17
	s_cselect_b32 s30, s26, s7
	s_cbranch_execnz .LBB153_14
.LBB153_13:                             ;   in Loop: Header=BB153_11 Depth=1
	v_cvt_f32_u32_e32 v1, s22
	s_sub_i32 s7, 0, s22
	s_mov_b32 s31, s16
	v_rcp_iflag_f32_e32 v1, v1
	v_mul_f32_e32 v1, 0x4f7ffffe, v1
	v_cvt_u32_f32_e32 v1, v1
	v_readfirstlane_b32 s17, v1
	s_mul_i32 s7, s7, s17
	s_mul_hi_u32 s7, s17, s7
	s_add_i32 s17, s17, s7
	s_mul_hi_u32 s7, s20, s17
	s_mul_i32 s24, s7, s22
	s_sub_i32 s24, s20, s24
	s_add_i32 s17, s7, 1
	s_sub_i32 s25, s24, s22
	s_cmp_ge_u32 s24, s22
	s_cselect_b32 s7, s17, s7
	s_cselect_b32 s24, s25, s24
	s_add_i32 s17, s7, 1
	s_cmp_ge_u32 s24, s22
	s_cselect_b32 s30, s17, s7
.LBB153_14:                             ;   in Loop: Header=BB153_11 Depth=1
	s_mul_i32 s7, s30, s23
	s_mul_hi_u32 s17, s30, s22
	s_load_dwordx2 s[24:25], s[18:19], 0xc8
	s_add_i32 s7, s17, s7
	s_mul_i32 s17, s31, s22
	s_add_i32 s7, s7, s17
	s_mul_i32 s17, s30, s22
	s_sub_u32 s17, s20, s17
	s_subb_u32 s7, s21, s7
	s_waitcnt lgkmcnt(0)
	s_mul_i32 s7, s24, s7
	s_mul_hi_u32 s20, s24, s17
	s_add_i32 s7, s20, s7
	s_mul_i32 s20, s25, s17
	s_add_i32 s7, s7, s20
	s_mul_i32 s17, s24, s17
	s_add_u32 s56, s17, s56
	s_addc_u32 s57, s7, s57
	s_add_i32 s35, s35, -1
	s_add_u32 s18, s18, -8
	s_addc_u32 s19, s19, -1
	s_cmp_gt_u32 s35, 2
	s_cbranch_scc0 .LBB153_17
; %bb.15:                               ;   in Loop: Header=BB153_11 Depth=1
	s_mov_b64 s[20:21], s[30:31]
	s_branch .LBB153_11
.LBB153_16:                             ;   in Loop: Header=BB153_11 Depth=1
                                        ; implicit-def: $sgpr30_sgpr31
	s_branch .LBB153_13
.LBB153_17:
	s_load_dword s16, s[4:5], 0x508
	s_load_dwordx2 s[18:19], s[14:15], 0xd0
	s_add_u32 s7, s4, 0x370
                                        ; implicit-def: $vgpr54 : SGPR spill to VGPR lane
                                        ; kill: killed $sgpr14 killed $sgpr15
	s_addc_u32 s15, s5, 0
	s_mov_b64 s[74:75], 0
	s_waitcnt lgkmcnt(0)
	s_cmp_lt_i32 s16, 2
	v_writelane_b32 v54, s18, 0
	v_writelane_b32 v54, s19, 1
	s_cbranch_scc1 .LBB153_25
; %bb.18:
	s_mov_b32 s14, 0
	s_add_i32 s29, s16, 1
	s_add_i32 s16, s16, -1
	s_mov_b32 s17, s14
	s_lshl_b64 s[16:17], s[16:17], 3
	s_add_u32 s7, s7, s16
	s_addc_u32 s15, s15, s17
	s_add_u32 s16, s7, 8
	s_addc_u32 s17, s15, 0
.LBB153_19:                             ; =>This Inner Loop Header: Depth=1
	s_load_dwordx2 s[18:19], s[16:17], 0x0
	s_waitcnt lgkmcnt(0)
	s_or_b64 s[20:21], s[8:9], s[18:19]
	s_mov_b32 s15, s21
	s_cmp_lg_u64 s[14:15], 0
	s_cbranch_scc0 .LBB153_24
; %bb.20:                               ;   in Loop: Header=BB153_19 Depth=1
	v_cvt_f32_u32_e32 v1, s18
	v_cvt_f32_u32_e32 v2, s19
	s_sub_u32 s7, 0, s18
	s_subb_u32 s15, 0, s19
	v_mac_f32_e32 v1, 0x4f800000, v2
	v_rcp_f32_e32 v1, v1
	v_mul_f32_e32 v1, 0x5f7ffffc, v1
	v_mul_f32_e32 v2, 0x2f800000, v1
	v_trunc_f32_e32 v2, v2
	v_mac_f32_e32 v1, 0xcf800000, v2
	v_cvt_u32_f32_e32 v2, v2
	v_cvt_u32_f32_e32 v1, v1
	v_readfirstlane_b32 s22, v2
	v_readfirstlane_b32 s20, v1
	s_mul_i32 s21, s7, s22
	s_mul_hi_u32 s24, s7, s20
	s_mul_i32 s23, s15, s20
	s_add_i32 s21, s24, s21
	s_mul_i32 s25, s7, s20
	s_add_i32 s21, s21, s23
	s_mul_i32 s24, s20, s21
	s_mul_hi_u32 s26, s20, s25
	s_mul_hi_u32 s23, s20, s21
	s_add_u32 s24, s26, s24
	s_addc_u32 s23, 0, s23
	s_mul_hi_u32 s27, s22, s25
	s_mul_i32 s25, s22, s25
	s_add_u32 s24, s24, s25
	s_mul_hi_u32 s26, s22, s21
	s_addc_u32 s23, s23, s27
	s_addc_u32 s24, s26, 0
	s_mul_i32 s21, s22, s21
	s_add_u32 s21, s23, s21
	s_addc_u32 s23, 0, s24
	s_add_u32 s24, s20, s21
	s_cselect_b64 s[20:21], -1, 0
	s_cmp_lg_u64 s[20:21], 0
	s_addc_u32 s22, s22, s23
	s_mul_i32 s20, s7, s22
	s_mul_hi_u32 s21, s7, s24
	s_add_i32 s20, s21, s20
	s_mul_i32 s15, s15, s24
	s_add_i32 s20, s20, s15
	s_mul_i32 s7, s7, s24
	s_mul_hi_u32 s21, s22, s7
	s_mul_i32 s23, s22, s7
	s_mul_i32 s26, s24, s20
	s_mul_hi_u32 s7, s24, s7
	s_mul_hi_u32 s25, s24, s20
	s_add_u32 s7, s7, s26
	s_addc_u32 s25, 0, s25
	s_add_u32 s7, s7, s23
	s_mul_hi_u32 s15, s22, s20
	s_addc_u32 s7, s25, s21
	s_addc_u32 s15, s15, 0
	s_mul_i32 s20, s22, s20
	s_add_u32 s7, s7, s20
	s_addc_u32 s15, 0, s15
	s_add_u32 s7, s24, s7
	s_cselect_b64 s[20:21], -1, 0
	s_cmp_lg_u64 s[20:21], 0
	s_addc_u32 s15, s22, s15
	s_mul_i32 s21, s8, s15
	s_mul_hi_u32 s22, s8, s7
	s_mul_hi_u32 s20, s8, s15
	s_add_u32 s21, s22, s21
	s_addc_u32 s20, 0, s20
	s_mul_hi_u32 s23, s9, s7
	s_mul_i32 s7, s9, s7
	s_add_u32 s7, s21, s7
	s_mul_hi_u32 s22, s9, s15
	s_addc_u32 s7, s20, s23
	s_addc_u32 s20, s22, 0
	s_mul_i32 s15, s9, s15
	s_add_u32 s7, s7, s15
	s_addc_u32 s15, 0, s20
	s_mul_i32 s20, s18, s15
	s_mul_hi_u32 s21, s18, s7
	s_add_i32 s20, s21, s20
	s_mul_i32 s21, s19, s7
	s_add_i32 s24, s20, s21
	s_sub_i32 s22, s9, s24
	s_mul_i32 s20, s18, s7
	s_sub_u32 s25, s8, s20
	s_cselect_b64 s[20:21], -1, 0
	s_cmp_lg_u64 s[20:21], 0
	s_subb_u32 s26, s22, s19
	s_sub_u32 s27, s25, s18
	s_cselect_b64 s[22:23], -1, 0
	s_cmp_lg_u64 s[22:23], 0
	s_subb_u32 s22, s26, 0
	s_cmp_ge_u32 s22, s19
	s_cselect_b32 s23, -1, 0
	s_cmp_ge_u32 s27, s18
	s_cselect_b32 s26, -1, 0
	s_cmp_eq_u32 s22, s19
	s_cselect_b32 s22, s26, s23
	s_add_u32 s23, s7, 1
	s_addc_u32 s26, s15, 0
	s_add_u32 s27, s7, 2
	s_addc_u32 s28, s15, 0
	s_cmp_lg_u32 s22, 0
	s_cselect_b32 s22, s27, s23
	s_cselect_b32 s23, s28, s26
	s_cmp_lg_u64 s[20:21], 0
	s_subb_u32 s20, s9, s24
	s_cmp_ge_u32 s20, s19
	s_cselect_b32 s21, -1, 0
	s_cmp_ge_u32 s25, s18
	s_cselect_b32 s24, -1, 0
	s_cmp_eq_u32 s20, s19
	s_cselect_b32 s20, s24, s21
	s_cmp_lg_u32 s20, 0
	s_cselect_b32 s79, s23, s15
	s_cselect_b32 s78, s22, s7
	s_cbranch_execnz .LBB153_22
.LBB153_21:                             ;   in Loop: Header=BB153_19 Depth=1
	v_cvt_f32_u32_e32 v1, s18
	s_sub_i32 s7, 0, s18
	s_mov_b32 s79, s14
	v_rcp_iflag_f32_e32 v1, v1
	v_mul_f32_e32 v1, 0x4f7ffffe, v1
	v_cvt_u32_f32_e32 v1, v1
	v_readfirstlane_b32 s15, v1
	s_mul_i32 s7, s7, s15
	s_mul_hi_u32 s7, s15, s7
	s_add_i32 s15, s15, s7
	s_mul_hi_u32 s7, s8, s15
	s_mul_i32 s20, s7, s18
	s_sub_i32 s20, s8, s20
	s_add_i32 s15, s7, 1
	s_sub_i32 s21, s20, s18
	s_cmp_ge_u32 s20, s18
	s_cselect_b32 s7, s15, s7
	s_cselect_b32 s20, s21, s20
	s_add_i32 s15, s7, 1
	s_cmp_ge_u32 s20, s18
	s_cselect_b32 s78, s15, s7
.LBB153_22:                             ;   in Loop: Header=BB153_19 Depth=1
	s_mul_i32 s7, s78, s19
	s_mul_hi_u32 s15, s78, s18
	s_load_dwordx2 s[20:21], s[16:17], 0xc8
	s_add_i32 s7, s15, s7
	s_mul_i32 s15, s79, s18
	s_add_i32 s7, s7, s15
	s_mul_i32 s15, s78, s18
	s_sub_u32 s8, s8, s15
	s_subb_u32 s7, s9, s7
	s_waitcnt lgkmcnt(0)
	s_mul_i32 s7, s20, s7
	s_mul_hi_u32 s9, s20, s8
	s_add_i32 s7, s9, s7
	s_mul_i32 s9, s21, s8
	s_add_i32 s7, s7, s9
	s_mul_i32 s8, s20, s8
	s_add_u32 s74, s8, s74
	s_addc_u32 s75, s7, s75
	s_add_i32 s29, s29, -1
	s_add_u32 s16, s16, -8
	s_addc_u32 s17, s17, -1
	s_cmp_gt_u32 s29, 2
	s_cbranch_scc0 .LBB153_26
; %bb.23:                               ;   in Loop: Header=BB153_19 Depth=1
	s_mov_b64 s[8:9], s[78:79]
	s_branch .LBB153_19
.LBB153_24:                             ;   in Loop: Header=BB153_19 Depth=1
                                        ; implicit-def: $sgpr78_sgpr79
	s_branch .LBB153_21
.LBB153_25:
	s_mov_b64 s[78:79], s[8:9]
.LBB153_26:
	s_load_dwordx4 s[60:63], s[4:5], 0x1a0
	s_load_dwordx2 s[8:9], s[4:5], 0x0
	v_writelane_b32 v54, s30, 2
	v_writelane_b32 v54, s31, 3
	s_mov_b32 s87, 0
	v_cmp_eq_u32_e64 s[14:15], 0, v0
	s_waitcnt lgkmcnt(0)
	v_writelane_b32 v54, s8, 4
	v_writelane_b32 v54, s9, 5
	s_load_dwordx2 s[8:9], s[4:5], 0x440
	s_waitcnt lgkmcnt(0)
	v_writelane_b32 v54, s8, 6
	v_writelane_b32 v54, s9, 7
	s_load_dwordx2 s[8:9], s[4:5], 0x1c8
	;; [unrolled: 4-line block ×3, first 2 shown]
	s_waitcnt lgkmcnt(0)
	v_writelane_b32 v54, s8, 10
	v_writelane_b32 v54, s9, 11
	s_mov_b64 s[8:9], exec
	v_writelane_b32 v54, s14, 12
	v_writelane_b32 v54, s15, 13
	s_and_b64 s[14:15], s[8:9], s[14:15]
	s_mov_b64 exec, s[14:15]
	s_cbranch_execz .LBB153_28
; %bb.27:
	v_mov_b32_e32 v1, 0
	v_mov_b32_e32 v3, s60
	;; [unrolled: 1-line block ×4, first 2 shown]
	ds_write_b32 v1, v1 offset:5144
	ds_write_b128 v1, v[1:4] offset:5120
.LBB153_28:
	s_or_b64 exec, exec, s[8:9]
	s_load_dwordx2 s[14:15], s[4:5], 0x0
	s_mul_i32 s8, s12, s11
	s_mul_hi_u32 s7, s12, s10
	s_add_i32 s8, s7, s8
	s_mul_i32 s7, s13, s10
	s_add_i32 s9, s8, s7
	s_mul_i32 s8, s12, s10
	v_writelane_b32 v54, s4, 14
	s_lshl_b64 s[16:17], s[8:9], 2
	v_writelane_b32 v54, s5, 15
	s_load_dword s5, s[4:5], 0x1b0
	s_waitcnt lgkmcnt(0)
	s_add_u32 s8, s14, s16
	s_addc_u32 s9, s15, s17
	s_lshl_b64 s[72:73], s[0:1], 2
	s_add_u32 s66, s8, s72
	s_addc_u32 s67, s9, s73
	s_bitcmp1_b32 s5, 0
	s_cselect_b64 s[0:1], -1, 0
	v_writelane_b32 v54, s0, 16
	v_writelane_b32 v54, s1, 17
	s_xor_b64 s[0:1], s[0:1], -1
	v_mbcnt_lo_u32_b32 v1, -1, 0
	v_writelane_b32 v54, s0, 18
	v_mbcnt_hi_u32_b32 v44, -1, v1
	v_writelane_b32 v54, s1, 19
	v_cmp_gt_u32_e32 vcc, 64, v0
	v_cmp_gt_i32_e64 s[10:11], 4, v44
	v_mad_u64_u32 v[4:5], s[0:1], s58, v0, 0
	v_mov_b32_e32 v1, 0x300
	s_and_b64 s[0:1], vcc, s[10:11]
	v_mov_b32_e32 v2, 0
	v_writelane_b32 v54, s0, 20
	v_writelane_b32 v54, s1, 21
	v_cmp_gt_u64_e64 s[0:1], s[60:61], v[1:2]
	v_mov_b32_e32 v1, v5
	v_writelane_b32 v54, s0, 22
	v_mov_b32_e32 v13, 0
	v_writelane_b32 v54, s1, 23
	v_mad_u64_u32 v[2:3], s[0:1], s59, v0, v[1:2]
	v_mov_b32_e32 v1, v13
	v_cmp_gt_u64_e64 s[0:1], s[60:61], v[0:1]
	v_writelane_b32 v54, s0, 24
	v_writelane_b32 v54, s1, 25
	v_cmp_gt_u32_e64 s[0:1], 2, v0
	v_writelane_b32 v54, s0, 26
	s_barrier
	v_writelane_b32 v54, s1, 27
	s_load_dword s0, s[2:3], 0xc
	v_mov_b32_e32 v5, v2
	v_lshlrev_b64 v[2:3], 2, v[4:5]
	v_mov_b32_e32 v6, s67
	v_add_co_u32_e32 v10, vcc, s66, v2
	s_waitcnt lgkmcnt(0)
	s_and_b32 s33, s0, 0xffff
	s_bfe_u32 s5, s0, 0xa0006
	s_cmp_gt_u32 s33, 63
	s_cselect_b64 s[0:1], -1, 0
	v_writelane_b32 v54, s0, 28
	v_writelane_b32 v54, s1, 29
	s_add_u32 s0, s33, -1
	s_addc_u32 s1, 0, -1
	v_writelane_b32 v54, s0, 30
	s_add_u32 s0, s0, s60
	v_writelane_b32 v54, s0, 31
	v_writelane_b32 v54, s1, 32
	s_addc_u32 s1, s1, s61
	v_writelane_b32 v54, s0, 33
	s_cmp_lt_u32 s6, s34
	v_addc_co_u32_e32 v11, vcc, v6, v3, vcc
	v_lshlrev_b64 v[6:7], v44, -1
	v_writelane_b32 v54, s1, 34
	s_cselect_b32 s0, 12, 18
	s_add_u32 s0, s2, s0
	v_not_b32_e32 v43, v6
	v_lshrrev_b32_e32 v6, 1, v0
	s_addc_u32 s1, s3, 0
	v_and_b32_e32 v6, 0x1e0, v6
	v_writelane_b32 v54, s0, 35
	v_not_b32_e32 v42, v7
	v_or_b32_e32 v46, 0xc00, v6
	v_writelane_b32 v54, s1, 36
	s_add_i32 s0, s5, -1
	v_lshlrev_b32_e32 v47, 4, v0
	v_mov_b32_e32 v6, s8
	s_bfe_u32 s2, s33, 0x30006
	s_and_b32 s0, s0, 0xffff
	v_or_b32_e32 v9, 12, v47
	v_mov_b32_e32 v7, s9
	s_cmp_gt_u32 s0, 6
	v_mad_u64_u32 v[16:17], s[0:1], s58, v9, v[6:7]
	v_lshlrev_b32_e32 v8, 2, v44
	s_cselect_b64 s[0:1], -1, 0
	v_and_b32_e32 v41, 0x100, v8
	v_writelane_b32 v54, s0, 37
	v_mov_b32_e32 v8, v17
	v_writelane_b32 v54, s1, 38
	v_mad_u64_u32 v[8:9], s[0:1], s59, v9, v[8:9]
	v_or_b32_e32 v9, 8, v47
	v_mad_u64_u32 v[18:19], s[0:1], s58, v9, v[6:7]
	s_and_b32 s12, s5, 0x3f8
	s_cmp_lg_u32 s2, 0
	v_writelane_b32 v54, s2, 39
	s_cselect_b64 s[0:1], -1, 0
	v_writelane_b32 v54, s0, 40
	v_mov_b32_e32 v17, v8
	v_mov_b32_e32 v8, v19
	v_writelane_b32 v54, s1, 41
	v_mad_u64_u32 v[8:9], s[0:1], s59, v9, v[8:9]
	v_or_b32_e32 v9, 4, v47
	v_mad_u64_u32 v[20:21], s[0:1], s58, v9, v[6:7]
	s_add_u32 s2, s16, s72
	s_addc_u32 s3, s17, s73
	s_add_u32 s2, s14, s2
	v_mov_b32_e32 v6, v21
	s_addc_u32 s3, s15, s3
	v_mad_u64_u32 v[6:7], s[0:1], s59, v9, v[6:7]
	v_writelane_b32 v54, s2, 42
	v_writelane_b32 v54, s3, 43
	s_lshl_b64 s[0:1], s[58:59], 4
	s_lshl_b64 s[26:27], s[58:59], 2
	v_writelane_b32 v54, s0, 44
	s_lshl_b32 s86, s33, 2
	v_writelane_b32 v54, s1, 45
	v_lshlrev_b64 v[4:5], 4, v[4:5]
	s_add_u32 s0, s14, s72
	s_addc_u32 s1, s15, s73
	v_mov_b32_e32 v21, v6
	v_mov_b32_e32 v6, s9
	v_add_co_u32_e32 v22, vcc, s8, v4
	s_add_u32 s0, s0, s16
	v_addc_co_u32_e32 v23, vcc, v6, v5, vcc
	v_writelane_b32 v54, s16, 46
	s_addc_u32 s1, s1, s17
	v_mov_b32_e32 v4, s1
	v_add_co_u32_e32 v24, vcc, s0, v2
	s_mul_i32 s0, s59, s33
	s_mul_hi_u32 s1, s58, s33
	s_add_i32 s1, s1, s0
	s_mul_i32 s0, s58, s33
	v_writelane_b32 v54, s17, 47
	s_lshl_b64 s[0:1], s[0:1], 2
	v_writelane_b32 v54, s0, 48
	v_writelane_b32 v54, s1, 49
                                        ; implicit-def: $sgpr0_sgpr1
                                        ; kill: killed $sgpr0_sgpr1
                                        ; implicit-def: $sgpr0_sgpr1
	v_lshlrev_b32_e32 v14, 2, v0
	v_mov_b32_e32 v2, 0xc00
                                        ; kill: killed $sgpr0_sgpr1
                                        ; implicit-def: $sgpr0_sgpr1
	v_mov_b32_e32 v29, s62
	v_writelane_b32 v54, s26, 50
	v_cmp_eq_u32_e64 s[92:93], 0, v44
	v_mov_b32_e32 v15, v13
	v_add_u32_e32 v45, 0xc00, v14
	v_mov_b32_e32 v19, v8
	v_addc_co_u32_e32 v25, vcc, v4, v3, vcc
	v_lshl_or_b32 v49, v44, 3, v2
	s_mov_b32 s13, 30
	s_mov_b64 s[68:69], 0
	v_mov_b32_e32 v50, 0x4f800000
                                        ; kill: killed $sgpr0_sgpr1
                                        ; implicit-def: $sgpr0_sgpr1
	v_mov_b32_e32 v51, 0
	v_mov_b32_e32 v48, 0
	;; [unrolled: 1-line block ×6, first 2 shown]
	v_writelane_b32 v54, s27, 51
                                        ; kill: killed $sgpr0_sgpr1
                                        ; implicit-def: $sgpr0_sgpr1
                                        ; kill: killed $sgpr0_sgpr1
                                        ; implicit-def: $sgpr70_sgpr71
                                        ; implicit-def: $sgpr82_sgpr83
                                        ; implicit-def: $sgpr84_sgpr85
                                        ; implicit-def: $sgpr30_sgpr31
                                        ; implicit-def: $sgpr8_sgpr9
	v_writelane_b32 v54, s86, 52
	s_branch .LBB153_31
.LBB153_29:                             ;   in Loop: Header=BB153_31 Depth=1
	s_or_b64 exec, exec, s[10:11]
	s_andn2_b64 s[4:5], s[24:25], exec
	s_and_b64 s[6:7], s[6:7], exec
	v_mov_b32_e32 v30, v3
	s_or_b64 s[24:25], s[4:5], s[6:7]
	s_andn2_b64 s[22:23], s[22:23], exec
	s_andn2_b64 s[20:21], s[20:21], exec
	;; [unrolled: 1-line block ×4, first 2 shown]
	s_orn2_b64 s[2:3], s[2:3], exec
	v_mov_b32_e32 v29, v2
.LBB153_30:                             ;   in Loop: Header=BB153_31 Depth=1
	s_or_b64 exec, exec, s[0:1]
	s_and_b64 s[0:1], exec, s[2:3]
	s_or_b64 s[68:69], s[0:1], s[68:69]
	v_readlane_b32 s0, v54, 53
	v_readlane_b32 s1, v54, 54
	s_andn2_b64 s[0:1], s[0:1], exec
	s_and_b64 s[2:3], s[24:25], exec
	s_or_b64 s[0:1], s[0:1], s[2:3]
	v_writelane_b32 v54, s0, 53
	v_writelane_b32 v54, s1, 54
	v_readlane_b32 s0, v54, 55
	v_readlane_b32 s1, v54, 56
	s_andn2_b64 s[0:1], s[0:1], exec
	s_and_b64 s[2:3], s[22:23], exec
	s_or_b64 s[0:1], s[0:1], s[2:3]
	v_writelane_b32 v54, s0, 55
	v_writelane_b32 v54, s1, 56
	;; [unrolled: 7-line block ×4, first 2 shown]
	v_readlane_b32 s0, v54, 61
	v_readlane_b32 s1, v54, 62
	s_andn2_b64 s[0:1], s[0:1], exec
	s_and_b64 s[2:3], s[4:5], exec
	s_or_b64 s[0:1], s[0:1], s[2:3]
	s_mov_b64 s[8:9], s[24:25]
	s_mov_b64 s[30:31], s[22:23]
	;; [unrolled: 1-line block ×5, first 2 shown]
	v_writelane_b32 v54, s0, 61
	v_writelane_b32 v54, s1, 62
	s_andn2_b64 exec, exec, s[68:69]
	s_cbranch_execz .LBB153_489
.LBB153_31:                             ; =>This Loop Header: Depth=1
                                        ;     Child Loop BB153_37 Depth 2
                                        ;     Child Loop BB153_50 Depth 2
	;; [unrolled: 1-line block ×24, first 2 shown]
	ds_read_b128 v[2:5], v13 offset:5120
	s_waitcnt lgkmcnt(0)
	v_readfirstlane_b32 s89, v3
	v_readfirstlane_b32 s88, v2
	s_cmp_lg_u64 s[88:89], 0
	s_cbranch_scc1 .LBB153_58
; %bb.32:                               ;   in Loop: Header=BB153_31 Depth=1
	v_readlane_b32 s0, v54, 22
	v_readlane_b32 s1, v54, 23
	s_and_b64 vcc, exec, s[0:1]
	s_cbranch_vccz .LBB153_45
; %bb.33:                               ;   in Loop: Header=BB153_31 Depth=1
	s_mov_b64 s[0:1], 0x301
	v_cmp_gt_u64_e32 vcc, s[0:1], v[4:5]
	s_mov_b64 s[0:1], 0
	s_mov_b64 s[2:3], 0
	s_cbranch_vccz .LBB153_46
; %bb.34:                               ;   in Loop: Header=BB153_31 Depth=1
	v_readlane_b32 s4, v54, 24
	v_readlane_b32 s5, v54, 25
	s_and_saveexec_b64 s[2:3], s[4:5]
	s_cbranch_execz .LBB153_113
; %bb.35:                               ;   in Loop: Header=BB153_31 Depth=1
	v_readlane_b32 s4, v54, 35
	v_readlane_b32 s5, v54, 36
	s_nop 4
	global_load_ushort v6, v13, s[4:5]
	global_load_dword v7, v[10:11], off
	v_readlane_b32 s4, v54, 42
	v_readlane_b32 s5, v54, 43
	v_mov_b32_e32 v2, s4
	v_mov_b32_e32 v3, s5
	s_mov_b64 s[10:11], 0
	s_waitcnt vmcnt(1)
	v_readfirstlane_b32 s6, v6
	s_and_b32 s14, 0xffff, s6
	v_add_u32_e32 v4, s14, v0
	v_mad_u64_u32 v[2:3], s[6:7], s26, v4, v[2:3]
	s_mul_i32 s15, s27, s14
	s_mul_i32 s22, s26, s14
	v_mad_u64_u32 v[3:4], s[6:7], s27, v4, v[3:4]
	s_mul_hi_u32 s6, s26, s14
	v_mov_b32_e32 v5, v1
	s_add_i32 s23, s6, s15
	v_mov_b32_e32 v4, v0
	s_branch .LBB153_37
.LBB153_36:                             ;   in Loop: Header=BB153_37 Depth=2
	s_or_b64 exec, exec, s[6:7]
	v_mov_b32_e32 v7, s23
	v_add_co_u32_e32 v2, vcc, s22, v2
	v_addc_co_u32_e32 v3, vcc, v3, v7, vcc
	v_mov_b32_e32 v7, v8
	s_andn2_b64 exec, exec, s[10:11]
	s_cbranch_execz .LBB153_113
.LBB153_37:                             ;   Parent Loop BB153_31 Depth=1
                                        ; =>  This Inner Loop Header: Depth=2
	v_add_co_u32_sdwa v4, vcc, v4, v6 dst_sel:DWORD dst_unused:UNUSED_PAD src0_sel:DWORD src1_sel:WORD_0
	v_addc_co_u32_e32 v5, vcc, 0, v5, vcc
	v_cmp_gt_u64_e64 s[6:7], s[60:61], v[4:5]
	v_cmp_le_u64_e32 vcc, s[60:61], v[4:5]
	s_waitcnt lgkmcnt(0)
	v_mov_b32_e32 v9, 0
	v_mov_b32_e32 v8, 0
	s_and_saveexec_b64 s[14:15], s[6:7]
	s_cbranch_execz .LBB153_39
; %bb.38:                               ;   in Loop: Header=BB153_37 Depth=2
	global_load_dword v8, v[2:3], off
.LBB153_39:                             ;   in Loop: Header=BB153_37 Depth=2
	s_or_b64 exec, exec, s[14:15]
	s_waitcnt vmcnt(0)
	v_xor_b32_e32 v12, 0x80000000, v7
	v_and_b32_e32 v12, v12, v52
	v_cmp_eq_u32_e64 s[14:15], v12, v48
	s_cmp_lg_u64 s[14:15], 0
	s_cselect_b64 s[6:7], -1, 0
	s_and_b64 s[6:7], s[92:93], s[6:7]
	s_and_saveexec_b64 s[16:17], s[6:7]
	s_cbranch_execz .LBB153_43
; %bb.40:                               ;   in Loop: Header=BB153_37 Depth=2
	s_mov_b64 s[20:21], exec
	v_mbcnt_lo_u32_b32 v9, s20, 0
	v_mbcnt_hi_u32_b32 v9, s21, v9
	s_bcnt1_i32_b64 s24, s[14:15]
	v_cmp_eq_u32_e64 s[6:7], 0, v9
                                        ; implicit-def: $vgpr12
	s_and_saveexec_b64 s[18:19], s[6:7]
; %bb.41:                               ;   in Loop: Header=BB153_37 Depth=2
	s_bcnt1_i32_b64 s6, s[20:21]
	s_mul_i32 s6, s24, s6
	v_mov_b32_e32 v12, s6
	ds_add_rtn_u32 v12, v13, v12 offset:5144
; %bb.42:                               ;   in Loop: Header=BB153_37 Depth=2
	s_or_b64 exec, exec, s[18:19]
	s_waitcnt lgkmcnt(0)
	v_readfirstlane_b32 s6, v12
	v_mov_b32_e32 v12, s6
	v_mad_u32_u24 v9, s24, v9, v12
.LBB153_43:                             ;   in Loop: Header=BB153_37 Depth=2
	s_or_b64 exec, exec, s[16:17]
	ds_bpermute_b32 v9, v41, v9
	s_and_b64 s[6:7], exec, vcc
	s_or_b64 s[10:11], s[6:7], s[10:11]
	s_and_saveexec_b64 s[6:7], s[14:15]
	s_cbranch_execz .LBB153_36
; %bb.44:                               ;   in Loop: Header=BB153_37 Depth=2
	v_and_b32_e32 v27, s14, v43
	v_and_b32_e32 v12, s15, v42
	v_bcnt_u32_b32 v27, v27, 0
	v_bcnt_u32_b32 v12, v12, v27
	v_lshlrev_b32_e32 v12, 2, v12
	s_waitcnt lgkmcnt(0)
	v_lshl_add_u32 v9, v9, 2, v12
	ds_write_b32 v9, v7
	s_branch .LBB153_36
.LBB153_45:                             ;   in Loop: Header=BB153_31 Depth=1
	s_mov_b64 s[0:1], -1
	s_mov_b64 s[2:3], 0
.LBB153_46:                             ;   in Loop: Header=BB153_31 Depth=1
	s_and_b64 vcc, exec, s[0:1]
	s_cbranch_vccz .LBB153_56
.LBB153_47:                             ;   in Loop: Header=BB153_31 Depth=1
	s_mov_b64 s[0:1], exec
	v_readlane_b32 s2, v54, 24
	v_readlane_b32 s3, v54, 25
	s_and_b64 s[2:3], s[0:1], s[2:3]
	s_mov_b64 exec, s[2:3]
	s_cbranch_execz .LBB153_53
; %bb.48:                               ;   in Loop: Header=BB153_31 Depth=1
	v_readlane_b32 s2, v54, 35
	v_readlane_b32 s3, v54, 36
	s_nop 4
	global_load_ushort v2, v13, s[2:3]
	global_load_dword v8, v[10:11], off
	s_waitcnt vmcnt(1)
	v_add_u32_sdwa v12, v2, v0 dst_sel:DWORD dst_unused:UNUSED_PAD src0_sel:WORD_0 src1_sel:DWORD
	v_cmp_gt_u64_e32 vcc, s[60:61], v[12:13]
	v_readfirstlane_b32 s6, v2
	v_mov_b32_e32 v2, v0
	s_and_saveexec_b64 s[2:3], vcc
	s_cbranch_execz .LBB153_52
; %bb.49:                               ;   in Loop: Header=BB153_31 Depth=1
	v_readlane_b32 s4, v54, 42
	v_readlane_b32 s5, v54, 43
	v_mov_b32_e32 v2, s4
	v_mov_b32_e32 v3, s5
	v_mad_u64_u32 v[2:3], s[10:11], s26, v12, v[2:3]
	s_and_b32 s10, s6, 0xffff
	v_mov_b32_e32 v7, v1
	v_mad_u64_u32 v[3:4], s[6:7], s27, v12, v[3:4]
	s_mul_i32 s6, s27, s10
	s_mul_hi_u32 s7, s26, s10
	v_mov_b32_e32 v4, v12
	s_add_i32 s11, s7, s6
	s_mov_b64 s[6:7], 0
	v_mov_b32_e32 v5, v13
	v_mov_b32_e32 v6, v0
.LBB153_50:                             ;   Parent Loop BB153_31 Depth=1
                                        ; =>  This Inner Loop Header: Depth=2
	global_load_dword v9, v[2:3], off
	v_mov_b32_e32 v32, v5
	s_mul_i32 s14, s26, s10
	v_mov_b32_e32 v31, v4
	v_mov_b32_e32 v5, s11
	v_add_co_u32_e32 v2, vcc, s14, v2
	v_lshlrev_b32_e32 v4, 2, v6
	v_addc_co_u32_e32 v3, vcc, v3, v5, vcc
	s_waitcnt vmcnt(1)
	ds_write_b32 v4, v8
	v_add_co_u32_e32 v4, vcc, s10, v31
	v_addc_co_u32_e32 v5, vcc, 0, v32, vcc
	v_cmp_le_u64_e32 vcc, s[60:61], v[4:5]
	v_mov_b32_e32 v6, v31
	s_or_b64 s[6:7], vcc, s[6:7]
	v_mov_b32_e32 v7, v32
	s_waitcnt vmcnt(0)
	v_mov_b32_e32 v8, v9
	s_andn2_b64 exec, exec, s[6:7]
	s_cbranch_execnz .LBB153_50
; %bb.51:                               ;   in Loop: Header=BB153_31 Depth=1
	s_or_b64 exec, exec, s[6:7]
	v_subrev_u32_e32 v2, s10, v4
	v_mov_b32_e32 v8, v9
.LBB153_52:                             ;   in Loop: Header=BB153_31 Depth=1
	s_or_b64 exec, exec, s[2:3]
	v_lshlrev_b32_e32 v2, 2, v2
	s_waitcnt vmcnt(0)
	ds_write_b32 v2, v8
.LBB153_53:                             ;   in Loop: Header=BB153_31 Depth=1
	s_or_b64 exec, exec, s[0:1]
	s_waitcnt lgkmcnt(0)
	s_barrier
	s_mov_b64 s[0:1], exec
	v_readlane_b32 s2, v54, 12
	v_readlane_b32 s3, v54, 13
	s_and_b64 s[2:3], s[0:1], s[2:3]
	s_mov_b64 exec, s[2:3]
; %bb.54:                               ;   in Loop: Header=BB153_31 Depth=1
	v_mov_b32_e32 v2, s60
	v_mov_b32_e32 v3, s61
	ds_write_b64 v13, v[2:3] offset:5120
; %bb.55:                               ;   in Loop: Header=BB153_31 Depth=1
	s_or_b64 exec, exec, s[0:1]
	s_waitcnt lgkmcnt(0)
	s_barrier
	s_mov_b64 s[2:3], -1
.LBB153_56:                             ;   in Loop: Header=BB153_31 Depth=1
	s_mov_b64 s[88:89], 0
	s_and_b64 vcc, exec, s[2:3]
	s_cbranch_vccz .LBB153_58
; %bb.57:                               ;   in Loop: Header=BB153_31 Depth=1
	ds_read_b64 v[2:3], v13 offset:5120
	s_waitcnt lgkmcnt(0)
	v_readfirstlane_b32 s88, v2
.LBB153_58:                             ;   in Loop: Header=BB153_31 Depth=1
	s_cmp_lt_i32 s88, 1
	s_mov_b64 s[0:1], -1
                                        ; implicit-def: $vgpr2_vgpr3
                                        ; implicit-def: $vgpr6_vgpr7
	s_cbranch_scc1 .LBB153_68
; %bb.59:                               ;   in Loop: Header=BB153_31 Depth=1
	s_and_b64 vcc, exec, s[0:1]
	s_cbranch_vccnz .LBB153_82
.LBB153_60:                             ;   in Loop: Header=BB153_31 Depth=1
	v_lshlrev_b32_e32 v12, 6, v51
	s_and_saveexec_b64 s[0:1], s[92:93]
	s_cbranch_execz .LBB153_62
.LBB153_61:                             ;   in Loop: Header=BB153_31 Depth=1
	v_lshl_add_u32 v27, v12, 3, v46
	ds_write_b128 v27, v[2:5]
	ds_write_b128 v27, v[6:9] offset:16
.LBB153_62:                             ;   in Loop: Header=BB153_31 Depth=1
	s_or_b64 exec, exec, s[0:1]
	s_waitcnt lgkmcnt(0)
	s_barrier
	s_mov_b64 s[0:1], exec
	v_readlane_b32 s2, v54, 20
	v_readlane_b32 s3, v54, 21
	s_and_b64 s[2:3], s[0:1], s[2:3]
	s_mov_b64 exec, s[2:3]
	s_cbranch_execz .LBB153_97
; %bb.63:                               ;   in Loop: Header=BB153_31 Depth=1
	v_readlane_b32 s2, v54, 28
	v_mov_b32_e32 v2, 0
	v_readlane_b32 s3, v54, 29
	v_mov_b32_e32 v3, 0
	s_andn2_b64 vcc, exec, s[2:3]
	s_cbranch_vccnz .LBB153_96
; %bb.64:                               ;   in Loop: Header=BB153_31 Depth=1
	v_readlane_b32 s2, v54, 37
	v_readlane_b32 s3, v54, 38
	s_andn2_b64 vcc, exec, s[2:3]
	s_cbranch_vccnz .LBB153_92
; %bb.65:                               ;   in Loop: Header=BB153_31 Depth=1
	v_mov_b32_e32 v2, 0
	v_lshl_add_u32 v4, v51, 9, v49
	v_mov_b32_e32 v3, 0
	s_mov_b32 s2, 0
.LBB153_66:                             ;   Parent Loop BB153_31 Depth=1
                                        ; =>  This Inner Loop Header: Depth=2
	ds_read2_b64 v[5:8], v4 offset1:4
	s_add_i32 s2, s2, 8
	s_cmp_eq_u32 s12, s2
	s_waitcnt lgkmcnt(0)
	v_add_co_u32_e32 v2, vcc, v5, v2
	v_addc_co_u32_e32 v3, vcc, v6, v3, vcc
	v_add_co_u32_e32 v2, vcc, v7, v2
	v_addc_co_u32_e32 v3, vcc, v8, v3, vcc
	ds_read2_b64 v[5:8], v4 offset0:8 offset1:12
	s_waitcnt lgkmcnt(0)
	v_add_co_u32_e32 v2, vcc, v5, v2
	v_addc_co_u32_e32 v3, vcc, v6, v3, vcc
	v_add_co_u32_e32 v2, vcc, v7, v2
	v_addc_co_u32_e32 v3, vcc, v8, v3, vcc
	ds_read2_b64 v[5:8], v4 offset0:16 offset1:20
	;; [unrolled: 6-line block ×3, first 2 shown]
	v_add_u32_e32 v4, 0x100, v4
	s_waitcnt lgkmcnt(0)
	v_add_co_u32_e32 v2, vcc, v5, v2
	v_addc_co_u32_e32 v3, vcc, v6, v3, vcc
	v_add_co_u32_e32 v2, vcc, v7, v2
	v_addc_co_u32_e32 v3, vcc, v8, v3, vcc
	s_cbranch_scc0 .LBB153_66
; %bb.67:                               ;   in Loop: Header=BB153_31 Depth=1
	s_mov_b32 s2, s12
	s_branch .LBB153_93
.LBB153_68:                             ;   in Loop: Header=BB153_31 Depth=1
	v_readlane_b32 s0, v54, 35
	v_readlane_b32 s1, v54, 36
	s_nop 4
	global_load_ushort v2, v13, s[0:1]
	s_mov_b32 s0, s87
	s_waitcnt vmcnt(0)
	v_readfirstlane_b32 s1, v2
	s_and_b32 s38, s1, 0xffff
	s_lshl_b32 s10, s38, 2
	s_mov_b32 s1, s61
	s_cmp_lg_u64 s[0:1], 0
	s_cbranch_scc0 .LBB153_91
; %bb.69:                               ;   in Loop: Header=BB153_31 Depth=1
	v_cvt_f32_u32_e32 v2, s10
	s_sub_u32 s2, 0, s10
	s_subb_u32 s3, 0, 0
	v_mac_f32_e32 v2, 0, v50
	v_rcp_f32_e32 v2, v2
	v_mul_f32_e32 v2, 0x5f7ffffc, v2
	v_mul_f32_e32 v3, 0x2f800000, v2
	v_trunc_f32_e32 v3, v3
	v_mac_f32_e32 v2, 0xcf800000, v3
	v_cvt_u32_f32_e32 v3, v3
	v_cvt_u32_f32_e32 v2, v2
	v_readfirstlane_b32 s6, v3
	v_readfirstlane_b32 s0, v2
	s_mul_i32 s1, s2, s6
	s_mul_hi_u32 s11, s2, s0
	s_mul_i32 s7, s3, s0
	s_add_i32 s1, s11, s1
	s_mul_i32 s14, s2, s0
	s_add_i32 s1, s1, s7
	s_mul_hi_u32 s11, s0, s14
	s_mul_i32 s15, s0, s1
	s_mul_hi_u32 s7, s0, s1
	s_add_u32 s11, s11, s15
	s_addc_u32 s7, 0, s7
	s_mul_hi_u32 s16, s6, s14
	s_mul_i32 s14, s6, s14
	s_add_u32 s11, s11, s14
	s_mul_hi_u32 s15, s6, s1
	s_addc_u32 s7, s7, s16
	s_addc_u32 s11, s15, 0
	s_mul_i32 s1, s6, s1
	s_add_u32 s1, s7, s1
	s_addc_u32 s7, 0, s11
	s_add_u32 s11, s0, s1
	s_cselect_b64 s[0:1], -1, 0
	s_cmp_lg_u64 s[0:1], 0
	s_addc_u32 s6, s6, s7
	s_mul_i32 s0, s2, s6
	s_mul_hi_u32 s1, s2, s11
	s_add_i32 s0, s1, s0
	s_mul_i32 s3, s3, s11
	s_add_i32 s0, s0, s3
	s_mul_i32 s2, s2, s11
	s_mul_hi_u32 s3, s6, s2
	s_mul_i32 s7, s6, s2
	s_mul_i32 s15, s11, s0
	s_mul_hi_u32 s2, s11, s2
	s_mul_hi_u32 s14, s11, s0
	s_add_u32 s2, s2, s15
	s_addc_u32 s14, 0, s14
	s_add_u32 s2, s2, s7
	s_mul_hi_u32 s1, s6, s0
	s_addc_u32 s2, s14, s3
	s_addc_u32 s1, s1, 0
	s_mul_i32 s0, s6, s0
	s_add_u32 s0, s2, s0
	s_addc_u32 s2, 0, s1
	s_add_u32 s3, s11, s0
	s_cselect_b64 s[0:1], -1, 0
	s_cmp_lg_u64 s[0:1], 0
	s_addc_u32 s0, s6, s2
	s_mul_i32 s2, s60, s0
	s_mul_hi_u32 s6, s60, s3
	s_mul_hi_u32 s1, s60, s0
	s_add_u32 s2, s6, s2
	s_addc_u32 s1, 0, s1
	s_mul_hi_u32 s7, s61, s3
	s_mul_i32 s3, s61, s3
	s_add_u32 s2, s2, s3
	s_mul_hi_u32 s6, s61, s0
	s_addc_u32 s1, s1, s7
	s_addc_u32 s2, s6, 0
	s_mul_i32 s0, s61, s0
	s_add_u32 s0, s1, s0
	s_addc_u32 s1, 0, s2
	s_mul_i32 s1, s10, s1
	s_mul_hi_u32 s2, s10, s0
	s_add_i32 s2, s2, s1
	s_mul_i32 s0, s10, s0
	s_sub_u32 s3, s60, s0
	s_cselect_b64 s[0:1], -1, 0
	s_cmp_lg_u64 s[0:1], 0
	s_subb_u32 s2, s61, s2
	s_sub_u32 s6, s3, s10
	s_cselect_b64 s[0:1], -1, 0
	s_cmp_lg_u64 s[0:1], 0
	s_subb_u32 s7, s2, 0
	;; [unrolled: 4-line block ×3, first 2 shown]
	s_cmp_ge_u32 s6, s10
	s_cselect_b32 s1, -1, 0
	s_cmp_eq_u32 s7, 0
	s_cselect_b32 s1, s1, -1
	s_cmp_lg_u32 s1, 0
	s_cselect_b32 s0, s0, s7
	s_cselect_b32 s6, s11, s6
	s_cmp_ge_u32 s3, s10
	s_cselect_b32 s1, -1, 0
	s_cmp_eq_u32 s2, 0
	s_cselect_b32 s1, s1, -1
	s_cmp_lg_u32 s1, 0
	s_cselect_b32 s1, s0, s2
	s_cselect_b32 s0, s6, s3
	s_cbranch_execnz .LBB153_71
.LBB153_70:                             ;   in Loop: Header=BB153_31 Depth=1
	v_cvt_f32_u32_e32 v2, s10
	s_sub_i32 s0, 0, s10
	v_rcp_iflag_f32_e32 v2, v2
	v_mul_f32_e32 v2, 0x4f7ffffe, v2
	v_cvt_u32_f32_e32 v2, v2
	v_readfirstlane_b32 s1, v2
	s_mul_i32 s0, s0, s1
	s_mul_hi_u32 s0, s1, s0
	s_add_i32 s1, s1, s0
	s_mul_hi_u32 s0, s60, s1
	s_mul_i32 s0, s0, s10
	s_sub_i32 s0, s60, s0
	s_sub_i32 s1, s0, s10
	s_cmp_ge_u32 s0, s10
	s_cselect_b32 s0, s1, s0
	s_sub_i32 s1, s0, s10
	s_cmp_ge_u32 s0, s10
	s_cselect_b32 s86, s1, s0
	s_mov_b64 s[0:1], s[86:87]
	v_readlane_b32 s86, v54, 52
.LBB153_71:                             ;   in Loop: Header=BB153_31 Depth=1
	s_sub_u32 s20, s60, s0
	s_subb_u32 s21, s61, s1
	v_cmp_gt_u64_e32 vcc, s[20:21], v[14:15]
	v_mov_b32_e32 v2, 0
	v_mov_b32_e32 v4, 0
	;; [unrolled: 1-line block ×8, first 2 shown]
	s_and_saveexec_b64 s[22:23], vcc
	s_cbranch_execz .LBB153_75
; %bb.72:                               ;   in Loop: Header=BB153_31 Depth=1
	v_readlane_b32 s2, v54, 44
	v_readlane_b32 s3, v54, 45
	s_mul_i32 s0, s3, s38
	s_mul_hi_u32 s1, s2, s38
	v_mov_b32_e32 v32, v23
	v_mov_b32_e32 v34, v21
	;; [unrolled: 1-line block ×5, first 2 shown]
	s_add_i32 s0, s1, s0
	s_mul_i32 s1, s2, s38
	s_mov_b64 s[24:25], 0
	v_mov_b32_e32 v31, v22
	v_mov_b32_e32 v33, v20
	;; [unrolled: 1-line block ×4, first 2 shown]
	s_mov_b64 s[26:27], 0
	s_mov_b64 s[28:29], 0
	;; [unrolled: 1-line block ×4, first 2 shown]
	v_mov_b32_e32 v39, v14
.LBB153_73:                             ;   Parent Loop BB153_31 Depth=1
                                        ; =>  This Inner Loop Header: Depth=2
	v_add_co_u32_e32 v2, vcc, s72, v31
	v_mov_b32_e32 v4, s73
	v_addc_co_u32_e32 v3, vcc, v32, v4, vcc
	global_load_dword v5, v[2:3], off
	v_add_co_u32_e32 v2, vcc, s72, v33
	v_addc_co_u32_e32 v3, vcc, v34, v4, vcc
	global_load_dword v6, v[2:3], off
	v_add_co_u32_e32 v2, vcc, s72, v35
	;; [unrolled: 3-line block ×3, first 2 shown]
	v_addc_co_u32_e32 v3, vcc, v38, v4, vcc
	global_load_dword v2, v[2:3], off
	s_waitcnt vmcnt(3)
	v_xor_b32_e32 v3, 0x80000000, v5
	s_waitcnt vmcnt(2)
	v_xor_b32_e32 v4, 0x80000000, v6
	v_and_b32_e32 v6, v3, v52
	v_bfe_u32 v3, v3, s13, 2
	v_cmp_eq_u32_e32 vcc, v6, v48
	v_and_b32_e32 v6, v4, v52
	s_waitcnt vmcnt(1)
	v_xor_b32_e32 v5, 0x80000000, v7
	v_bfe_u32 v4, v4, s13, 2
	v_cmp_eq_u32_e64 s[18:19], 0, v3
	v_cmp_eq_u32_e64 s[6:7], v6, v48
	v_and_b32_e32 v6, v5, v52
	s_waitcnt vmcnt(0)
	v_xor_b32_e32 v2, 0x80000000, v2
	v_bfe_u32 v5, v5, s13, 2
	s_and_b64 s[2:3], vcc, s[18:19]
	v_cmp_eq_u32_e64 s[18:19], 0, v4
	v_cmp_eq_u32_e64 s[14:15], v6, v48
	v_and_b32_e32 v6, v2, v52
	v_bfe_u32 v2, v2, s13, 2
	s_and_b64 s[40:41], s[6:7], s[18:19]
	v_cmp_eq_u32_e64 s[18:19], 0, v5
	v_cmp_eq_u32_e64 s[16:17], v6, v48
	s_and_b64 s[42:43], s[14:15], s[18:19]
	v_cmp_eq_u32_e64 s[18:19], 0, v2
	v_cndmask_b32_e64 v6, 0, 1, s[2:3]
	s_and_b64 s[44:45], s[16:17], s[18:19]
	v_cmp_ne_u32_e64 s[18:19], 0, v6
	v_cndmask_b32_e64 v6, 0, 1, s[40:41]
	s_bcnt1_i32_b64 s2, s[18:19]
	v_cmp_ne_u32_e64 s[18:19], 0, v6
	v_cndmask_b32_e64 v6, 0, 1, s[42:43]
	s_bcnt1_i32_b64 s3, s[18:19]
	;; [unrolled: 3-line block ×3, first 2 shown]
	v_cmp_ne_u32_e64 s[18:19], 0, v6
	s_bcnt1_i32_b64 s18, s[18:19]
	s_add_u32 s2, s2, s36
	s_addc_u32 s19, 0, s37
	s_add_u32 s2, s2, s3
	s_addc_u32 s3, s19, 0
	;; [unrolled: 2-line block ×3, first 2 shown]
	s_add_u32 s36, s2, s18
	v_cmp_eq_u32_e64 s[18:19], 1, v3
	s_addc_u32 s37, s3, 0
	s_and_b64 s[2:3], vcc, s[18:19]
	v_cmp_eq_u32_e64 s[18:19], 1, v4
	s_and_b64 s[40:41], s[6:7], s[18:19]
	v_cmp_eq_u32_e64 s[18:19], 1, v5
	s_and_b64 s[42:43], s[14:15], s[18:19]
	v_cmp_eq_u32_e64 s[18:19], 1, v2
	v_cndmask_b32_e64 v6, 0, 1, s[2:3]
	s_and_b64 s[44:45], s[16:17], s[18:19]
	v_cmp_ne_u32_e64 s[18:19], 0, v6
	v_cndmask_b32_e64 v6, 0, 1, s[40:41]
	s_bcnt1_i32_b64 s2, s[18:19]
	v_cmp_ne_u32_e64 s[18:19], 0, v6
	v_cndmask_b32_e64 v6, 0, 1, s[42:43]
	s_bcnt1_i32_b64 s3, s[18:19]
	v_cmp_ne_u32_e64 s[18:19], 0, v6
	v_cndmask_b32_e64 v6, 0, 1, s[44:45]
	s_bcnt1_i32_b64 s11, s[18:19]
	v_cmp_ne_u32_e64 s[18:19], 0, v6
	s_bcnt1_i32_b64 s18, s[18:19]
	s_add_u32 s2, s2, s34
	s_addc_u32 s19, 0, s35
	s_add_u32 s2, s2, s3
	s_addc_u32 s3, s19, 0
	;; [unrolled: 2-line block ×3, first 2 shown]
	s_add_u32 s34, s2, s18
	v_cmp_eq_u32_e64 s[18:19], 2, v3
	s_addc_u32 s35, s3, 0
	s_and_b64 s[2:3], vcc, s[18:19]
	v_cmp_eq_u32_e64 s[18:19], 2, v4
	s_and_b64 s[40:41], s[6:7], s[18:19]
	v_cmp_eq_u32_e64 s[18:19], 2, v5
	s_and_b64 s[42:43], s[14:15], s[18:19]
	v_cmp_eq_u32_e64 s[18:19], 2, v2
	v_cndmask_b32_e64 v6, 0, 1, s[2:3]
	s_and_b64 s[44:45], s[16:17], s[18:19]
	v_cmp_ne_u32_e64 s[18:19], 0, v6
	v_cndmask_b32_e64 v6, 0, 1, s[40:41]
	s_bcnt1_i32_b64 s2, s[18:19]
	v_cmp_ne_u32_e64 s[18:19], 0, v6
	v_cndmask_b32_e64 v6, 0, 1, s[42:43]
	s_bcnt1_i32_b64 s3, s[18:19]
	;; [unrolled: 3-line block ×3, first 2 shown]
	v_cmp_ne_u32_e64 s[18:19], 0, v6
	s_bcnt1_i32_b64 s18, s[18:19]
	s_add_u32 s2, s2, s28
	s_addc_u32 s19, 0, s29
	s_add_u32 s2, s2, s3
	s_addc_u32 s3, s19, 0
	s_add_u32 s2, s2, s11
	s_addc_u32 s3, s3, 0
	s_add_u32 s28, s2, s18
	v_cmp_eq_u32_e64 s[18:19], 3, v3
	s_addc_u32 s29, s3, 0
	s_and_b64 s[2:3], vcc, s[18:19]
	v_cmp_eq_u32_e32 vcc, 3, v4
	s_and_b64 s[6:7], s[6:7], vcc
	v_cmp_eq_u32_e32 vcc, 3, v5
	s_and_b64 s[14:15], s[14:15], vcc
	v_cmp_eq_u32_e32 vcc, 3, v2
	v_cndmask_b32_e64 v2, 0, 1, s[2:3]
	s_and_b64 s[16:17], s[16:17], vcc
	v_cmp_ne_u32_e32 vcc, 0, v2
	v_cndmask_b32_e64 v2, 0, 1, s[6:7]
	s_bcnt1_i32_b64 s2, vcc
	v_cmp_ne_u32_e32 vcc, 0, v2
	v_cndmask_b32_e64 v2, 0, 1, s[14:15]
	s_bcnt1_i32_b64 s3, vcc
	;; [unrolled: 3-line block ×3, first 2 shown]
	v_cmp_ne_u32_e32 vcc, 0, v2
	s_bcnt1_i32_b64 s7, vcc
	v_add_co_u32_e32 v39, vcc, s10, v39
	v_addc_co_u32_e32 v40, vcc, 0, v40, vcc
	v_add_co_u32_e32 v37, vcc, s1, v37
	v_mov_b32_e32 v2, s0
	v_addc_co_u32_e32 v38, vcc, v38, v2, vcc
	s_add_u32 s2, s2, s26
	v_add_co_u32_e32 v35, vcc, s1, v35
	s_addc_u32 s11, 0, s27
	v_addc_co_u32_e32 v36, vcc, v36, v2, vcc
	s_add_u32 s2, s2, s3
	v_add_co_u32_e32 v33, vcc, s1, v33
	s_addc_u32 s3, s11, 0
	;; [unrolled: 4-line block ×3, first 2 shown]
	v_addc_co_u32_e32 v32, vcc, v32, v2, vcc
	s_add_u32 s26, s2, s7
	v_cmp_le_u64_e32 vcc, s[20:21], v[39:40]
	s_addc_u32 s27, s3, 0
	v_mov_b32_e32 v2, s36
	v_mov_b32_e32 v4, s34
	;; [unrolled: 1-line block ×4, first 2 shown]
	s_or_b64 s[24:25], vcc, s[24:25]
	v_mov_b32_e32 v3, s37
	v_mov_b32_e32 v5, s35
	;; [unrolled: 1-line block ×4, first 2 shown]
	s_andn2_b64 exec, exec, s[24:25]
	s_cbranch_execnz .LBB153_73
; %bb.74:                               ;   in Loop: Header=BB153_31 Depth=1
	s_or_b64 exec, exec, s[24:25]
.LBB153_75:                             ;   in Loop: Header=BB153_31 Depth=1
	s_or_b64 exec, exec, s[22:23]
	v_mov_b32_e32 v12, s21
	v_add_co_u32_e32 v31, vcc, s20, v0
	v_addc_co_u32_e32 v32, vcc, 0, v12, vcc
	v_cmp_gt_u64_e32 vcc, s[60:61], v[31:32]
	s_and_saveexec_b64 s[0:1], vcc
	s_cbranch_execz .LBB153_81
; %bb.76:                               ;   in Loop: Header=BB153_31 Depth=1
	v_mul_lo_u32 v12, v32, s58
	v_mul_lo_u32 v27, v31, s59
	v_mad_u64_u32 v[33:34], s[2:3], v31, s58, 0
	s_mov_b64 s[2:3], 0
	v_add3_u32 v34, v34, v27, v12
	v_lshlrev_b64 v[33:34], 2, v[33:34]
	v_mov_b32_e32 v12, s67
	v_add_co_u32_e32 v33, vcc, s66, v33
	v_addc_co_u32_e32 v34, vcc, v12, v34, vcc
	global_load_dword v27, v[33:34], off
	s_branch .LBB153_78
.LBB153_77:                             ;   in Loop: Header=BB153_78 Depth=2
	s_or_b64 exec, exec, s[10:11]
	s_waitcnt vmcnt(0)
	v_xor_b32_e32 v27, 0x80000000, v27
	s_and_b64 s[6:7], exec, vcc
	v_and_b32_e32 v33, v27, v52
	v_bfe_u32 v27, v27, s13, 2
	s_or_b64 s[2:3], s[6:7], s[2:3]
	v_cmp_eq_u32_e32 vcc, v33, v48
	v_cmp_eq_u32_e64 s[6:7], 0, v27
	s_and_b64 s[6:7], vcc, s[6:7]
	v_cndmask_b32_e64 v33, 0, 1, s[6:7]
	v_cmp_ne_u32_e64 s[6:7], 0, v33
	s_bcnt1_i32_b64 s6, s[6:7]
	v_add_co_u32_e64 v2, s[6:7], s6, v2
	v_addc_co_u32_e64 v3, s[6:7], 0, v3, s[6:7]
	v_cmp_eq_u32_e64 s[6:7], 1, v27
	s_and_b64 s[6:7], vcc, s[6:7]
	v_cndmask_b32_e64 v33, 0, 1, s[6:7]
	v_cmp_ne_u32_e64 s[6:7], 0, v33
	s_bcnt1_i32_b64 s6, s[6:7]
	v_add_co_u32_e64 v4, s[6:7], s6, v4
	v_addc_co_u32_e64 v5, s[6:7], 0, v5, s[6:7]
	;; [unrolled: 7-line block ×3, first 2 shown]
	v_cmp_eq_u32_e64 s[6:7], 3, v27
	s_and_b64 s[6:7], vcc, s[6:7]
	v_cndmask_b32_e64 v27, 0, 1, s[6:7]
	v_cmp_ne_u32_e32 vcc, 0, v27
	s_bcnt1_i32_b64 s6, vcc
	v_add_co_u32_e32 v8, vcc, s6, v8
	v_addc_co_u32_e32 v9, vcc, 0, v9, vcc
	v_mov_b32_e32 v27, v12
	s_andn2_b64 exec, exec, s[2:3]
	s_cbranch_execz .LBB153_80
.LBB153_78:                             ;   Parent Loop BB153_31 Depth=1
                                        ; =>  This Inner Loop Header: Depth=2
	v_add_co_u32_e32 v31, vcc, s38, v31
	v_addc_co_u32_e32 v32, vcc, 0, v32, vcc
	v_cmp_gt_u64_e64 s[6:7], s[60:61], v[31:32]
	v_cmp_le_u64_e32 vcc, s[60:61], v[31:32]
	v_mov_b32_e32 v12, 0
	s_and_saveexec_b64 s[10:11], s[6:7]
	s_cbranch_execz .LBB153_77
; %bb.79:                               ;   in Loop: Header=BB153_78 Depth=2
	v_mul_lo_u32 v12, v32, s58
	v_mul_lo_u32 v35, v31, s59
	v_mad_u64_u32 v[33:34], s[6:7], v31, s58, 0
	v_add3_u32 v34, v34, v35, v12
	v_lshlrev_b64 v[33:34], 2, v[33:34]
	v_mov_b32_e32 v12, s67
	v_add_co_u32_e64 v33, s[6:7], s66, v33
	v_addc_co_u32_e64 v34, s[6:7], v12, v34, s[6:7]
	global_load_dword v12, v[33:34], off
	s_branch .LBB153_77
.LBB153_80:                             ;   in Loop: Header=BB153_31 Depth=1
	s_or_b64 exec, exec, s[2:3]
.LBB153_81:                             ;   in Loop: Header=BB153_31 Depth=1
	s_or_b64 exec, exec, s[0:1]
	s_branch .LBB153_60
.LBB153_82:                             ;   in Loop: Header=BB153_31 Depth=1
	v_readlane_b32 s0, v54, 35
	v_readlane_b32 s1, v54, 36
	v_mov_b32_e32 v6, 0
	v_mov_b32_e32 v7, 0
	s_nop 2
	global_load_ushort v12, v13, s[0:1]
	s_waitcnt vmcnt(0)
	v_readfirstlane_b32 s0, v12
	s_and_b32 s0, 0xffff, s0
	s_lshl_b32 s76, s0, 2
	v_cvt_f32_u32_e32 v2, s76
	s_sub_i32 s1, 0, s76
	v_rcp_iflag_f32_e32 v4, v2
	v_mov_b32_e32 v2, 0
	v_mov_b32_e32 v3, 0
	v_mul_f32_e32 v4, 0x4f7ffffe, v4
	v_cvt_u32_f32_e32 v8, v4
	v_mov_b32_e32 v4, 0
	v_mov_b32_e32 v5, 0
	v_readfirstlane_b32 s2, v8
	s_mul_i32 s1, s1, s2
	s_mul_hi_u32 s1, s2, s1
	s_add_i32 s2, s2, s1
	s_mul_hi_u32 s1, s88, s2
	s_mul_i32 s2, s1, s76
	s_sub_i32 s2, s88, s2
	s_add_i32 s3, s1, 1
	s_sub_i32 s6, s2, s76
	s_cmp_ge_u32 s2, s76
	s_cselect_b32 s1, s3, s1
	s_cselect_b32 s2, s6, s2
	s_add_i32 s3, s1, 1
	s_cmp_ge_u32 s2, s76
	s_cselect_b32 s1, s3, s1
	s_mul_hi_u32 s91, s0, s1
	s_mul_i32 s90, s0, s1
	s_lshl_b64 s[80:81], s[90:91], 2
	v_cmp_gt_u64_e32 vcc, s[80:81], v[14:15]
	v_mov_b32_e32 v8, 0
	v_mov_b32_e32 v9, 0
	s_and_saveexec_b64 s[2:3], vcc
	s_cbranch_execz .LBB153_86
; %bb.83:                               ;   in Loop: Header=BB153_31 Depth=1
	v_mov_b32_e32 v32, v15
	s_mov_b64 s[4:5], s[92:93]
	s_lshl_b32 s77, s0, 4
	s_mov_b64 s[94:95], 0
	v_mov_b32_e32 v27, v47
	s_mov_b64 s[0:1], 0
	s_mov_b64 s[64:65], 0
	;; [unrolled: 1-line block ×4, first 2 shown]
	v_mov_b32_e32 v31, v14
.LBB153_84:                             ;   Parent Loop BB153_31 Depth=1
                                        ; =>  This Inner Loop Header: Depth=2
	ds_read_b128 v[2:5], v27
	v_add_co_u32_e32 v31, vcc, s76, v31
	v_addc_co_u32_e32 v32, vcc, 0, v32, vcc
	s_waitcnt lgkmcnt(0)
	v_xor_b32_e32 v2, 0x80000000, v2
	v_xor_b32_e32 v3, 0x80000000, v3
	v_and_b32_e32 v6, v2, v52
	v_bfe_u32 v2, v2, s13, 2
	v_xor_b32_e32 v4, 0x80000000, v4
	v_and_b32_e32 v7, v3, v52
	v_bfe_u32 v3, v3, s13, 2
	v_cmp_eq_u32_e64 s[20:21], v6, v48
	v_cmp_eq_u32_e64 s[6:7], 0, v2
	v_xor_b32_e32 v5, 0x80000000, v5
	v_and_b32_e32 v8, v4, v52
	v_bfe_u32 v4, v4, s13, 2
	v_cmp_eq_u32_e64 s[18:19], v7, v48
	v_cmp_eq_u32_e64 s[34:35], 0, v3
	s_and_b64 s[6:7], s[20:21], s[6:7]
	v_and_b32_e32 v9, v5, v52
	v_bfe_u32 v5, v5, s13, 2
	v_cmp_eq_u32_e64 s[16:17], v8, v48
	v_cmp_eq_u32_e64 s[36:37], 0, v4
	;; [unrolled: 1-line block ×5, first 2 shown]
	v_cndmask_b32_e64 v2, 0, 1, s[6:7]
	s_and_b64 s[6:7], s[18:19], s[34:35]
	v_cmp_eq_u32_e64 s[14:15], v9, v48
	v_cmp_eq_u32_e64 s[38:39], 0, v5
	v_cmp_eq_u32_e64 s[42:43], 1, v3
	v_cmp_eq_u32_e64 s[50:51], 2, v3
	v_cmp_eq_u32_e64 s[26:27], 3, v3
	v_cndmask_b32_e64 v3, 0, 1, s[6:7]
	s_and_b64 s[6:7], s[16:17], s[36:37]
	v_cmp_eq_u32_e64 s[44:45], 1, v4
	v_cmp_eq_u32_e64 s[52:53], 2, v4
	;; [unrolled: 1-line block ×3, first 2 shown]
	v_cndmask_b32_e64 v4, 0, 1, s[6:7]
	s_and_b64 s[6:7], s[14:15], s[38:39]
	v_cmp_eq_u32_e64 s[46:47], 1, v5
	v_cmp_eq_u32_e64 s[54:55], 2, v5
	;; [unrolled: 1-line block ×3, first 2 shown]
	v_cndmask_b32_e64 v5, 0, 1, s[6:7]
	v_cmp_ne_u32_e64 s[6:7], 0, v2
	v_cmp_ne_u32_e64 s[34:35], 0, v3
	v_cmp_ne_u32_e64 s[36:37], 0, v4
	v_cmp_ne_u32_e64 s[38:39], 0, v5
	s_bcnt1_i32_b64 s6, s[6:7]
	s_bcnt1_i32_b64 s7, s[34:35]
	s_bcnt1_i32_b64 s34, s[36:37]
	s_bcnt1_i32_b64 s35, s[38:39]
	s_add_u32 s6, s6, s92
	s_addc_u32 s36, 0, s93
	s_add_u32 s6, s6, s7
	s_addc_u32 s7, s36, 0
	s_add_u32 s6, s6, s34
	s_addc_u32 s7, s7, 0
	s_add_u32 s92, s6, s35
	s_addc_u32 s93, s7, 0
	s_and_b64 s[6:7], s[20:21], s[40:41]
	v_cndmask_b32_e64 v4, 0, 1, s[6:7]
	s_and_b64 s[6:7], s[18:19], s[42:43]
	v_cndmask_b32_e64 v5, 0, 1, s[6:7]
	s_and_b64 s[6:7], s[16:17], s[44:45]
	v_cndmask_b32_e64 v6, 0, 1, s[6:7]
	s_and_b64 s[6:7], s[14:15], s[46:47]
	v_cndmask_b32_e64 v7, 0, 1, s[6:7]
	v_cmp_ne_u32_e64 s[6:7], 0, v4
	v_cmp_ne_u32_e64 s[34:35], 0, v5
	v_cmp_ne_u32_e64 s[36:37], 0, v6
	v_cmp_ne_u32_e64 s[38:39], 0, v7
	s_bcnt1_i32_b64 s6, s[6:7]
	s_bcnt1_i32_b64 s7, s[34:35]
	s_bcnt1_i32_b64 s34, s[36:37]
	s_bcnt1_i32_b64 s35, s[38:39]
	s_add_u32 s6, s6, s10
	s_addc_u32 s10, 0, s11
	s_add_u32 s6, s6, s7
	s_addc_u32 s7, s10, 0
	s_add_u32 s6, s6, s34
	s_addc_u32 s7, s7, 0
	s_add_u32 s10, s6, s35
	s_addc_u32 s11, s7, 0
	s_and_b64 s[6:7], s[20:21], s[48:49]
	v_cndmask_b32_e64 v6, 0, 1, s[6:7]
	s_and_b64 s[6:7], s[18:19], s[50:51]
	v_cndmask_b32_e64 v7, 0, 1, s[6:7]
	s_and_b64 s[6:7], s[16:17], s[52:53]
	v_cndmask_b32_e64 v8, 0, 1, s[6:7]
	s_and_b64 s[6:7], s[14:15], s[54:55]
	;; [unrolled: 24-line block ×3, first 2 shown]
	v_cndmask_b32_e64 v34, 0, 1, s[6:7]
	v_cmp_ne_u32_e64 s[6:7], 0, v8
	v_cmp_ne_u32_e64 s[14:15], 0, v9
	;; [unrolled: 1-line block ×4, first 2 shown]
	s_bcnt1_i32_b64 s6, s[6:7]
	s_bcnt1_i32_b64 s7, s[14:15]
	;; [unrolled: 1-line block ×4, first 2 shown]
	s_add_u32 s0, s6, s0
	s_addc_u32 s1, 0, s1
	s_add_u32 s0, s0, s7
	s_addc_u32 s1, s1, 0
	;; [unrolled: 2-line block ×3, first 2 shown]
	s_add_u32 s0, s0, s15
	v_cmp_le_u64_e32 vcc, s[80:81], v[31:32]
	s_addc_u32 s1, s1, 0
	v_mov_b32_e32 v2, s92
	v_mov_b32_e32 v4, s10
	;; [unrolled: 1-line block ×4, first 2 shown]
	v_add_u32_e32 v27, s77, v27
	v_mov_b32_e32 v3, s93
	v_mov_b32_e32 v5, s11
	;; [unrolled: 1-line block ×3, first 2 shown]
	s_or_b64 s[94:95], vcc, s[94:95]
	v_mov_b32_e32 v8, s0
	s_andn2_b64 exec, exec, s[94:95]
	s_cbranch_execnz .LBB153_84
; %bb.85:                               ;   in Loop: Header=BB153_31 Depth=1
	s_or_b64 exec, exec, s[94:95]
	s_mov_b64 s[92:93], s[4:5]
.LBB153_86:                             ;   in Loop: Header=BB153_31 Depth=1
	s_or_b64 exec, exec, s[2:3]
	v_mov_b32_e32 v27, s81
	v_add_co_u32_e32 v31, vcc, s80, v0
	s_and_b32 s86, s88, 0x7fffffff
	v_addc_co_u32_e32 v32, vcc, 0, v27, vcc
	v_cmp_gt_u64_e32 vcc, s[86:87], v[31:32]
	s_and_saveexec_b64 s[2:3], vcc
	s_cbranch_execz .LBB153_90
; %bb.87:                               ;   in Loop: Header=BB153_31 Depth=1
	v_lshl_add_u32 v27, s90, 4, v14
	s_mov_b64 s[14:15], 0
.LBB153_88:                             ;   Parent Loop BB153_31 Depth=1
                                        ; =>  This Inner Loop Header: Depth=2
	ds_read_b32 v33, v27
	v_add_u32_e32 v27, s76, v27
	s_waitcnt lgkmcnt(0)
	v_xor_b32_e32 v33, 0x80000000, v33
	v_and_b32_e32 v34, v33, v52
	v_bfe_u32 v33, v33, s13, 2
	v_cmp_eq_u32_e32 vcc, v34, v48
	v_cmp_eq_u32_e64 s[6:7], 0, v33
	s_and_b64 s[0:1], vcc, s[6:7]
	v_cndmask_b32_e64 v34, 0, 1, s[0:1]
	v_cmp_ne_u32_e64 s[6:7], 0, v34
	s_bcnt1_i32_b64 s0, s[6:7]
	v_add_co_u32_e64 v2, s[6:7], s0, v2
	v_addc_co_u32_e64 v3, s[6:7], 0, v3, s[6:7]
	v_cmp_eq_u32_e64 s[6:7], 1, v33
	s_and_b64 s[0:1], vcc, s[6:7]
	v_cndmask_b32_e64 v34, 0, 1, s[0:1]
	v_cmp_ne_u32_e64 s[6:7], 0, v34
	s_bcnt1_i32_b64 s0, s[6:7]
	v_add_co_u32_e64 v4, s[6:7], s0, v4
	v_addc_co_u32_e64 v5, s[6:7], 0, v5, s[6:7]
	;; [unrolled: 7-line block ×3, first 2 shown]
	v_cmp_eq_u32_e64 s[6:7], 3, v33
	s_and_b64 s[0:1], vcc, s[6:7]
	v_cndmask_b32_e64 v33, 0, 1, s[0:1]
	v_cmp_ne_u32_e32 vcc, 0, v33
	s_bcnt1_i32_b64 s0, vcc
	v_add_co_u32_e32 v8, vcc, s0, v8
	v_addc_co_u32_e32 v9, vcc, 0, v9, vcc
	v_add_co_u32_sdwa v31, vcc, v31, v12 dst_sel:DWORD dst_unused:UNUSED_PAD src0_sel:DWORD src1_sel:WORD_0
	v_addc_co_u32_e32 v32, vcc, 0, v32, vcc
	v_cmp_le_u64_e32 vcc, s[86:87], v[31:32]
	s_or_b64 s[14:15], vcc, s[14:15]
	s_andn2_b64 exec, exec, s[14:15]
	s_cbranch_execnz .LBB153_88
; %bb.89:                               ;   in Loop: Header=BB153_31 Depth=1
	s_or_b64 exec, exec, s[14:15]
.LBB153_90:                             ;   in Loop: Header=BB153_31 Depth=1
	s_or_b64 exec, exec, s[2:3]
	v_readlane_b32 s86, v54, 52
	v_lshlrev_b32_e32 v12, 6, v51
	s_and_saveexec_b64 s[0:1], s[92:93]
	s_cbranch_execnz .LBB153_61
	s_branch .LBB153_62
.LBB153_91:                             ;   in Loop: Header=BB153_31 Depth=1
                                        ; implicit-def: $sgpr0_sgpr1
	s_branch .LBB153_70
.LBB153_92:                             ;   in Loop: Header=BB153_31 Depth=1
	v_mov_b32_e32 v2, 0
	v_mov_b32_e32 v3, 0
	s_mov_b32 s2, 0
.LBB153_93:                             ;   in Loop: Header=BB153_31 Depth=1
	v_readlane_b32 s4, v54, 40
	v_readlane_b32 s5, v54, 41
	s_andn2_b64 vcc, exec, s[4:5]
	s_cbranch_vccnz .LBB153_96
; %bb.94:                               ;   in Loop: Header=BB153_31 Depth=1
	v_lshlrev_b32_e32 v4, 9, v51
	s_lshl_b32 s2, s2, 5
	v_add_u32_e32 v4, s2, v4
	v_add_u32_e32 v4, v49, v4
	v_readlane_b32 s2, v54, 39
.LBB153_95:                             ;   Parent Loop BB153_31 Depth=1
                                        ; =>  This Inner Loop Header: Depth=2
	ds_read_b64 v[5:6], v4
	s_add_i32 s2, s2, -1
	v_add_u32_e32 v4, 32, v4
	s_cmp_lg_u32 s2, 0
	s_waitcnt lgkmcnt(0)
	v_add_co_u32_e32 v2, vcc, v5, v2
	v_addc_co_u32_e32 v3, vcc, v6, v3, vcc
	s_cbranch_scc1 .LBB153_95
.LBB153_96:                             ;   in Loop: Header=BB153_31 Depth=1
	v_add_lshl_u32 v4, v12, v44, 3
	ds_write_b64 v4, v[2:3] offset:3072
.LBB153_97:                             ;   in Loop: Header=BB153_31 Depth=1
	s_or_b64 exec, exec, s[0:1]
	v_lshlrev_b32_e32 v6, 3, v12
	s_waitcnt lgkmcnt(0)
	s_barrier
	ds_read_b128 v[2:5], v6 offset:3072
	ds_read_b128 v[6:9], v6 offset:3088
	v_readlane_b32 s0, v54, 18
	s_lshl_b32 s76, 3, s13
	v_cmp_eq_u64_e64 s[14:15], 1, v[29:30]
	v_readlane_b32 s1, v54, 19
	s_waitcnt lgkmcnt(1)
	v_readfirstlane_b32 s17, v3
	v_readfirstlane_b32 s16, v2
	;; [unrolled: 1-line block ×4, first 2 shown]
	s_waitcnt lgkmcnt(0)
	v_readfirstlane_b32 s23, v7
	v_readfirstlane_b32 s22, v6
	;; [unrolled: 1-line block ×4, first 2 shown]
	s_not_b32 s77, s76
	s_mov_b64 s[38:39], -1
	s_mov_b64 s[18:19], 0
	s_andn2_b64 vcc, exec, s[0:1]
	s_mov_b64 s[28:29], 0
	s_mov_b64 s[26:27], 0
                                        ; implicit-def: $sgpr34_sgpr35
                                        ; implicit-def: $sgpr36_sgpr37
                                        ; implicit-def: $vgpr2_vgpr3
                                        ; implicit-def: $vgpr12
                                        ; implicit-def: $vgpr32
                                        ; implicit-def: $vgpr31
                                        ; implicit-def: $vgpr5
	s_cbranch_vccnz .LBB153_292
; %bb.98:                               ;   in Loop: Header=BB153_31 Depth=1
	s_cmp_eq_u64 s[16:17], 1
	s_cselect_b64 s[0:1], -1, 0
	s_and_b64 s[6:7], s[0:1], s[14:15]
	s_mov_b64 s[0:1], -1
	v_mov_b32_e32 v32, v48
	v_mov_b32_e32 v31, v52
	;; [unrolled: 1-line block ×3, first 2 shown]
                                        ; implicit-def: $sgpr36_sgpr37
                                        ; implicit-def: $sgpr34_sgpr35
	s_and_saveexec_b64 s[26:27], s[6:7]
	s_cbranch_execz .LBB153_133
; %bb.99:                               ;   in Loop: Header=BB153_31 Depth=1
	ds_read_b64 v[2:3], v13 offset:5120
	v_readlane_b32 s4, v54, 26
	v_readlane_b32 s5, v54, 27
	s_waitcnt lgkmcnt(0)
	s_barrier
	v_readfirstlane_b32 s2, v2
	v_readfirstlane_b32 s3, v3
	s_and_saveexec_b64 s[0:1], s[4:5]
; %bb.100:                              ;   in Loop: Header=BB153_31 Depth=1
	ds_write_b32 v45, v13
; %bb.101:                              ;   in Loop: Header=BB153_31 Depth=1
	s_or_b64 exec, exec, s[0:1]
	v_and_b32_e32 v32, s77, v48
	v_or_b32_e32 v31, s76, v52
	s_mov_b64 s[34:35], -1
	s_mov_b64 s[36:37], 0
	s_cmp_eq_u64 s[2:3], 0
	s_mov_b64 s[0:1], 0
	s_mov_b64 s[10:11], -1
	s_waitcnt lgkmcnt(0)
	s_barrier
                                        ; implicit-def: $vgpr5
	s_cbranch_scc1 .LBB153_118
; %bb.102:                              ;   in Loop: Header=BB153_31 Depth=1
	v_readlane_b32 s0, v54, 30
	s_add_u32 s38, s2, s0
	v_readlane_b32 s0, v54, 32
	s_addc_u32 s1, s3, s0
	s_mov_b32 s0, s87
	s_cmp_lg_u64 s[0:1], 0
	s_cbranch_scc0 .LBB153_159
; %bb.103:                              ;   in Loop: Header=BB153_31 Depth=1
	v_cvt_f32_u32_e32 v2, s33
	s_sub_u32 s0, 0, s33
	s_subb_u32 s28, 0, 0
	v_mac_f32_e32 v2, 0, v50
	v_rcp_f32_e32 v2, v2
	v_mul_f32_e32 v2, 0x5f7ffffc, v2
	v_mul_f32_e32 v3, 0x2f800000, v2
	v_trunc_f32_e32 v3, v3
	v_mac_f32_e32 v2, 0xcf800000, v3
	v_cvt_u32_f32_e32 v3, v3
	v_cvt_u32_f32_e32 v2, v2
	v_readfirstlane_b32 s29, v3
	v_readfirstlane_b32 s10, v2
	s_mul_i32 s11, s0, s29
	s_mul_hi_u32 s40, s0, s10
	s_mul_i32 s39, s28, s10
	s_add_i32 s11, s40, s11
	s_mul_i32 s41, s0, s10
	s_add_i32 s11, s11, s39
	s_mul_hi_u32 s40, s10, s41
	s_mul_i32 s42, s10, s11
	s_mul_hi_u32 s39, s10, s11
	s_add_u32 s40, s40, s42
	s_addc_u32 s39, 0, s39
	s_mul_hi_u32 s43, s29, s41
	s_mul_i32 s41, s29, s41
	s_add_u32 s40, s40, s41
	s_mul_hi_u32 s42, s29, s11
	s_addc_u32 s39, s39, s43
	s_addc_u32 s40, s42, 0
	s_mul_i32 s11, s29, s11
	s_add_u32 s11, s39, s11
	s_addc_u32 s39, 0, s40
	s_add_u32 s40, s10, s11
	s_cselect_b64 s[10:11], -1, 0
	s_cmp_lg_u64 s[10:11], 0
	s_addc_u32 s29, s29, s39
	s_mul_i32 s10, s0, s29
	s_mul_hi_u32 s11, s0, s40
	s_add_i32 s10, s11, s10
	s_mul_i32 s28, s28, s40
	s_add_i32 s10, s10, s28
	s_mul_i32 s0, s0, s40
	s_mul_hi_u32 s28, s29, s0
	s_mul_i32 s39, s29, s0
	s_mul_i32 s42, s40, s10
	s_mul_hi_u32 s0, s40, s0
	s_mul_hi_u32 s41, s40, s10
	s_add_u32 s0, s0, s42
	s_addc_u32 s41, 0, s41
	s_add_u32 s0, s0, s39
	s_mul_hi_u32 s11, s29, s10
	s_addc_u32 s0, s41, s28
	s_addc_u32 s11, s11, 0
	s_mul_i32 s10, s29, s10
	s_add_u32 s0, s0, s10
	s_addc_u32 s28, 0, s11
	s_add_u32 s0, s40, s0
	s_cselect_b64 s[10:11], -1, 0
	s_cmp_lg_u64 s[10:11], 0
	s_addc_u32 s10, s29, s28
	s_mul_i32 s28, s38, s10
	s_mul_hi_u32 s29, s38, s0
	s_mul_hi_u32 s11, s38, s10
	s_add_u32 s28, s29, s28
	s_addc_u32 s11, 0, s11
	s_mul_hi_u32 s39, s1, s0
	s_mul_i32 s0, s1, s0
	s_add_u32 s0, s28, s0
	s_mul_hi_u32 s29, s1, s10
	s_addc_u32 s0, s11, s39
	s_addc_u32 s11, s29, 0
	s_mul_i32 s10, s1, s10
	s_add_u32 s0, s0, s10
	s_addc_u32 s10, 0, s11
	s_mul_i32 s10, s33, s10
	s_mul_hi_u32 s11, s33, s0
	s_add_i32 s28, s11, s10
	s_mul_i32 s0, s33, s0
	s_sub_u32 s0, s38, s0
	s_cselect_b64 s[10:11], -1, 0
	s_cmp_lg_u64 s[10:11], 0
	s_subb_u32 s28, s1, s28
	s_sub_u32 s29, s0, s33
	s_cselect_b64 s[10:11], -1, 0
	s_cmp_lg_u64 s[10:11], 0
	s_subb_u32 s39, s28, 0
	;; [unrolled: 4-line block ×3, first 2 shown]
	s_cmp_ge_u32 s29, s33
	s_cselect_b32 s11, -1, 0
	s_cmp_eq_u32 s39, 0
	s_cselect_b32 s11, s11, -1
	s_cmp_lg_u32 s11, 0
	s_cselect_b32 s10, s10, s39
	s_cselect_b32 s29, s40, s29
	s_cmp_ge_u32 s0, s33
	s_cselect_b32 s11, -1, 0
	s_cmp_eq_u32 s28, 0
	s_cselect_b32 s11, s11, -1
	s_cmp_lg_u32 s11, 0
	s_cselect_b32 s11, s10, s28
	s_cselect_b32 s10, s29, s0
	s_cbranch_execnz .LBB153_105
.LBB153_104:                            ;   in Loop: Header=BB153_31 Depth=1
	v_cvt_f32_u32_e32 v2, s33
	s_sub_i32 s0, 0, s33
	v_rcp_iflag_f32_e32 v2, v2
	v_mul_f32_e32 v2, 0x4f7ffffe, v2
	v_cvt_u32_f32_e32 v2, v2
	v_readfirstlane_b32 s10, v2
	s_mul_i32 s0, s0, s10
	s_mul_hi_u32 s0, s10, s0
	s_add_i32 s10, s10, s0
	s_mul_hi_u32 s0, s38, s10
	s_mul_i32 s0, s0, s33
	s_sub_i32 s0, s38, s0
	s_sub_i32 s10, s0, s33
	s_cmp_ge_u32 s0, s33
	s_cselect_b32 s0, s10, s0
	s_sub_i32 s10, s0, s33
	s_cmp_ge_u32 s0, s33
	s_cselect_b32 s86, s10, s0
	s_mov_b64 s[10:11], s[86:87]
	v_readlane_b32 s86, v54, 52
.LBB153_105:                            ;   in Loop: Header=BB153_31 Depth=1
	s_sub_u32 s38, s38, s10
	s_subb_u32 s39, s1, s11
	v_cmp_gt_u64_e32 vcc, s[38:39], v[0:1]
	s_mov_b64 s[10:11], 0
	s_mov_b64 s[0:1], 0
                                        ; implicit-def: $vgpr5
	s_and_saveexec_b64 s[28:29], vcc
	s_cbranch_execz .LBB153_117
; %bb.106:                              ;   in Loop: Header=BB153_31 Depth=1
	v_mov_b32_e32 v3, v1
	v_mov_b32_e32 v6, v14
	v_mov_b32_e32 v2, v0
                                        ; implicit-def: $sgpr40_sgpr41
	s_branch .LBB153_109
.LBB153_107:                            ;   in Loop: Header=BB153_109 Depth=2
	s_or_b64 exec, exec, s[42:43]
	s_waitcnt lgkmcnt(0)
	s_barrier
	ds_read_b64 v[4:5], v13 offset:3072
	s_mov_b64 s[42:43], -1
	s_mov_b64 s[44:45], -1
	s_waitcnt lgkmcnt(0)
	s_barrier
	v_cmp_ne_u32_e32 vcc, 0, v4
	s_cbranch_vccz .LBB153_112
.LBB153_108:                            ;   in Loop: Header=BB153_109 Depth=2
	s_and_b64 s[42:43], exec, s[42:43]
	s_or_b64 s[0:1], s[42:43], s[0:1]
	s_andn2_b64 s[40:41], s[40:41], exec
	s_and_b64 s[42:43], s[44:45], exec
	s_or_b64 s[40:41], s[40:41], s[42:43]
	s_andn2_b64 exec, exec, s[0:1]
	s_cbranch_execz .LBB153_116
.LBB153_109:                            ;   Parent Loop BB153_31 Depth=1
                                        ; =>  This Inner Loop Header: Depth=2
	v_cmp_gt_u64_e32 vcc, s[2:3], v[2:3]
	s_and_saveexec_b64 s[42:43], vcc
	s_cbranch_execz .LBB153_107
; %bb.110:                              ;   in Loop: Header=BB153_109 Depth=2
	ds_read_b32 v27, v6
	s_waitcnt lgkmcnt(0)
	v_xor_b32_e32 v4, 0x80000000, v27
	v_and_b32_e32 v4, v4, v31
	v_cmp_eq_u32_e32 vcc, v4, v32
	s_and_b64 exec, exec, vcc
	s_cbranch_execz .LBB153_107
; %bb.111:                              ;   in Loop: Header=BB153_109 Depth=2
	ds_write_b64 v13, v[26:27] offset:3072
	s_branch .LBB153_107
.LBB153_112:                            ;   in Loop: Header=BB153_109 Depth=2
	v_add_co_u32_e32 v2, vcc, s33, v2
	v_addc_co_u32_e32 v3, vcc, 0, v3, vcc
	v_cmp_le_u64_e32 vcc, s[38:39], v[2:3]
	v_add_u32_e32 v6, s86, v6
	s_mov_b64 s[44:45], 0
	s_orn2_b64 s[42:43], vcc, exec
	s_branch .LBB153_108
.LBB153_113:                            ;   in Loop: Header=BB153_31 Depth=1
	s_or_b64 exec, exec, s[2:3]
	v_readlane_b32 s4, v54, 12
	v_readlane_b32 s5, v54, 13
	s_waitcnt lgkmcnt(0)
	s_barrier
	s_and_saveexec_b64 s[2:3], s[4:5]
	s_cbranch_execz .LBB153_115
; %bb.114:                              ;   in Loop: Header=BB153_31 Depth=1
	ds_read_b32 v2, v13 offset:5144
	s_waitcnt lgkmcnt(0)
	v_ashrrev_i32_e32 v3, 31, v2
	ds_write_b64 v13, v[2:3] offset:5120
.LBB153_115:                            ;   in Loop: Header=BB153_31 Depth=1
	s_or_b64 exec, exec, s[2:3]
	s_waitcnt lgkmcnt(0)
	s_barrier
	s_mov_b64 s[2:3], -1
	s_and_b64 vcc, exec, s[0:1]
	s_cbranch_vccnz .LBB153_47
	s_branch .LBB153_56
.LBB153_116:                            ;   in Loop: Header=BB153_31 Depth=1
	s_or_b64 exec, exec, s[0:1]
	s_and_b64 s[0:1], s[40:41], exec
.LBB153_117:                            ;   in Loop: Header=BB153_31 Depth=1
	s_or_b64 exec, exec, s[28:29]
.LBB153_118:                            ;   in Loop: Header=BB153_31 Depth=1
	s_and_b64 vcc, exec, s[10:11]
	s_cbranch_vccz .LBB153_132
; %bb.119:                              ;   in Loop: Header=BB153_31 Depth=1
	v_readlane_b32 s4, v54, 33
	v_readlane_b32 s5, v54, 34
	s_mov_b32 s4, s87
	s_cmp_lg_u64 s[4:5], 0
	v_writelane_b32 v54, s4, 33
	v_writelane_b32 v54, s5, 34
	s_cbranch_scc0 .LBB153_160
; %bb.120:                              ;   in Loop: Header=BB153_31 Depth=1
	v_cvt_f32_u32_e32 v2, s33
	s_sub_u32 s10, 0, s33
	s_subb_u32 s11, 0, 0
	v_readlane_b32 s4, v54, 31
	v_mac_f32_e32 v2, 0, v50
	v_rcp_f32_e32 v2, v2
	v_mul_f32_e32 v2, 0x5f7ffffc, v2
	v_mul_f32_e32 v3, 0x2f800000, v2
	v_trunc_f32_e32 v3, v3
	v_mac_f32_e32 v2, 0xcf800000, v3
	v_cvt_u32_f32_e32 v3, v3
	v_cvt_u32_f32_e32 v2, v2
	v_readfirstlane_b32 s28, v3
	v_readfirstlane_b32 s2, v2
	s_mul_i32 s3, s10, s28
	s_mul_hi_u32 s34, s10, s2
	s_mul_i32 s29, s11, s2
	s_add_i32 s3, s34, s3
	s_mul_i32 s35, s10, s2
	s_add_i32 s3, s3, s29
	s_mul_hi_u32 s34, s2, s35
	s_mul_i32 s36, s2, s3
	s_mul_hi_u32 s29, s2, s3
	s_add_u32 s34, s34, s36
	s_addc_u32 s29, 0, s29
	s_mul_hi_u32 s37, s28, s35
	s_mul_i32 s35, s28, s35
	s_add_u32 s34, s34, s35
	s_mul_hi_u32 s36, s28, s3
	s_addc_u32 s29, s29, s37
	s_addc_u32 s34, s36, 0
	s_mul_i32 s3, s28, s3
	s_add_u32 s3, s29, s3
	s_addc_u32 s29, 0, s34
	s_add_u32 s34, s2, s3
	s_cselect_b64 s[2:3], -1, 0
	s_cmp_lg_u64 s[2:3], 0
	s_addc_u32 s28, s28, s29
	s_mul_i32 s2, s10, s28
	s_mul_hi_u32 s3, s10, s34
	s_add_i32 s2, s3, s2
	s_mul_i32 s11, s11, s34
	s_add_i32 s2, s2, s11
	s_mul_i32 s10, s10, s34
	s_mul_hi_u32 s11, s28, s10
	s_mul_i32 s29, s28, s10
	s_mul_i32 s36, s34, s2
	s_mul_hi_u32 s10, s34, s10
	s_mul_hi_u32 s35, s34, s2
	s_add_u32 s10, s10, s36
	s_addc_u32 s35, 0, s35
	s_add_u32 s10, s10, s29
	s_mul_hi_u32 s3, s28, s2
	s_addc_u32 s10, s35, s11
	s_addc_u32 s3, s3, 0
	s_mul_i32 s2, s28, s2
	s_add_u32 s2, s10, s2
	s_addc_u32 s10, 0, s3
	s_add_u32 s11, s34, s2
	s_cselect_b64 s[2:3], -1, 0
	s_cmp_lg_u64 s[2:3], 0
	s_addc_u32 s2, s28, s10
	s_mul_i32 s10, s4, s2
	s_mul_hi_u32 s28, s4, s11
	s_mul_hi_u32 s3, s4, s2
	s_add_u32 s10, s28, s10
	s_addc_u32 s3, 0, s3
	s_mul_hi_u32 s29, s5, s11
	s_mul_i32 s11, s5, s11
	s_add_u32 s10, s10, s11
	s_mul_hi_u32 s28, s5, s2
	s_addc_u32 s3, s3, s29
	s_addc_u32 s10, s28, 0
	s_mul_i32 s2, s5, s2
	s_add_u32 s2, s3, s2
	s_addc_u32 s3, 0, s10
	s_mul_i32 s3, s33, s3
	s_mul_hi_u32 s10, s33, s2
	s_add_i32 s10, s10, s3
	s_mul_i32 s2, s33, s2
	s_sub_u32 s11, s4, s2
	s_cselect_b64 s[2:3], -1, 0
	s_cmp_lg_u64 s[2:3], 0
	s_subb_u32 s10, s5, s10
	s_sub_u32 s28, s11, s33
	s_cselect_b64 s[2:3], -1, 0
	s_cmp_lg_u64 s[2:3], 0
	s_subb_u32 s29, s10, 0
	;; [unrolled: 4-line block ×3, first 2 shown]
	s_cmp_ge_u32 s28, s33
	s_cselect_b32 s3, -1, 0
	s_cmp_eq_u32 s29, 0
	s_cselect_b32 s3, s3, -1
	s_cmp_lg_u32 s3, 0
	s_cselect_b32 s2, s2, s29
	s_cselect_b32 s28, s34, s28
	s_cmp_ge_u32 s11, s33
	s_cselect_b32 s3, -1, 0
	s_cmp_eq_u32 s10, 0
	s_cselect_b32 s3, s3, -1
	s_cmp_lg_u32 s3, 0
	s_cselect_b32 s3, s2, s10
	s_cselect_b32 s2, s28, s11
	s_cbranch_execnz .LBB153_122
.LBB153_121:                            ;   in Loop: Header=BB153_31 Depth=1
	v_cvt_f32_u32_e32 v2, s33
	s_sub_i32 s2, 0, s33
	v_readlane_b32 s4, v54, 31
	v_rcp_iflag_f32_e32 v2, v2
	v_mul_f32_e32 v2, 0x4f7ffffe, v2
	v_cvt_u32_f32_e32 v2, v2
	v_readfirstlane_b32 s3, v2
	s_mul_i32 s2, s2, s3
	s_mul_hi_u32 s2, s3, s2
	s_add_i32 s3, s3, s2
	s_mul_hi_u32 s2, s4, s3
	s_mul_i32 s2, s2, s33
	s_sub_i32 s2, s4, s2
	s_sub_i32 s3, s2, s33
	s_cmp_ge_u32 s2, s33
	s_cselect_b32 s2, s3, s2
	s_sub_i32 s3, s2, s33
	s_cmp_ge_u32 s2, s33
	s_cselect_b32 s86, s3, s2
	s_mov_b64 s[2:3], s[86:87]
	v_readlane_b32 s86, v54, 52
.LBB153_122:                            ;   in Loop: Header=BB153_31 Depth=1
	v_readlane_b32 s4, v54, 31
	s_sub_u32 s10, s4, s2
	v_readlane_b32 s4, v54, 33
	v_readlane_b32 s5, v54, 34
	s_subb_u32 s11, s5, s3
	v_cmp_gt_u64_e32 vcc, s[10:11], v[0:1]
                                        ; implicit-def: $vgpr5
	s_and_saveexec_b64 s[2:3], vcc
	s_cbranch_execz .LBB153_131
; %bb.123:                              ;   in Loop: Header=BB153_31 Depth=1
	v_mov_b32_e32 v2, v24
	v_mov_b32_e32 v7, v1
	s_mov_b64 s[28:29], 0
	v_mov_b32_e32 v3, v25
	v_mov_b32_e32 v6, v0
                                        ; implicit-def: $sgpr34_sgpr35
	s_branch .LBB153_126
.LBB153_124:                            ;   in Loop: Header=BB153_126 Depth=2
	s_or_b64 exec, exec, s[36:37]
	s_waitcnt lgkmcnt(0)
	s_barrier
	ds_read_b64 v[4:5], v13 offset:3072
	s_mov_b64 s[36:37], -1
	s_mov_b64 s[38:39], -1
	s_waitcnt lgkmcnt(0)
	s_barrier
	v_cmp_ne_u32_e32 vcc, 0, v4
	s_cbranch_vccz .LBB153_129
.LBB153_125:                            ;   in Loop: Header=BB153_126 Depth=2
	s_and_b64 s[36:37], exec, s[36:37]
	s_or_b64 s[28:29], s[36:37], s[28:29]
	s_andn2_b64 s[34:35], s[34:35], exec
	s_and_b64 s[36:37], s[38:39], exec
	s_or_b64 s[34:35], s[34:35], s[36:37]
	s_andn2_b64 exec, exec, s[28:29]
	s_cbranch_execz .LBB153_130
.LBB153_126:                            ;   Parent Loop BB153_31 Depth=1
                                        ; =>  This Inner Loop Header: Depth=2
	v_cmp_gt_u64_e32 vcc, s[60:61], v[6:7]
	s_and_saveexec_b64 s[36:37], vcc
	s_cbranch_execz .LBB153_124
; %bb.127:                              ;   in Loop: Header=BB153_126 Depth=2
	global_load_dword v27, v[2:3], off
	s_waitcnt vmcnt(0)
	v_xor_b32_e32 v4, 0x80000000, v27
	v_and_b32_e32 v4, v4, v31
	v_cmp_eq_u32_e32 vcc, v4, v32
	s_and_b64 exec, exec, vcc
	s_cbranch_execz .LBB153_124
; %bb.128:                              ;   in Loop: Header=BB153_126 Depth=2
	ds_write_b64 v13, v[26:27] offset:3072
	s_branch .LBB153_124
.LBB153_129:                            ;   in Loop: Header=BB153_126 Depth=2
	v_add_co_u32_e32 v6, vcc, s33, v6
	v_readlane_b32 s4, v54, 48
	v_addc_co_u32_e32 v7, vcc, 0, v7, vcc
	v_readlane_b32 s5, v54, 49
	v_mov_b32_e32 v4, s5
	v_add_co_u32_e32 v2, vcc, s4, v2
	v_addc_co_u32_e32 v3, vcc, v3, v4, vcc
	v_cmp_le_u64_e32 vcc, s[10:11], v[6:7]
	s_mov_b64 s[38:39], 0
	s_orn2_b64 s[36:37], vcc, exec
	s_branch .LBB153_125
.LBB153_130:                            ;   in Loop: Header=BB153_31 Depth=1
	s_or_b64 exec, exec, s[28:29]
	s_andn2_b64 s[0:1], s[0:1], exec
	s_and_b64 s[10:11], s[34:35], exec
	s_or_b64 s[0:1], s[0:1], s[10:11]
.LBB153_131:                            ;   in Loop: Header=BB153_31 Depth=1
	s_or_b64 exec, exec, s[2:3]
	s_mov_b64 s[34:35], 0
	s_mov_b64 s[36:37], -1
.LBB153_132:                            ;   in Loop: Header=BB153_31 Depth=1
	s_orn2_b64 s[0:1], s[0:1], exec
.LBB153_133:                            ;   in Loop: Header=BB153_31 Depth=1
	s_or_b64 exec, exec, s[26:27]
	s_mov_b64 s[38:39], 0
	s_mov_b64 s[28:29], 0
	;; [unrolled: 1-line block ×3, first 2 shown]
                                        ; implicit-def: $vgpr2_vgpr3
                                        ; implicit-def: $vgpr12
	s_and_saveexec_b64 s[40:41], s[0:1]
	s_cbranch_execz .LBB153_291
; %bb.134:                              ;   in Loop: Header=BB153_31 Depth=1
	v_mov_b32_e32 v2, 1
	s_xor_b64 s[6:7], s[6:7], -1
	v_mov_b32_e32 v12, 1
	v_mov_b32_e32 v3, 0
	s_mov_b64 s[2:3], 0
	s_and_saveexec_b64 s[0:1], s[6:7]
	s_cbranch_execz .LBB153_143
; %bb.135:                              ;   in Loop: Header=BB153_31 Depth=1
	v_cmp_ge_u64_e32 vcc, s[16:17], v[29:30]
	s_and_saveexec_b64 s[2:3], vcc
	s_xor_b64 s[2:3], exec, s[2:3]
	s_cbranch_execz .LBB153_140
; %bb.136:                              ;   in Loop: Header=BB153_31 Depth=1
	ds_read_b64 v[2:3], v13 offset:5120
	v_and_b32_e32 v32, s77, v32
	v_or_b32_e32 v31, s76, v31
	s_waitcnt lgkmcnt(0)
	v_cmp_ne_u64_e32 vcc, 0, v[2:3]
	s_cbranch_vccnz .LBB153_140
; %bb.137:                              ;   in Loop: Header=BB153_31 Depth=1
	v_readlane_b32 s4, v54, 12
	v_readlane_b32 s5, v54, 13
	s_and_saveexec_b64 s[6:7], s[4:5]
; %bb.138:                              ;   in Loop: Header=BB153_31 Depth=1
	v_mov_b32_e32 v2, s16
	v_mov_b32_e32 v3, s17
	ds_write_b64 v13, v[2:3] offset:5128
; %bb.139:                              ;   in Loop: Header=BB153_31 Depth=1
	s_or_b64 exec, exec, s[6:7]
	s_waitcnt lgkmcnt(0)
	s_barrier
.LBB153_140:                            ;   in Loop: Header=BB153_31 Depth=1
	s_or_saveexec_b64 s[2:3], s[2:3]
	v_mov_b32_e32 v2, v29
	s_mov_b64 s[6:7], 0
	v_mov_b32_e32 v12, 8
	v_mov_b32_e32 v3, v30
	s_xor_b64 exec, exec, s[2:3]
; %bb.141:                              ;   in Loop: Header=BB153_31 Depth=1
	v_subrev_co_u32_e32 v2, vcc, s16, v29
	v_mov_b32_e32 v3, s17
	v_subb_co_u32_e32 v3, vcc, v30, v3, vcc
	v_mov_b32_e32 v12, 0
	s_mov_b64 s[6:7], exec
; %bb.142:                              ;   in Loop: Header=BB153_31 Depth=1
	s_or_b64 exec, exec, s[2:3]
	s_and_b64 s[2:3], s[6:7], exec
.LBB153_143:                            ;   in Loop: Header=BB153_31 Depth=1
	s_or_b64 exec, exec, s[0:1]
	s_mov_b64 s[0:1], -1
                                        ; implicit-def: $sgpr26_sgpr27
                                        ; implicit-def: $sgpr28_sgpr29
	s_and_saveexec_b64 s[6:7], s[2:3]
	s_xor_b64 s[6:7], exec, s[6:7]
	s_cbranch_execz .LBB153_288
; %bb.144:                              ;   in Loop: Header=BB153_31 Depth=1
	s_cmp_eq_u64 s[20:21], 1
	v_cmp_eq_u64_e32 vcc, 1, v[2:3]
	s_cselect_b64 s[0:1], -1, 0
	s_and_b64 s[44:45], s[0:1], vcc
	s_mov_b64 s[0:1], -1
                                        ; implicit-def: $sgpr28_sgpr29
                                        ; implicit-def: $sgpr26_sgpr27
	s_and_saveexec_b64 s[42:43], s[44:45]
	s_cbranch_execz .LBB153_178
; %bb.145:                              ;   in Loop: Header=BB153_31 Depth=1
	ds_read_b64 v[4:5], v13 offset:5120
	v_readlane_b32 s4, v54, 26
	v_readlane_b32 s5, v54, 27
	s_waitcnt lgkmcnt(0)
	s_barrier
	v_readfirstlane_b32 s2, v4
	v_readfirstlane_b32 s3, v5
	s_and_saveexec_b64 s[0:1], s[4:5]
; %bb.146:                              ;   in Loop: Header=BB153_31 Depth=1
	ds_write_b32 v45, v13
; %bb.147:                              ;   in Loop: Header=BB153_31 Depth=1
	s_or_b64 exec, exec, s[0:1]
	v_and_b32_e32 v4, s77, v32
	v_lshl_or_b32 v32, 1, s13, v4
	v_or_b32_e32 v31, s76, v31
	s_mov_b64 s[26:27], -1
	s_mov_b64 s[28:29], 0
	s_cmp_eq_u64 s[2:3], 0
	s_mov_b64 s[0:1], 0
	s_mov_b64 s[10:11], -1
	s_waitcnt lgkmcnt(0)
	s_barrier
                                        ; implicit-def: $vgpr5
	s_cbranch_scc1 .LBB153_163
; %bb.148:                              ;   in Loop: Header=BB153_31 Depth=1
	v_readlane_b32 s0, v54, 30
	s_add_u32 s48, s2, s0
	v_readlane_b32 s0, v54, 32
	s_addc_u32 s1, s3, s0
	s_mov_b32 s0, s87
	s_cmp_lg_u64 s[0:1], 0
	s_cbranch_scc0 .LBB153_204
; %bb.149:                              ;   in Loop: Header=BB153_31 Depth=1
	v_cvt_f32_u32_e32 v4, s33
	s_sub_u32 s0, 0, s33
	s_subb_u32 s46, 0, 0
	v_mac_f32_e32 v4, 0, v50
	v_rcp_f32_e32 v4, v4
	v_mul_f32_e32 v4, 0x5f7ffffc, v4
	v_mul_f32_e32 v5, 0x2f800000, v4
	v_trunc_f32_e32 v5, v5
	v_mac_f32_e32 v4, 0xcf800000, v5
	v_cvt_u32_f32_e32 v5, v5
	v_cvt_u32_f32_e32 v4, v4
	v_readfirstlane_b32 s47, v5
	v_readfirstlane_b32 s10, v4
	s_mul_i32 s11, s0, s47
	s_mul_hi_u32 s50, s0, s10
	s_mul_i32 s49, s46, s10
	s_add_i32 s11, s50, s11
	s_mul_i32 s51, s0, s10
	s_add_i32 s11, s11, s49
	s_mul_hi_u32 s50, s10, s51
	s_mul_i32 s52, s10, s11
	s_mul_hi_u32 s49, s10, s11
	s_add_u32 s50, s50, s52
	s_addc_u32 s49, 0, s49
	s_mul_hi_u32 s53, s47, s51
	s_mul_i32 s51, s47, s51
	s_add_u32 s50, s50, s51
	s_mul_hi_u32 s52, s47, s11
	s_addc_u32 s49, s49, s53
	s_addc_u32 s50, s52, 0
	s_mul_i32 s11, s47, s11
	s_add_u32 s11, s49, s11
	s_addc_u32 s49, 0, s50
	s_add_u32 s50, s10, s11
	s_cselect_b64 s[10:11], -1, 0
	s_cmp_lg_u64 s[10:11], 0
	s_addc_u32 s47, s47, s49
	s_mul_i32 s10, s0, s47
	s_mul_hi_u32 s11, s0, s50
	s_add_i32 s10, s11, s10
	s_mul_i32 s46, s46, s50
	s_add_i32 s10, s10, s46
	s_mul_i32 s0, s0, s50
	s_mul_hi_u32 s46, s47, s0
	s_mul_i32 s49, s47, s0
	s_mul_i32 s52, s50, s10
	s_mul_hi_u32 s0, s50, s0
	s_mul_hi_u32 s51, s50, s10
	s_add_u32 s0, s0, s52
	s_addc_u32 s51, 0, s51
	s_add_u32 s0, s0, s49
	s_mul_hi_u32 s11, s47, s10
	s_addc_u32 s0, s51, s46
	s_addc_u32 s11, s11, 0
	s_mul_i32 s10, s47, s10
	s_add_u32 s0, s0, s10
	s_addc_u32 s46, 0, s11
	s_add_u32 s0, s50, s0
	s_cselect_b64 s[10:11], -1, 0
	s_cmp_lg_u64 s[10:11], 0
	s_addc_u32 s10, s47, s46
	s_mul_i32 s46, s48, s10
	s_mul_hi_u32 s47, s48, s0
	s_mul_hi_u32 s11, s48, s10
	s_add_u32 s46, s47, s46
	s_addc_u32 s11, 0, s11
	s_mul_hi_u32 s49, s1, s0
	s_mul_i32 s0, s1, s0
	s_add_u32 s0, s46, s0
	s_mul_hi_u32 s47, s1, s10
	s_addc_u32 s0, s11, s49
	s_addc_u32 s11, s47, 0
	s_mul_i32 s10, s1, s10
	s_add_u32 s0, s0, s10
	s_addc_u32 s10, 0, s11
	s_mul_i32 s10, s33, s10
	s_mul_hi_u32 s11, s33, s0
	s_add_i32 s46, s11, s10
	s_mul_i32 s0, s33, s0
	s_sub_u32 s0, s48, s0
	s_cselect_b64 s[10:11], -1, 0
	s_cmp_lg_u64 s[10:11], 0
	s_subb_u32 s46, s1, s46
	s_sub_u32 s47, s0, s33
	s_cselect_b64 s[10:11], -1, 0
	s_cmp_lg_u64 s[10:11], 0
	s_subb_u32 s49, s46, 0
	;; [unrolled: 4-line block ×3, first 2 shown]
	s_cmp_ge_u32 s47, s33
	s_cselect_b32 s11, -1, 0
	s_cmp_eq_u32 s49, 0
	s_cselect_b32 s11, s11, -1
	s_cmp_lg_u32 s11, 0
	s_cselect_b32 s10, s10, s49
	s_cselect_b32 s47, s50, s47
	s_cmp_ge_u32 s0, s33
	s_cselect_b32 s11, -1, 0
	s_cmp_eq_u32 s46, 0
	s_cselect_b32 s11, s11, -1
	s_cmp_lg_u32 s11, 0
	s_cselect_b32 s11, s10, s46
	s_cselect_b32 s10, s47, s0
	s_cbranch_execnz .LBB153_151
.LBB153_150:                            ;   in Loop: Header=BB153_31 Depth=1
	v_cvt_f32_u32_e32 v4, s33
	s_sub_i32 s0, 0, s33
	v_rcp_iflag_f32_e32 v4, v4
	v_mul_f32_e32 v4, 0x4f7ffffe, v4
	v_cvt_u32_f32_e32 v4, v4
	v_readfirstlane_b32 s10, v4
	s_mul_i32 s0, s0, s10
	s_mul_hi_u32 s0, s10, s0
	s_add_i32 s10, s10, s0
	s_mul_hi_u32 s0, s48, s10
	s_mul_i32 s0, s0, s33
	s_sub_i32 s0, s48, s0
	s_sub_i32 s10, s0, s33
	s_cmp_ge_u32 s0, s33
	s_cselect_b32 s0, s10, s0
	s_sub_i32 s10, s0, s33
	s_cmp_ge_u32 s0, s33
	s_cselect_b32 s86, s10, s0
	s_mov_b64 s[10:11], s[86:87]
	v_readlane_b32 s86, v54, 52
.LBB153_151:                            ;   in Loop: Header=BB153_31 Depth=1
	s_sub_u32 s48, s48, s10
	s_subb_u32 s49, s1, s11
	v_cmp_gt_u64_e32 vcc, s[48:49], v[0:1]
	s_mov_b64 s[10:11], 0
	s_mov_b64 s[0:1], 0
                                        ; implicit-def: $vgpr5
	s_and_saveexec_b64 s[46:47], vcc
	s_cbranch_execz .LBB153_162
; %bb.152:                              ;   in Loop: Header=BB153_31 Depth=1
	v_mov_b32_e32 v7, v1
	v_mov_b32_e32 v8, v14
	;; [unrolled: 1-line block ×3, first 2 shown]
                                        ; implicit-def: $sgpr50_sgpr51
	s_branch .LBB153_155
.LBB153_153:                            ;   in Loop: Header=BB153_155 Depth=2
	s_or_b64 exec, exec, s[52:53]
	s_waitcnt lgkmcnt(0)
	s_barrier
	ds_read_b64 v[4:5], v13 offset:3072
	s_mov_b64 s[52:53], -1
	s_mov_b64 s[54:55], -1
	s_waitcnt lgkmcnt(0)
	s_barrier
	v_cmp_ne_u32_e32 vcc, 0, v4
	s_cbranch_vccz .LBB153_158
.LBB153_154:                            ;   in Loop: Header=BB153_155 Depth=2
	s_and_b64 s[52:53], exec, s[52:53]
	s_or_b64 s[0:1], s[52:53], s[0:1]
	s_andn2_b64 s[50:51], s[50:51], exec
	s_and_b64 s[52:53], s[54:55], exec
	s_or_b64 s[50:51], s[50:51], s[52:53]
	s_andn2_b64 exec, exec, s[0:1]
	s_cbranch_execz .LBB153_161
.LBB153_155:                            ;   Parent Loop BB153_31 Depth=1
                                        ; =>  This Inner Loop Header: Depth=2
	v_cmp_gt_u64_e32 vcc, s[2:3], v[6:7]
	s_and_saveexec_b64 s[52:53], vcc
	s_cbranch_execz .LBB153_153
; %bb.156:                              ;   in Loop: Header=BB153_155 Depth=2
	ds_read_b32 v27, v8
	s_waitcnt lgkmcnt(0)
	v_xor_b32_e32 v4, 0x80000000, v27
	v_and_b32_e32 v4, v4, v31
	v_cmp_eq_u32_e32 vcc, v4, v32
	s_and_b64 exec, exec, vcc
	s_cbranch_execz .LBB153_153
; %bb.157:                              ;   in Loop: Header=BB153_155 Depth=2
	ds_write_b64 v13, v[26:27] offset:3072
	s_branch .LBB153_153
.LBB153_158:                            ;   in Loop: Header=BB153_155 Depth=2
	v_add_co_u32_e32 v6, vcc, s33, v6
	v_addc_co_u32_e32 v7, vcc, 0, v7, vcc
	v_cmp_le_u64_e32 vcc, s[48:49], v[6:7]
	v_add_u32_e32 v8, s86, v8
	s_mov_b64 s[54:55], 0
	s_orn2_b64 s[52:53], vcc, exec
	s_branch .LBB153_154
.LBB153_159:                            ;   in Loop: Header=BB153_31 Depth=1
                                        ; implicit-def: $sgpr10_sgpr11
	s_branch .LBB153_104
.LBB153_160:                            ;   in Loop: Header=BB153_31 Depth=1
                                        ; implicit-def: $sgpr2_sgpr3
	s_branch .LBB153_121
.LBB153_161:                            ;   in Loop: Header=BB153_31 Depth=1
	s_or_b64 exec, exec, s[0:1]
	s_and_b64 s[0:1], s[50:51], exec
.LBB153_162:                            ;   in Loop: Header=BB153_31 Depth=1
	s_or_b64 exec, exec, s[46:47]
.LBB153_163:                            ;   in Loop: Header=BB153_31 Depth=1
	s_and_b64 vcc, exec, s[10:11]
	s_cbranch_vccz .LBB153_177
; %bb.164:                              ;   in Loop: Header=BB153_31 Depth=1
	v_readlane_b32 s4, v54, 33
	v_readlane_b32 s5, v54, 34
	s_mov_b32 s4, s87
	s_cmp_lg_u64 s[4:5], 0
	v_writelane_b32 v54, s4, 33
	v_writelane_b32 v54, s5, 34
	s_cbranch_scc0 .LBB153_205
; %bb.165:                              ;   in Loop: Header=BB153_31 Depth=1
	v_cvt_f32_u32_e32 v4, s33
	s_sub_u32 s10, 0, s33
	s_subb_u32 s11, 0, 0
	v_readlane_b32 s4, v54, 31
	v_mac_f32_e32 v4, 0, v50
	v_rcp_f32_e32 v4, v4
	v_mul_f32_e32 v4, 0x5f7ffffc, v4
	v_mul_f32_e32 v5, 0x2f800000, v4
	v_trunc_f32_e32 v5, v5
	v_mac_f32_e32 v4, 0xcf800000, v5
	v_cvt_u32_f32_e32 v5, v5
	v_cvt_u32_f32_e32 v4, v4
	v_readfirstlane_b32 s26, v5
	v_readfirstlane_b32 s2, v4
	s_mul_i32 s3, s10, s26
	s_mul_hi_u32 s28, s10, s2
	s_mul_i32 s27, s11, s2
	s_add_i32 s3, s28, s3
	s_mul_i32 s29, s10, s2
	s_add_i32 s3, s3, s27
	s_mul_hi_u32 s28, s2, s29
	s_mul_i32 s46, s2, s3
	s_mul_hi_u32 s27, s2, s3
	s_add_u32 s28, s28, s46
	s_addc_u32 s27, 0, s27
	s_mul_hi_u32 s47, s26, s29
	s_mul_i32 s29, s26, s29
	s_add_u32 s28, s28, s29
	s_mul_hi_u32 s46, s26, s3
	s_addc_u32 s27, s27, s47
	s_addc_u32 s28, s46, 0
	s_mul_i32 s3, s26, s3
	s_add_u32 s3, s27, s3
	s_addc_u32 s27, 0, s28
	s_add_u32 s28, s2, s3
	s_cselect_b64 s[2:3], -1, 0
	s_cmp_lg_u64 s[2:3], 0
	s_addc_u32 s26, s26, s27
	s_mul_i32 s2, s10, s26
	s_mul_hi_u32 s3, s10, s28
	s_add_i32 s2, s3, s2
	s_mul_i32 s11, s11, s28
	s_add_i32 s2, s2, s11
	s_mul_i32 s10, s10, s28
	s_mul_hi_u32 s11, s26, s10
	s_mul_i32 s27, s26, s10
	s_mul_i32 s46, s28, s2
	s_mul_hi_u32 s10, s28, s10
	s_mul_hi_u32 s29, s28, s2
	s_add_u32 s10, s10, s46
	s_addc_u32 s29, 0, s29
	s_add_u32 s10, s10, s27
	s_mul_hi_u32 s3, s26, s2
	s_addc_u32 s10, s29, s11
	s_addc_u32 s3, s3, 0
	s_mul_i32 s2, s26, s2
	s_add_u32 s2, s10, s2
	s_addc_u32 s10, 0, s3
	s_add_u32 s11, s28, s2
	s_cselect_b64 s[2:3], -1, 0
	s_cmp_lg_u64 s[2:3], 0
	s_addc_u32 s2, s26, s10
	s_mul_i32 s10, s4, s2
	s_mul_hi_u32 s26, s4, s11
	s_mul_hi_u32 s3, s4, s2
	s_add_u32 s10, s26, s10
	s_addc_u32 s3, 0, s3
	s_mul_hi_u32 s27, s5, s11
	s_mul_i32 s11, s5, s11
	s_add_u32 s10, s10, s11
	s_mul_hi_u32 s26, s5, s2
	s_addc_u32 s3, s3, s27
	s_addc_u32 s10, s26, 0
	s_mul_i32 s2, s5, s2
	s_add_u32 s2, s3, s2
	s_addc_u32 s3, 0, s10
	s_mul_i32 s3, s33, s3
	s_mul_hi_u32 s10, s33, s2
	s_add_i32 s10, s10, s3
	s_mul_i32 s2, s33, s2
	s_sub_u32 s11, s4, s2
	s_cselect_b64 s[2:3], -1, 0
	s_cmp_lg_u64 s[2:3], 0
	s_subb_u32 s10, s5, s10
	s_sub_u32 s26, s11, s33
	s_cselect_b64 s[2:3], -1, 0
	s_cmp_lg_u64 s[2:3], 0
	s_subb_u32 s27, s10, 0
	;; [unrolled: 4-line block ×3, first 2 shown]
	s_cmp_ge_u32 s26, s33
	s_cselect_b32 s3, -1, 0
	s_cmp_eq_u32 s27, 0
	s_cselect_b32 s3, s3, -1
	s_cmp_lg_u32 s3, 0
	s_cselect_b32 s2, s2, s27
	s_cselect_b32 s26, s28, s26
	s_cmp_ge_u32 s11, s33
	s_cselect_b32 s3, -1, 0
	s_cmp_eq_u32 s10, 0
	s_cselect_b32 s3, s3, -1
	s_cmp_lg_u32 s3, 0
	s_cselect_b32 s3, s2, s10
	s_cselect_b32 s2, s26, s11
	s_cbranch_execnz .LBB153_167
.LBB153_166:                            ;   in Loop: Header=BB153_31 Depth=1
	v_cvt_f32_u32_e32 v4, s33
	s_sub_i32 s2, 0, s33
	v_readlane_b32 s4, v54, 31
	v_rcp_iflag_f32_e32 v4, v4
	v_mul_f32_e32 v4, 0x4f7ffffe, v4
	v_cvt_u32_f32_e32 v4, v4
	v_readfirstlane_b32 s3, v4
	s_mul_i32 s2, s2, s3
	s_mul_hi_u32 s2, s3, s2
	s_add_i32 s3, s3, s2
	s_mul_hi_u32 s2, s4, s3
	s_mul_i32 s2, s2, s33
	s_sub_i32 s2, s4, s2
	s_sub_i32 s3, s2, s33
	s_cmp_ge_u32 s2, s33
	s_cselect_b32 s2, s3, s2
	s_sub_i32 s3, s2, s33
	s_cmp_ge_u32 s2, s33
	s_cselect_b32 s86, s3, s2
	s_mov_b64 s[2:3], s[86:87]
	v_readlane_b32 s86, v54, 52
.LBB153_167:                            ;   in Loop: Header=BB153_31 Depth=1
	v_readlane_b32 s4, v54, 31
	s_sub_u32 s10, s4, s2
	v_readlane_b32 s4, v54, 33
	v_readlane_b32 s5, v54, 34
	s_subb_u32 s11, s5, s3
	v_cmp_gt_u64_e32 vcc, s[10:11], v[0:1]
                                        ; implicit-def: $vgpr5
	s_and_saveexec_b64 s[2:3], vcc
	s_cbranch_execz .LBB153_176
; %bb.168:                              ;   in Loop: Header=BB153_31 Depth=1
	v_mov_b32_e32 v6, v24
	v_mov_b32_e32 v9, v1
	s_mov_b64 s[26:27], 0
	v_mov_b32_e32 v7, v25
	v_mov_b32_e32 v8, v0
                                        ; implicit-def: $sgpr28_sgpr29
	s_branch .LBB153_171
.LBB153_169:                            ;   in Loop: Header=BB153_171 Depth=2
	s_or_b64 exec, exec, s[46:47]
	s_waitcnt lgkmcnt(0)
	s_barrier
	ds_read_b64 v[4:5], v13 offset:3072
	s_mov_b64 s[46:47], -1
	s_mov_b64 s[48:49], -1
	s_waitcnt lgkmcnt(0)
	s_barrier
	v_cmp_eq_u32_e32 vcc, 0, v4
	s_cbranch_vccnz .LBB153_174
.LBB153_170:                            ;   in Loop: Header=BB153_171 Depth=2
	s_and_b64 s[46:47], exec, s[46:47]
	s_or_b64 s[26:27], s[46:47], s[26:27]
	s_andn2_b64 s[28:29], s[28:29], exec
	s_and_b64 s[46:47], s[48:49], exec
	s_or_b64 s[28:29], s[28:29], s[46:47]
	s_andn2_b64 exec, exec, s[26:27]
	s_cbranch_execz .LBB153_175
.LBB153_171:                            ;   Parent Loop BB153_31 Depth=1
                                        ; =>  This Inner Loop Header: Depth=2
	v_cmp_gt_u64_e32 vcc, s[60:61], v[8:9]
	s_and_saveexec_b64 s[46:47], vcc
	s_cbranch_execz .LBB153_169
; %bb.172:                              ;   in Loop: Header=BB153_171 Depth=2
	global_load_dword v27, v[6:7], off
	s_waitcnt vmcnt(0)
	v_xor_b32_e32 v4, 0x80000000, v27
	v_and_b32_e32 v4, v4, v31
	v_cmp_eq_u32_e32 vcc, v4, v32
	s_and_b64 exec, exec, vcc
	s_cbranch_execz .LBB153_169
; %bb.173:                              ;   in Loop: Header=BB153_171 Depth=2
	ds_write_b64 v13, v[26:27] offset:3072
	s_branch .LBB153_169
.LBB153_174:                            ;   in Loop: Header=BB153_171 Depth=2
	v_add_co_u32_e32 v8, vcc, s33, v8
	v_readlane_b32 s4, v54, 48
	v_addc_co_u32_e32 v9, vcc, 0, v9, vcc
	v_readlane_b32 s5, v54, 49
	v_mov_b32_e32 v4, s5
	v_add_co_u32_e32 v6, vcc, s4, v6
	v_addc_co_u32_e32 v7, vcc, v7, v4, vcc
	v_cmp_le_u64_e32 vcc, s[10:11], v[8:9]
	s_mov_b64 s[48:49], 0
	s_orn2_b64 s[46:47], vcc, exec
	s_branch .LBB153_170
.LBB153_175:                            ;   in Loop: Header=BB153_31 Depth=1
	s_or_b64 exec, exec, s[26:27]
	s_andn2_b64 s[0:1], s[0:1], exec
	s_and_b64 s[10:11], s[28:29], exec
	s_or_b64 s[0:1], s[0:1], s[10:11]
.LBB153_176:                            ;   in Loop: Header=BB153_31 Depth=1
	s_or_b64 exec, exec, s[2:3]
	s_mov_b64 s[26:27], 0
	s_mov_b64 s[28:29], -1
.LBB153_177:                            ;   in Loop: Header=BB153_31 Depth=1
	s_orn2_b64 s[0:1], s[0:1], exec
.LBB153_178:                            ;   in Loop: Header=BB153_31 Depth=1
	s_or_b64 exec, exec, s[42:43]
	s_mov_b64 s[2:3], 0
	s_and_saveexec_b64 s[42:43], s[0:1]
	s_cbranch_execz .LBB153_287
; %bb.179:                              ;   in Loop: Header=BB153_31 Depth=1
	v_mov_b32_e32 v6, 1
	s_xor_b64 s[10:11], s[44:45], -1
	v_mov_b32_e32 v12, 1
	v_mov_b32_e32 v7, 0
	s_and_saveexec_b64 s[0:1], s[10:11]
	s_cbranch_execz .LBB153_188
; %bb.180:                              ;   in Loop: Header=BB153_31 Depth=1
	v_cmp_ge_u64_e32 vcc, s[20:21], v[2:3]
	s_and_saveexec_b64 s[2:3], vcc
	s_xor_b64 s[2:3], exec, s[2:3]
	s_cbranch_execz .LBB153_185
; %bb.181:                              ;   in Loop: Header=BB153_31 Depth=1
	ds_read_b64 v[6:7], v13 offset:5120
	v_and_b32_e32 v4, s77, v32
	v_lshl_or_b32 v32, 1, s13, v4
	v_or_b32_e32 v31, s76, v31
	s_waitcnt lgkmcnt(0)
	v_cmp_ne_u64_e32 vcc, 0, v[6:7]
	s_cbranch_vccnz .LBB153_185
; %bb.182:                              ;   in Loop: Header=BB153_31 Depth=1
	v_readlane_b32 s4, v54, 12
	v_readlane_b32 s5, v54, 13
	s_and_saveexec_b64 s[10:11], s[4:5]
; %bb.183:                              ;   in Loop: Header=BB153_31 Depth=1
	v_mov_b32_e32 v6, s20
	v_mov_b32_e32 v7, s21
	ds_write_b64 v13, v[6:7] offset:5128
; %bb.184:                              ;   in Loop: Header=BB153_31 Depth=1
	s_or_b64 exec, exec, s[10:11]
	s_waitcnt lgkmcnt(0)
	s_barrier
.LBB153_185:                            ;   in Loop: Header=BB153_31 Depth=1
	s_or_saveexec_b64 s[2:3], s[2:3]
	s_mov_b64 s[10:11], 0
	v_mov_b32_e32 v12, 8
	s_xor_b64 exec, exec, s[2:3]
; %bb.186:                              ;   in Loop: Header=BB153_31 Depth=1
	v_subrev_co_u32_e32 v2, vcc, s20, v2
	v_mov_b32_e32 v4, s21
	v_subb_co_u32_e32 v3, vcc, v3, v4, vcc
	v_mov_b32_e32 v12, 0
	s_mov_b64 s[10:11], exec
; %bb.187:                              ;   in Loop: Header=BB153_31 Depth=1
	s_or_b64 exec, exec, s[2:3]
	v_mov_b32_e32 v7, v3
	s_and_b64 s[2:3], s[10:11], exec
	v_mov_b32_e32 v6, v2
.LBB153_188:                            ;   in Loop: Header=BB153_31 Depth=1
	s_or_b64 exec, exec, s[0:1]
	s_mov_b64 s[0:1], -1
                                        ; implicit-def: $sgpr46_sgpr47
                                        ; implicit-def: $sgpr48_sgpr49
	s_and_saveexec_b64 s[44:45], s[2:3]
	s_cbranch_execz .LBB153_286
; %bb.189:                              ;   in Loop: Header=BB153_31 Depth=1
	s_cmp_eq_u64 s[22:23], 1
	v_cmp_eq_u64_e32 vcc, 1, v[6:7]
	s_cselect_b64 s[0:1], -1, 0
	s_and_b64 s[52:53], s[0:1], vcc
	s_mov_b64 s[0:1], -1
                                        ; implicit-def: $sgpr48_sgpr49
                                        ; implicit-def: $sgpr46_sgpr47
	s_and_saveexec_b64 s[50:51], s[52:53]
	s_cbranch_execz .LBB153_223
; %bb.190:                              ;   in Loop: Header=BB153_31 Depth=1
	ds_read_b64 v[2:3], v13 offset:5120
	v_readlane_b32 s4, v54, 26
	v_readlane_b32 s5, v54, 27
	s_waitcnt lgkmcnt(0)
	s_barrier
	v_readfirstlane_b32 s2, v2
	v_readfirstlane_b32 s3, v3
	s_and_saveexec_b64 s[0:1], s[4:5]
; %bb.191:                              ;   in Loop: Header=BB153_31 Depth=1
	ds_write_b32 v45, v13
; %bb.192:                              ;   in Loop: Header=BB153_31 Depth=1
	s_or_b64 exec, exec, s[0:1]
	v_and_b32_e32 v2, s77, v32
	v_lshl_or_b32 v32, 2, s13, v2
	v_or_b32_e32 v31, s76, v31
	s_mov_b64 s[46:47], -1
	s_mov_b64 s[48:49], 0
	s_cmp_eq_u64 s[2:3], 0
	s_mov_b64 s[0:1], 0
	s_mov_b64 s[10:11], -1
	s_waitcnt lgkmcnt(0)
	s_barrier
                                        ; implicit-def: $vgpr5
	s_cbranch_scc1 .LBB153_208
; %bb.193:                              ;   in Loop: Header=BB153_31 Depth=1
	v_readlane_b32 s0, v54, 30
	s_add_u32 s64, s2, s0
	v_readlane_b32 s0, v54, 32
	s_addc_u32 s1, s3, s0
	s_mov_b32 s0, s87
	s_cmp_lg_u64 s[0:1], 0
	s_cbranch_scc0 .LBB153_240
; %bb.194:                              ;   in Loop: Header=BB153_31 Depth=1
	v_cvt_f32_u32_e32 v2, s33
	s_sub_u32 s0, 0, s33
	s_subb_u32 s54, 0, 0
	v_mac_f32_e32 v2, 0, v50
	v_rcp_f32_e32 v2, v2
	v_mul_f32_e32 v2, 0x5f7ffffc, v2
	v_mul_f32_e32 v3, 0x2f800000, v2
	v_trunc_f32_e32 v3, v3
	v_mac_f32_e32 v2, 0xcf800000, v3
	v_cvt_u32_f32_e32 v3, v3
	v_cvt_u32_f32_e32 v2, v2
	v_readfirstlane_b32 s55, v3
	v_readfirstlane_b32 s10, v2
	s_mul_i32 s11, s0, s55
	s_mul_hi_u32 s80, s0, s10
	s_mul_i32 s65, s54, s10
	s_add_i32 s11, s80, s11
	s_mul_i32 s81, s0, s10
	s_add_i32 s11, s11, s65
	s_mul_hi_u32 s80, s10, s81
	s_mul_i32 s86, s10, s11
	s_mul_hi_u32 s65, s10, s11
	s_add_u32 s80, s80, s86
	s_addc_u32 s65, 0, s65
	s_mul_hi_u32 s88, s55, s81
	s_mul_i32 s81, s55, s81
	s_add_u32 s80, s80, s81
	s_mul_hi_u32 s86, s55, s11
	s_addc_u32 s65, s65, s88
	s_addc_u32 s80, s86, 0
	s_mul_i32 s11, s55, s11
	s_add_u32 s11, s65, s11
	s_addc_u32 s65, 0, s80
	s_add_u32 s80, s10, s11
	s_cselect_b64 s[10:11], -1, 0
	s_cmp_lg_u64 s[10:11], 0
	s_addc_u32 s55, s55, s65
	s_mul_i32 s10, s0, s55
	s_mul_hi_u32 s11, s0, s80
	s_add_i32 s10, s11, s10
	s_mul_i32 s54, s54, s80
	s_add_i32 s10, s10, s54
	s_mul_i32 s0, s0, s80
	s_mul_hi_u32 s54, s55, s0
	s_mul_i32 s65, s55, s0
	s_mul_i32 s86, s80, s10
	s_mul_hi_u32 s0, s80, s0
	s_mul_hi_u32 s81, s80, s10
	s_add_u32 s0, s0, s86
	s_addc_u32 s81, 0, s81
	s_add_u32 s0, s0, s65
	s_mul_hi_u32 s11, s55, s10
	s_addc_u32 s0, s81, s54
	s_addc_u32 s11, s11, 0
	s_mul_i32 s10, s55, s10
	s_add_u32 s0, s0, s10
	s_addc_u32 s54, 0, s11
	s_add_u32 s0, s80, s0
	s_cselect_b64 s[10:11], -1, 0
	s_cmp_lg_u64 s[10:11], 0
	s_addc_u32 s10, s55, s54
	s_mul_i32 s54, s64, s10
	s_mul_hi_u32 s55, s64, s0
	s_mul_hi_u32 s11, s64, s10
	s_add_u32 s54, s55, s54
	s_addc_u32 s11, 0, s11
	s_mul_hi_u32 s65, s1, s0
	s_mul_i32 s0, s1, s0
	s_add_u32 s0, s54, s0
	s_mul_hi_u32 s55, s1, s10
	s_addc_u32 s0, s11, s65
	s_addc_u32 s11, s55, 0
	s_mul_i32 s10, s1, s10
	s_add_u32 s0, s0, s10
	s_addc_u32 s10, 0, s11
	s_mul_i32 s10, s33, s10
	s_mul_hi_u32 s11, s33, s0
	s_add_i32 s54, s11, s10
	s_mul_i32 s0, s33, s0
	s_sub_u32 s0, s64, s0
	s_cselect_b64 s[10:11], -1, 0
	s_cmp_lg_u64 s[10:11], 0
	s_subb_u32 s54, s1, s54
	s_sub_u32 s55, s0, s33
	s_cselect_b64 s[10:11], -1, 0
	s_cmp_lg_u64 s[10:11], 0
	s_subb_u32 s65, s54, 0
	;; [unrolled: 4-line block ×3, first 2 shown]
	s_cmp_ge_u32 s55, s33
	s_cselect_b32 s11, -1, 0
	s_cmp_eq_u32 s65, 0
	s_cselect_b32 s11, s11, -1
	s_cmp_lg_u32 s11, 0
	s_cselect_b32 s10, s10, s65
	s_cselect_b32 s55, s80, s55
	s_cmp_ge_u32 s0, s33
	s_cselect_b32 s11, -1, 0
	s_cmp_eq_u32 s54, 0
	s_cselect_b32 s11, s11, -1
	s_cmp_lg_u32 s11, 0
	s_cselect_b32 s11, s10, s54
	s_cselect_b32 s10, s55, s0
	s_cbranch_execnz .LBB153_196
.LBB153_195:                            ;   in Loop: Header=BB153_31 Depth=1
	v_cvt_f32_u32_e32 v2, s33
	s_sub_i32 s0, 0, s33
	v_rcp_iflag_f32_e32 v2, v2
	v_mul_f32_e32 v2, 0x4f7ffffe, v2
	v_cvt_u32_f32_e32 v2, v2
	v_readfirstlane_b32 s10, v2
	s_mul_i32 s0, s0, s10
	s_mul_hi_u32 s0, s10, s0
	s_add_i32 s10, s10, s0
	s_mul_hi_u32 s0, s64, s10
	s_mul_i32 s0, s0, s33
	s_sub_i32 s0, s64, s0
	s_sub_i32 s10, s0, s33
	s_cmp_ge_u32 s0, s33
	s_cselect_b32 s0, s10, s0
	s_sub_i32 s10, s0, s33
	s_cmp_ge_u32 s0, s33
	s_cselect_b32 s86, s10, s0
	s_mov_b64 s[10:11], s[86:87]
.LBB153_196:                            ;   in Loop: Header=BB153_31 Depth=1
	s_sub_u32 s64, s64, s10
	s_subb_u32 s65, s1, s11
	v_cmp_gt_u64_e32 vcc, s[64:65], v[0:1]
	s_mov_b64 s[10:11], 0
	s_mov_b64 s[0:1], 0
                                        ; implicit-def: $vgpr5
	s_and_saveexec_b64 s[54:55], vcc
	v_readlane_b32 s86, v54, 52
	s_cbranch_execz .LBB153_207
; %bb.197:                              ;   in Loop: Header=BB153_31 Depth=1
	v_mov_b32_e32 v3, v1
	v_mov_b32_e32 v8, v14
	v_mov_b32_e32 v2, v0
                                        ; implicit-def: $sgpr80_sgpr81
	s_branch .LBB153_200
.LBB153_198:                            ;   in Loop: Header=BB153_200 Depth=2
	s_or_b64 exec, exec, s[88:89]
	s_waitcnt lgkmcnt(0)
	s_barrier
	ds_read_b64 v[4:5], v13 offset:3072
	s_mov_b64 s[88:89], -1
	s_mov_b64 s[90:91], -1
	s_waitcnt lgkmcnt(0)
	s_barrier
	v_cmp_ne_u32_e32 vcc, 0, v4
	s_cbranch_vccz .LBB153_203
.LBB153_199:                            ;   in Loop: Header=BB153_200 Depth=2
	s_and_b64 s[88:89], exec, s[88:89]
	s_or_b64 s[0:1], s[88:89], s[0:1]
	s_andn2_b64 s[80:81], s[80:81], exec
	s_and_b64 s[88:89], s[90:91], exec
	s_or_b64 s[80:81], s[80:81], s[88:89]
	s_andn2_b64 exec, exec, s[0:1]
	s_cbranch_execz .LBB153_206
.LBB153_200:                            ;   Parent Loop BB153_31 Depth=1
                                        ; =>  This Inner Loop Header: Depth=2
	v_cmp_gt_u64_e32 vcc, s[2:3], v[2:3]
	s_and_saveexec_b64 s[88:89], vcc
	s_cbranch_execz .LBB153_198
; %bb.201:                              ;   in Loop: Header=BB153_200 Depth=2
	ds_read_b32 v27, v8
	s_waitcnt lgkmcnt(0)
	v_xor_b32_e32 v4, 0x80000000, v27
	v_and_b32_e32 v4, v4, v31
	v_cmp_eq_u32_e32 vcc, v4, v32
	s_and_b64 exec, exec, vcc
	s_cbranch_execz .LBB153_198
; %bb.202:                              ;   in Loop: Header=BB153_200 Depth=2
	ds_write_b64 v13, v[26:27] offset:3072
	s_branch .LBB153_198
.LBB153_203:                            ;   in Loop: Header=BB153_200 Depth=2
	v_add_co_u32_e32 v2, vcc, s33, v2
	v_addc_co_u32_e32 v3, vcc, 0, v3, vcc
	v_cmp_le_u64_e32 vcc, s[64:65], v[2:3]
	v_add_u32_e32 v8, s86, v8
	s_mov_b64 s[90:91], 0
	s_orn2_b64 s[88:89], vcc, exec
	s_branch .LBB153_199
.LBB153_204:                            ;   in Loop: Header=BB153_31 Depth=1
                                        ; implicit-def: $sgpr10_sgpr11
	s_branch .LBB153_150
.LBB153_205:                            ;   in Loop: Header=BB153_31 Depth=1
                                        ; implicit-def: $sgpr2_sgpr3
	s_branch .LBB153_166
.LBB153_206:                            ;   in Loop: Header=BB153_31 Depth=1
	s_or_b64 exec, exec, s[0:1]
	s_and_b64 s[0:1], s[80:81], exec
.LBB153_207:                            ;   in Loop: Header=BB153_31 Depth=1
	s_or_b64 exec, exec, s[54:55]
.LBB153_208:                            ;   in Loop: Header=BB153_31 Depth=1
	s_and_b64 vcc, exec, s[10:11]
	s_cbranch_vccz .LBB153_222
; %bb.209:                              ;   in Loop: Header=BB153_31 Depth=1
	v_readlane_b32 s4, v54, 33
	v_readlane_b32 s5, v54, 34
	s_mov_b32 s4, s87
	s_cmp_lg_u64 s[4:5], 0
	v_writelane_b32 v54, s4, 33
	v_writelane_b32 v54, s5, 34
	s_cbranch_scc0 .LBB153_241
; %bb.210:                              ;   in Loop: Header=BB153_31 Depth=1
	v_cvt_f32_u32_e32 v2, s33
	s_sub_u32 s10, 0, s33
	s_subb_u32 s11, 0, 0
	v_readlane_b32 s4, v54, 31
	v_mac_f32_e32 v2, 0, v50
	v_rcp_f32_e32 v2, v2
	v_mul_f32_e32 v2, 0x5f7ffffc, v2
	v_mul_f32_e32 v3, 0x2f800000, v2
	v_trunc_f32_e32 v3, v3
	v_mac_f32_e32 v2, 0xcf800000, v3
	v_cvt_u32_f32_e32 v3, v3
	v_cvt_u32_f32_e32 v2, v2
	v_readfirstlane_b32 s46, v3
	v_readfirstlane_b32 s2, v2
	s_mul_i32 s3, s10, s46
	s_mul_hi_u32 s48, s10, s2
	s_mul_i32 s47, s11, s2
	s_add_i32 s3, s48, s3
	s_mul_i32 s49, s10, s2
	s_add_i32 s3, s3, s47
	s_mul_hi_u32 s48, s2, s49
	s_mul_i32 s54, s2, s3
	s_mul_hi_u32 s47, s2, s3
	s_add_u32 s48, s48, s54
	s_addc_u32 s47, 0, s47
	s_mul_hi_u32 s55, s46, s49
	s_mul_i32 s49, s46, s49
	s_add_u32 s48, s48, s49
	s_mul_hi_u32 s54, s46, s3
	s_addc_u32 s47, s47, s55
	s_addc_u32 s48, s54, 0
	s_mul_i32 s3, s46, s3
	s_add_u32 s3, s47, s3
	s_addc_u32 s47, 0, s48
	s_add_u32 s48, s2, s3
	s_cselect_b64 s[2:3], -1, 0
	s_cmp_lg_u64 s[2:3], 0
	s_addc_u32 s46, s46, s47
	s_mul_i32 s2, s10, s46
	s_mul_hi_u32 s3, s10, s48
	s_add_i32 s2, s3, s2
	s_mul_i32 s11, s11, s48
	s_add_i32 s2, s2, s11
	s_mul_i32 s10, s10, s48
	s_mul_hi_u32 s11, s46, s10
	s_mul_i32 s47, s46, s10
	s_mul_i32 s54, s48, s2
	s_mul_hi_u32 s10, s48, s10
	s_mul_hi_u32 s49, s48, s2
	s_add_u32 s10, s10, s54
	s_addc_u32 s49, 0, s49
	s_add_u32 s10, s10, s47
	s_mul_hi_u32 s3, s46, s2
	s_addc_u32 s10, s49, s11
	s_addc_u32 s3, s3, 0
	s_mul_i32 s2, s46, s2
	s_add_u32 s2, s10, s2
	s_addc_u32 s10, 0, s3
	s_add_u32 s11, s48, s2
	s_cselect_b64 s[2:3], -1, 0
	s_cmp_lg_u64 s[2:3], 0
	s_addc_u32 s2, s46, s10
	s_mul_i32 s10, s4, s2
	s_mul_hi_u32 s46, s4, s11
	s_mul_hi_u32 s3, s4, s2
	s_add_u32 s10, s46, s10
	s_addc_u32 s3, 0, s3
	s_mul_hi_u32 s47, s5, s11
	s_mul_i32 s11, s5, s11
	s_add_u32 s10, s10, s11
	s_mul_hi_u32 s46, s5, s2
	s_addc_u32 s3, s3, s47
	s_addc_u32 s10, s46, 0
	s_mul_i32 s2, s5, s2
	s_add_u32 s2, s3, s2
	s_addc_u32 s3, 0, s10
	s_mul_i32 s3, s33, s3
	s_mul_hi_u32 s10, s33, s2
	s_add_i32 s10, s10, s3
	s_mul_i32 s2, s33, s2
	s_sub_u32 s11, s4, s2
	s_cselect_b64 s[2:3], -1, 0
	s_cmp_lg_u64 s[2:3], 0
	s_subb_u32 s10, s5, s10
	s_sub_u32 s46, s11, s33
	s_cselect_b64 s[2:3], -1, 0
	s_cmp_lg_u64 s[2:3], 0
	s_subb_u32 s47, s10, 0
	;; [unrolled: 4-line block ×3, first 2 shown]
	s_cmp_ge_u32 s46, s33
	s_cselect_b32 s3, -1, 0
	s_cmp_eq_u32 s47, 0
	s_cselect_b32 s3, s3, -1
	s_cmp_lg_u32 s3, 0
	s_cselect_b32 s2, s2, s47
	s_cselect_b32 s46, s48, s46
	s_cmp_ge_u32 s11, s33
	s_cselect_b32 s3, -1, 0
	s_cmp_eq_u32 s10, 0
	s_cselect_b32 s3, s3, -1
	s_cmp_lg_u32 s3, 0
	s_cselect_b32 s3, s2, s10
	s_cselect_b32 s2, s46, s11
	s_cbranch_execnz .LBB153_212
.LBB153_211:                            ;   in Loop: Header=BB153_31 Depth=1
	v_cvt_f32_u32_e32 v2, s33
	s_sub_i32 s2, 0, s33
	v_readlane_b32 s4, v54, 31
	v_rcp_iflag_f32_e32 v2, v2
	v_mul_f32_e32 v2, 0x4f7ffffe, v2
	v_cvt_u32_f32_e32 v2, v2
	v_readfirstlane_b32 s3, v2
	s_mul_i32 s2, s2, s3
	s_mul_hi_u32 s2, s3, s2
	s_add_i32 s3, s3, s2
	s_mul_hi_u32 s2, s4, s3
	s_mul_i32 s2, s2, s33
	s_sub_i32 s2, s4, s2
	s_sub_i32 s3, s2, s33
	s_cmp_ge_u32 s2, s33
	s_cselect_b32 s2, s3, s2
	s_sub_i32 s3, s2, s33
	s_cmp_ge_u32 s2, s33
	s_cselect_b32 s86, s3, s2
	s_mov_b64 s[2:3], s[86:87]
	v_readlane_b32 s86, v54, 52
.LBB153_212:                            ;   in Loop: Header=BB153_31 Depth=1
	v_readlane_b32 s4, v54, 31
	s_sub_u32 s10, s4, s2
	v_readlane_b32 s4, v54, 33
	v_readlane_b32 s5, v54, 34
	s_subb_u32 s11, s5, s3
	v_cmp_gt_u64_e32 vcc, s[10:11], v[0:1]
                                        ; implicit-def: $vgpr5
	s_and_saveexec_b64 s[2:3], vcc
	s_cbranch_execz .LBB153_221
; %bb.213:                              ;   in Loop: Header=BB153_31 Depth=1
	v_mov_b32_e32 v2, v24
	v_mov_b32_e32 v9, v1
	s_mov_b64 s[46:47], 0
	v_mov_b32_e32 v3, v25
	v_mov_b32_e32 v8, v0
                                        ; implicit-def: $sgpr48_sgpr49
	s_branch .LBB153_216
.LBB153_214:                            ;   in Loop: Header=BB153_216 Depth=2
	s_or_b64 exec, exec, s[54:55]
	s_waitcnt lgkmcnt(0)
	s_barrier
	ds_read_b64 v[4:5], v13 offset:3072
	s_mov_b64 s[54:55], -1
	s_mov_b64 s[64:65], -1
	s_waitcnt lgkmcnt(0)
	s_barrier
	v_cmp_eq_u32_e32 vcc, 0, v4
	s_cbranch_vccnz .LBB153_219
.LBB153_215:                            ;   in Loop: Header=BB153_216 Depth=2
	s_and_b64 s[54:55], exec, s[54:55]
	s_or_b64 s[46:47], s[54:55], s[46:47]
	s_andn2_b64 s[48:49], s[48:49], exec
	s_and_b64 s[54:55], s[64:65], exec
	s_or_b64 s[48:49], s[48:49], s[54:55]
	s_andn2_b64 exec, exec, s[46:47]
	s_cbranch_execz .LBB153_220
.LBB153_216:                            ;   Parent Loop BB153_31 Depth=1
                                        ; =>  This Inner Loop Header: Depth=2
	v_cmp_gt_u64_e32 vcc, s[60:61], v[8:9]
	s_and_saveexec_b64 s[54:55], vcc
	s_cbranch_execz .LBB153_214
; %bb.217:                              ;   in Loop: Header=BB153_216 Depth=2
	global_load_dword v27, v[2:3], off
	s_waitcnt vmcnt(0)
	v_xor_b32_e32 v4, 0x80000000, v27
	v_and_b32_e32 v4, v4, v31
	v_cmp_eq_u32_e32 vcc, v4, v32
	s_and_b64 exec, exec, vcc
	s_cbranch_execz .LBB153_214
; %bb.218:                              ;   in Loop: Header=BB153_216 Depth=2
	ds_write_b64 v13, v[26:27] offset:3072
	s_branch .LBB153_214
.LBB153_219:                            ;   in Loop: Header=BB153_216 Depth=2
	v_add_co_u32_e32 v8, vcc, s33, v8
	v_readlane_b32 s4, v54, 48
	v_addc_co_u32_e32 v9, vcc, 0, v9, vcc
	v_readlane_b32 s5, v54, 49
	v_mov_b32_e32 v4, s5
	v_add_co_u32_e32 v2, vcc, s4, v2
	v_addc_co_u32_e32 v3, vcc, v3, v4, vcc
	v_cmp_le_u64_e32 vcc, s[10:11], v[8:9]
	s_mov_b64 s[64:65], 0
	s_orn2_b64 s[54:55], vcc, exec
	s_branch .LBB153_215
.LBB153_220:                            ;   in Loop: Header=BB153_31 Depth=1
	s_or_b64 exec, exec, s[46:47]
	s_andn2_b64 s[0:1], s[0:1], exec
	s_and_b64 s[10:11], s[48:49], exec
	s_or_b64 s[0:1], s[0:1], s[10:11]
.LBB153_221:                            ;   in Loop: Header=BB153_31 Depth=1
	s_or_b64 exec, exec, s[2:3]
	s_mov_b64 s[46:47], 0
	s_mov_b64 s[48:49], -1
.LBB153_222:                            ;   in Loop: Header=BB153_31 Depth=1
	s_orn2_b64 s[0:1], s[0:1], exec
.LBB153_223:                            ;   in Loop: Header=BB153_31 Depth=1
	s_or_b64 exec, exec, s[50:51]
	s_mov_b64 s[2:3], 0
	s_and_saveexec_b64 s[50:51], s[0:1]
	s_cbranch_execz .LBB153_285
; %bb.224:                              ;   in Loop: Header=BB153_31 Depth=1
	v_mov_b32_e32 v2, 1
	s_xor_b64 s[10:11], s[52:53], -1
	v_mov_b32_e32 v12, 1
	v_mov_b32_e32 v3, 0
	s_and_saveexec_b64 s[0:1], s[10:11]
	s_cbranch_execz .LBB153_233
; %bb.225:                              ;   in Loop: Header=BB153_31 Depth=1
	v_cmp_ge_u64_e32 vcc, s[22:23], v[6:7]
	s_and_saveexec_b64 s[2:3], vcc
	s_xor_b64 s[2:3], exec, s[2:3]
	s_cbranch_execz .LBB153_230
; %bb.226:                              ;   in Loop: Header=BB153_31 Depth=1
	v_and_b32_e32 v2, s77, v32
	v_lshl_or_b32 v32, 2, s13, v2
	ds_read_b64 v[2:3], v13 offset:5120
	v_or_b32_e32 v31, s76, v31
	s_waitcnt lgkmcnt(0)
	v_cmp_ne_u64_e32 vcc, 0, v[2:3]
	s_cbranch_vccnz .LBB153_230
; %bb.227:                              ;   in Loop: Header=BB153_31 Depth=1
	v_readlane_b32 s4, v54, 12
	v_readlane_b32 s5, v54, 13
	s_and_saveexec_b64 s[10:11], s[4:5]
; %bb.228:                              ;   in Loop: Header=BB153_31 Depth=1
	v_mov_b32_e32 v2, s22
	v_mov_b32_e32 v3, s23
	ds_write_b64 v13, v[2:3] offset:5128
; %bb.229:                              ;   in Loop: Header=BB153_31 Depth=1
	s_or_b64 exec, exec, s[10:11]
	s_waitcnt lgkmcnt(0)
	s_barrier
.LBB153_230:                            ;   in Loop: Header=BB153_31 Depth=1
	s_or_saveexec_b64 s[2:3], s[2:3]
	s_mov_b64 s[10:11], 0
	v_mov_b32_e32 v12, 8
	s_xor_b64 exec, exec, s[2:3]
; %bb.231:                              ;   in Loop: Header=BB153_31 Depth=1
	v_subrev_co_u32_e32 v6, vcc, s22, v6
	v_mov_b32_e32 v2, s23
	v_subb_co_u32_e32 v7, vcc, v7, v2, vcc
	v_mov_b32_e32 v12, 0
	s_mov_b64 s[10:11], exec
; %bb.232:                              ;   in Loop: Header=BB153_31 Depth=1
	s_or_b64 exec, exec, s[2:3]
	v_mov_b32_e32 v2, v6
	s_and_b64 s[2:3], s[10:11], exec
	v_mov_b32_e32 v3, v7
.LBB153_233:                            ;   in Loop: Header=BB153_31 Depth=1
	s_or_b64 exec, exec, s[0:1]
	s_mov_b64 s[0:1], -1
                                        ; implicit-def: $sgpr88_sgpr89
                                        ; implicit-def: $sgpr54_sgpr55
	s_and_saveexec_b64 s[52:53], s[2:3]
	s_cbranch_execz .LBB153_284
; %bb.234:                              ;   in Loop: Header=BB153_31 Depth=1
	s_cmp_eq_u64 s[24:25], 1
	v_cmp_eq_u64_e32 vcc, 1, v[2:3]
	s_cselect_b64 s[0:1], -1, 0
	s_and_b64 s[94:95], s[0:1], vcc
	s_mov_b64 s[2:3], -1
                                        ; implicit-def: $sgpr88_sgpr89
                                        ; implicit-def: $sgpr54_sgpr55
	s_mov_b64 s[0:1], exec
                                        ; implicit-def: $vgpr53 : SGPR spill to VGPR lane
	v_writelane_b32 v54, s0, 63
	v_writelane_b32 v53, s1, 0
	s_and_b64 s[0:1], s[0:1], s[94:95]
	s_mov_b64 exec, s[0:1]
	s_cbranch_execz .LBB153_272
; %bb.235:                              ;   in Loop: Header=BB153_31 Depth=1
	ds_read_b64 v[4:5], v13 offset:5120
	v_readlane_b32 s4, v54, 26
	v_readlane_b32 s5, v54, 27
	s_waitcnt lgkmcnt(0)
	s_barrier
	v_readfirstlane_b32 s2, v4
	v_readfirstlane_b32 s3, v5
	s_and_saveexec_b64 s[0:1], s[4:5]
; %bb.236:                              ;   in Loop: Header=BB153_31 Depth=1
	ds_write_b32 v45, v13
; %bb.237:                              ;   in Loop: Header=BB153_31 Depth=1
	s_or_b64 exec, exec, s[0:1]
	v_or_b32_e32 v32, s76, v32
	v_or_b32_e32 v31, s76, v31
	s_mov_b64 s[54:55], -1
	s_mov_b64 s[88:89], 0
	s_cmp_eq_u64 s[2:3], 0
	s_mov_b64 s[0:1], 0
	s_mov_b64 s[10:11], -1
	s_waitcnt lgkmcnt(0)
	s_barrier
                                        ; implicit-def: $vgpr5
	s_cbranch_scc1 .LBB153_255
; %bb.238:                              ;   in Loop: Header=BB153_31 Depth=1
	v_readlane_b32 s0, v54, 30
	s_add_u32 s80, s2, s0
	v_readlane_b32 s0, v54, 32
	s_addc_u32 s1, s3, s0
	s_mov_b32 s0, s87
	v_writelane_b32 v53, s92, 1
	s_cmp_lg_u64 s[0:1], 0
	v_writelane_b32 v53, s93, 2
	s_cbranch_scc0 .LBB153_242
; %bb.239:                              ;   in Loop: Header=BB153_31 Depth=1
	v_cvt_f32_u32_e32 v4, s33
	s_sub_u32 s0, 0, s33
	s_subb_u32 s64, 0, 0
	v_mac_f32_e32 v4, 0, v50
	v_rcp_f32_e32 v4, v4
	v_mul_f32_e32 v4, 0x5f7ffffc, v4
	v_mul_f32_e32 v5, 0x2f800000, v4
	v_trunc_f32_e32 v5, v5
	v_mac_f32_e32 v4, 0xcf800000, v5
	v_cvt_u32_f32_e32 v5, v5
	v_cvt_u32_f32_e32 v4, v4
	v_readfirstlane_b32 s65, v5
	v_readfirstlane_b32 s10, v4
	s_mul_i32 s11, s0, s65
	s_mul_hi_u32 s86, s0, s10
	s_mul_i32 s81, s64, s10
	s_add_i32 s11, s86, s11
	s_mul_i32 s90, s0, s10
	s_add_i32 s11, s11, s81
	s_mul_hi_u32 s86, s10, s90
	s_mul_i32 s91, s10, s11
	s_mul_hi_u32 s81, s10, s11
	s_add_u32 s86, s86, s91
	s_addc_u32 s81, 0, s81
	s_mul_hi_u32 s92, s65, s90
	s_mul_i32 s90, s65, s90
	s_add_u32 s86, s86, s90
	s_mul_hi_u32 s91, s65, s11
	s_addc_u32 s81, s81, s92
	s_addc_u32 s86, s91, 0
	s_mul_i32 s11, s65, s11
	s_add_u32 s11, s81, s11
	s_addc_u32 s81, 0, s86
	s_add_u32 s86, s10, s11
	s_cselect_b64 s[10:11], -1, 0
	s_cmp_lg_u64 s[10:11], 0
	s_addc_u32 s65, s65, s81
	s_mul_i32 s10, s0, s65
	s_mul_hi_u32 s11, s0, s86
	s_add_i32 s10, s11, s10
	s_mul_i32 s64, s64, s86
	s_add_i32 s10, s10, s64
	s_mul_i32 s0, s0, s86
	s_mul_hi_u32 s64, s65, s0
	s_mul_i32 s81, s65, s0
	s_mul_i32 s91, s86, s10
	s_mul_hi_u32 s0, s86, s0
	s_mul_hi_u32 s90, s86, s10
	s_add_u32 s0, s0, s91
	s_addc_u32 s90, 0, s90
	s_add_u32 s0, s0, s81
	s_mul_hi_u32 s11, s65, s10
	s_addc_u32 s0, s90, s64
	s_addc_u32 s11, s11, 0
	s_mul_i32 s10, s65, s10
	s_add_u32 s0, s0, s10
	s_addc_u32 s64, 0, s11
	s_add_u32 s0, s86, s0
	s_cselect_b64 s[10:11], -1, 0
	s_cmp_lg_u64 s[10:11], 0
	s_addc_u32 s10, s65, s64
	s_mul_i32 s64, s80, s10
	s_mul_hi_u32 s65, s80, s0
	s_mul_hi_u32 s11, s80, s10
	s_add_u32 s64, s65, s64
	s_addc_u32 s11, 0, s11
	s_mul_hi_u32 s81, s1, s0
	s_mul_i32 s0, s1, s0
	s_add_u32 s0, s64, s0
	s_mul_hi_u32 s65, s1, s10
	s_addc_u32 s0, s11, s81
	s_addc_u32 s11, s65, 0
	s_mul_i32 s10, s1, s10
	s_add_u32 s0, s0, s10
	s_addc_u32 s10, 0, s11
	s_mul_i32 s10, s33, s10
	s_mul_hi_u32 s11, s33, s0
	s_add_i32 s64, s11, s10
	s_mul_i32 s0, s33, s0
	s_sub_u32 s0, s80, s0
	s_cselect_b64 s[10:11], -1, 0
	s_cmp_lg_u64 s[10:11], 0
	s_subb_u32 s64, s1, s64
	s_sub_u32 s65, s0, s33
	s_cselect_b64 s[10:11], -1, 0
	s_cmp_lg_u64 s[10:11], 0
	s_subb_u32 s81, s64, 0
	;; [unrolled: 4-line block ×3, first 2 shown]
	s_cmp_ge_u32 s65, s33
	s_cselect_b32 s11, -1, 0
	s_cmp_eq_u32 s81, 0
	s_cselect_b32 s11, s11, -1
	s_cmp_lg_u32 s11, 0
	s_cselect_b32 s10, s10, s81
	s_cselect_b32 s65, s86, s65
	s_cmp_ge_u32 s0, s33
	s_cselect_b32 s11, -1, 0
	s_cmp_eq_u32 s64, 0
	s_cselect_b32 s11, s11, -1
	s_cmp_lg_u32 s11, 0
	s_cselect_b32 s11, s10, s64
	s_cselect_b32 s10, s65, s0
	s_mov_b64 s[64:65], 0
	s_branch .LBB153_243
.LBB153_240:                            ;   in Loop: Header=BB153_31 Depth=1
                                        ; implicit-def: $sgpr10_sgpr11
	s_branch .LBB153_195
.LBB153_241:                            ;   in Loop: Header=BB153_31 Depth=1
                                        ; implicit-def: $sgpr2_sgpr3
	s_branch .LBB153_211
.LBB153_242:                            ;   in Loop: Header=BB153_31 Depth=1
	s_mov_b64 s[64:65], -1
                                        ; implicit-def: $sgpr10_sgpr11
.LBB153_243:                            ;   in Loop: Header=BB153_31 Depth=1
	s_andn2_b64 vcc, exec, s[64:65]
	s_cbranch_vccnz .LBB153_245
; %bb.244:                              ;   in Loop: Header=BB153_31 Depth=1
	v_cvt_f32_u32_e32 v4, s33
	s_sub_i32 s0, 0, s33
	v_rcp_iflag_f32_e32 v4, v4
	v_mul_f32_e32 v4, 0x4f7ffffe, v4
	v_cvt_u32_f32_e32 v4, v4
	v_readfirstlane_b32 s10, v4
	s_mul_i32 s0, s0, s10
	s_mul_hi_u32 s0, s10, s0
	s_add_i32 s10, s10, s0
	s_mul_hi_u32 s0, s80, s10
	s_mul_i32 s0, s0, s33
	s_sub_i32 s0, s80, s0
	s_sub_i32 s10, s0, s33
	s_cmp_ge_u32 s0, s33
	s_cselect_b32 s0, s10, s0
	s_sub_i32 s10, s0, s33
	s_cmp_ge_u32 s0, s33
	s_cselect_b32 s86, s10, s0
	s_mov_b64 s[10:11], s[86:87]
.LBB153_245:                            ;   in Loop: Header=BB153_31 Depth=1
	s_sub_u32 s80, s80, s10
	s_subb_u32 s81, s1, s11
	v_cmp_gt_u64_e32 vcc, s[80:81], v[0:1]
	s_mov_b64 s[10:11], 0
	s_mov_b64 s[0:1], 0
                                        ; implicit-def: $vgpr5
	s_and_saveexec_b64 s[64:65], vcc
	v_readlane_b32 s86, v54, 52
	s_cbranch_execz .LBB153_254
; %bb.246:                              ;   in Loop: Header=BB153_31 Depth=1
	v_mov_b32_e32 v7, v1
	s_mov_b64 s[4:5], s[94:95]
	v_mov_b32_e32 v8, v14
	v_mov_b32_e32 v6, v0
                                        ; implicit-def: $sgpr90_sgpr91
	s_branch .LBB153_249
.LBB153_247:                            ;   in Loop: Header=BB153_249 Depth=2
	s_or_b64 exec, exec, s[92:93]
	s_waitcnt lgkmcnt(0)
	s_barrier
	ds_read_b64 v[4:5], v13 offset:3072
	s_mov_b64 s[92:93], -1
	s_mov_b64 s[94:95], -1
	s_waitcnt lgkmcnt(0)
	s_barrier
	v_cmp_ne_u32_e32 vcc, 0, v4
	s_cbranch_vccz .LBB153_252
.LBB153_248:                            ;   in Loop: Header=BB153_249 Depth=2
	s_and_b64 s[92:93], exec, s[92:93]
	s_or_b64 s[0:1], s[92:93], s[0:1]
	s_andn2_b64 s[90:91], s[90:91], exec
	s_and_b64 s[92:93], s[94:95], exec
	s_or_b64 s[90:91], s[90:91], s[92:93]
	s_andn2_b64 exec, exec, s[0:1]
	s_cbranch_execz .LBB153_253
.LBB153_249:                            ;   Parent Loop BB153_31 Depth=1
                                        ; =>  This Inner Loop Header: Depth=2
	v_cmp_gt_u64_e32 vcc, s[2:3], v[6:7]
	s_and_saveexec_b64 s[92:93], vcc
	s_cbranch_execz .LBB153_247
; %bb.250:                              ;   in Loop: Header=BB153_249 Depth=2
	ds_read_b32 v27, v8
	s_waitcnt lgkmcnt(0)
	v_xor_b32_e32 v4, 0x80000000, v27
	v_and_b32_e32 v4, v4, v31
	v_cmp_eq_u32_e32 vcc, v4, v32
	s_and_b64 exec, exec, vcc
	s_cbranch_execz .LBB153_247
; %bb.251:                              ;   in Loop: Header=BB153_249 Depth=2
	ds_write_b64 v13, v[26:27] offset:3072
	s_branch .LBB153_247
.LBB153_252:                            ;   in Loop: Header=BB153_249 Depth=2
	v_add_co_u32_e32 v6, vcc, s33, v6
	v_addc_co_u32_e32 v7, vcc, 0, v7, vcc
	v_cmp_le_u64_e32 vcc, s[80:81], v[6:7]
	v_add_u32_e32 v8, s86, v8
	s_mov_b64 s[94:95], 0
	s_orn2_b64 s[92:93], vcc, exec
	s_branch .LBB153_248
.LBB153_253:                            ;   in Loop: Header=BB153_31 Depth=1
	s_or_b64 exec, exec, s[0:1]
	s_and_b64 s[0:1], s[90:91], exec
	s_mov_b64 s[94:95], s[4:5]
.LBB153_254:                            ;   in Loop: Header=BB153_31 Depth=1
	s_or_b64 exec, exec, s[64:65]
	v_readlane_b32 s92, v53, 1
	v_readlane_b32 s93, v53, 2
.LBB153_255:                            ;   in Loop: Header=BB153_31 Depth=1
	s_and_b64 vcc, exec, s[10:11]
	s_cbranch_vccz .LBB153_271
; %bb.256:                              ;   in Loop: Header=BB153_31 Depth=1
	v_readlane_b32 s4, v54, 33
	v_readlane_b32 s5, v54, 34
	s_mov_b32 s4, s87
	s_cmp_lg_u64 s[4:5], 0
	v_writelane_b32 v54, s4, 33
	v_writelane_b32 v54, s5, 34
	s_cbranch_scc0 .LBB153_258
; %bb.257:                              ;   in Loop: Header=BB153_31 Depth=1
	v_cvt_f32_u32_e32 v4, s33
	s_sub_u32 s10, 0, s33
	s_subb_u32 s11, 0, 0
	v_readlane_b32 s4, v54, 31
	v_mac_f32_e32 v4, 0, v50
	v_rcp_f32_e32 v4, v4
	v_mul_f32_e32 v4, 0x5f7ffffc, v4
	v_mul_f32_e32 v5, 0x2f800000, v4
	v_trunc_f32_e32 v5, v5
	v_mac_f32_e32 v4, 0xcf800000, v5
	v_cvt_u32_f32_e32 v5, v5
	v_cvt_u32_f32_e32 v4, v4
	v_readfirstlane_b32 s54, v5
	v_readfirstlane_b32 s2, v4
	s_mul_i32 s3, s10, s54
	s_mul_hi_u32 s64, s10, s2
	s_mul_i32 s55, s11, s2
	s_add_i32 s3, s64, s3
	s_mul_i32 s65, s10, s2
	s_add_i32 s3, s3, s55
	s_mul_hi_u32 s64, s2, s65
	s_mul_i32 s80, s2, s3
	s_mul_hi_u32 s55, s2, s3
	s_add_u32 s64, s64, s80
	s_addc_u32 s55, 0, s55
	s_mul_hi_u32 s81, s54, s65
	s_mul_i32 s65, s54, s65
	s_add_u32 s64, s64, s65
	s_mul_hi_u32 s80, s54, s3
	s_addc_u32 s55, s55, s81
	s_addc_u32 s64, s80, 0
	s_mul_i32 s3, s54, s3
	s_add_u32 s3, s55, s3
	s_addc_u32 s55, 0, s64
	s_add_u32 s64, s2, s3
	s_cselect_b64 s[2:3], -1, 0
	s_cmp_lg_u64 s[2:3], 0
	s_addc_u32 s54, s54, s55
	s_mul_i32 s2, s10, s54
	s_mul_hi_u32 s3, s10, s64
	s_add_i32 s2, s3, s2
	s_mul_i32 s11, s11, s64
	s_add_i32 s2, s2, s11
	s_mul_i32 s10, s10, s64
	s_mul_hi_u32 s11, s54, s10
	s_mul_i32 s55, s54, s10
	s_mul_i32 s80, s64, s2
	s_mul_hi_u32 s10, s64, s10
	s_mul_hi_u32 s65, s64, s2
	s_add_u32 s10, s10, s80
	s_addc_u32 s65, 0, s65
	s_add_u32 s10, s10, s55
	s_mul_hi_u32 s3, s54, s2
	s_addc_u32 s10, s65, s11
	s_addc_u32 s3, s3, 0
	s_mul_i32 s2, s54, s2
	s_add_u32 s2, s10, s2
	s_addc_u32 s10, 0, s3
	s_add_u32 s11, s64, s2
	s_cselect_b64 s[2:3], -1, 0
	s_cmp_lg_u64 s[2:3], 0
	s_addc_u32 s2, s54, s10
	s_mul_i32 s10, s4, s2
	s_mul_hi_u32 s54, s4, s11
	s_mul_hi_u32 s3, s4, s2
	s_add_u32 s10, s54, s10
	s_addc_u32 s3, 0, s3
	s_mul_hi_u32 s55, s5, s11
	s_mul_i32 s11, s5, s11
	s_add_u32 s10, s10, s11
	s_mul_hi_u32 s54, s5, s2
	s_addc_u32 s3, s3, s55
	s_addc_u32 s10, s54, 0
	s_mul_i32 s2, s5, s2
	s_add_u32 s2, s3, s2
	s_addc_u32 s3, 0, s10
	s_mul_i32 s3, s33, s3
	s_mul_hi_u32 s10, s33, s2
	s_add_i32 s10, s10, s3
	s_mul_i32 s2, s33, s2
	s_sub_u32 s11, s4, s2
	s_cselect_b64 s[2:3], -1, 0
	s_cmp_lg_u64 s[2:3], 0
	s_subb_u32 s10, s5, s10
	s_sub_u32 s54, s11, s33
	s_cselect_b64 s[2:3], -1, 0
	s_cmp_lg_u64 s[2:3], 0
	s_subb_u32 s55, s10, 0
	;; [unrolled: 4-line block ×3, first 2 shown]
	s_cmp_ge_u32 s54, s33
	s_cselect_b32 s3, -1, 0
	s_cmp_eq_u32 s55, 0
	s_cselect_b32 s3, s3, -1
	s_cmp_lg_u32 s3, 0
	s_cselect_b32 s2, s2, s55
	s_cselect_b32 s54, s64, s54
	s_cmp_ge_u32 s11, s33
	s_cselect_b32 s3, -1, 0
	s_cmp_eq_u32 s10, 0
	s_cselect_b32 s3, s3, -1
	s_cmp_lg_u32 s3, 0
	s_cselect_b32 s3, s2, s10
	s_cselect_b32 s2, s54, s11
	s_mov_b64 s[10:11], 0
	s_branch .LBB153_259
.LBB153_258:                            ;   in Loop: Header=BB153_31 Depth=1
	s_mov_b64 s[10:11], -1
                                        ; implicit-def: $sgpr2_sgpr3
.LBB153_259:                            ;   in Loop: Header=BB153_31 Depth=1
	s_andn2_b64 vcc, exec, s[10:11]
	s_cbranch_vccnz .LBB153_261
; %bb.260:                              ;   in Loop: Header=BB153_31 Depth=1
	v_cvt_f32_u32_e32 v4, s33
	s_sub_i32 s2, 0, s33
	v_readlane_b32 s4, v54, 31
	v_rcp_iflag_f32_e32 v4, v4
	v_mul_f32_e32 v4, 0x4f7ffffe, v4
	v_cvt_u32_f32_e32 v4, v4
	v_readfirstlane_b32 s3, v4
	s_mul_i32 s2, s2, s3
	s_mul_hi_u32 s2, s3, s2
	s_add_i32 s3, s3, s2
	s_mul_hi_u32 s2, s4, s3
	s_mul_i32 s2, s2, s33
	s_sub_i32 s2, s4, s2
	s_sub_i32 s3, s2, s33
	s_cmp_ge_u32 s2, s33
	s_cselect_b32 s2, s3, s2
	s_sub_i32 s3, s2, s33
	s_cmp_ge_u32 s2, s33
	s_cselect_b32 s86, s3, s2
	s_mov_b64 s[2:3], s[86:87]
	v_readlane_b32 s86, v54, 52
.LBB153_261:                            ;   in Loop: Header=BB153_31 Depth=1
	v_readlane_b32 s4, v54, 31
	s_sub_u32 s10, s4, s2
	v_readlane_b32 s4, v54, 33
	v_readlane_b32 s5, v54, 34
	s_subb_u32 s11, s5, s3
	v_cmp_gt_u64_e32 vcc, s[10:11], v[0:1]
                                        ; implicit-def: $vgpr5
	s_and_saveexec_b64 s[2:3], vcc
	s_cbranch_execz .LBB153_270
; %bb.262:                              ;   in Loop: Header=BB153_31 Depth=1
	v_mov_b32_e32 v6, v24
	v_mov_b32_e32 v9, v1
	s_mov_b64 s[54:55], 0
	v_mov_b32_e32 v7, v25
	v_mov_b32_e32 v8, v0
                                        ; implicit-def: $sgpr64_sgpr65
	s_branch .LBB153_265
.LBB153_263:                            ;   in Loop: Header=BB153_265 Depth=2
	s_or_b64 exec, exec, s[80:81]
	s_waitcnt lgkmcnt(0)
	s_barrier
	ds_read_b64 v[4:5], v13 offset:3072
	s_mov_b64 s[80:81], -1
	s_mov_b64 s[88:89], -1
	s_waitcnt lgkmcnt(0)
	s_barrier
	v_cmp_eq_u32_e32 vcc, 0, v4
	s_cbranch_vccnz .LBB153_268
.LBB153_264:                            ;   in Loop: Header=BB153_265 Depth=2
	s_and_b64 s[80:81], exec, s[80:81]
	s_or_b64 s[54:55], s[80:81], s[54:55]
	s_andn2_b64 s[64:65], s[64:65], exec
	s_and_b64 s[80:81], s[88:89], exec
	s_or_b64 s[64:65], s[64:65], s[80:81]
	s_andn2_b64 exec, exec, s[54:55]
	s_cbranch_execz .LBB153_269
.LBB153_265:                            ;   Parent Loop BB153_31 Depth=1
                                        ; =>  This Inner Loop Header: Depth=2
	v_cmp_gt_u64_e32 vcc, s[60:61], v[8:9]
	s_and_saveexec_b64 s[80:81], vcc
	s_cbranch_execz .LBB153_263
; %bb.266:                              ;   in Loop: Header=BB153_265 Depth=2
	global_load_dword v27, v[6:7], off
	s_waitcnt vmcnt(0)
	v_xor_b32_e32 v4, 0x80000000, v27
	v_and_b32_e32 v4, v4, v31
	v_cmp_eq_u32_e32 vcc, v4, v32
	s_and_b64 exec, exec, vcc
	s_cbranch_execz .LBB153_263
; %bb.267:                              ;   in Loop: Header=BB153_265 Depth=2
	ds_write_b64 v13, v[26:27] offset:3072
	s_branch .LBB153_263
.LBB153_268:                            ;   in Loop: Header=BB153_265 Depth=2
	v_add_co_u32_e32 v8, vcc, s33, v8
	v_readlane_b32 s4, v54, 48
	v_addc_co_u32_e32 v9, vcc, 0, v9, vcc
	v_readlane_b32 s5, v54, 49
	v_mov_b32_e32 v4, s5
	v_add_co_u32_e32 v6, vcc, s4, v6
	v_addc_co_u32_e32 v7, vcc, v7, v4, vcc
	v_cmp_le_u64_e32 vcc, s[10:11], v[8:9]
	s_mov_b64 s[88:89], 0
	s_orn2_b64 s[80:81], vcc, exec
	s_branch .LBB153_264
.LBB153_269:                            ;   in Loop: Header=BB153_31 Depth=1
	s_or_b64 exec, exec, s[54:55]
	s_andn2_b64 s[0:1], s[0:1], exec
	s_and_b64 s[10:11], s[64:65], exec
	s_or_b64 s[0:1], s[0:1], s[10:11]
.LBB153_270:                            ;   in Loop: Header=BB153_31 Depth=1
	s_or_b64 exec, exec, s[2:3]
	s_mov_b64 s[54:55], 0
	s_mov_b64 s[88:89], -1
.LBB153_271:                            ;   in Loop: Header=BB153_31 Depth=1
	s_orn2_b64 s[2:3], s[0:1], exec
.LBB153_272:                            ;   in Loop: Header=BB153_31 Depth=1
	v_readlane_b32 s0, v54, 63
	v_readlane_b32 s1, v53, 0
	s_or_b64 exec, exec, s[0:1]
	s_mov_b64 s[10:11], 0
	s_and_saveexec_b64 s[0:1], s[2:3]
	s_cbranch_execz .LBB153_283
; %bb.273:                              ;   in Loop: Header=BB153_31 Depth=1
	v_mov_b32_e32 v6, 1
	s_xor_b64 s[10:11], s[94:95], -1
	v_mov_b32_e32 v7, 0
	v_mov_b32_e32 v12, 1
	s_and_saveexec_b64 s[2:3], s[10:11]
	s_cbranch_execz .LBB153_282
; %bb.274:                              ;   in Loop: Header=BB153_31 Depth=1
	v_cmp_ge_u64_e32 vcc, s[24:25], v[2:3]
	s_and_saveexec_b64 s[10:11], vcc
	s_xor_b64 s[10:11], exec, s[10:11]
	s_cbranch_execz .LBB153_279
; %bb.275:                              ;   in Loop: Header=BB153_31 Depth=1
	ds_read_b64 v[6:7], v13 offset:5120
	v_or_b32_e32 v32, s76, v32
	v_or_b32_e32 v31, s76, v31
	s_waitcnt lgkmcnt(0)
	v_cmp_ne_u64_e32 vcc, 0, v[6:7]
	s_cbranch_vccnz .LBB153_279
; %bb.276:                              ;   in Loop: Header=BB153_31 Depth=1
	v_readlane_b32 s4, v54, 12
	v_readlane_b32 s5, v54, 13
	s_and_saveexec_b64 s[64:65], s[4:5]
; %bb.277:                              ;   in Loop: Header=BB153_31 Depth=1
	v_mov_b32_e32 v6, s24
	v_mov_b32_e32 v7, s25
	ds_write_b64 v13, v[6:7] offset:5128
; %bb.278:                              ;   in Loop: Header=BB153_31 Depth=1
	s_or_b64 exec, exec, s[64:65]
	s_waitcnt lgkmcnt(0)
	s_barrier
.LBB153_279:                            ;   in Loop: Header=BB153_31 Depth=1
	s_andn2_saveexec_b64 s[10:11], s[10:11]
; %bb.280:                              ;   in Loop: Header=BB153_31 Depth=1
	v_mov_b32_e32 v4, s25
	v_subrev_co_u32_e32 v2, vcc, s24, v2
	v_subb_co_u32_e32 v3, vcc, v3, v4, vcc
; %bb.281:                              ;   in Loop: Header=BB153_31 Depth=1
	s_or_b64 exec, exec, s[10:11]
	v_mov_b32_e32 v7, v3
	v_mov_b32_e32 v12, 8
	;; [unrolled: 1-line block ×3, first 2 shown]
.LBB153_282:                            ;   in Loop: Header=BB153_31 Depth=1
	s_or_b64 exec, exec, s[2:3]
	v_mov_b32_e32 v2, v6
	s_mov_b64 s[10:11], exec
	v_mov_b32_e32 v3, v7
.LBB153_283:                            ;   in Loop: Header=BB153_31 Depth=1
	s_or_b64 exec, exec, s[0:1]
	s_orn2_b64 s[0:1], s[10:11], exec
.LBB153_284:                            ;   in Loop: Header=BB153_31 Depth=1
	s_or_b64 exec, exec, s[52:53]
	s_andn2_b64 s[2:3], s[48:49], exec
	s_and_b64 s[10:11], s[88:89], exec
	s_or_b64 s[48:49], s[2:3], s[10:11]
	s_andn2_b64 s[2:3], s[46:47], exec
	s_and_b64 s[10:11], s[54:55], exec
	v_mov_b32_e32 v7, v3
	s_or_b64 s[46:47], s[2:3], s[10:11]
	s_and_b64 s[2:3], s[0:1], exec
	v_mov_b32_e32 v6, v2
.LBB153_285:                            ;   in Loop: Header=BB153_31 Depth=1
	s_or_b64 exec, exec, s[50:51]
	s_orn2_b64 s[0:1], s[2:3], exec
.LBB153_286:                            ;   in Loop: Header=BB153_31 Depth=1
	s_or_b64 exec, exec, s[44:45]
	s_andn2_b64 s[2:3], s[28:29], exec
	s_and_b64 s[10:11], s[48:49], exec
	s_or_b64 s[28:29], s[2:3], s[10:11]
	s_andn2_b64 s[2:3], s[26:27], exec
	s_and_b64 s[10:11], s[46:47], exec
	v_mov_b32_e32 v2, v6
	s_or_b64 s[26:27], s[2:3], s[10:11]
	s_and_b64 s[2:3], s[0:1], exec
	v_mov_b32_e32 v3, v7
.LBB153_287:                            ;   in Loop: Header=BB153_31 Depth=1
	s_or_b64 exec, exec, s[42:43]
	s_orn2_b64 s[0:1], s[2:3], exec
.LBB153_288:                            ;   in Loop: Header=BB153_31 Depth=1
	s_or_b64 exec, exec, s[6:7]
	s_mov_b64 s[2:3], 0
	s_mov_b64 s[6:7], 0
	s_and_saveexec_b64 s[10:11], s[0:1]
	s_xor_b64 s[0:1], exec, s[10:11]
; %bb.289:                              ;   in Loop: Header=BB153_31 Depth=1
	v_cmp_eq_u32_e32 vcc, 8, v12
	v_cmp_ne_u32_e64 s[6:7], 8, v12
	s_and_b64 s[6:7], s[6:7], exec
	s_and_b64 s[2:3], vcc, exec
; %bb.290:                              ;   in Loop: Header=BB153_31 Depth=1
	s_or_b64 exec, exec, s[0:1]
	s_andn2_b64 s[0:1], s[36:37], exec
	s_and_b64 s[10:11], s[28:29], exec
	s_or_b64 s[36:37], s[0:1], s[10:11]
	s_andn2_b64 s[0:1], s[34:35], exec
	s_and_b64 s[10:11], s[26:27], exec
	s_or_b64 s[34:35], s[0:1], s[10:11]
	s_and_b64 s[26:27], s[6:7], exec
	s_and_b64 s[28:29], s[2:3], exec
.LBB153_291:                            ;   in Loop: Header=BB153_31 Depth=1
	s_or_b64 exec, exec, s[40:41]
.LBB153_292:                            ;   in Loop: Header=BB153_31 Depth=1
	s_and_b64 vcc, exec, s[38:39]
	s_cbranch_vccz .LBB153_308
; %bb.293:                              ;   in Loop: Header=BB153_31 Depth=1
	s_cmp_eq_u64 s[24:25], 1
	s_cselect_b64 s[0:1], -1, 0
	s_and_b64 s[6:7], s[0:1], s[14:15]
	s_mov_b64 s[0:1], -1
                                        ; implicit-def: $sgpr14_sgpr15
                                        ; implicit-def: $sgpr18_sgpr19
	s_and_saveexec_b64 s[34:35], s[6:7]
	s_cbranch_execz .LBB153_326
; %bb.294:                              ;   in Loop: Header=BB153_31 Depth=1
	ds_read_b64 v[2:3], v13 offset:5120
	v_readlane_b32 s4, v54, 26
	v_readlane_b32 s5, v54, 27
	s_waitcnt lgkmcnt(0)
	s_barrier
	v_readfirstlane_b32 s2, v2
	v_readfirstlane_b32 s3, v3
	s_and_saveexec_b64 s[0:1], s[4:5]
; %bb.295:                              ;   in Loop: Header=BB153_31 Depth=1
	ds_write_b32 v45, v13
; %bb.296:                              ;   in Loop: Header=BB153_31 Depth=1
	s_or_b64 exec, exec, s[0:1]
	v_or_b32_e32 v48, s76, v48
	v_or_b32_e32 v52, s76, v52
	s_mov_b64 s[18:19], -1
	s_mov_b64 s[14:15], 0
	s_cmp_eq_u64 s[2:3], 0
	s_mov_b64 s[0:1], 0
	s_mov_b64 s[10:11], -1
	s_waitcnt lgkmcnt(0)
	s_barrier
                                        ; implicit-def: $vgpr28
	s_cbranch_scc1 .LBB153_311
; %bb.297:                              ;   in Loop: Header=BB153_31 Depth=1
	v_readlane_b32 s0, v54, 30
	s_add_u32 s38, s2, s0
	v_readlane_b32 s0, v54, 32
	s_addc_u32 s1, s3, s0
	s_mov_b32 s0, s87
	s_cmp_lg_u64 s[0:1], 0
	s_cbranch_scc0 .LBB153_352
; %bb.298:                              ;   in Loop: Header=BB153_31 Depth=1
	v_cvt_f32_u32_e32 v2, s33
	s_sub_u32 s0, 0, s33
	s_subb_u32 s36, 0, 0
	v_mac_f32_e32 v2, 0, v50
	v_rcp_f32_e32 v2, v2
	v_mul_f32_e32 v2, 0x5f7ffffc, v2
	v_mul_f32_e32 v3, 0x2f800000, v2
	v_trunc_f32_e32 v3, v3
	v_mac_f32_e32 v2, 0xcf800000, v3
	v_cvt_u32_f32_e32 v3, v3
	v_cvt_u32_f32_e32 v2, v2
	v_readfirstlane_b32 s37, v3
	v_readfirstlane_b32 s10, v2
	s_mul_i32 s11, s0, s37
	s_mul_hi_u32 s40, s0, s10
	s_mul_i32 s39, s36, s10
	s_add_i32 s11, s40, s11
	s_mul_i32 s41, s0, s10
	s_add_i32 s11, s11, s39
	s_mul_hi_u32 s40, s10, s41
	s_mul_i32 s42, s10, s11
	s_mul_hi_u32 s39, s10, s11
	s_add_u32 s40, s40, s42
	s_addc_u32 s39, 0, s39
	s_mul_hi_u32 s43, s37, s41
	s_mul_i32 s41, s37, s41
	s_add_u32 s40, s40, s41
	s_mul_hi_u32 s42, s37, s11
	s_addc_u32 s39, s39, s43
	s_addc_u32 s40, s42, 0
	s_mul_i32 s11, s37, s11
	s_add_u32 s11, s39, s11
	s_addc_u32 s39, 0, s40
	s_add_u32 s40, s10, s11
	s_cselect_b64 s[10:11], -1, 0
	s_cmp_lg_u64 s[10:11], 0
	s_addc_u32 s37, s37, s39
	s_mul_i32 s10, s0, s37
	s_mul_hi_u32 s11, s0, s40
	s_add_i32 s10, s11, s10
	s_mul_i32 s36, s36, s40
	s_add_i32 s10, s10, s36
	s_mul_i32 s0, s0, s40
	s_mul_hi_u32 s36, s37, s0
	s_mul_i32 s39, s37, s0
	s_mul_i32 s42, s40, s10
	s_mul_hi_u32 s0, s40, s0
	s_mul_hi_u32 s41, s40, s10
	s_add_u32 s0, s0, s42
	s_addc_u32 s41, 0, s41
	s_add_u32 s0, s0, s39
	s_mul_hi_u32 s11, s37, s10
	s_addc_u32 s0, s41, s36
	s_addc_u32 s11, s11, 0
	s_mul_i32 s10, s37, s10
	s_add_u32 s0, s0, s10
	s_addc_u32 s36, 0, s11
	s_add_u32 s0, s40, s0
	s_cselect_b64 s[10:11], -1, 0
	s_cmp_lg_u64 s[10:11], 0
	s_addc_u32 s10, s37, s36
	s_mul_i32 s36, s38, s10
	s_mul_hi_u32 s37, s38, s0
	s_mul_hi_u32 s11, s38, s10
	s_add_u32 s36, s37, s36
	s_addc_u32 s11, 0, s11
	s_mul_hi_u32 s39, s1, s0
	s_mul_i32 s0, s1, s0
	s_add_u32 s0, s36, s0
	s_mul_hi_u32 s37, s1, s10
	s_addc_u32 s0, s11, s39
	s_addc_u32 s11, s37, 0
	s_mul_i32 s10, s1, s10
	s_add_u32 s0, s0, s10
	s_addc_u32 s10, 0, s11
	s_mul_i32 s10, s33, s10
	s_mul_hi_u32 s11, s33, s0
	s_add_i32 s36, s11, s10
	s_mul_i32 s0, s33, s0
	s_sub_u32 s0, s38, s0
	s_cselect_b64 s[10:11], -1, 0
	s_cmp_lg_u64 s[10:11], 0
	s_subb_u32 s36, s1, s36
	s_sub_u32 s37, s0, s33
	s_cselect_b64 s[10:11], -1, 0
	s_cmp_lg_u64 s[10:11], 0
	s_subb_u32 s39, s36, 0
	;; [unrolled: 4-line block ×3, first 2 shown]
	s_cmp_ge_u32 s37, s33
	s_cselect_b32 s11, -1, 0
	s_cmp_eq_u32 s39, 0
	s_cselect_b32 s11, s11, -1
	s_cmp_lg_u32 s11, 0
	s_cselect_b32 s10, s10, s39
	s_cselect_b32 s37, s40, s37
	s_cmp_ge_u32 s0, s33
	s_cselect_b32 s11, -1, 0
	s_cmp_eq_u32 s36, 0
	s_cselect_b32 s11, s11, -1
	s_cmp_lg_u32 s11, 0
	s_cselect_b32 s11, s10, s36
	s_cselect_b32 s10, s37, s0
	s_cbranch_execnz .LBB153_300
.LBB153_299:                            ;   in Loop: Header=BB153_31 Depth=1
	v_cvt_f32_u32_e32 v2, s33
	s_sub_i32 s0, 0, s33
	v_rcp_iflag_f32_e32 v2, v2
	v_mul_f32_e32 v2, 0x4f7ffffe, v2
	v_cvt_u32_f32_e32 v2, v2
	v_readfirstlane_b32 s10, v2
	s_mul_i32 s0, s0, s10
	s_mul_hi_u32 s0, s10, s0
	s_add_i32 s10, s10, s0
	s_mul_hi_u32 s0, s38, s10
	s_mul_i32 s0, s0, s33
	s_sub_i32 s0, s38, s0
	s_sub_i32 s10, s0, s33
	s_cmp_ge_u32 s0, s33
	s_cselect_b32 s0, s10, s0
	s_sub_i32 s10, s0, s33
	s_cmp_ge_u32 s0, s33
	s_cselect_b32 s86, s10, s0
	s_mov_b64 s[10:11], s[86:87]
	v_readlane_b32 s86, v54, 52
.LBB153_300:                            ;   in Loop: Header=BB153_31 Depth=1
	s_sub_u32 s38, s38, s10
	s_subb_u32 s39, s1, s11
	v_cmp_gt_u64_e32 vcc, s[38:39], v[0:1]
	s_mov_b64 s[10:11], 0
	s_mov_b64 s[0:1], 0
                                        ; implicit-def: $vgpr28
	s_and_saveexec_b64 s[36:37], vcc
	s_cbranch_execz .LBB153_310
; %bb.301:                              ;   in Loop: Header=BB153_31 Depth=1
	v_mov_b32_e32 v3, v1
	v_mov_b32_e32 v4, v14
	;; [unrolled: 1-line block ×3, first 2 shown]
                                        ; implicit-def: $sgpr40_sgpr41
	s_branch .LBB153_304
.LBB153_302:                            ;   in Loop: Header=BB153_304 Depth=2
	s_or_b64 exec, exec, s[42:43]
	s_waitcnt lgkmcnt(0)
	s_barrier
	ds_read_b64 v[27:28], v13 offset:3072
	s_mov_b64 s[42:43], -1
	s_mov_b64 s[44:45], -1
	s_waitcnt lgkmcnt(0)
	s_barrier
	v_cmp_ne_u32_e32 vcc, 0, v27
	s_cbranch_vccz .LBB153_307
.LBB153_303:                            ;   in Loop: Header=BB153_304 Depth=2
	s_and_b64 s[42:43], exec, s[42:43]
	s_or_b64 s[0:1], s[42:43], s[0:1]
	s_andn2_b64 s[40:41], s[40:41], exec
	s_and_b64 s[42:43], s[44:45], exec
	s_or_b64 s[40:41], s[40:41], s[42:43]
	s_andn2_b64 exec, exec, s[0:1]
	s_cbranch_execz .LBB153_309
.LBB153_304:                            ;   Parent Loop BB153_31 Depth=1
                                        ; =>  This Inner Loop Header: Depth=2
	v_cmp_gt_u64_e32 vcc, s[2:3], v[2:3]
	s_and_saveexec_b64 s[42:43], vcc
	s_cbranch_execz .LBB153_302
; %bb.305:                              ;   in Loop: Header=BB153_304 Depth=2
	ds_read_b32 v27, v4
	s_waitcnt lgkmcnt(0)
	v_xor_b32_e32 v5, 0x80000000, v27
	v_and_b32_e32 v5, v5, v52
	v_cmp_eq_u32_e32 vcc, v5, v48
	s_and_b64 exec, exec, vcc
	s_cbranch_execz .LBB153_302
; %bb.306:                              ;   in Loop: Header=BB153_304 Depth=2
	ds_write_b64 v13, v[26:27] offset:3072
	s_branch .LBB153_302
.LBB153_307:                            ;   in Loop: Header=BB153_304 Depth=2
	v_add_co_u32_e32 v2, vcc, s33, v2
	v_addc_co_u32_e32 v3, vcc, 0, v3, vcc
	v_cmp_le_u64_e32 vcc, s[38:39], v[2:3]
	v_add_u32_e32 v4, s86, v4
	s_mov_b64 s[44:45], 0
	s_orn2_b64 s[42:43], vcc, exec
	s_branch .LBB153_303
.LBB153_308:                            ;   in Loop: Header=BB153_31 Depth=1
	s_mov_b64 s[14:15], 0
	v_mov_b32_e32 v48, v32
	v_mov_b32_e32 v52, v31
	v_mov_b32_e32 v28, v5
	s_and_saveexec_b64 s[0:1], s[28:29]
	s_cbranch_execnz .LBB153_485
	s_branch .LBB153_486
.LBB153_309:                            ;   in Loop: Header=BB153_31 Depth=1
	s_or_b64 exec, exec, s[0:1]
	s_and_b64 s[0:1], s[40:41], exec
.LBB153_310:                            ;   in Loop: Header=BB153_31 Depth=1
	s_or_b64 exec, exec, s[36:37]
.LBB153_311:                            ;   in Loop: Header=BB153_31 Depth=1
	s_and_b64 vcc, exec, s[10:11]
	s_cbranch_vccz .LBB153_325
; %bb.312:                              ;   in Loop: Header=BB153_31 Depth=1
	v_readlane_b32 s4, v54, 33
	v_readlane_b32 s5, v54, 34
	s_mov_b32 s4, s87
	s_cmp_lg_u64 s[4:5], 0
	v_writelane_b32 v54, s4, 33
	v_writelane_b32 v54, s5, 34
	s_cbranch_scc0 .LBB153_353
; %bb.313:                              ;   in Loop: Header=BB153_31 Depth=1
	v_cvt_f32_u32_e32 v2, s33
	s_sub_u32 s10, 0, s33
	s_subb_u32 s11, 0, 0
	v_readlane_b32 s4, v54, 31
	v_mac_f32_e32 v2, 0, v50
	v_rcp_f32_e32 v2, v2
	v_mul_f32_e32 v2, 0x5f7ffffc, v2
	v_mul_f32_e32 v3, 0x2f800000, v2
	v_trunc_f32_e32 v3, v3
	v_mac_f32_e32 v2, 0xcf800000, v3
	v_cvt_u32_f32_e32 v3, v3
	v_cvt_u32_f32_e32 v2, v2
	v_readfirstlane_b32 s14, v3
	v_readfirstlane_b32 s2, v2
	s_mul_i32 s3, s10, s14
	s_mul_hi_u32 s18, s10, s2
	s_mul_i32 s15, s11, s2
	s_add_i32 s3, s18, s3
	s_mul_i32 s19, s10, s2
	s_add_i32 s3, s3, s15
	s_mul_hi_u32 s18, s2, s19
	s_mul_i32 s36, s2, s3
	s_mul_hi_u32 s15, s2, s3
	s_add_u32 s18, s18, s36
	s_addc_u32 s15, 0, s15
	s_mul_hi_u32 s37, s14, s19
	s_mul_i32 s19, s14, s19
	s_add_u32 s18, s18, s19
	s_mul_hi_u32 s36, s14, s3
	s_addc_u32 s15, s15, s37
	s_addc_u32 s18, s36, 0
	s_mul_i32 s3, s14, s3
	s_add_u32 s3, s15, s3
	s_addc_u32 s15, 0, s18
	s_add_u32 s18, s2, s3
	s_cselect_b64 s[2:3], -1, 0
	s_cmp_lg_u64 s[2:3], 0
	s_addc_u32 s14, s14, s15
	s_mul_i32 s2, s10, s14
	s_mul_hi_u32 s3, s10, s18
	s_add_i32 s2, s3, s2
	s_mul_i32 s11, s11, s18
	s_add_i32 s2, s2, s11
	s_mul_i32 s10, s10, s18
	s_mul_hi_u32 s11, s14, s10
	s_mul_i32 s15, s14, s10
	s_mul_i32 s36, s18, s2
	s_mul_hi_u32 s10, s18, s10
	s_mul_hi_u32 s19, s18, s2
	s_add_u32 s10, s10, s36
	s_addc_u32 s19, 0, s19
	s_add_u32 s10, s10, s15
	s_mul_hi_u32 s3, s14, s2
	s_addc_u32 s10, s19, s11
	s_addc_u32 s3, s3, 0
	s_mul_i32 s2, s14, s2
	s_add_u32 s2, s10, s2
	s_addc_u32 s10, 0, s3
	s_add_u32 s11, s18, s2
	s_cselect_b64 s[2:3], -1, 0
	s_cmp_lg_u64 s[2:3], 0
	s_addc_u32 s2, s14, s10
	s_mul_i32 s10, s4, s2
	s_mul_hi_u32 s14, s4, s11
	s_mul_hi_u32 s3, s4, s2
	s_add_u32 s10, s14, s10
	s_addc_u32 s3, 0, s3
	s_mul_hi_u32 s15, s5, s11
	s_mul_i32 s11, s5, s11
	s_add_u32 s10, s10, s11
	s_mul_hi_u32 s14, s5, s2
	s_addc_u32 s3, s3, s15
	s_addc_u32 s10, s14, 0
	s_mul_i32 s2, s5, s2
	s_add_u32 s2, s3, s2
	s_addc_u32 s3, 0, s10
	s_mul_i32 s3, s33, s3
	s_mul_hi_u32 s10, s33, s2
	s_add_i32 s10, s10, s3
	s_mul_i32 s2, s33, s2
	s_sub_u32 s11, s4, s2
	s_cselect_b64 s[2:3], -1, 0
	s_cmp_lg_u64 s[2:3], 0
	s_subb_u32 s10, s5, s10
	s_sub_u32 s14, s11, s33
	s_cselect_b64 s[2:3], -1, 0
	s_cmp_lg_u64 s[2:3], 0
	s_subb_u32 s15, s10, 0
	s_sub_u32 s18, s14, s33
	s_cselect_b64 s[2:3], -1, 0
	s_cmp_lg_u64 s[2:3], 0
	s_subb_u32 s2, s15, 0
	s_cmp_ge_u32 s14, s33
	s_cselect_b32 s3, -1, 0
	s_cmp_eq_u32 s15, 0
	s_cselect_b32 s3, s3, -1
	s_cmp_lg_u32 s3, 0
	s_cselect_b32 s2, s2, s15
	s_cselect_b32 s14, s18, s14
	s_cmp_ge_u32 s11, s33
	s_cselect_b32 s3, -1, 0
	s_cmp_eq_u32 s10, 0
	s_cselect_b32 s3, s3, -1
	s_cmp_lg_u32 s3, 0
	s_cselect_b32 s3, s2, s10
	s_cselect_b32 s2, s14, s11
	s_cbranch_execnz .LBB153_315
.LBB153_314:                            ;   in Loop: Header=BB153_31 Depth=1
	v_cvt_f32_u32_e32 v2, s33
	s_sub_i32 s2, 0, s33
	v_readlane_b32 s4, v54, 31
	v_rcp_iflag_f32_e32 v2, v2
	v_mul_f32_e32 v2, 0x4f7ffffe, v2
	v_cvt_u32_f32_e32 v2, v2
	v_readfirstlane_b32 s3, v2
	s_mul_i32 s2, s2, s3
	s_mul_hi_u32 s2, s3, s2
	s_add_i32 s3, s3, s2
	s_mul_hi_u32 s2, s4, s3
	s_mul_i32 s2, s2, s33
	s_sub_i32 s2, s4, s2
	s_sub_i32 s3, s2, s33
	s_cmp_ge_u32 s2, s33
	s_cselect_b32 s2, s3, s2
	s_sub_i32 s3, s2, s33
	s_cmp_ge_u32 s2, s33
	s_cselect_b32 s86, s3, s2
	s_mov_b64 s[2:3], s[86:87]
	v_readlane_b32 s86, v54, 52
.LBB153_315:                            ;   in Loop: Header=BB153_31 Depth=1
	v_readlane_b32 s4, v54, 31
	s_sub_u32 s10, s4, s2
	v_readlane_b32 s4, v54, 33
	v_readlane_b32 s5, v54, 34
	s_subb_u32 s11, s5, s3
	v_cmp_gt_u64_e32 vcc, s[10:11], v[0:1]
                                        ; implicit-def: $vgpr28
	s_and_saveexec_b64 s[2:3], vcc
	s_cbranch_execz .LBB153_324
; %bb.316:                              ;   in Loop: Header=BB153_31 Depth=1
	v_mov_b32_e32 v2, v24
	v_mov_b32_e32 v5, v1
	s_mov_b64 s[14:15], 0
	v_mov_b32_e32 v3, v25
	v_mov_b32_e32 v4, v0
                                        ; implicit-def: $sgpr18_sgpr19
	s_branch .LBB153_319
.LBB153_317:                            ;   in Loop: Header=BB153_319 Depth=2
	s_or_b64 exec, exec, s[36:37]
	s_waitcnt lgkmcnt(0)
	s_barrier
	ds_read_b64 v[27:28], v13 offset:3072
	s_mov_b64 s[36:37], -1
	s_mov_b64 s[38:39], -1
	s_waitcnt lgkmcnt(0)
	s_barrier
	v_cmp_ne_u32_e32 vcc, 0, v27
	s_cbranch_vccz .LBB153_322
.LBB153_318:                            ;   in Loop: Header=BB153_319 Depth=2
	s_and_b64 s[36:37], exec, s[36:37]
	s_or_b64 s[14:15], s[36:37], s[14:15]
	s_andn2_b64 s[18:19], s[18:19], exec
	s_and_b64 s[36:37], s[38:39], exec
	s_or_b64 s[18:19], s[18:19], s[36:37]
	s_andn2_b64 exec, exec, s[14:15]
	s_cbranch_execz .LBB153_323
.LBB153_319:                            ;   Parent Loop BB153_31 Depth=1
                                        ; =>  This Inner Loop Header: Depth=2
	v_cmp_gt_u64_e32 vcc, s[60:61], v[4:5]
	s_and_saveexec_b64 s[36:37], vcc
	s_cbranch_execz .LBB153_317
; %bb.320:                              ;   in Loop: Header=BB153_319 Depth=2
	global_load_dword v27, v[2:3], off
	s_waitcnt vmcnt(0)
	v_xor_b32_e32 v6, 0x80000000, v27
	v_and_b32_e32 v6, v6, v52
	v_cmp_eq_u32_e32 vcc, v6, v48
	s_and_b64 exec, exec, vcc
	s_cbranch_execz .LBB153_317
; %bb.321:                              ;   in Loop: Header=BB153_319 Depth=2
	ds_write_b64 v13, v[26:27] offset:3072
	s_branch .LBB153_317
.LBB153_322:                            ;   in Loop: Header=BB153_319 Depth=2
	v_add_co_u32_e32 v4, vcc, s33, v4
	v_readlane_b32 s4, v54, 48
	v_addc_co_u32_e32 v5, vcc, 0, v5, vcc
	v_readlane_b32 s5, v54, 49
	v_mov_b32_e32 v6, s5
	v_add_co_u32_e32 v2, vcc, s4, v2
	v_addc_co_u32_e32 v3, vcc, v3, v6, vcc
	v_cmp_le_u64_e32 vcc, s[10:11], v[4:5]
	s_mov_b64 s[38:39], 0
	s_orn2_b64 s[36:37], vcc, exec
	s_branch .LBB153_318
.LBB153_323:                            ;   in Loop: Header=BB153_31 Depth=1
	s_or_b64 exec, exec, s[14:15]
	s_andn2_b64 s[0:1], s[0:1], exec
	s_and_b64 s[10:11], s[18:19], exec
	s_or_b64 s[0:1], s[0:1], s[10:11]
.LBB153_324:                            ;   in Loop: Header=BB153_31 Depth=1
	s_or_b64 exec, exec, s[2:3]
	s_mov_b64 s[18:19], 0
	s_mov_b64 s[14:15], -1
.LBB153_325:                            ;   in Loop: Header=BB153_31 Depth=1
	s_orn2_b64 s[0:1], s[0:1], exec
.LBB153_326:                            ;   in Loop: Header=BB153_31 Depth=1
	s_or_b64 exec, exec, s[34:35]
                                        ; implicit-def: $vgpr2_vgpr3
                                        ; implicit-def: $vgpr12
	s_and_saveexec_b64 s[34:35], s[0:1]
	s_cbranch_execz .LBB153_484
; %bb.327:                              ;   in Loop: Header=BB153_31 Depth=1
	v_mov_b32_e32 v2, 1
	s_xor_b64 s[6:7], s[6:7], -1
	v_mov_b32_e32 v12, 1
	v_mov_b32_e32 v3, 0
	s_mov_b64 s[2:3], 0
	s_and_saveexec_b64 s[0:1], s[6:7]
	s_cbranch_execz .LBB153_336
; %bb.328:                              ;   in Loop: Header=BB153_31 Depth=1
	v_cmp_ge_u64_e32 vcc, s[24:25], v[29:30]
	s_and_saveexec_b64 s[2:3], vcc
	s_xor_b64 s[2:3], exec, s[2:3]
	s_cbranch_execz .LBB153_333
; %bb.329:                              ;   in Loop: Header=BB153_31 Depth=1
	ds_read_b64 v[2:3], v13 offset:5120
	v_or_b32_e32 v48, s76, v48
	v_or_b32_e32 v52, s76, v52
	s_waitcnt lgkmcnt(0)
	v_cmp_ne_u64_e32 vcc, 0, v[2:3]
	s_cbranch_vccnz .LBB153_333
; %bb.330:                              ;   in Loop: Header=BB153_31 Depth=1
	v_readlane_b32 s4, v54, 12
	v_readlane_b32 s5, v54, 13
	s_and_saveexec_b64 s[6:7], s[4:5]
; %bb.331:                              ;   in Loop: Header=BB153_31 Depth=1
	v_mov_b32_e32 v2, s24
	v_mov_b32_e32 v3, s25
	ds_write_b64 v13, v[2:3] offset:5128
; %bb.332:                              ;   in Loop: Header=BB153_31 Depth=1
	s_or_b64 exec, exec, s[6:7]
	s_waitcnt lgkmcnt(0)
	s_barrier
.LBB153_333:                            ;   in Loop: Header=BB153_31 Depth=1
	s_or_saveexec_b64 s[2:3], s[2:3]
	s_mov_b64 s[6:7], 0
	v_mov_b32_e32 v12, 5
	s_xor_b64 exec, exec, s[2:3]
; %bb.334:                              ;   in Loop: Header=BB153_31 Depth=1
	v_subrev_co_u32_e32 v29, vcc, s24, v29
	v_mov_b32_e32 v2, s25
	v_subb_co_u32_e32 v30, vcc, v30, v2, vcc
	v_mov_b32_e32 v12, 0
	s_mov_b64 s[6:7], exec
; %bb.335:                              ;   in Loop: Header=BB153_31 Depth=1
	s_or_b64 exec, exec, s[2:3]
	v_mov_b32_e32 v2, v29
	s_and_b64 s[2:3], s[6:7], exec
	v_mov_b32_e32 v3, v30
.LBB153_336:                            ;   in Loop: Header=BB153_31 Depth=1
	s_or_b64 exec, exec, s[0:1]
	s_mov_b64 s[0:1], -1
                                        ; implicit-def: $sgpr24_sgpr25
                                        ; implicit-def: $sgpr36_sgpr37
	s_and_saveexec_b64 s[6:7], s[2:3]
	s_xor_b64 s[6:7], exec, s[6:7]
	s_cbranch_execz .LBB153_481
; %bb.337:                              ;   in Loop: Header=BB153_31 Depth=1
	s_cmp_eq_u64 s[22:23], 1
	v_cmp_eq_u64_e32 vcc, 1, v[2:3]
	s_cselect_b64 s[0:1], -1, 0
	s_and_b64 s[40:41], s[0:1], vcc
	s_mov_b64 s[0:1], -1
                                        ; implicit-def: $sgpr36_sgpr37
                                        ; implicit-def: $sgpr24_sgpr25
	s_and_saveexec_b64 s[38:39], s[40:41]
	s_cbranch_execz .LBB153_371
; %bb.338:                              ;   in Loop: Header=BB153_31 Depth=1
	ds_read_b64 v[4:5], v13 offset:5120
	v_readlane_b32 s4, v54, 26
	v_readlane_b32 s5, v54, 27
	s_waitcnt lgkmcnt(0)
	s_barrier
	v_readfirstlane_b32 s2, v4
	v_readfirstlane_b32 s3, v5
	s_and_saveexec_b64 s[0:1], s[4:5]
; %bb.339:                              ;   in Loop: Header=BB153_31 Depth=1
	ds_write_b32 v45, v13
; %bb.340:                              ;   in Loop: Header=BB153_31 Depth=1
	s_or_b64 exec, exec, s[0:1]
	v_and_b32_e32 v4, s77, v48
	v_lshl_or_b32 v48, 2, s13, v4
	v_or_b32_e32 v52, s76, v52
	s_mov_b64 s[24:25], -1
	s_mov_b64 s[36:37], 0
	s_cmp_eq_u64 s[2:3], 0
	s_mov_b64 s[0:1], 0
	s_mov_b64 s[10:11], -1
	s_waitcnt lgkmcnt(0)
	s_barrier
                                        ; implicit-def: $vgpr28
	s_cbranch_scc1 .LBB153_356
; %bb.341:                              ;   in Loop: Header=BB153_31 Depth=1
	v_readlane_b32 s0, v54, 30
	s_add_u32 s44, s2, s0
	v_readlane_b32 s0, v54, 32
	s_addc_u32 s1, s3, s0
	s_mov_b32 s0, s87
	s_cmp_lg_u64 s[0:1], 0
	s_cbranch_scc0 .LBB153_397
; %bb.342:                              ;   in Loop: Header=BB153_31 Depth=1
	v_cvt_f32_u32_e32 v4, s33
	s_sub_u32 s0, 0, s33
	s_subb_u32 s42, 0, 0
	v_mac_f32_e32 v4, 0, v50
	v_rcp_f32_e32 v4, v4
	v_mul_f32_e32 v4, 0x5f7ffffc, v4
	v_mul_f32_e32 v5, 0x2f800000, v4
	v_trunc_f32_e32 v5, v5
	v_mac_f32_e32 v4, 0xcf800000, v5
	v_cvt_u32_f32_e32 v5, v5
	v_cvt_u32_f32_e32 v4, v4
	v_readfirstlane_b32 s43, v5
	v_readfirstlane_b32 s10, v4
	s_mul_i32 s11, s0, s43
	s_mul_hi_u32 s46, s0, s10
	s_mul_i32 s45, s42, s10
	s_add_i32 s11, s46, s11
	s_mul_i32 s47, s0, s10
	s_add_i32 s11, s11, s45
	s_mul_hi_u32 s46, s10, s47
	s_mul_i32 s48, s10, s11
	s_mul_hi_u32 s45, s10, s11
	s_add_u32 s46, s46, s48
	s_addc_u32 s45, 0, s45
	s_mul_hi_u32 s49, s43, s47
	s_mul_i32 s47, s43, s47
	s_add_u32 s46, s46, s47
	s_mul_hi_u32 s48, s43, s11
	s_addc_u32 s45, s45, s49
	s_addc_u32 s46, s48, 0
	s_mul_i32 s11, s43, s11
	s_add_u32 s11, s45, s11
	s_addc_u32 s45, 0, s46
	s_add_u32 s46, s10, s11
	s_cselect_b64 s[10:11], -1, 0
	s_cmp_lg_u64 s[10:11], 0
	s_addc_u32 s43, s43, s45
	s_mul_i32 s10, s0, s43
	s_mul_hi_u32 s11, s0, s46
	s_add_i32 s10, s11, s10
	s_mul_i32 s42, s42, s46
	s_add_i32 s10, s10, s42
	s_mul_i32 s0, s0, s46
	s_mul_hi_u32 s42, s43, s0
	s_mul_i32 s45, s43, s0
	s_mul_i32 s48, s46, s10
	s_mul_hi_u32 s0, s46, s0
	s_mul_hi_u32 s47, s46, s10
	s_add_u32 s0, s0, s48
	s_addc_u32 s47, 0, s47
	s_add_u32 s0, s0, s45
	s_mul_hi_u32 s11, s43, s10
	s_addc_u32 s0, s47, s42
	s_addc_u32 s11, s11, 0
	s_mul_i32 s10, s43, s10
	s_add_u32 s0, s0, s10
	s_addc_u32 s42, 0, s11
	s_add_u32 s0, s46, s0
	s_cselect_b64 s[10:11], -1, 0
	s_cmp_lg_u64 s[10:11], 0
	s_addc_u32 s10, s43, s42
	s_mul_i32 s42, s44, s10
	s_mul_hi_u32 s43, s44, s0
	s_mul_hi_u32 s11, s44, s10
	s_add_u32 s42, s43, s42
	s_addc_u32 s11, 0, s11
	s_mul_hi_u32 s45, s1, s0
	s_mul_i32 s0, s1, s0
	s_add_u32 s0, s42, s0
	s_mul_hi_u32 s43, s1, s10
	s_addc_u32 s0, s11, s45
	s_addc_u32 s11, s43, 0
	s_mul_i32 s10, s1, s10
	s_add_u32 s0, s0, s10
	s_addc_u32 s10, 0, s11
	s_mul_i32 s10, s33, s10
	s_mul_hi_u32 s11, s33, s0
	s_add_i32 s42, s11, s10
	s_mul_i32 s0, s33, s0
	s_sub_u32 s0, s44, s0
	s_cselect_b64 s[10:11], -1, 0
	s_cmp_lg_u64 s[10:11], 0
	s_subb_u32 s42, s1, s42
	s_sub_u32 s43, s0, s33
	s_cselect_b64 s[10:11], -1, 0
	s_cmp_lg_u64 s[10:11], 0
	s_subb_u32 s45, s42, 0
	;; [unrolled: 4-line block ×3, first 2 shown]
	s_cmp_ge_u32 s43, s33
	s_cselect_b32 s11, -1, 0
	s_cmp_eq_u32 s45, 0
	s_cselect_b32 s11, s11, -1
	s_cmp_lg_u32 s11, 0
	s_cselect_b32 s10, s10, s45
	s_cselect_b32 s43, s46, s43
	s_cmp_ge_u32 s0, s33
	s_cselect_b32 s11, -1, 0
	s_cmp_eq_u32 s42, 0
	s_cselect_b32 s11, s11, -1
	s_cmp_lg_u32 s11, 0
	s_cselect_b32 s11, s10, s42
	s_cselect_b32 s10, s43, s0
	s_cbranch_execnz .LBB153_344
.LBB153_343:                            ;   in Loop: Header=BB153_31 Depth=1
	v_cvt_f32_u32_e32 v4, s33
	s_sub_i32 s0, 0, s33
	v_rcp_iflag_f32_e32 v4, v4
	v_mul_f32_e32 v4, 0x4f7ffffe, v4
	v_cvt_u32_f32_e32 v4, v4
	v_readfirstlane_b32 s10, v4
	s_mul_i32 s0, s0, s10
	s_mul_hi_u32 s0, s10, s0
	s_add_i32 s10, s10, s0
	s_mul_hi_u32 s0, s44, s10
	s_mul_i32 s0, s0, s33
	s_sub_i32 s0, s44, s0
	s_sub_i32 s10, s0, s33
	s_cmp_ge_u32 s0, s33
	s_cselect_b32 s0, s10, s0
	s_sub_i32 s10, s0, s33
	s_cmp_ge_u32 s0, s33
	s_cselect_b32 s86, s10, s0
	s_mov_b64 s[10:11], s[86:87]
	v_readlane_b32 s86, v54, 52
.LBB153_344:                            ;   in Loop: Header=BB153_31 Depth=1
	s_sub_u32 s44, s44, s10
	s_subb_u32 s45, s1, s11
	v_cmp_gt_u64_e32 vcc, s[44:45], v[0:1]
	s_mov_b64 s[10:11], 0
	s_mov_b64 s[0:1], 0
                                        ; implicit-def: $vgpr28
	s_and_saveexec_b64 s[42:43], vcc
	s_cbranch_execz .LBB153_355
; %bb.345:                              ;   in Loop: Header=BB153_31 Depth=1
	v_mov_b32_e32 v5, v1
	v_mov_b32_e32 v6, v14
	;; [unrolled: 1-line block ×3, first 2 shown]
                                        ; implicit-def: $sgpr46_sgpr47
	s_branch .LBB153_348
.LBB153_346:                            ;   in Loop: Header=BB153_348 Depth=2
	s_or_b64 exec, exec, s[48:49]
	s_waitcnt lgkmcnt(0)
	s_barrier
	ds_read_b64 v[27:28], v13 offset:3072
	s_mov_b64 s[48:49], -1
	s_mov_b64 s[50:51], -1
	s_waitcnt lgkmcnt(0)
	s_barrier
	v_cmp_ne_u32_e32 vcc, 0, v27
	s_cbranch_vccz .LBB153_351
.LBB153_347:                            ;   in Loop: Header=BB153_348 Depth=2
	s_and_b64 s[48:49], exec, s[48:49]
	s_or_b64 s[0:1], s[48:49], s[0:1]
	s_andn2_b64 s[46:47], s[46:47], exec
	s_and_b64 s[48:49], s[50:51], exec
	s_or_b64 s[46:47], s[46:47], s[48:49]
	s_andn2_b64 exec, exec, s[0:1]
	s_cbranch_execz .LBB153_354
.LBB153_348:                            ;   Parent Loop BB153_31 Depth=1
                                        ; =>  This Inner Loop Header: Depth=2
	v_cmp_gt_u64_e32 vcc, s[2:3], v[4:5]
	s_and_saveexec_b64 s[48:49], vcc
	s_cbranch_execz .LBB153_346
; %bb.349:                              ;   in Loop: Header=BB153_348 Depth=2
	ds_read_b32 v27, v6
	s_waitcnt lgkmcnt(0)
	v_xor_b32_e32 v7, 0x80000000, v27
	v_and_b32_e32 v7, v7, v52
	v_cmp_eq_u32_e32 vcc, v7, v48
	s_and_b64 exec, exec, vcc
	s_cbranch_execz .LBB153_346
; %bb.350:                              ;   in Loop: Header=BB153_348 Depth=2
	ds_write_b64 v13, v[26:27] offset:3072
	s_branch .LBB153_346
.LBB153_351:                            ;   in Loop: Header=BB153_348 Depth=2
	v_add_co_u32_e32 v4, vcc, s33, v4
	v_addc_co_u32_e32 v5, vcc, 0, v5, vcc
	v_cmp_le_u64_e32 vcc, s[44:45], v[4:5]
	v_add_u32_e32 v6, s86, v6
	s_mov_b64 s[50:51], 0
	s_orn2_b64 s[48:49], vcc, exec
	s_branch .LBB153_347
.LBB153_352:                            ;   in Loop: Header=BB153_31 Depth=1
                                        ; implicit-def: $sgpr10_sgpr11
	s_branch .LBB153_299
.LBB153_353:                            ;   in Loop: Header=BB153_31 Depth=1
                                        ; implicit-def: $sgpr2_sgpr3
	s_branch .LBB153_314
.LBB153_354:                            ;   in Loop: Header=BB153_31 Depth=1
	s_or_b64 exec, exec, s[0:1]
	s_and_b64 s[0:1], s[46:47], exec
.LBB153_355:                            ;   in Loop: Header=BB153_31 Depth=1
	s_or_b64 exec, exec, s[42:43]
.LBB153_356:                            ;   in Loop: Header=BB153_31 Depth=1
	s_and_b64 vcc, exec, s[10:11]
	s_cbranch_vccz .LBB153_370
; %bb.357:                              ;   in Loop: Header=BB153_31 Depth=1
	v_readlane_b32 s4, v54, 33
	v_readlane_b32 s5, v54, 34
	s_mov_b32 s4, s87
	s_cmp_lg_u64 s[4:5], 0
	v_writelane_b32 v54, s4, 33
	v_writelane_b32 v54, s5, 34
	s_cbranch_scc0 .LBB153_398
; %bb.358:                              ;   in Loop: Header=BB153_31 Depth=1
	v_cvt_f32_u32_e32 v4, s33
	s_sub_u32 s10, 0, s33
	s_subb_u32 s11, 0, 0
	v_readlane_b32 s4, v54, 31
	v_mac_f32_e32 v4, 0, v50
	v_rcp_f32_e32 v4, v4
	v_mul_f32_e32 v4, 0x5f7ffffc, v4
	v_mul_f32_e32 v5, 0x2f800000, v4
	v_trunc_f32_e32 v5, v5
	v_mac_f32_e32 v4, 0xcf800000, v5
	v_cvt_u32_f32_e32 v5, v5
	v_cvt_u32_f32_e32 v4, v4
	v_readfirstlane_b32 s24, v5
	v_readfirstlane_b32 s2, v4
	s_mul_i32 s3, s10, s24
	s_mul_hi_u32 s36, s10, s2
	s_mul_i32 s25, s11, s2
	s_add_i32 s3, s36, s3
	s_mul_i32 s37, s10, s2
	s_add_i32 s3, s3, s25
	s_mul_hi_u32 s36, s2, s37
	s_mul_i32 s42, s2, s3
	s_mul_hi_u32 s25, s2, s3
	s_add_u32 s36, s36, s42
	s_addc_u32 s25, 0, s25
	s_mul_hi_u32 s43, s24, s37
	s_mul_i32 s37, s24, s37
	s_add_u32 s36, s36, s37
	s_mul_hi_u32 s42, s24, s3
	s_addc_u32 s25, s25, s43
	s_addc_u32 s36, s42, 0
	s_mul_i32 s3, s24, s3
	s_add_u32 s3, s25, s3
	s_addc_u32 s25, 0, s36
	s_add_u32 s36, s2, s3
	s_cselect_b64 s[2:3], -1, 0
	s_cmp_lg_u64 s[2:3], 0
	s_addc_u32 s24, s24, s25
	s_mul_i32 s2, s10, s24
	s_mul_hi_u32 s3, s10, s36
	s_add_i32 s2, s3, s2
	s_mul_i32 s11, s11, s36
	s_add_i32 s2, s2, s11
	s_mul_i32 s10, s10, s36
	s_mul_hi_u32 s11, s24, s10
	s_mul_i32 s25, s24, s10
	s_mul_i32 s42, s36, s2
	s_mul_hi_u32 s10, s36, s10
	s_mul_hi_u32 s37, s36, s2
	s_add_u32 s10, s10, s42
	s_addc_u32 s37, 0, s37
	s_add_u32 s10, s10, s25
	s_mul_hi_u32 s3, s24, s2
	s_addc_u32 s10, s37, s11
	s_addc_u32 s3, s3, 0
	s_mul_i32 s2, s24, s2
	s_add_u32 s2, s10, s2
	s_addc_u32 s10, 0, s3
	s_add_u32 s11, s36, s2
	s_cselect_b64 s[2:3], -1, 0
	s_cmp_lg_u64 s[2:3], 0
	s_addc_u32 s2, s24, s10
	s_mul_i32 s10, s4, s2
	s_mul_hi_u32 s24, s4, s11
	s_mul_hi_u32 s3, s4, s2
	s_add_u32 s10, s24, s10
	s_addc_u32 s3, 0, s3
	s_mul_hi_u32 s25, s5, s11
	s_mul_i32 s11, s5, s11
	s_add_u32 s10, s10, s11
	s_mul_hi_u32 s24, s5, s2
	s_addc_u32 s3, s3, s25
	s_addc_u32 s10, s24, 0
	s_mul_i32 s2, s5, s2
	s_add_u32 s2, s3, s2
	s_addc_u32 s3, 0, s10
	s_mul_i32 s3, s33, s3
	s_mul_hi_u32 s10, s33, s2
	s_add_i32 s10, s10, s3
	s_mul_i32 s2, s33, s2
	s_sub_u32 s11, s4, s2
	s_cselect_b64 s[2:3], -1, 0
	s_cmp_lg_u64 s[2:3], 0
	s_subb_u32 s10, s5, s10
	s_sub_u32 s24, s11, s33
	s_cselect_b64 s[2:3], -1, 0
	s_cmp_lg_u64 s[2:3], 0
	s_subb_u32 s25, s10, 0
	;; [unrolled: 4-line block ×3, first 2 shown]
	s_cmp_ge_u32 s24, s33
	s_cselect_b32 s3, -1, 0
	s_cmp_eq_u32 s25, 0
	s_cselect_b32 s3, s3, -1
	s_cmp_lg_u32 s3, 0
	s_cselect_b32 s2, s2, s25
	s_cselect_b32 s24, s36, s24
	s_cmp_ge_u32 s11, s33
	s_cselect_b32 s3, -1, 0
	s_cmp_eq_u32 s10, 0
	s_cselect_b32 s3, s3, -1
	s_cmp_lg_u32 s3, 0
	s_cselect_b32 s3, s2, s10
	s_cselect_b32 s2, s24, s11
	s_cbranch_execnz .LBB153_360
.LBB153_359:                            ;   in Loop: Header=BB153_31 Depth=1
	v_cvt_f32_u32_e32 v4, s33
	s_sub_i32 s2, 0, s33
	v_readlane_b32 s4, v54, 31
	v_rcp_iflag_f32_e32 v4, v4
	v_mul_f32_e32 v4, 0x4f7ffffe, v4
	v_cvt_u32_f32_e32 v4, v4
	v_readfirstlane_b32 s3, v4
	s_mul_i32 s2, s2, s3
	s_mul_hi_u32 s2, s3, s2
	s_add_i32 s3, s3, s2
	s_mul_hi_u32 s2, s4, s3
	s_mul_i32 s2, s2, s33
	s_sub_i32 s2, s4, s2
	s_sub_i32 s3, s2, s33
	s_cmp_ge_u32 s2, s33
	s_cselect_b32 s2, s3, s2
	s_sub_i32 s3, s2, s33
	s_cmp_ge_u32 s2, s33
	s_cselect_b32 s86, s3, s2
	s_mov_b64 s[2:3], s[86:87]
	v_readlane_b32 s86, v54, 52
.LBB153_360:                            ;   in Loop: Header=BB153_31 Depth=1
	v_readlane_b32 s4, v54, 31
	s_sub_u32 s10, s4, s2
	v_readlane_b32 s4, v54, 33
	v_readlane_b32 s5, v54, 34
	s_subb_u32 s11, s5, s3
	v_cmp_gt_u64_e32 vcc, s[10:11], v[0:1]
                                        ; implicit-def: $vgpr28
	s_and_saveexec_b64 s[2:3], vcc
	s_cbranch_execz .LBB153_369
; %bb.361:                              ;   in Loop: Header=BB153_31 Depth=1
	v_mov_b32_e32 v4, v24
	v_mov_b32_e32 v7, v1
	s_mov_b64 s[24:25], 0
	v_mov_b32_e32 v5, v25
	v_mov_b32_e32 v6, v0
                                        ; implicit-def: $sgpr36_sgpr37
	s_branch .LBB153_364
.LBB153_362:                            ;   in Loop: Header=BB153_364 Depth=2
	s_or_b64 exec, exec, s[42:43]
	s_waitcnt lgkmcnt(0)
	s_barrier
	ds_read_b64 v[27:28], v13 offset:3072
	s_mov_b64 s[42:43], -1
	s_mov_b64 s[44:45], -1
	s_waitcnt lgkmcnt(0)
	s_barrier
	v_cmp_eq_u32_e32 vcc, 0, v27
	s_cbranch_vccnz .LBB153_367
.LBB153_363:                            ;   in Loop: Header=BB153_364 Depth=2
	s_and_b64 s[42:43], exec, s[42:43]
	s_or_b64 s[24:25], s[42:43], s[24:25]
	s_andn2_b64 s[36:37], s[36:37], exec
	s_and_b64 s[42:43], s[44:45], exec
	s_or_b64 s[36:37], s[36:37], s[42:43]
	s_andn2_b64 exec, exec, s[24:25]
	s_cbranch_execz .LBB153_368
.LBB153_364:                            ;   Parent Loop BB153_31 Depth=1
                                        ; =>  This Inner Loop Header: Depth=2
	v_cmp_gt_u64_e32 vcc, s[60:61], v[6:7]
	s_and_saveexec_b64 s[42:43], vcc
	s_cbranch_execz .LBB153_362
; %bb.365:                              ;   in Loop: Header=BB153_364 Depth=2
	global_load_dword v27, v[4:5], off
	s_waitcnt vmcnt(0)
	v_xor_b32_e32 v8, 0x80000000, v27
	v_and_b32_e32 v8, v8, v52
	v_cmp_eq_u32_e32 vcc, v8, v48
	s_and_b64 exec, exec, vcc
	s_cbranch_execz .LBB153_362
; %bb.366:                              ;   in Loop: Header=BB153_364 Depth=2
	ds_write_b64 v13, v[26:27] offset:3072
	s_branch .LBB153_362
.LBB153_367:                            ;   in Loop: Header=BB153_364 Depth=2
	v_add_co_u32_e32 v6, vcc, s33, v6
	v_readlane_b32 s4, v54, 48
	v_addc_co_u32_e32 v7, vcc, 0, v7, vcc
	v_readlane_b32 s5, v54, 49
	v_mov_b32_e32 v8, s5
	v_add_co_u32_e32 v4, vcc, s4, v4
	v_addc_co_u32_e32 v5, vcc, v5, v8, vcc
	v_cmp_le_u64_e32 vcc, s[10:11], v[6:7]
	s_mov_b64 s[44:45], 0
	s_orn2_b64 s[42:43], vcc, exec
	s_branch .LBB153_363
.LBB153_368:                            ;   in Loop: Header=BB153_31 Depth=1
	s_or_b64 exec, exec, s[24:25]
	s_andn2_b64 s[0:1], s[0:1], exec
	s_and_b64 s[10:11], s[36:37], exec
	s_or_b64 s[0:1], s[0:1], s[10:11]
.LBB153_369:                            ;   in Loop: Header=BB153_31 Depth=1
	s_or_b64 exec, exec, s[2:3]
	s_mov_b64 s[24:25], 0
	s_mov_b64 s[36:37], -1
.LBB153_370:                            ;   in Loop: Header=BB153_31 Depth=1
	s_orn2_b64 s[0:1], s[0:1], exec
.LBB153_371:                            ;   in Loop: Header=BB153_31 Depth=1
	s_or_b64 exec, exec, s[38:39]
	s_mov_b64 s[2:3], 0
	s_and_saveexec_b64 s[38:39], s[0:1]
	s_cbranch_execz .LBB153_480
; %bb.372:                              ;   in Loop: Header=BB153_31 Depth=1
	v_mov_b32_e32 v4, 1
	s_xor_b64 s[10:11], s[40:41], -1
	v_mov_b32_e32 v12, 1
	v_mov_b32_e32 v5, 0
	s_and_saveexec_b64 s[0:1], s[10:11]
	s_cbranch_execz .LBB153_381
; %bb.373:                              ;   in Loop: Header=BB153_31 Depth=1
	v_cmp_ge_u64_e32 vcc, s[22:23], v[2:3]
	s_and_saveexec_b64 s[2:3], vcc
	s_xor_b64 s[2:3], exec, s[2:3]
	s_cbranch_execz .LBB153_378
; %bb.374:                              ;   in Loop: Header=BB153_31 Depth=1
	v_and_b32_e32 v4, s77, v48
	v_lshl_or_b32 v48, 2, s13, v4
	ds_read_b64 v[4:5], v13 offset:5120
	v_or_b32_e32 v52, s76, v52
	s_waitcnt lgkmcnt(0)
	v_cmp_ne_u64_e32 vcc, 0, v[4:5]
	s_cbranch_vccnz .LBB153_378
; %bb.375:                              ;   in Loop: Header=BB153_31 Depth=1
	v_readlane_b32 s4, v54, 12
	v_readlane_b32 s5, v54, 13
	s_and_saveexec_b64 s[10:11], s[4:5]
; %bb.376:                              ;   in Loop: Header=BB153_31 Depth=1
	v_mov_b32_e32 v4, s22
	v_mov_b32_e32 v5, s23
	ds_write_b64 v13, v[4:5] offset:5128
; %bb.377:                              ;   in Loop: Header=BB153_31 Depth=1
	s_or_b64 exec, exec, s[10:11]
	s_waitcnt lgkmcnt(0)
	s_barrier
.LBB153_378:                            ;   in Loop: Header=BB153_31 Depth=1
	s_or_saveexec_b64 s[2:3], s[2:3]
	s_mov_b64 s[10:11], 0
	v_mov_b32_e32 v12, 5
	s_xor_b64 exec, exec, s[2:3]
; %bb.379:                              ;   in Loop: Header=BB153_31 Depth=1
	v_subrev_co_u32_e32 v2, vcc, s22, v2
	v_mov_b32_e32 v4, s23
	v_subb_co_u32_e32 v3, vcc, v3, v4, vcc
	v_mov_b32_e32 v12, 0
	s_mov_b64 s[10:11], exec
; %bb.380:                              ;   in Loop: Header=BB153_31 Depth=1
	s_or_b64 exec, exec, s[2:3]
	v_mov_b32_e32 v5, v3
	s_and_b64 s[2:3], s[10:11], exec
	v_mov_b32_e32 v4, v2
.LBB153_381:                            ;   in Loop: Header=BB153_31 Depth=1
	s_or_b64 exec, exec, s[0:1]
	s_mov_b64 s[0:1], -1
                                        ; implicit-def: $sgpr40_sgpr41
                                        ; implicit-def: $sgpr42_sgpr43
	s_and_saveexec_b64 s[22:23], s[2:3]
	s_cbranch_execz .LBB153_479
; %bb.382:                              ;   in Loop: Header=BB153_31 Depth=1
	s_cmp_eq_u64 s[20:21], 1
	v_cmp_eq_u64_e32 vcc, 1, v[4:5]
	s_cselect_b64 s[0:1], -1, 0
	s_and_b64 s[46:47], s[0:1], vcc
	s_mov_b64 s[0:1], -1
                                        ; implicit-def: $sgpr42_sgpr43
                                        ; implicit-def: $sgpr40_sgpr41
	s_and_saveexec_b64 s[44:45], s[46:47]
	s_cbranch_execz .LBB153_416
; %bb.383:                              ;   in Loop: Header=BB153_31 Depth=1
	ds_read_b64 v[2:3], v13 offset:5120
	v_readlane_b32 s4, v54, 26
	v_readlane_b32 s5, v54, 27
	s_waitcnt lgkmcnt(0)
	s_barrier
	v_readfirstlane_b32 s2, v2
	v_readfirstlane_b32 s3, v3
	s_and_saveexec_b64 s[0:1], s[4:5]
; %bb.384:                              ;   in Loop: Header=BB153_31 Depth=1
	ds_write_b32 v45, v13
; %bb.385:                              ;   in Loop: Header=BB153_31 Depth=1
	s_or_b64 exec, exec, s[0:1]
	v_and_b32_e32 v2, s77, v48
	v_lshl_or_b32 v48, 1, s13, v2
	v_or_b32_e32 v52, s76, v52
	s_mov_b64 s[40:41], -1
	s_mov_b64 s[42:43], 0
	s_cmp_eq_u64 s[2:3], 0
	s_mov_b64 s[0:1], 0
	s_mov_b64 s[10:11], -1
	s_waitcnt lgkmcnt(0)
	s_barrier
                                        ; implicit-def: $vgpr28
	s_cbranch_scc1 .LBB153_401
; %bb.386:                              ;   in Loop: Header=BB153_31 Depth=1
	v_readlane_b32 s0, v54, 30
	s_add_u32 s50, s2, s0
	v_readlane_b32 s0, v54, 32
	s_addc_u32 s1, s3, s0
	s_mov_b32 s0, s87
	s_cmp_lg_u64 s[0:1], 0
	s_cbranch_scc0 .LBB153_433
; %bb.387:                              ;   in Loop: Header=BB153_31 Depth=1
	v_cvt_f32_u32_e32 v2, s33
	s_sub_u32 s0, 0, s33
	s_subb_u32 s48, 0, 0
	v_mac_f32_e32 v2, 0, v50
	v_rcp_f32_e32 v2, v2
	v_mul_f32_e32 v2, 0x5f7ffffc, v2
	v_mul_f32_e32 v3, 0x2f800000, v2
	v_trunc_f32_e32 v3, v3
	v_mac_f32_e32 v2, 0xcf800000, v3
	v_cvt_u32_f32_e32 v3, v3
	v_cvt_u32_f32_e32 v2, v2
	v_readfirstlane_b32 s49, v3
	v_readfirstlane_b32 s10, v2
	s_mul_i32 s11, s0, s49
	s_mul_hi_u32 s52, s0, s10
	s_mul_i32 s51, s48, s10
	s_add_i32 s11, s52, s11
	s_mul_i32 s53, s0, s10
	s_add_i32 s11, s11, s51
	s_mul_hi_u32 s52, s10, s53
	s_mul_i32 s54, s10, s11
	s_mul_hi_u32 s51, s10, s11
	s_add_u32 s52, s52, s54
	s_addc_u32 s51, 0, s51
	s_mul_hi_u32 s55, s49, s53
	s_mul_i32 s53, s49, s53
	s_add_u32 s52, s52, s53
	s_mul_hi_u32 s54, s49, s11
	s_addc_u32 s51, s51, s55
	s_addc_u32 s52, s54, 0
	s_mul_i32 s11, s49, s11
	s_add_u32 s11, s51, s11
	s_addc_u32 s51, 0, s52
	s_add_u32 s52, s10, s11
	s_cselect_b64 s[10:11], -1, 0
	s_cmp_lg_u64 s[10:11], 0
	s_addc_u32 s49, s49, s51
	s_mul_i32 s10, s0, s49
	s_mul_hi_u32 s11, s0, s52
	s_add_i32 s10, s11, s10
	s_mul_i32 s48, s48, s52
	s_add_i32 s10, s10, s48
	s_mul_i32 s0, s0, s52
	s_mul_hi_u32 s48, s49, s0
	s_mul_i32 s51, s49, s0
	s_mul_i32 s54, s52, s10
	s_mul_hi_u32 s0, s52, s0
	s_mul_hi_u32 s53, s52, s10
	s_add_u32 s0, s0, s54
	s_addc_u32 s53, 0, s53
	s_add_u32 s0, s0, s51
	s_mul_hi_u32 s11, s49, s10
	s_addc_u32 s0, s53, s48
	s_addc_u32 s11, s11, 0
	s_mul_i32 s10, s49, s10
	s_add_u32 s0, s0, s10
	s_addc_u32 s48, 0, s11
	s_add_u32 s0, s52, s0
	s_cselect_b64 s[10:11], -1, 0
	s_cmp_lg_u64 s[10:11], 0
	s_addc_u32 s10, s49, s48
	s_mul_i32 s48, s50, s10
	s_mul_hi_u32 s49, s50, s0
	s_mul_hi_u32 s11, s50, s10
	s_add_u32 s48, s49, s48
	s_addc_u32 s11, 0, s11
	s_mul_hi_u32 s51, s1, s0
	s_mul_i32 s0, s1, s0
	s_add_u32 s0, s48, s0
	s_mul_hi_u32 s49, s1, s10
	s_addc_u32 s0, s11, s51
	s_addc_u32 s11, s49, 0
	s_mul_i32 s10, s1, s10
	s_add_u32 s0, s0, s10
	s_addc_u32 s10, 0, s11
	s_mul_i32 s10, s33, s10
	s_mul_hi_u32 s11, s33, s0
	s_add_i32 s48, s11, s10
	s_mul_i32 s0, s33, s0
	s_sub_u32 s0, s50, s0
	s_cselect_b64 s[10:11], -1, 0
	s_cmp_lg_u64 s[10:11], 0
	s_subb_u32 s48, s1, s48
	s_sub_u32 s49, s0, s33
	s_cselect_b64 s[10:11], -1, 0
	s_cmp_lg_u64 s[10:11], 0
	s_subb_u32 s51, s48, 0
	;; [unrolled: 4-line block ×3, first 2 shown]
	s_cmp_ge_u32 s49, s33
	s_cselect_b32 s11, -1, 0
	s_cmp_eq_u32 s51, 0
	s_cselect_b32 s11, s11, -1
	s_cmp_lg_u32 s11, 0
	s_cselect_b32 s10, s10, s51
	s_cselect_b32 s49, s52, s49
	s_cmp_ge_u32 s0, s33
	s_cselect_b32 s11, -1, 0
	s_cmp_eq_u32 s48, 0
	s_cselect_b32 s11, s11, -1
	s_cmp_lg_u32 s11, 0
	s_cselect_b32 s11, s10, s48
	s_cselect_b32 s10, s49, s0
	s_cbranch_execnz .LBB153_389
.LBB153_388:                            ;   in Loop: Header=BB153_31 Depth=1
	v_cvt_f32_u32_e32 v2, s33
	s_sub_i32 s0, 0, s33
	v_rcp_iflag_f32_e32 v2, v2
	v_mul_f32_e32 v2, 0x4f7ffffe, v2
	v_cvt_u32_f32_e32 v2, v2
	v_readfirstlane_b32 s10, v2
	s_mul_i32 s0, s0, s10
	s_mul_hi_u32 s0, s10, s0
	s_add_i32 s10, s10, s0
	s_mul_hi_u32 s0, s50, s10
	s_mul_i32 s0, s0, s33
	s_sub_i32 s0, s50, s0
	s_sub_i32 s10, s0, s33
	s_cmp_ge_u32 s0, s33
	s_cselect_b32 s0, s10, s0
	s_sub_i32 s10, s0, s33
	s_cmp_ge_u32 s0, s33
	s_cselect_b32 s86, s10, s0
	s_mov_b64 s[10:11], s[86:87]
	v_readlane_b32 s86, v54, 52
.LBB153_389:                            ;   in Loop: Header=BB153_31 Depth=1
	s_sub_u32 s50, s50, s10
	s_subb_u32 s51, s1, s11
	v_cmp_gt_u64_e32 vcc, s[50:51], v[0:1]
	s_mov_b64 s[10:11], 0
	s_mov_b64 s[0:1], 0
                                        ; implicit-def: $vgpr28
	s_and_saveexec_b64 s[48:49], vcc
	s_cbranch_execz .LBB153_400
; %bb.390:                              ;   in Loop: Header=BB153_31 Depth=1
	v_mov_b32_e32 v3, v1
	v_mov_b32_e32 v6, v14
	;; [unrolled: 1-line block ×3, first 2 shown]
                                        ; implicit-def: $sgpr52_sgpr53
	s_branch .LBB153_393
.LBB153_391:                            ;   in Loop: Header=BB153_393 Depth=2
	s_or_b64 exec, exec, s[54:55]
	s_waitcnt lgkmcnt(0)
	s_barrier
	ds_read_b64 v[27:28], v13 offset:3072
	s_mov_b64 s[54:55], -1
	s_mov_b64 s[64:65], -1
	s_waitcnt lgkmcnt(0)
	s_barrier
	v_cmp_ne_u32_e32 vcc, 0, v27
	s_cbranch_vccz .LBB153_396
.LBB153_392:                            ;   in Loop: Header=BB153_393 Depth=2
	s_and_b64 s[54:55], exec, s[54:55]
	s_or_b64 s[0:1], s[54:55], s[0:1]
	s_andn2_b64 s[52:53], s[52:53], exec
	s_and_b64 s[54:55], s[64:65], exec
	s_or_b64 s[52:53], s[52:53], s[54:55]
	s_andn2_b64 exec, exec, s[0:1]
	s_cbranch_execz .LBB153_399
.LBB153_393:                            ;   Parent Loop BB153_31 Depth=1
                                        ; =>  This Inner Loop Header: Depth=2
	v_cmp_gt_u64_e32 vcc, s[2:3], v[2:3]
	s_and_saveexec_b64 s[54:55], vcc
	s_cbranch_execz .LBB153_391
; %bb.394:                              ;   in Loop: Header=BB153_393 Depth=2
	ds_read_b32 v27, v6
	s_waitcnt lgkmcnt(0)
	v_xor_b32_e32 v7, 0x80000000, v27
	v_and_b32_e32 v7, v7, v52
	v_cmp_eq_u32_e32 vcc, v7, v48
	s_and_b64 exec, exec, vcc
	s_cbranch_execz .LBB153_391
; %bb.395:                              ;   in Loop: Header=BB153_393 Depth=2
	ds_write_b64 v13, v[26:27] offset:3072
	s_branch .LBB153_391
.LBB153_396:                            ;   in Loop: Header=BB153_393 Depth=2
	v_add_co_u32_e32 v2, vcc, s33, v2
	v_addc_co_u32_e32 v3, vcc, 0, v3, vcc
	v_cmp_le_u64_e32 vcc, s[50:51], v[2:3]
	v_add_u32_e32 v6, s86, v6
	s_mov_b64 s[64:65], 0
	s_orn2_b64 s[54:55], vcc, exec
	s_branch .LBB153_392
.LBB153_397:                            ;   in Loop: Header=BB153_31 Depth=1
                                        ; implicit-def: $sgpr10_sgpr11
	s_branch .LBB153_343
.LBB153_398:                            ;   in Loop: Header=BB153_31 Depth=1
                                        ; implicit-def: $sgpr2_sgpr3
	s_branch .LBB153_359
.LBB153_399:                            ;   in Loop: Header=BB153_31 Depth=1
	s_or_b64 exec, exec, s[0:1]
	s_and_b64 s[0:1], s[52:53], exec
.LBB153_400:                            ;   in Loop: Header=BB153_31 Depth=1
	s_or_b64 exec, exec, s[48:49]
.LBB153_401:                            ;   in Loop: Header=BB153_31 Depth=1
	s_and_b64 vcc, exec, s[10:11]
	s_cbranch_vccz .LBB153_415
; %bb.402:                              ;   in Loop: Header=BB153_31 Depth=1
	v_readlane_b32 s4, v54, 33
	v_readlane_b32 s5, v54, 34
	s_mov_b32 s4, s87
	s_cmp_lg_u64 s[4:5], 0
	v_writelane_b32 v54, s4, 33
	v_writelane_b32 v54, s5, 34
	s_cbranch_scc0 .LBB153_434
; %bb.403:                              ;   in Loop: Header=BB153_31 Depth=1
	v_cvt_f32_u32_e32 v2, s33
	s_sub_u32 s10, 0, s33
	s_subb_u32 s11, 0, 0
	v_readlane_b32 s4, v54, 31
	v_mac_f32_e32 v2, 0, v50
	v_rcp_f32_e32 v2, v2
	v_mul_f32_e32 v2, 0x5f7ffffc, v2
	v_mul_f32_e32 v3, 0x2f800000, v2
	v_trunc_f32_e32 v3, v3
	v_mac_f32_e32 v2, 0xcf800000, v3
	v_cvt_u32_f32_e32 v3, v3
	v_cvt_u32_f32_e32 v2, v2
	v_readfirstlane_b32 s40, v3
	v_readfirstlane_b32 s2, v2
	s_mul_i32 s3, s10, s40
	s_mul_hi_u32 s42, s10, s2
	s_mul_i32 s41, s11, s2
	s_add_i32 s3, s42, s3
	s_mul_i32 s43, s10, s2
	s_add_i32 s3, s3, s41
	s_mul_hi_u32 s42, s2, s43
	s_mul_i32 s48, s2, s3
	s_mul_hi_u32 s41, s2, s3
	s_add_u32 s42, s42, s48
	s_addc_u32 s41, 0, s41
	s_mul_hi_u32 s49, s40, s43
	s_mul_i32 s43, s40, s43
	s_add_u32 s42, s42, s43
	s_mul_hi_u32 s48, s40, s3
	s_addc_u32 s41, s41, s49
	s_addc_u32 s42, s48, 0
	s_mul_i32 s3, s40, s3
	s_add_u32 s3, s41, s3
	s_addc_u32 s41, 0, s42
	s_add_u32 s42, s2, s3
	s_cselect_b64 s[2:3], -1, 0
	s_cmp_lg_u64 s[2:3], 0
	s_addc_u32 s40, s40, s41
	s_mul_i32 s2, s10, s40
	s_mul_hi_u32 s3, s10, s42
	s_add_i32 s2, s3, s2
	s_mul_i32 s11, s11, s42
	s_add_i32 s2, s2, s11
	s_mul_i32 s10, s10, s42
	s_mul_hi_u32 s11, s40, s10
	s_mul_i32 s41, s40, s10
	s_mul_i32 s48, s42, s2
	s_mul_hi_u32 s10, s42, s10
	s_mul_hi_u32 s43, s42, s2
	s_add_u32 s10, s10, s48
	s_addc_u32 s43, 0, s43
	s_add_u32 s10, s10, s41
	s_mul_hi_u32 s3, s40, s2
	s_addc_u32 s10, s43, s11
	s_addc_u32 s3, s3, 0
	s_mul_i32 s2, s40, s2
	s_add_u32 s2, s10, s2
	s_addc_u32 s10, 0, s3
	s_add_u32 s11, s42, s2
	s_cselect_b64 s[2:3], -1, 0
	s_cmp_lg_u64 s[2:3], 0
	s_addc_u32 s2, s40, s10
	s_mul_i32 s10, s4, s2
	s_mul_hi_u32 s40, s4, s11
	s_mul_hi_u32 s3, s4, s2
	s_add_u32 s10, s40, s10
	s_addc_u32 s3, 0, s3
	s_mul_hi_u32 s41, s5, s11
	s_mul_i32 s11, s5, s11
	s_add_u32 s10, s10, s11
	s_mul_hi_u32 s40, s5, s2
	s_addc_u32 s3, s3, s41
	s_addc_u32 s10, s40, 0
	s_mul_i32 s2, s5, s2
	s_add_u32 s2, s3, s2
	s_addc_u32 s3, 0, s10
	s_mul_i32 s3, s33, s3
	s_mul_hi_u32 s10, s33, s2
	s_add_i32 s10, s10, s3
	s_mul_i32 s2, s33, s2
	s_sub_u32 s11, s4, s2
	s_cselect_b64 s[2:3], -1, 0
	s_cmp_lg_u64 s[2:3], 0
	s_subb_u32 s10, s5, s10
	s_sub_u32 s40, s11, s33
	s_cselect_b64 s[2:3], -1, 0
	s_cmp_lg_u64 s[2:3], 0
	s_subb_u32 s41, s10, 0
	;; [unrolled: 4-line block ×3, first 2 shown]
	s_cmp_ge_u32 s40, s33
	s_cselect_b32 s3, -1, 0
	s_cmp_eq_u32 s41, 0
	s_cselect_b32 s3, s3, -1
	s_cmp_lg_u32 s3, 0
	s_cselect_b32 s2, s2, s41
	s_cselect_b32 s40, s42, s40
	s_cmp_ge_u32 s11, s33
	s_cselect_b32 s3, -1, 0
	s_cmp_eq_u32 s10, 0
	s_cselect_b32 s3, s3, -1
	s_cmp_lg_u32 s3, 0
	s_cselect_b32 s3, s2, s10
	s_cselect_b32 s2, s40, s11
	s_cbranch_execnz .LBB153_405
.LBB153_404:                            ;   in Loop: Header=BB153_31 Depth=1
	v_cvt_f32_u32_e32 v2, s33
	s_sub_i32 s2, 0, s33
	v_readlane_b32 s4, v54, 31
	v_rcp_iflag_f32_e32 v2, v2
	v_mul_f32_e32 v2, 0x4f7ffffe, v2
	v_cvt_u32_f32_e32 v2, v2
	v_readfirstlane_b32 s3, v2
	s_mul_i32 s2, s2, s3
	s_mul_hi_u32 s2, s3, s2
	s_add_i32 s3, s3, s2
	s_mul_hi_u32 s2, s4, s3
	s_mul_i32 s2, s2, s33
	s_sub_i32 s2, s4, s2
	s_sub_i32 s3, s2, s33
	s_cmp_ge_u32 s2, s33
	s_cselect_b32 s2, s3, s2
	s_sub_i32 s3, s2, s33
	s_cmp_ge_u32 s2, s33
	s_cselect_b32 s86, s3, s2
	s_mov_b64 s[2:3], s[86:87]
	v_readlane_b32 s86, v54, 52
.LBB153_405:                            ;   in Loop: Header=BB153_31 Depth=1
	v_readlane_b32 s4, v54, 31
	s_sub_u32 s10, s4, s2
	v_readlane_b32 s4, v54, 33
	v_readlane_b32 s5, v54, 34
	s_subb_u32 s11, s5, s3
	v_cmp_gt_u64_e32 vcc, s[10:11], v[0:1]
                                        ; implicit-def: $vgpr28
	s_and_saveexec_b64 s[2:3], vcc
	s_cbranch_execz .LBB153_414
; %bb.406:                              ;   in Loop: Header=BB153_31 Depth=1
	v_mov_b32_e32 v2, v24
	v_mov_b32_e32 v7, v1
	s_mov_b64 s[40:41], 0
	v_mov_b32_e32 v3, v25
	v_mov_b32_e32 v6, v0
                                        ; implicit-def: $sgpr42_sgpr43
	s_branch .LBB153_409
.LBB153_407:                            ;   in Loop: Header=BB153_409 Depth=2
	s_or_b64 exec, exec, s[48:49]
	s_waitcnt lgkmcnt(0)
	s_barrier
	ds_read_b64 v[27:28], v13 offset:3072
	s_mov_b64 s[48:49], -1
	s_mov_b64 s[50:51], -1
	s_waitcnt lgkmcnt(0)
	s_barrier
	v_cmp_eq_u32_e32 vcc, 0, v27
	s_cbranch_vccnz .LBB153_412
.LBB153_408:                            ;   in Loop: Header=BB153_409 Depth=2
	s_and_b64 s[48:49], exec, s[48:49]
	s_or_b64 s[40:41], s[48:49], s[40:41]
	s_andn2_b64 s[42:43], s[42:43], exec
	s_and_b64 s[48:49], s[50:51], exec
	s_or_b64 s[42:43], s[42:43], s[48:49]
	s_andn2_b64 exec, exec, s[40:41]
	s_cbranch_execz .LBB153_413
.LBB153_409:                            ;   Parent Loop BB153_31 Depth=1
                                        ; =>  This Inner Loop Header: Depth=2
	v_cmp_gt_u64_e32 vcc, s[60:61], v[6:7]
	s_and_saveexec_b64 s[48:49], vcc
	s_cbranch_execz .LBB153_407
; %bb.410:                              ;   in Loop: Header=BB153_409 Depth=2
	global_load_dword v27, v[2:3], off
	s_waitcnt vmcnt(0)
	v_xor_b32_e32 v8, 0x80000000, v27
	v_and_b32_e32 v8, v8, v52
	v_cmp_eq_u32_e32 vcc, v8, v48
	s_and_b64 exec, exec, vcc
	s_cbranch_execz .LBB153_407
; %bb.411:                              ;   in Loop: Header=BB153_409 Depth=2
	ds_write_b64 v13, v[26:27] offset:3072
	s_branch .LBB153_407
.LBB153_412:                            ;   in Loop: Header=BB153_409 Depth=2
	v_add_co_u32_e32 v6, vcc, s33, v6
	v_readlane_b32 s4, v54, 48
	v_addc_co_u32_e32 v7, vcc, 0, v7, vcc
	v_readlane_b32 s5, v54, 49
	v_mov_b32_e32 v8, s5
	v_add_co_u32_e32 v2, vcc, s4, v2
	v_addc_co_u32_e32 v3, vcc, v3, v8, vcc
	v_cmp_le_u64_e32 vcc, s[10:11], v[6:7]
	s_mov_b64 s[50:51], 0
	s_orn2_b64 s[48:49], vcc, exec
	s_branch .LBB153_408
.LBB153_413:                            ;   in Loop: Header=BB153_31 Depth=1
	s_or_b64 exec, exec, s[40:41]
	s_andn2_b64 s[0:1], s[0:1], exec
	s_and_b64 s[10:11], s[42:43], exec
	s_or_b64 s[0:1], s[0:1], s[10:11]
.LBB153_414:                            ;   in Loop: Header=BB153_31 Depth=1
	s_or_b64 exec, exec, s[2:3]
	s_mov_b64 s[40:41], 0
	s_mov_b64 s[42:43], -1
.LBB153_415:                            ;   in Loop: Header=BB153_31 Depth=1
	s_orn2_b64 s[0:1], s[0:1], exec
.LBB153_416:                            ;   in Loop: Header=BB153_31 Depth=1
	s_or_b64 exec, exec, s[44:45]
	s_mov_b64 s[2:3], 0
	s_and_saveexec_b64 s[44:45], s[0:1]
	s_cbranch_execz .LBB153_478
; %bb.417:                              ;   in Loop: Header=BB153_31 Depth=1
	v_mov_b32_e32 v2, 1
	s_xor_b64 s[10:11], s[46:47], -1
	v_mov_b32_e32 v12, 1
	v_mov_b32_e32 v3, 0
	s_and_saveexec_b64 s[0:1], s[10:11]
	s_cbranch_execz .LBB153_426
; %bb.418:                              ;   in Loop: Header=BB153_31 Depth=1
	v_cmp_ge_u64_e32 vcc, s[20:21], v[4:5]
	s_and_saveexec_b64 s[2:3], vcc
	s_xor_b64 s[2:3], exec, s[2:3]
	s_cbranch_execz .LBB153_423
; %bb.419:                              ;   in Loop: Header=BB153_31 Depth=1
	v_and_b32_e32 v2, s77, v48
	v_lshl_or_b32 v48, 1, s13, v2
	ds_read_b64 v[2:3], v13 offset:5120
	v_or_b32_e32 v52, s76, v52
	s_waitcnt lgkmcnt(0)
	v_cmp_ne_u64_e32 vcc, 0, v[2:3]
	s_cbranch_vccnz .LBB153_423
; %bb.420:                              ;   in Loop: Header=BB153_31 Depth=1
	v_readlane_b32 s4, v54, 12
	v_readlane_b32 s5, v54, 13
	s_and_saveexec_b64 s[10:11], s[4:5]
; %bb.421:                              ;   in Loop: Header=BB153_31 Depth=1
	v_mov_b32_e32 v2, s20
	v_mov_b32_e32 v3, s21
	ds_write_b64 v13, v[2:3] offset:5128
; %bb.422:                              ;   in Loop: Header=BB153_31 Depth=1
	s_or_b64 exec, exec, s[10:11]
	s_waitcnt lgkmcnt(0)
	s_barrier
.LBB153_423:                            ;   in Loop: Header=BB153_31 Depth=1
	s_or_saveexec_b64 s[2:3], s[2:3]
	s_mov_b64 s[10:11], 0
	v_mov_b32_e32 v12, 5
	s_xor_b64 exec, exec, s[2:3]
; %bb.424:                              ;   in Loop: Header=BB153_31 Depth=1
	v_subrev_co_u32_e32 v4, vcc, s20, v4
	v_mov_b32_e32 v2, s21
	v_subb_co_u32_e32 v5, vcc, v5, v2, vcc
	v_mov_b32_e32 v12, 0
	s_mov_b64 s[10:11], exec
; %bb.425:                              ;   in Loop: Header=BB153_31 Depth=1
	s_or_b64 exec, exec, s[2:3]
	v_mov_b32_e32 v2, v4
	s_and_b64 s[2:3], s[10:11], exec
	v_mov_b32_e32 v3, v5
.LBB153_426:                            ;   in Loop: Header=BB153_31 Depth=1
	s_or_b64 exec, exec, s[0:1]
	s_mov_b64 s[0:1], -1
                                        ; implicit-def: $sgpr52_sgpr53
                                        ; implicit-def: $sgpr50_sgpr51
	s_and_saveexec_b64 s[20:21], s[2:3]
	s_cbranch_execz .LBB153_477
; %bb.427:                              ;   in Loop: Header=BB153_31 Depth=1
	s_cmp_eq_u64 s[16:17], 1
	v_cmp_eq_u64_e32 vcc, 1, v[2:3]
	s_cselect_b64 s[0:1], -1, 0
	s_and_b64 s[46:47], s[0:1], vcc
	s_mov_b64 s[2:3], -1
                                        ; implicit-def: $sgpr52_sgpr53
                                        ; implicit-def: $sgpr50_sgpr51
	s_and_saveexec_b64 s[48:49], s[46:47]
	s_cbranch_execz .LBB153_465
; %bb.428:                              ;   in Loop: Header=BB153_31 Depth=1
	ds_read_b64 v[4:5], v13 offset:5120
	v_readlane_b32 s4, v54, 26
	v_readlane_b32 s5, v54, 27
	s_waitcnt lgkmcnt(0)
	s_barrier
	v_readfirstlane_b32 s2, v4
	v_readfirstlane_b32 s3, v5
	s_and_saveexec_b64 s[0:1], s[4:5]
; %bb.429:                              ;   in Loop: Header=BB153_31 Depth=1
	ds_write_b32 v45, v13
; %bb.430:                              ;   in Loop: Header=BB153_31 Depth=1
	s_or_b64 exec, exec, s[0:1]
	v_and_b32_e32 v48, s77, v48
	v_or_b32_e32 v52, s76, v52
	s_mov_b64 s[50:51], -1
	s_mov_b64 s[52:53], 0
	s_cmp_eq_u64 s[2:3], 0
	s_mov_b64 s[0:1], 0
	s_mov_b64 s[10:11], -1
	s_waitcnt lgkmcnt(0)
	s_barrier
                                        ; implicit-def: $vgpr28
	s_cbranch_scc1 .LBB153_448
; %bb.431:                              ;   in Loop: Header=BB153_31 Depth=1
	v_readlane_b32 s0, v54, 30
	s_add_u32 s64, s2, s0
	v_readlane_b32 s0, v54, 32
	s_addc_u32 s1, s3, s0
	s_mov_b32 s0, s87
	s_cmp_lg_u64 s[0:1], 0
	s_cbranch_scc0 .LBB153_435
; %bb.432:                              ;   in Loop: Header=BB153_31 Depth=1
	v_cvt_f32_u32_e32 v4, s33
	s_sub_u32 s0, 0, s33
	s_subb_u32 s54, 0, 0
	v_mac_f32_e32 v4, 0, v50
	v_rcp_f32_e32 v4, v4
	v_mul_f32_e32 v4, 0x5f7ffffc, v4
	v_mul_f32_e32 v5, 0x2f800000, v4
	v_trunc_f32_e32 v5, v5
	v_mac_f32_e32 v4, 0xcf800000, v5
	v_cvt_u32_f32_e32 v5, v5
	v_cvt_u32_f32_e32 v4, v4
	v_readfirstlane_b32 s55, v5
	v_readfirstlane_b32 s10, v4
	s_mul_i32 s11, s0, s55
	s_mul_hi_u32 s80, s0, s10
	s_mul_i32 s65, s54, s10
	s_add_i32 s11, s80, s11
	s_mul_i32 s81, s0, s10
	s_add_i32 s11, s11, s65
	s_mul_hi_u32 s80, s10, s81
	s_mul_i32 s86, s10, s11
	s_mul_hi_u32 s65, s10, s11
	s_add_u32 s80, s80, s86
	s_addc_u32 s65, 0, s65
	s_mul_hi_u32 s88, s55, s81
	s_mul_i32 s81, s55, s81
	s_add_u32 s80, s80, s81
	s_mul_hi_u32 s86, s55, s11
	s_addc_u32 s65, s65, s88
	s_addc_u32 s80, s86, 0
	s_mul_i32 s11, s55, s11
	s_add_u32 s11, s65, s11
	s_addc_u32 s65, 0, s80
	s_add_u32 s80, s10, s11
	s_cselect_b64 s[10:11], -1, 0
	s_cmp_lg_u64 s[10:11], 0
	s_addc_u32 s55, s55, s65
	s_mul_i32 s10, s0, s55
	s_mul_hi_u32 s11, s0, s80
	s_add_i32 s10, s11, s10
	s_mul_i32 s54, s54, s80
	s_add_i32 s10, s10, s54
	s_mul_i32 s0, s0, s80
	s_mul_hi_u32 s54, s55, s0
	s_mul_i32 s65, s55, s0
	s_mul_i32 s86, s80, s10
	s_mul_hi_u32 s0, s80, s0
	s_mul_hi_u32 s81, s80, s10
	s_add_u32 s0, s0, s86
	s_addc_u32 s81, 0, s81
	s_add_u32 s0, s0, s65
	s_mul_hi_u32 s11, s55, s10
	s_addc_u32 s0, s81, s54
	s_addc_u32 s11, s11, 0
	s_mul_i32 s10, s55, s10
	s_add_u32 s0, s0, s10
	s_addc_u32 s54, 0, s11
	s_add_u32 s0, s80, s0
	s_cselect_b64 s[10:11], -1, 0
	s_cmp_lg_u64 s[10:11], 0
	s_addc_u32 s10, s55, s54
	s_mul_i32 s54, s64, s10
	s_mul_hi_u32 s55, s64, s0
	s_mul_hi_u32 s11, s64, s10
	s_add_u32 s54, s55, s54
	s_addc_u32 s11, 0, s11
	s_mul_hi_u32 s65, s1, s0
	s_mul_i32 s0, s1, s0
	s_add_u32 s0, s54, s0
	s_mul_hi_u32 s55, s1, s10
	s_addc_u32 s0, s11, s65
	s_addc_u32 s11, s55, 0
	s_mul_i32 s10, s1, s10
	s_add_u32 s0, s0, s10
	s_addc_u32 s10, 0, s11
	s_mul_i32 s10, s33, s10
	s_mul_hi_u32 s11, s33, s0
	s_add_i32 s54, s11, s10
	s_mul_i32 s0, s33, s0
	s_sub_u32 s0, s64, s0
	s_cselect_b64 s[10:11], -1, 0
	s_cmp_lg_u64 s[10:11], 0
	s_subb_u32 s54, s1, s54
	s_sub_u32 s55, s0, s33
	s_cselect_b64 s[10:11], -1, 0
	s_cmp_lg_u64 s[10:11], 0
	s_subb_u32 s65, s54, 0
	;; [unrolled: 4-line block ×3, first 2 shown]
	s_cmp_ge_u32 s55, s33
	s_cselect_b32 s11, -1, 0
	s_cmp_eq_u32 s65, 0
	s_cselect_b32 s11, s11, -1
	s_cmp_lg_u32 s11, 0
	s_cselect_b32 s10, s10, s65
	s_cselect_b32 s55, s80, s55
	s_cmp_ge_u32 s0, s33
	s_cselect_b32 s11, -1, 0
	s_cmp_eq_u32 s54, 0
	s_cselect_b32 s11, s11, -1
	s_cmp_lg_u32 s11, 0
	s_cselect_b32 s11, s10, s54
	s_cselect_b32 s10, s55, s0
	s_mov_b64 s[54:55], 0
	s_branch .LBB153_436
.LBB153_433:                            ;   in Loop: Header=BB153_31 Depth=1
                                        ; implicit-def: $sgpr10_sgpr11
	s_branch .LBB153_388
.LBB153_434:                            ;   in Loop: Header=BB153_31 Depth=1
                                        ; implicit-def: $sgpr2_sgpr3
	s_branch .LBB153_404
.LBB153_435:                            ;   in Loop: Header=BB153_31 Depth=1
	s_mov_b64 s[54:55], -1
                                        ; implicit-def: $sgpr10_sgpr11
.LBB153_436:                            ;   in Loop: Header=BB153_31 Depth=1
	s_andn2_b64 vcc, exec, s[54:55]
	s_cbranch_vccnz .LBB153_438
; %bb.437:                              ;   in Loop: Header=BB153_31 Depth=1
	v_cvt_f32_u32_e32 v4, s33
	s_sub_i32 s0, 0, s33
	v_rcp_iflag_f32_e32 v4, v4
	v_mul_f32_e32 v4, 0x4f7ffffe, v4
	v_cvt_u32_f32_e32 v4, v4
	v_readfirstlane_b32 s10, v4
	s_mul_i32 s0, s0, s10
	s_mul_hi_u32 s0, s10, s0
	s_add_i32 s10, s10, s0
	s_mul_hi_u32 s0, s64, s10
	s_mul_i32 s0, s0, s33
	s_sub_i32 s0, s64, s0
	s_sub_i32 s10, s0, s33
	s_cmp_ge_u32 s0, s33
	s_cselect_b32 s0, s10, s0
	s_sub_i32 s10, s0, s33
	s_cmp_ge_u32 s0, s33
	s_cselect_b32 s86, s10, s0
	s_mov_b64 s[10:11], s[86:87]
.LBB153_438:                            ;   in Loop: Header=BB153_31 Depth=1
	s_sub_u32 s64, s64, s10
	s_subb_u32 s65, s1, s11
	v_cmp_gt_u64_e32 vcc, s[64:65], v[0:1]
	s_mov_b64 s[10:11], 0
	s_mov_b64 s[0:1], 0
                                        ; implicit-def: $vgpr28
	s_and_saveexec_b64 s[54:55], vcc
	v_readlane_b32 s86, v54, 52
	s_cbranch_execz .LBB153_447
; %bb.439:                              ;   in Loop: Header=BB153_31 Depth=1
	v_mov_b32_e32 v5, v1
	v_mov_b32_e32 v6, v14
	;; [unrolled: 1-line block ×3, first 2 shown]
                                        ; implicit-def: $sgpr80_sgpr81
	s_branch .LBB153_442
.LBB153_440:                            ;   in Loop: Header=BB153_442 Depth=2
	s_or_b64 exec, exec, s[88:89]
	s_waitcnt lgkmcnt(0)
	s_barrier
	ds_read_b64 v[27:28], v13 offset:3072
	s_mov_b64 s[88:89], -1
	s_mov_b64 s[90:91], -1
	s_waitcnt lgkmcnt(0)
	s_barrier
	v_cmp_ne_u32_e32 vcc, 0, v27
	s_cbranch_vccz .LBB153_445
.LBB153_441:                            ;   in Loop: Header=BB153_442 Depth=2
	s_and_b64 s[88:89], exec, s[88:89]
	s_or_b64 s[0:1], s[88:89], s[0:1]
	s_andn2_b64 s[80:81], s[80:81], exec
	s_and_b64 s[88:89], s[90:91], exec
	s_or_b64 s[80:81], s[80:81], s[88:89]
	s_andn2_b64 exec, exec, s[0:1]
	s_cbranch_execz .LBB153_446
.LBB153_442:                            ;   Parent Loop BB153_31 Depth=1
                                        ; =>  This Inner Loop Header: Depth=2
	v_cmp_gt_u64_e32 vcc, s[2:3], v[4:5]
	s_and_saveexec_b64 s[88:89], vcc
	s_cbranch_execz .LBB153_440
; %bb.443:                              ;   in Loop: Header=BB153_442 Depth=2
	ds_read_b32 v27, v6
	s_waitcnt lgkmcnt(0)
	v_xor_b32_e32 v7, 0x80000000, v27
	v_and_b32_e32 v7, v7, v52
	v_cmp_eq_u32_e32 vcc, v7, v48
	s_and_b64 exec, exec, vcc
	s_cbranch_execz .LBB153_440
; %bb.444:                              ;   in Loop: Header=BB153_442 Depth=2
	ds_write_b64 v13, v[26:27] offset:3072
	s_branch .LBB153_440
.LBB153_445:                            ;   in Loop: Header=BB153_442 Depth=2
	v_add_co_u32_e32 v4, vcc, s33, v4
	v_addc_co_u32_e32 v5, vcc, 0, v5, vcc
	v_cmp_le_u64_e32 vcc, s[64:65], v[4:5]
	v_add_u32_e32 v6, s86, v6
	s_mov_b64 s[90:91], 0
	s_orn2_b64 s[88:89], vcc, exec
	s_branch .LBB153_441
.LBB153_446:                            ;   in Loop: Header=BB153_31 Depth=1
	s_or_b64 exec, exec, s[0:1]
	s_and_b64 s[0:1], s[80:81], exec
.LBB153_447:                            ;   in Loop: Header=BB153_31 Depth=1
	s_or_b64 exec, exec, s[54:55]
.LBB153_448:                            ;   in Loop: Header=BB153_31 Depth=1
	s_and_b64 vcc, exec, s[10:11]
	s_cbranch_vccz .LBB153_464
; %bb.449:                              ;   in Loop: Header=BB153_31 Depth=1
	v_readlane_b32 s4, v54, 33
	v_readlane_b32 s5, v54, 34
	s_mov_b32 s4, s87
	s_cmp_lg_u64 s[4:5], 0
	v_writelane_b32 v54, s4, 33
	v_writelane_b32 v54, s5, 34
	s_cbranch_scc0 .LBB153_451
; %bb.450:                              ;   in Loop: Header=BB153_31 Depth=1
	v_cvt_f32_u32_e32 v4, s33
	s_sub_u32 s10, 0, s33
	s_subb_u32 s11, 0, 0
	v_readlane_b32 s4, v54, 31
	v_mac_f32_e32 v4, 0, v50
	v_rcp_f32_e32 v4, v4
	v_mul_f32_e32 v4, 0x5f7ffffc, v4
	v_mul_f32_e32 v5, 0x2f800000, v4
	v_trunc_f32_e32 v5, v5
	v_mac_f32_e32 v4, 0xcf800000, v5
	v_cvt_u32_f32_e32 v5, v5
	v_cvt_u32_f32_e32 v4, v4
	v_readfirstlane_b32 s50, v5
	v_readfirstlane_b32 s2, v4
	s_mul_i32 s3, s10, s50
	s_mul_hi_u32 s52, s10, s2
	s_mul_i32 s51, s11, s2
	s_add_i32 s3, s52, s3
	s_mul_i32 s53, s10, s2
	s_add_i32 s3, s3, s51
	s_mul_hi_u32 s52, s2, s53
	s_mul_i32 s54, s2, s3
	s_mul_hi_u32 s51, s2, s3
	s_add_u32 s52, s52, s54
	s_addc_u32 s51, 0, s51
	s_mul_hi_u32 s55, s50, s53
	s_mul_i32 s53, s50, s53
	s_add_u32 s52, s52, s53
	s_mul_hi_u32 s54, s50, s3
	s_addc_u32 s51, s51, s55
	s_addc_u32 s52, s54, 0
	s_mul_i32 s3, s50, s3
	s_add_u32 s3, s51, s3
	s_addc_u32 s51, 0, s52
	s_add_u32 s52, s2, s3
	s_cselect_b64 s[2:3], -1, 0
	s_cmp_lg_u64 s[2:3], 0
	s_addc_u32 s50, s50, s51
	s_mul_i32 s2, s10, s50
	s_mul_hi_u32 s3, s10, s52
	s_add_i32 s2, s3, s2
	s_mul_i32 s11, s11, s52
	s_add_i32 s2, s2, s11
	s_mul_i32 s10, s10, s52
	s_mul_hi_u32 s11, s50, s10
	s_mul_i32 s51, s50, s10
	s_mul_i32 s54, s52, s2
	s_mul_hi_u32 s10, s52, s10
	s_mul_hi_u32 s53, s52, s2
	s_add_u32 s10, s10, s54
	s_addc_u32 s53, 0, s53
	s_add_u32 s10, s10, s51
	s_mul_hi_u32 s3, s50, s2
	s_addc_u32 s10, s53, s11
	s_addc_u32 s3, s3, 0
	s_mul_i32 s2, s50, s2
	s_add_u32 s2, s10, s2
	s_addc_u32 s10, 0, s3
	s_add_u32 s11, s52, s2
	s_cselect_b64 s[2:3], -1, 0
	s_cmp_lg_u64 s[2:3], 0
	s_addc_u32 s2, s50, s10
	s_mul_i32 s10, s4, s2
	s_mul_hi_u32 s50, s4, s11
	s_mul_hi_u32 s3, s4, s2
	s_add_u32 s10, s50, s10
	s_addc_u32 s3, 0, s3
	s_mul_hi_u32 s51, s5, s11
	s_mul_i32 s11, s5, s11
	s_add_u32 s10, s10, s11
	s_mul_hi_u32 s50, s5, s2
	s_addc_u32 s3, s3, s51
	s_addc_u32 s10, s50, 0
	s_mul_i32 s2, s5, s2
	s_add_u32 s2, s3, s2
	s_addc_u32 s3, 0, s10
	s_mul_i32 s3, s33, s3
	s_mul_hi_u32 s10, s33, s2
	s_add_i32 s10, s10, s3
	s_mul_i32 s2, s33, s2
	s_sub_u32 s11, s4, s2
	s_cselect_b64 s[2:3], -1, 0
	s_cmp_lg_u64 s[2:3], 0
	s_subb_u32 s10, s5, s10
	s_sub_u32 s50, s11, s33
	s_cselect_b64 s[2:3], -1, 0
	s_cmp_lg_u64 s[2:3], 0
	s_subb_u32 s51, s10, 0
	;; [unrolled: 4-line block ×3, first 2 shown]
	s_cmp_ge_u32 s50, s33
	s_cselect_b32 s3, -1, 0
	s_cmp_eq_u32 s51, 0
	s_cselect_b32 s3, s3, -1
	s_cmp_lg_u32 s3, 0
	s_cselect_b32 s2, s2, s51
	s_cselect_b32 s50, s52, s50
	s_cmp_ge_u32 s11, s33
	s_cselect_b32 s3, -1, 0
	s_cmp_eq_u32 s10, 0
	s_cselect_b32 s3, s3, -1
	s_cmp_lg_u32 s3, 0
	s_cselect_b32 s3, s2, s10
	s_cselect_b32 s2, s50, s11
	s_mov_b64 s[10:11], 0
	s_branch .LBB153_452
.LBB153_451:                            ;   in Loop: Header=BB153_31 Depth=1
	s_mov_b64 s[10:11], -1
                                        ; implicit-def: $sgpr2_sgpr3
.LBB153_452:                            ;   in Loop: Header=BB153_31 Depth=1
	s_andn2_b64 vcc, exec, s[10:11]
	s_cbranch_vccnz .LBB153_454
; %bb.453:                              ;   in Loop: Header=BB153_31 Depth=1
	v_cvt_f32_u32_e32 v4, s33
	s_sub_i32 s2, 0, s33
	v_readlane_b32 s4, v54, 31
	v_rcp_iflag_f32_e32 v4, v4
	v_mul_f32_e32 v4, 0x4f7ffffe, v4
	v_cvt_u32_f32_e32 v4, v4
	v_readfirstlane_b32 s3, v4
	s_mul_i32 s2, s2, s3
	s_mul_hi_u32 s2, s3, s2
	s_add_i32 s3, s3, s2
	s_mul_hi_u32 s2, s4, s3
	s_mul_i32 s2, s2, s33
	s_sub_i32 s2, s4, s2
	s_sub_i32 s3, s2, s33
	s_cmp_ge_u32 s2, s33
	s_cselect_b32 s2, s3, s2
	s_sub_i32 s3, s2, s33
	s_cmp_ge_u32 s2, s33
	s_cselect_b32 s86, s3, s2
	s_mov_b64 s[2:3], s[86:87]
	v_readlane_b32 s86, v54, 52
.LBB153_454:                            ;   in Loop: Header=BB153_31 Depth=1
	v_readlane_b32 s4, v54, 31
	s_sub_u32 s10, s4, s2
	v_readlane_b32 s4, v54, 33
	v_readlane_b32 s5, v54, 34
	s_subb_u32 s11, s5, s3
	v_cmp_gt_u64_e32 vcc, s[10:11], v[0:1]
                                        ; implicit-def: $vgpr28
	s_and_saveexec_b64 s[2:3], vcc
	s_cbranch_execz .LBB153_463
; %bb.455:                              ;   in Loop: Header=BB153_31 Depth=1
	v_mov_b32_e32 v4, v24
	v_mov_b32_e32 v7, v1
	s_mov_b64 s[50:51], 0
	v_mov_b32_e32 v5, v25
	v_mov_b32_e32 v6, v0
                                        ; implicit-def: $sgpr52_sgpr53
	s_branch .LBB153_458
.LBB153_456:                            ;   in Loop: Header=BB153_458 Depth=2
	s_or_b64 exec, exec, s[54:55]
	s_waitcnt lgkmcnt(0)
	s_barrier
	ds_read_b64 v[27:28], v13 offset:3072
	s_mov_b64 s[54:55], -1
	s_mov_b64 s[64:65], -1
	s_waitcnt lgkmcnt(0)
	s_barrier
	v_cmp_eq_u32_e32 vcc, 0, v27
	s_cbranch_vccnz .LBB153_461
.LBB153_457:                            ;   in Loop: Header=BB153_458 Depth=2
	s_and_b64 s[54:55], exec, s[54:55]
	s_or_b64 s[50:51], s[54:55], s[50:51]
	s_andn2_b64 s[52:53], s[52:53], exec
	s_and_b64 s[54:55], s[64:65], exec
	s_or_b64 s[52:53], s[52:53], s[54:55]
	s_andn2_b64 exec, exec, s[50:51]
	s_cbranch_execz .LBB153_462
.LBB153_458:                            ;   Parent Loop BB153_31 Depth=1
                                        ; =>  This Inner Loop Header: Depth=2
	v_cmp_gt_u64_e32 vcc, s[60:61], v[6:7]
	s_and_saveexec_b64 s[54:55], vcc
	s_cbranch_execz .LBB153_456
; %bb.459:                              ;   in Loop: Header=BB153_458 Depth=2
	global_load_dword v27, v[4:5], off
	s_waitcnt vmcnt(0)
	v_xor_b32_e32 v8, 0x80000000, v27
	v_and_b32_e32 v8, v8, v52
	v_cmp_eq_u32_e32 vcc, v8, v48
	s_and_b64 exec, exec, vcc
	s_cbranch_execz .LBB153_456
; %bb.460:                              ;   in Loop: Header=BB153_458 Depth=2
	ds_write_b64 v13, v[26:27] offset:3072
	s_branch .LBB153_456
.LBB153_461:                            ;   in Loop: Header=BB153_458 Depth=2
	v_add_co_u32_e32 v6, vcc, s33, v6
	v_readlane_b32 s4, v54, 48
	v_addc_co_u32_e32 v7, vcc, 0, v7, vcc
	v_readlane_b32 s5, v54, 49
	v_mov_b32_e32 v8, s5
	v_add_co_u32_e32 v4, vcc, s4, v4
	v_addc_co_u32_e32 v5, vcc, v5, v8, vcc
	v_cmp_le_u64_e32 vcc, s[10:11], v[6:7]
	s_mov_b64 s[64:65], 0
	s_orn2_b64 s[54:55], vcc, exec
	s_branch .LBB153_457
.LBB153_462:                            ;   in Loop: Header=BB153_31 Depth=1
	s_or_b64 exec, exec, s[50:51]
	s_andn2_b64 s[0:1], s[0:1], exec
	s_and_b64 s[10:11], s[52:53], exec
	s_or_b64 s[0:1], s[0:1], s[10:11]
.LBB153_463:                            ;   in Loop: Header=BB153_31 Depth=1
	s_or_b64 exec, exec, s[2:3]
	s_mov_b64 s[50:51], 0
	s_mov_b64 s[52:53], -1
.LBB153_464:                            ;   in Loop: Header=BB153_31 Depth=1
	s_orn2_b64 s[2:3], s[0:1], exec
.LBB153_465:                            ;   in Loop: Header=BB153_31 Depth=1
	s_or_b64 exec, exec, s[48:49]
	s_mov_b64 s[10:11], 0
	s_and_saveexec_b64 s[0:1], s[2:3]
	s_cbranch_execz .LBB153_476
; %bb.466:                              ;   in Loop: Header=BB153_31 Depth=1
	v_mov_b32_e32 v4, 1
	s_xor_b64 s[10:11], s[46:47], -1
	v_mov_b32_e32 v5, 0
	v_mov_b32_e32 v12, 1
	s_and_saveexec_b64 s[2:3], s[10:11]
	s_cbranch_execz .LBB153_475
; %bb.467:                              ;   in Loop: Header=BB153_31 Depth=1
	v_cmp_ge_u64_e32 vcc, s[16:17], v[2:3]
	s_and_saveexec_b64 s[10:11], vcc
	s_xor_b64 s[10:11], exec, s[10:11]
	s_cbranch_execz .LBB153_472
; %bb.468:                              ;   in Loop: Header=BB153_31 Depth=1
	ds_read_b64 v[4:5], v13 offset:5120
	v_and_b32_e32 v48, s77, v48
	v_or_b32_e32 v52, s76, v52
	s_waitcnt lgkmcnt(0)
	v_cmp_ne_u64_e32 vcc, 0, v[4:5]
	s_cbranch_vccnz .LBB153_472
; %bb.469:                              ;   in Loop: Header=BB153_31 Depth=1
	v_readlane_b32 s4, v54, 12
	v_readlane_b32 s5, v54, 13
	s_and_saveexec_b64 s[46:47], s[4:5]
; %bb.470:                              ;   in Loop: Header=BB153_31 Depth=1
	v_mov_b32_e32 v4, s16
	v_mov_b32_e32 v5, s17
	ds_write_b64 v13, v[4:5] offset:5128
; %bb.471:                              ;   in Loop: Header=BB153_31 Depth=1
	s_or_b64 exec, exec, s[46:47]
	s_waitcnt lgkmcnt(0)
	s_barrier
.LBB153_472:                            ;   in Loop: Header=BB153_31 Depth=1
	s_andn2_saveexec_b64 s[10:11], s[10:11]
; %bb.473:                              ;   in Loop: Header=BB153_31 Depth=1
	v_mov_b32_e32 v4, s17
	v_subrev_co_u32_e32 v2, vcc, s16, v2
	v_subb_co_u32_e32 v3, vcc, v3, v4, vcc
; %bb.474:                              ;   in Loop: Header=BB153_31 Depth=1
	s_or_b64 exec, exec, s[10:11]
	v_mov_b32_e32 v5, v3
	v_mov_b32_e32 v12, 5
	;; [unrolled: 1-line block ×3, first 2 shown]
.LBB153_475:                            ;   in Loop: Header=BB153_31 Depth=1
	s_or_b64 exec, exec, s[2:3]
	v_mov_b32_e32 v2, v4
	s_mov_b64 s[10:11], exec
	v_mov_b32_e32 v3, v5
.LBB153_476:                            ;   in Loop: Header=BB153_31 Depth=1
	s_or_b64 exec, exec, s[0:1]
	s_orn2_b64 s[0:1], s[10:11], exec
.LBB153_477:                            ;   in Loop: Header=BB153_31 Depth=1
	s_or_b64 exec, exec, s[20:21]
	s_andn2_b64 s[2:3], s[42:43], exec
	s_and_b64 s[10:11], s[52:53], exec
	s_or_b64 s[42:43], s[2:3], s[10:11]
	s_andn2_b64 s[2:3], s[40:41], exec
	s_and_b64 s[10:11], s[50:51], exec
	v_mov_b32_e32 v5, v3
	s_or_b64 s[40:41], s[2:3], s[10:11]
	s_and_b64 s[2:3], s[0:1], exec
	v_mov_b32_e32 v4, v2
.LBB153_478:                            ;   in Loop: Header=BB153_31 Depth=1
	s_or_b64 exec, exec, s[44:45]
	s_orn2_b64 s[0:1], s[2:3], exec
.LBB153_479:                            ;   in Loop: Header=BB153_31 Depth=1
	s_or_b64 exec, exec, s[22:23]
	s_andn2_b64 s[2:3], s[36:37], exec
	s_and_b64 s[10:11], s[42:43], exec
	s_or_b64 s[36:37], s[2:3], s[10:11]
	s_andn2_b64 s[2:3], s[24:25], exec
	s_and_b64 s[10:11], s[40:41], exec
	v_mov_b32_e32 v2, v4
	s_or_b64 s[24:25], s[2:3], s[10:11]
	s_and_b64 s[2:3], s[0:1], exec
	v_mov_b32_e32 v3, v5
.LBB153_480:                            ;   in Loop: Header=BB153_31 Depth=1
	s_or_b64 exec, exec, s[38:39]
	s_orn2_b64 s[0:1], s[2:3], exec
.LBB153_481:                            ;   in Loop: Header=BB153_31 Depth=1
	s_or_b64 exec, exec, s[6:7]
	s_mov_b64 s[2:3], s[28:29]
	s_mov_b64 s[6:7], s[26:27]
	s_and_saveexec_b64 s[10:11], s[0:1]
; %bb.482:                              ;   in Loop: Header=BB153_31 Depth=1
	v_cmp_ne_u32_e64 s[6:7], 5, v12
	v_cmp_eq_u32_e32 vcc, 5, v12
	s_andn2_b64 s[0:1], s[26:27], exec
	s_and_b64 s[2:3], s[6:7], exec
	s_or_b64 s[6:7], s[0:1], s[2:3]
	s_andn2_b64 s[0:1], s[28:29], exec
	s_and_b64 s[2:3], vcc, exec
	s_or_b64 s[2:3], s[0:1], s[2:3]
; %bb.483:                              ;   in Loop: Header=BB153_31 Depth=1
	s_or_b64 exec, exec, s[10:11]
	s_andn2_b64 s[0:1], s[14:15], exec
	s_and_b64 s[10:11], s[36:37], exec
	s_or_b64 s[14:15], s[0:1], s[10:11]
	s_andn2_b64 s[0:1], s[18:19], exec
	s_and_b64 s[10:11], s[24:25], exec
	s_or_b64 s[18:19], s[0:1], s[10:11]
	s_andn2_b64 s[0:1], s[26:27], exec
	s_and_b64 s[6:7], s[6:7], exec
	s_or_b64 s[26:27], s[0:1], s[6:7]
	s_andn2_b64 s[0:1], s[28:29], exec
	s_and_b64 s[2:3], s[2:3], exec
	s_or_b64 s[28:29], s[0:1], s[2:3]
.LBB153_484:                            ;   in Loop: Header=BB153_31 Depth=1
	s_or_b64 exec, exec, s[34:35]
	s_mov_b64 s[34:35], 0
	s_mov_b64 s[36:37], 0
	s_and_saveexec_b64 s[0:1], s[28:29]
.LBB153_485:                            ;   in Loop: Header=BB153_31 Depth=1
	v_mov_b32_e32 v12, 0
	s_or_b64 s[26:27], s[26:27], exec
.LBB153_486:                            ;   in Loop: Header=BB153_31 Depth=1
	s_or_b64 exec, exec, s[0:1]
	s_andn2_b64 s[0:1], s[30:31], exec
	s_and_b64 s[6:7], s[14:15], exec
	s_or_b64 s[22:23], s[0:1], s[6:7]
	s_andn2_b64 s[0:1], s[84:85], exec
	s_and_b64 s[6:7], s[18:19], exec
	s_or_b64 s[20:21], s[0:1], s[6:7]
	;; [unrolled: 3-line block ×3, first 2 shown]
	s_andn2_b64 s[0:1], s[70:71], exec
	s_and_b64 s[6:7], s[34:35], exec
	v_mov_b32_e32 v30, v3
	s_mov_b64 s[2:3], -1
	s_andn2_b64 s[24:25], s[8:9], exec
	s_or_b64 s[4:5], s[0:1], s[6:7]
	v_mov_b32_e32 v29, v2
	s_and_saveexec_b64 s[0:1], s[26:27]
	v_readlane_b32 s26, v54, 50
	s_xor_b64 s[0:1], exec, s[0:1]
	v_readlane_b32 s27, v54, 51
	s_cbranch_execz .LBB153_30
; %bb.487:                              ;   in Loop: Header=BB153_31 Depth=1
	s_mov_b64 s[16:17], s[4:5]
	v_cmp_eq_u32_e32 vcc, 0, v12
	s_mov_b64 s[6:7], -1
	s_and_saveexec_b64 s[10:11], vcc
	s_cbranch_execz .LBB153_29
; %bb.488:                              ;   in Loop: Header=BB153_31 Depth=1
	s_add_i32 s14, s13, -2
	s_cmp_eq_u32 s13, 0
	s_cselect_b64 s[2:3], -1, 0
	v_xor_b32_e32 v51, 1, v51
	s_xor_b64 s[6:7], exec, -1
	s_orn2_b64 s[2:3], s[2:3], exec
	s_mov_b32 s13, s14
	s_branch .LBB153_29
.LBB153_489:
	s_or_b64 exec, exec, s[68:69]
	v_readlane_b32 s0, v54, 55
	v_readlane_b32 s1, v54, 56
	s_xor_b64 s[2:3], s[0:1], -1
	v_readlane_b32 s0, v54, 57
	v_readlane_b32 s1, v54, 58
	s_xor_b64 s[6:7], s[0:1], -1
	;; [unrolled: 3-line block ×5, first 2 shown]
	s_mov_b64 s[4:5], 0
	s_and_saveexec_b64 s[12:13], s[8:9]
	s_xor_b64 s[8:9], exec, s[12:13]
	s_cbranch_execnz .LBB153_494
; %bb.490:
	s_andn2_saveexec_b64 s[0:1], s[8:9]
	s_cbranch_execnz .LBB153_513
.LBB153_491:
	s_or_b64 exec, exec, s[0:1]
	s_and_saveexec_b64 s[0:1], s[4:5]
.LBB153_492:
	; divergent unreachable
.LBB153_493:
	s_endpgm
.LBB153_494:
	s_and_saveexec_b64 s[12:13], s[10:11]
	s_xor_b64 s[10:11], exec, s[12:13]
	s_cbranch_execz .LBB153_511
; %bb.495:
	s_and_saveexec_b64 s[12:13], s[6:7]
	s_xor_b64 s[12:13], exec, s[12:13]
	s_cbranch_execz .LBB153_509
; %bb.496:
	;; [unrolled: 4-line block ×3, first 2 shown]
	s_and_saveexec_b64 s[2:3], s[0:1]
	s_xor_b64 s[0:1], exec, s[2:3]
; %bb.498:
	v_xor_b32_e32 v28, 0x80000000, v48
; %bb.499:
	s_or_b64 exec, exec, s[0:1]
	s_mov_b64 s[0:1], exec
	v_readlane_b32 s2, v54, 12
	v_readlane_b32 s3, v54, 13
	;; [unrolled: 1-line block ×4, first 2 shown]
	s_and_b64 s[2:3], s[0:1], s[2:3]
	v_readlane_b32 s7, v54, 15
	v_readlane_b32 s43, v54, 17
	s_mov_b64 exec, s[2:3]
; %bb.500:
	v_mov_b32_e32 v2, 0
	v_mov_b32_e32 v3, v2
	ds_write_b64 v2, v[2:3] offset:5136
; %bb.501:
	s_or_b64 exec, exec, s[0:1]
	v_mov_b32_e32 v16, 0
	s_waitcnt lgkmcnt(0)
	s_barrier
	s_mov_b64 s[0:1], exec
	v_readlane_b32 s2, v54, 24
	v_readlane_b32 s3, v54, 25
	s_and_b64 s[2:3], s[0:1], s[2:3]
	s_mov_b64 exec, s[2:3]
	s_cbranch_execz .LBB153_503
; %bb.502:
	global_load_dword v16, v[10:11], off
.LBB153_503:
	s_or_b64 exec, exec, s[0:1]
	v_readlane_b32 s2, v54, 2
	s_add_u32 s0, s60, 63
	v_readlane_b32 s3, v54, 3
	v_readlane_b32 s4, v54, 0
	s_addc_u32 s17, s61, 0
	s_and_b32 s16, s0, 0xffffffc0
	v_readlane_b32 s5, v54, 1
	s_mul_i32 s0, s4, s3
	s_mul_hi_u32 s1, s4, s2
	s_add_i32 s0, s1, s0
	s_mul_i32 s1, s5, s2
	s_add_i32 s1, s0, s1
	s_mul_i32 s0, s4, s2
	v_readlane_b32 s4, v54, 6
	v_readlane_b32 s5, v54, 7
	s_mul_i32 s2, s4, s79
	s_mul_hi_u32 s3, s4, s78
	s_add_i32 s2, s3, s2
	s_mul_i32 s3, s5, s78
	s_add_i32 s3, s2, s3
	s_mul_i32 s2, s4, s78
	s_lshl_b64 s[0:1], s[0:1], 2
	v_readlane_b32 s4, v54, 8
	v_readlane_b32 s5, v54, 9
	s_add_u32 s4, s4, s0
	s_addc_u32 s5, s5, s1
	s_lshl_b64 s[0:1], s[56:57], 2
	s_add_u32 s36, s4, s0
	s_addc_u32 s37, s5, s1
	s_lshl_b64 s[0:1], s[2:3], 3
	v_readlane_b32 s2, v54, 10
	s_load_dwordx2 s[18:19], s[6:7], 0x368
	s_load_dwordx2 s[20:21], s[6:7], 0x510
	v_readlane_b32 s3, v54, 11
	s_add_u32 s2, s2, s0
	s_addc_u32 s3, s3, s1
	s_lshl_b64 s[0:1], s[74:75], 3
	s_add_u32 s38, s2, s0
	v_cmp_gt_u64_e32 vcc, s[16:17], v[0:1]
	s_addc_u32 s39, s3, s1
	s_mov_b64 s[6:7], -1
	s_mov_b64 s[2:3], 0
	s_mov_b64 s[4:5], 0
	s_and_saveexec_b64 s[0:1], vcc
	s_cbranch_execnz .LBB153_514
; %bb.504:
	s_or_b64 exec, exec, s[0:1]
	s_and_saveexec_b64 s[0:1], s[6:7]
	s_cbranch_execnz .LBB153_529
.LBB153_505:
	s_or_b64 exec, exec, s[0:1]
	s_and_saveexec_b64 s[0:1], s[4:5]
	s_xor_b64 s[0:1], exec, s[0:1]
	s_cbranch_execnz .LBB153_552
.LBB153_506:
	s_or_b64 exec, exec, s[0:1]
	s_and_b64 s[4:5], s[2:3], exec
.LBB153_507:
	s_andn2_saveexec_b64 s[0:1], s[14:15]
	s_cbranch_execnz .LBB153_554
.LBB153_508:
	s_or_b64 exec, exec, s[0:1]
	s_and_b64 s[4:5], s[4:5], exec
.LBB153_509:
	s_andn2_saveexec_b64 s[0:1], s[12:13]
	s_cbranch_execnz .LBB153_553
.LBB153_510:
	s_or_b64 exec, exec, s[0:1]
	s_and_b64 s[4:5], s[4:5], exec
.LBB153_511:
	s_andn2_saveexec_b64 s[0:1], s[10:11]
	s_cbranch_execnz .LBB153_548
.LBB153_512:
	s_or_b64 exec, exec, s[0:1]
	s_and_b64 s[4:5], s[4:5], exec
	s_andn2_saveexec_b64 s[0:1], s[8:9]
	s_cbranch_execz .LBB153_491
.LBB153_513:
	s_or_b64 s[4:5], s[4:5], exec
	s_trap 2
	s_or_b64 exec, exec, s[0:1]
	s_and_saveexec_b64 s[0:1], s[4:5]
	s_cbranch_execnz .LBB153_492
	s_branch .LBB153_493
.LBB153_514:
	v_add_u32_e32 v4, s33, v0
	v_mad_u64_u32 v[2:3], s[4:5], s58, v4, 0
	v_readlane_b32 s6, v54, 46
	v_readlane_b32 s7, v54, 47
	v_mad_u64_u32 v[3:4], s[4:5], s59, v4, v[3:4]
	v_readlane_b32 s4, v54, 4
	v_readlane_b32 s5, v54, 5
	s_add_u32 s4, s4, s72
	s_addc_u32 s5, s5, s73
	s_add_u32 s4, s4, s6
	v_lshlrev_b64 v[2:3], 2, v[2:3]
	s_addc_u32 s5, s5, s7
	v_mov_b32_e32 v4, s5
	v_add_co_u32_e64 v2, s[4:5], s4, v2
	v_mov_b32_e32 v13, v1
	v_xor_b32_e32 v17, 0x80000000, v28
	v_addc_co_u32_e64 v3, s[4:5], v4, v3, s[4:5]
	s_mov_b64 s[22:23], 0
	v_mov_b32_e32 v5, 0
	v_mov_b32_e32 v12, v0
                                        ; implicit-def: $sgpr24_sgpr25
                                        ; implicit-def: $vgpr8_vgpr9
	s_branch .LBB153_516
.LBB153_515:                            ;   in Loop: Header=BB153_516 Depth=1
	s_or_b64 exec, exec, s[26:27]
	s_xor_b64 s[4:5], s[28:29], -1
	s_and_b64 s[6:7], exec, s[6:7]
	s_or_b64 s[22:23], s[6:7], s[22:23]
	s_andn2_b64 s[6:7], s[24:25], exec
	s_and_b64 s[4:5], s[4:5], exec
	v_mov_b32_e32 v13, v7
	s_or_b64 s[24:25], s[6:7], s[4:5]
	v_mov_b32_e32 v16, v18
	v_mov_b32_e32 v12, v6
	s_andn2_b64 exec, exec, s[22:23]
	s_cbranch_execz .LBB153_528
.LBB153_516:                            ; =>This Inner Loop Header: Depth=1
	v_add_co_u32_e64 v6, s[4:5], s33, v12
	v_addc_co_u32_e64 v7, s[4:5], 0, v13, s[4:5]
	v_cmp_gt_u64_e64 s[4:5], s[60:61], v[6:7]
	v_mov_b32_e32 v18, 0
	s_and_saveexec_b64 s[6:7], s[4:5]
	s_cbranch_execz .LBB153_518
; %bb.517:                              ;   in Loop: Header=BB153_516 Depth=1
	global_load_dword v18, v[2:3], off
.LBB153_518:                            ;   in Loop: Header=BB153_516 Depth=1
	s_or_b64 exec, exec, s[6:7]
	s_waitcnt vmcnt(0)
	v_xor_b32_e32 v4, 0x80000000, v16
	v_cmp_gt_u32_e64 s[6:7], v4, v17
	v_cndmask_b32_e64 v14, 0, 1, s[6:7]
	v_cmp_lt_u32_e64 s[6:7], v4, v17
	v_cndmask_b32_e64 v4, 0, 1, s[6:7]
	v_cndmask_b32_e64 v4, v4, v14, s[42:43]
	v_cmp_gt_u64_e64 s[4:5], s[60:61], v[12:13]
	v_and_b32_e32 v4, 1, v4
	v_cmp_eq_u32_e64 s[6:7], 1, v4
	s_and_b64 s[28:29], s[4:5], s[6:7]
	v_cndmask_b32_e64 v4, 0, 1, s[28:29]
	v_cmp_ne_u32_e64 s[4:5], 0, v4
	s_cmp_lg_u64 s[4:5], 0
	s_cselect_b64 s[6:7], -1, 0
	s_and_b64 s[6:7], s[92:93], s[6:7]
	s_and_saveexec_b64 s[26:27], s[6:7]
	s_cbranch_execz .LBB153_522
; %bb.519:                              ;   in Loop: Header=BB153_516 Depth=1
	s_mov_b64 s[34:35], exec
	v_mbcnt_lo_u32_b32 v4, s34, 0
	v_mbcnt_hi_u32_b32 v14, s35, v4
	s_bcnt1_i32_b64 s40, s[4:5]
	v_cmp_eq_u32_e64 s[6:7], 0, v14
                                        ; implicit-def: $vgpr8_vgpr9
	s_and_saveexec_b64 s[30:31], s[6:7]
	s_cbranch_execz .LBB153_521
; %bb.520:                              ;   in Loop: Header=BB153_516 Depth=1
	s_bcnt1_i32_b64 s6, s[34:35]
	s_mul_i32 s6, s40, s6
	v_mov_b32_e32 v4, s6
	s_waitcnt lgkmcnt(0)
	ds_add_rtn_u64 v[8:9], v5, v[4:5] offset:5136
.LBB153_521:                            ;   in Loop: Header=BB153_516 Depth=1
	s_or_b64 exec, exec, s[30:31]
	s_waitcnt lgkmcnt(0)
	v_readfirstlane_b32 s6, v9
	v_readfirstlane_b32 s7, v8
	v_mov_b32_e32 v8, s7
	v_mov_b32_e32 v9, s6
	v_mad_u64_u32 v[8:9], s[6:7], s40, v14, v[8:9]
.LBB153_522:                            ;   in Loop: Header=BB153_516 Depth=1
	s_or_b64 exec, exec, s[26:27]
	s_waitcnt lgkmcnt(0)
	ds_bpermute_b32 v8, v41, v8
	ds_bpermute_b32 v9, v41, v9
	s_mov_b64 s[6:7], -1
	s_mov_b64 s[30:31], -1
	s_and_saveexec_b64 s[26:27], s[28:29]
	s_cbranch_execz .LBB153_526
; %bb.523:                              ;   in Loop: Header=BB153_516 Depth=1
	v_and_b32_e32 v14, s4, v43
	v_and_b32_e32 v4, s5, v42
	v_bcnt_u32_b32 v14, v14, 0
	v_bcnt_u32_b32 v4, v4, v14
	s_waitcnt lgkmcnt(0)
	v_add_co_u32_e64 v14, s[4:5], v8, v4
	v_addc_co_u32_e64 v15, s[4:5], 0, v9, s[4:5]
	v_cmp_gt_u64_e64 s[4:5], s[62:63], v[14:15]
	s_mov_b64 s[28:29], 0
	s_and_saveexec_b64 s[30:31], s[4:5]
; %bb.524:                              ;   in Loop: Header=BB153_516 Depth=1
	v_mul_lo_u32 v4, v15, s18
	v_mul_lo_u32 v21, v14, s19
	v_mad_u64_u32 v[19:20], s[4:5], v14, s18, 0
	v_mul_lo_u32 v22, v15, s20
	v_mul_lo_u32 v23, v14, s21
	v_mad_u64_u32 v[14:15], s[4:5], v14, s20, 0
	v_add3_u32 v20, v20, v21, v4
	v_lshlrev_b64 v[19:20], 2, v[19:20]
	v_add3_u32 v15, v15, v23, v22
	v_mov_b32_e32 v4, s37
	v_add_co_u32_e64 v19, s[4:5], s36, v19
	v_lshlrev_b64 v[14:15], 3, v[14:15]
	v_addc_co_u32_e64 v20, s[4:5], v4, v20, s[4:5]
	v_mov_b32_e32 v4, s39
	v_add_co_u32_e64 v14, s[4:5], s38, v14
	s_mov_b64 s[28:29], exec
	v_addc_co_u32_e64 v15, s[4:5], v4, v15, s[4:5]
	global_store_dword v[19:20], v16, off
	global_store_dwordx2 v[14:15], v[12:13], off
; %bb.525:                              ;   in Loop: Header=BB153_516 Depth=1
	s_or_b64 exec, exec, s[30:31]
	s_orn2_b64 s[30:31], s[28:29], exec
.LBB153_526:                            ;   in Loop: Header=BB153_516 Depth=1
	s_or_b64 exec, exec, s[26:27]
	s_mov_b64 s[28:29], -1
	s_and_saveexec_b64 s[26:27], s[30:31]
	s_cbranch_execz .LBB153_515
; %bb.527:                              ;   in Loop: Header=BB153_516 Depth=1
	v_readlane_b32 s4, v54, 48
	v_readlane_b32 s5, v54, 49
	v_mov_b32_e32 v4, s5
	v_add_co_u32_e64 v2, s[4:5], s4, v2
	v_addc_co_u32_e64 v3, s[4:5], v3, v4, s[4:5]
	v_cmp_le_u64_e64 s[4:5], s[16:17], v[6:7]
	s_xor_b64 s[28:29], exec, -1
	s_orn2_b64 s[6:7], s[4:5], exec
	s_branch .LBB153_515
.LBB153_528:
	s_or_b64 exec, exec, s[22:23]
	s_mov_b64 s[4:5], exec
	s_orn2_b64 s[6:7], s[24:25], exec
	s_or_b64 exec, exec, s[0:1]
	s_and_saveexec_b64 s[0:1], s[6:7]
	s_cbranch_execz .LBB153_505
.LBB153_529:
	v_mov_b32_e32 v4, 0
	s_waitcnt vmcnt(0) lgkmcnt(0)
	s_barrier
	s_mov_b64 s[2:3], exec
	v_readlane_b32 s6, v54, 24
	v_readlane_b32 s7, v54, 25
	s_and_b64 s[6:7], s[2:3], s[6:7]
	s_mov_b64 exec, s[6:7]
	s_cbranch_execz .LBB153_531
; %bb.530:
	global_load_dword v4, v[10:11], off
.LBB153_531:
	s_or_b64 exec, exec, s[2:3]
	s_mov_b64 s[2:3], 0
	s_and_saveexec_b64 s[6:7], vcc
	s_cbranch_execz .LBB153_551
; %bb.532:
	v_add_u32_e32 v5, s33, v0
	v_mad_u64_u32 v[2:3], s[2:3], s58, v5, 0
	v_readlane_b32 s22, v54, 4
	v_readlane_b32 s23, v54, 5
	s_waitcnt vmcnt(0)
	v_mad_u64_u32 v[5:6], s[2:3], s59, v5, v[3:4]
	s_add_u32 s22, s22, s72
	s_addc_u32 s2, s23, s73
	v_readlane_b32 s24, v54, 46
	v_mov_b32_e32 v3, v5
	v_readlane_b32 s25, v54, 47
	s_add_u32 s3, s22, s24
	v_lshlrev_b64 v[2:3], 2, v[2:3]
	s_addc_u32 s2, s2, s25
	v_mov_b32_e32 v5, s2
	v_add_co_u32_e32 v2, vcc, s3, v2
	v_addc_co_u32_e32 v3, vcc, v5, v3, vcc
	s_mov_b64 s[22:23], 0
	v_mov_b32_e32 v5, 0
                                        ; implicit-def: $sgpr24_sgpr25
                                        ; implicit-def: $vgpr8_vgpr9
	s_branch .LBB153_535
.LBB153_533:                            ;   in Loop: Header=BB153_535 Depth=1
	s_or_b64 exec, exec, s[28:29]
	s_orn2_b64 s[30:31], s[34:35], exec
	s_orn2_b64 s[28:29], s[26:27], exec
.LBB153_534:                            ;   in Loop: Header=BB153_535 Depth=1
	s_or_b64 exec, exec, s[2:3]
	s_xor_b64 s[2:3], s[30:31], -1
	s_and_b64 s[26:27], exec, s[28:29]
	s_or_b64 s[22:23], s[26:27], s[22:23]
	s_andn2_b64 s[24:25], s[24:25], exec
	s_and_b64 s[2:3], s[2:3], exec
	v_mov_b32_e32 v0, v6
	s_or_b64 s[24:25], s[24:25], s[2:3]
	v_mov_b32_e32 v1, v7
	s_waitcnt vmcnt(0)
	v_mov_b32_e32 v4, v12
	s_andn2_b64 exec, exec, s[22:23]
	s_cbranch_execz .LBB153_549
.LBB153_535:                            ; =>This Inner Loop Header: Depth=1
	v_add_co_u32_e32 v6, vcc, s33, v0
	v_addc_co_u32_e32 v7, vcc, 0, v1, vcc
	v_cmp_gt_u64_e32 vcc, s[60:61], v[6:7]
	v_mov_b32_e32 v12, 0
	s_and_saveexec_b64 s[2:3], vcc
	s_cbranch_execz .LBB153_537
; %bb.536:                              ;   in Loop: Header=BB153_535 Depth=1
	global_load_dword v12, v[2:3], off
.LBB153_537:                            ;   in Loop: Header=BB153_535 Depth=1
	s_or_b64 exec, exec, s[2:3]
	v_cmp_gt_u64_e32 vcc, s[60:61], v[0:1]
	v_cmp_eq_u32_e64 s[2:3], v4, v28
	s_and_b64 s[26:27], vcc, s[2:3]
	v_cndmask_b32_e64 v4, 0, 1, s[26:27]
	v_cmp_ne_u32_e32 vcc, 0, v4
	s_cmp_lg_u64 vcc, 0
	s_cselect_b64 s[2:3], -1, 0
	s_and_b64 s[2:3], s[92:93], s[2:3]
	s_and_saveexec_b64 s[28:29], s[2:3]
	s_cbranch_execz .LBB153_541
; %bb.538:                              ;   in Loop: Header=BB153_535 Depth=1
	s_mov_b64 s[34:35], exec
	v_mbcnt_lo_u32_b32 v4, s34, 0
	v_mbcnt_hi_u32_b32 v10, s35, v4
	s_bcnt1_i32_b64 s40, vcc
	v_cmp_eq_u32_e64 s[2:3], 0, v10
                                        ; implicit-def: $vgpr8_vgpr9
	s_and_saveexec_b64 s[30:31], s[2:3]
; %bb.539:                              ;   in Loop: Header=BB153_535 Depth=1
	s_bcnt1_i32_b64 s2, s[34:35]
	s_mul_i32 s2, s40, s2
	v_mov_b32_e32 v4, s2
	ds_add_rtn_u64 v[8:9], v5, v[4:5] offset:5136
; %bb.540:                              ;   in Loop: Header=BB153_535 Depth=1
	s_or_b64 exec, exec, s[30:31]
	s_waitcnt lgkmcnt(0)
	v_readfirstlane_b32 s2, v9
	v_readfirstlane_b32 s3, v8
	v_mov_b32_e32 v8, s3
	v_mov_b32_e32 v9, s2
	v_mad_u64_u32 v[8:9], s[2:3], s40, v10, v[8:9]
.LBB153_541:                            ;   in Loop: Header=BB153_535 Depth=1
	s_or_b64 exec, exec, s[28:29]
	ds_bpermute_b32 v8, v41, v8
	ds_bpermute_b32 v9, v41, v9
	s_cmp_eq_u64 vcc, 0
	s_cselect_b64 s[30:31], -1, 0
	s_mov_b64 s[28:29], -1
	s_waitcnt lgkmcnt(0)
	v_cmp_gt_u64_e64 s[2:3], s[62:63], v[8:9]
	s_or_b64 s[34:35], s[30:31], s[2:3]
	s_mov_b64 s[30:31], -1
	s_and_saveexec_b64 s[2:3], s[34:35]
	s_cbranch_execz .LBB153_534
; %bb.542:                              ;   in Loop: Header=BB153_535 Depth=1
	v_and_b32_e32 v10, vcc_lo, v43
	v_and_b32_e32 v4, vcc_hi, v42
	v_bcnt_u32_b32 v10, v10, 0
	v_bcnt_u32_b32 v4, v4, v10
	v_mov_b32_e32 v11, s63
	v_sub_co_u32_e32 v10, vcc, s62, v8
	v_subb_co_u32_e32 v11, vcc, v11, v9, vcc
	v_cmp_gt_u64_e32 vcc, v[10:11], v[4:5]
	s_mov_b64 s[34:35], -1
	s_and_b64 s[40:41], s[26:27], vcc
	s_mov_b64 s[26:27], -1
	s_and_saveexec_b64 s[28:29], s[40:41]
	s_cbranch_execz .LBB153_546
; %bb.543:                              ;   in Loop: Header=BB153_535 Depth=1
	v_add_co_u32_e32 v10, vcc, v8, v4
	v_addc_co_u32_e32 v11, vcc, 0, v9, vcc
	v_cmp_gt_u64_e32 vcc, s[62:63], v[10:11]
	s_mov_b64 s[30:31], 0
	s_and_saveexec_b64 s[34:35], vcc
; %bb.544:                              ;   in Loop: Header=BB153_535 Depth=1
	v_mul_lo_u32 v4, v11, s18
	v_mul_lo_u32 v15, v10, s19
	v_mad_u64_u32 v[13:14], s[40:41], v10, s18, 0
	v_mul_lo_u32 v16, v11, s20
	v_mul_lo_u32 v17, v10, s21
	v_mad_u64_u32 v[10:11], s[40:41], v10, s20, 0
	v_add3_u32 v14, v14, v15, v4
	v_lshlrev_b64 v[13:14], 2, v[13:14]
	v_add3_u32 v11, v11, v17, v16
	v_mov_b32_e32 v4, s37
	v_add_co_u32_e32 v13, vcc, s36, v13
	v_lshlrev_b64 v[10:11], 3, v[10:11]
	v_addc_co_u32_e32 v14, vcc, v4, v14, vcc
	v_mov_b32_e32 v4, s39
	v_add_co_u32_e32 v10, vcc, s38, v10
	s_mov_b64 s[30:31], exec
	v_addc_co_u32_e32 v11, vcc, v4, v11, vcc
	global_store_dword v[13:14], v28, off
	global_store_dwordx2 v[10:11], v[0:1], off
; %bb.545:                              ;   in Loop: Header=BB153_535 Depth=1
	s_or_b64 exec, exec, s[34:35]
	s_xor_b64 s[34:35], exec, -1
	s_orn2_b64 s[30:31], s[30:31], exec
.LBB153_546:                            ;   in Loop: Header=BB153_535 Depth=1
	s_or_b64 exec, exec, s[28:29]
	s_and_saveexec_b64 s[28:29], s[30:31]
	s_cbranch_execz .LBB153_533
; %bb.547:                              ;   in Loop: Header=BB153_535 Depth=1
	v_readlane_b32 s26, v54, 48
	v_readlane_b32 s27, v54, 49
	v_mov_b32_e32 v0, s27
	v_add_co_u32_e32 v2, vcc, s26, v2
	v_addc_co_u32_e32 v3, vcc, v3, v0, vcc
	v_cmp_le_u64_e32 vcc, s[16:17], v[6:7]
	s_or_b64 s[34:35], s[34:35], exec
	s_orn2_b64 s[26:27], vcc, exec
	s_branch .LBB153_533
.LBB153_548:
	s_or_b64 s[4:5], s[4:5], exec
	s_trap 2
	s_branch .LBB153_512
.LBB153_549:
	s_or_b64 exec, exec, s[22:23]
	s_mov_b64 s[2:3], 0
	s_and_saveexec_b64 s[16:17], s[24:25]
	s_xor_b64 s[16:17], exec, s[16:17]
	s_cbranch_execnz .LBB153_555
.LBB153_550:
	s_or_b64 exec, exec, s[16:17]
	s_and_b64 s[2:3], s[2:3], exec
.LBB153_551:
	s_or_b64 exec, exec, s[6:7]
	s_and_b64 s[2:3], s[2:3], exec
	s_andn2_b64 s[4:5], s[4:5], exec
	s_or_b64 exec, exec, s[0:1]
	s_and_saveexec_b64 s[0:1], s[4:5]
	s_xor_b64 s[0:1], exec, s[0:1]
	s_cbranch_execz .LBB153_506
.LBB153_552:
	s_trap 2
	s_or_b64 s[2:3], s[2:3], exec
	s_branch .LBB153_506
.LBB153_553:
	s_or_b64 s[4:5], s[4:5], exec
	s_trap 2
	s_branch .LBB153_510
.LBB153_554:
	s_trap 2
	s_or_b64 s[4:5], s[4:5], exec
	s_branch .LBB153_508
.LBB153_555:
	s_mov_b64 s[2:3], exec
	s_trap 2
	s_branch .LBB153_550
	.section	.rodata,"a",@progbits
	.p2align	6, 0x0
	.amdhsa_kernel _ZN2at6native6sbtopk10gatherTopKIimLin1ELb0EEEvNS_4cuda6detail10TensorInfoIKT_T0_EES8_S8_bS8_S8_NS5_IS6_S8_EES8_NS5_IlS8_EES8_PS6_
		.amdhsa_group_segment_fixed_size 5152
		.amdhsa_private_segment_fixed_size 0
		.amdhsa_kernarg_size 1568
		.amdhsa_user_sgpr_count 6
		.amdhsa_user_sgpr_private_segment_buffer 1
		.amdhsa_user_sgpr_dispatch_ptr 0
		.amdhsa_user_sgpr_queue_ptr 0
		.amdhsa_user_sgpr_kernarg_segment_ptr 1
		.amdhsa_user_sgpr_dispatch_id 0
		.amdhsa_user_sgpr_flat_scratch_init 0
		.amdhsa_user_sgpr_private_segment_size 0
		.amdhsa_uses_dynamic_stack 0
		.amdhsa_system_sgpr_private_segment_wavefront_offset 0
		.amdhsa_system_sgpr_workgroup_id_x 1
		.amdhsa_system_sgpr_workgroup_id_y 1
		.amdhsa_system_sgpr_workgroup_id_z 1
		.amdhsa_system_sgpr_workgroup_info 0
		.amdhsa_system_vgpr_workitem_id 0
		.amdhsa_next_free_vgpr 55
		.amdhsa_next_free_sgpr 96
		.amdhsa_reserve_vcc 1
		.amdhsa_reserve_flat_scratch 0
		.amdhsa_float_round_mode_32 0
		.amdhsa_float_round_mode_16_64 0
		.amdhsa_float_denorm_mode_32 3
		.amdhsa_float_denorm_mode_16_64 3
		.amdhsa_dx10_clamp 1
		.amdhsa_ieee_mode 1
		.amdhsa_fp16_overflow 0
		.amdhsa_exception_fp_ieee_invalid_op 0
		.amdhsa_exception_fp_denorm_src 0
		.amdhsa_exception_fp_ieee_div_zero 0
		.amdhsa_exception_fp_ieee_overflow 0
		.amdhsa_exception_fp_ieee_underflow 0
		.amdhsa_exception_fp_ieee_inexact 0
		.amdhsa_exception_int_div_zero 0
	.end_amdhsa_kernel
	.section	.text._ZN2at6native6sbtopk10gatherTopKIimLin1ELb0EEEvNS_4cuda6detail10TensorInfoIKT_T0_EES8_S8_bS8_S8_NS5_IS6_S8_EES8_NS5_IlS8_EES8_PS6_,"axG",@progbits,_ZN2at6native6sbtopk10gatherTopKIimLin1ELb0EEEvNS_4cuda6detail10TensorInfoIKT_T0_EES8_S8_bS8_S8_NS5_IS6_S8_EES8_NS5_IlS8_EES8_PS6_,comdat
.Lfunc_end153:
	.size	_ZN2at6native6sbtopk10gatherTopKIimLin1ELb0EEEvNS_4cuda6detail10TensorInfoIKT_T0_EES8_S8_bS8_S8_NS5_IS6_S8_EES8_NS5_IlS8_EES8_PS6_, .Lfunc_end153-_ZN2at6native6sbtopk10gatherTopKIimLin1ELb0EEEvNS_4cuda6detail10TensorInfoIKT_T0_EES8_S8_bS8_S8_NS5_IS6_S8_EES8_NS5_IlS8_EES8_PS6_
                                        ; -- End function
	.set _ZN2at6native6sbtopk10gatherTopKIimLin1ELb0EEEvNS_4cuda6detail10TensorInfoIKT_T0_EES8_S8_bS8_S8_NS5_IS6_S8_EES8_NS5_IlS8_EES8_PS6_.num_vgpr, 55
	.set _ZN2at6native6sbtopk10gatherTopKIimLin1ELb0EEEvNS_4cuda6detail10TensorInfoIKT_T0_EES8_S8_bS8_S8_NS5_IS6_S8_EES8_NS5_IlS8_EES8_PS6_.num_agpr, 0
	.set _ZN2at6native6sbtopk10gatherTopKIimLin1ELb0EEEvNS_4cuda6detail10TensorInfoIKT_T0_EES8_S8_bS8_S8_NS5_IS6_S8_EES8_NS5_IlS8_EES8_PS6_.numbered_sgpr, 96
	.set _ZN2at6native6sbtopk10gatherTopKIimLin1ELb0EEEvNS_4cuda6detail10TensorInfoIKT_T0_EES8_S8_bS8_S8_NS5_IS6_S8_EES8_NS5_IlS8_EES8_PS6_.num_named_barrier, 0
	.set _ZN2at6native6sbtopk10gatherTopKIimLin1ELb0EEEvNS_4cuda6detail10TensorInfoIKT_T0_EES8_S8_bS8_S8_NS5_IS6_S8_EES8_NS5_IlS8_EES8_PS6_.private_seg_size, 0
	.set _ZN2at6native6sbtopk10gatherTopKIimLin1ELb0EEEvNS_4cuda6detail10TensorInfoIKT_T0_EES8_S8_bS8_S8_NS5_IS6_S8_EES8_NS5_IlS8_EES8_PS6_.uses_vcc, 1
	.set _ZN2at6native6sbtopk10gatherTopKIimLin1ELb0EEEvNS_4cuda6detail10TensorInfoIKT_T0_EES8_S8_bS8_S8_NS5_IS6_S8_EES8_NS5_IlS8_EES8_PS6_.uses_flat_scratch, 0
	.set _ZN2at6native6sbtopk10gatherTopKIimLin1ELb0EEEvNS_4cuda6detail10TensorInfoIKT_T0_EES8_S8_bS8_S8_NS5_IS6_S8_EES8_NS5_IlS8_EES8_PS6_.has_dyn_sized_stack, 0
	.set _ZN2at6native6sbtopk10gatherTopKIimLin1ELb0EEEvNS_4cuda6detail10TensorInfoIKT_T0_EES8_S8_bS8_S8_NS5_IS6_S8_EES8_NS5_IlS8_EES8_PS6_.has_recursion, 0
	.set _ZN2at6native6sbtopk10gatherTopKIimLin1ELb0EEEvNS_4cuda6detail10TensorInfoIKT_T0_EES8_S8_bS8_S8_NS5_IS6_S8_EES8_NS5_IlS8_EES8_PS6_.has_indirect_call, 0
	.section	.AMDGPU.csdata,"",@progbits
; Kernel info:
; codeLenInByte = 27920
; TotalNumSgprs: 100
; NumVgprs: 55
; ScratchSize: 0
; MemoryBound: 0
; FloatMode: 240
; IeeeMode: 1
; LDSByteSize: 5152 bytes/workgroup (compile time only)
; SGPRBlocks: 12
; VGPRBlocks: 13
; NumSGPRsForWavesPerEU: 100
; NumVGPRsForWavesPerEU: 55
; Occupancy: 4
; WaveLimiterHint : 1
; COMPUTE_PGM_RSRC2:SCRATCH_EN: 0
; COMPUTE_PGM_RSRC2:USER_SGPR: 6
; COMPUTE_PGM_RSRC2:TRAP_HANDLER: 0
; COMPUTE_PGM_RSRC2:TGID_X_EN: 1
; COMPUTE_PGM_RSRC2:TGID_Y_EN: 1
; COMPUTE_PGM_RSRC2:TGID_Z_EN: 1
; COMPUTE_PGM_RSRC2:TIDIG_COMP_CNT: 0
	.section	.text._ZN2at6native6mbtopk23computeBlockDigitCountsIlmmLi1EEEvNS_4cuda6detail10TensorInfoIKT_T0_EEjPjjS8_iijT1_PSB_Ps,"axG",@progbits,_ZN2at6native6mbtopk23computeBlockDigitCountsIlmmLi1EEEvNS_4cuda6detail10TensorInfoIKT_T0_EEjPjjS8_iijT1_PSB_Ps,comdat
	.protected	_ZN2at6native6mbtopk23computeBlockDigitCountsIlmmLi1EEEvNS_4cuda6detail10TensorInfoIKT_T0_EEjPjjS8_iijT1_PSB_Ps ; -- Begin function _ZN2at6native6mbtopk23computeBlockDigitCountsIlmmLi1EEEvNS_4cuda6detail10TensorInfoIKT_T0_EEjPjjS8_iijT1_PSB_Ps
	.globl	_ZN2at6native6mbtopk23computeBlockDigitCountsIlmmLi1EEEvNS_4cuda6detail10TensorInfoIKT_T0_EEjPjjS8_iijT1_PSB_Ps
	.p2align	8
	.type	_ZN2at6native6mbtopk23computeBlockDigitCountsIlmmLi1EEEvNS_4cuda6detail10TensorInfoIKT_T0_EEjPjjS8_iijT1_PSB_Ps,@function
_ZN2at6native6mbtopk23computeBlockDigitCountsIlmmLi1EEEvNS_4cuda6detail10TensorInfoIKT_T0_EEjPjjS8_iijT1_PSB_Ps: ; @_ZN2at6native6mbtopk23computeBlockDigitCountsIlmmLi1EEEvNS_4cuda6detail10TensorInfoIKT_T0_EEjPjjS8_iijT1_PSB_Ps
; %bb.0:
	s_load_dwordx4 s[0:3], s[4:5], 0x1c0
	s_load_dwordx2 s[10:11], s[4:5], 0x1e8
	s_waitcnt lgkmcnt(0)
	s_load_dword s3, s[4:5], 0x1b0
	s_mov_b32 s13, 0
	v_cvt_f32_u32_e32 v1, s2
	s_mul_i32 s8, s11, s8
	s_add_i32 s7, s8, s7
	s_mul_i32 s16, s7, s10
	v_rcp_iflag_f32_e32 v1, v1
	s_sub_i32 s9, 0, s2
	s_add_i32 s16, s16, s6
	v_mul_f32_e32 v1, 0x4f7ffffe, v1
	v_cvt_u32_f32_e32 v1, v1
	v_readfirstlane_b32 s6, v1
	s_mul_i32 s9, s9, s6
	s_mul_hi_u32 s7, s6, s9
	s_add_i32 s6, s6, s7
	s_mul_hi_u32 s6, s16, s6
	s_mul_i32 s7, s6, s2
	s_sub_i32 s7, s16, s7
	s_add_i32 s8, s6, 1
	s_sub_i32 s9, s7, s2
	s_cmp_ge_u32 s7, s2
	s_cselect_b32 s6, s8, s6
	s_cselect_b32 s7, s9, s7
	s_add_i32 s8, s6, 1
	s_cmp_ge_u32 s7, s2
	s_cselect_b32 s12, s8, s6
	s_waitcnt lgkmcnt(0)
	s_cmp_ge_u32 s12, s3
	s_cbranch_scc1 .LBB154_21
; %bb.1:
	s_load_dwordx4 s[8:11], s[4:5], 0x1d0
	s_load_dwordx2 s[6:7], s[4:5], 0x1e0
	s_lshl_b64 s[14:15], s[12:13], 3
	s_movk_i32 s3, 0x100
	v_cmp_gt_u32_e32 vcc, s3, v0
	s_waitcnt lgkmcnt(0)
	s_add_u32 s14, s10, s14
	s_addc_u32 s15, s11, s15
	v_lshlrev_b32_e32 v3, 2, v0
	s_and_saveexec_b64 s[10:11], vcc
; %bb.2:
	v_mov_b32_e32 v1, 0
	ds_write_b32 v3, v1
; %bb.3:
	s_or_b64 exec, exec, s[10:11]
	s_load_dword s13, s[4:5], 0x1a0
	s_mul_i32 s3, s12, s2
	s_sub_i32 s3, s16, s3
	s_add_i32 s17, s3, 1
	s_mul_i32 s3, s1, s3
	s_lshl_b32 s18, s3, 8
	s_waitcnt lgkmcnt(0)
	s_sub_i32 s3, s13, s18
	s_add_u32 s10, s3, 0xff
	s_addc_u32 s11, 0, 0
	s_lshr_b64 s[10:11], s[10:11], 8
	s_cmp_lt_u32 s17, s2
	s_cselect_b32 s17, s1, s10
	s_cmp_lt_i32 s17, 1
	s_mov_b32 s1, 0
	s_barrier
	s_cbranch_scc1 .LBB154_19
; %bb.4:
	s_load_dwordx2 s[20:21], s[4:5], 0xd0
	s_load_dwordx2 s[10:11], s[4:5], 0x1b8
	;; [unrolled: 1-line block ×4, first 2 shown]
	v_add_u32_e32 v4, s18, v0
	s_waitcnt lgkmcnt(0)
	s_mul_i32 s4, s21, s12
	s_mul_hi_u32 s5, s20, s12
	s_add_i32 s5, s5, s4
	s_mul_i32 s4, s20, s12
	s_lshl_b64 s[4:5], s[4:5], 3
	s_add_u32 s14, s22, s4
	s_addc_u32 s15, s23, s5
	s_and_b32 s12, s0, 0xff
	s_cmp_eq_u32 s17, 1
	s_cbranch_scc1 .LBB154_14
; %bb.5:
	s_and_b32 s18, s17, 0x7ffffffe
	s_mov_b32 s19, 0
	v_mov_b32_e32 v5, 1
	v_mov_b32_e32 v6, 2
	;; [unrolled: 1-line block ×3, first 2 shown]
	s_branch .LBB154_7
.LBB154_6:                              ;   in Loop: Header=BB154_7 Depth=1
	s_or_b64 exec, exec, s[4:5]
	s_add_i32 s19, s19, 2
	s_cmp_eq_u32 s18, s19
	v_add_u32_e32 v7, 0x200, v7
	s_cbranch_scc1 .LBB154_13
.LBB154_7:                              ; =>This Inner Loop Header: Depth=1
	v_cmp_gt_u32_e64 s[0:1], s13, v7
	s_and_saveexec_b64 s[4:5], s[0:1]
	s_cbranch_execz .LBB154_10
; %bb.8:                                ;   in Loop: Header=BB154_7 Depth=1
	v_mad_u64_u32 v[1:2], s[0:1], s10, v7, 0
	v_mad_u64_u32 v[8:9], s[0:1], s11, v7, v[2:3]
	v_mov_b32_e32 v9, s15
	v_mov_b32_e32 v2, v8
	v_lshlrev_b64 v[1:2], 3, v[1:2]
	v_add_co_u32_e64 v1, s[0:1], s14, v1
	v_addc_co_u32_e64 v2, s[0:1], v9, v2, s[0:1]
	global_load_dwordx2 v[1:2], v[1:2], off
	s_waitcnt vmcnt(0)
	v_xor_b32_e32 v2, 0x80000000, v2
	v_xor_b32_e32 v8, s2, v1
	;; [unrolled: 1-line block ×3, first 2 shown]
	v_and_b32_e32 v9, s9, v9
	v_and_b32_e32 v8, s8, v8
	v_cmp_eq_u64_e64 s[0:1], 0, v[8:9]
	s_and_b64 exec, exec, s[0:1]
; %bb.9:                                ;   in Loop: Header=BB154_7 Depth=1
	v_lshrrev_b64 v[1:2], s12, v[1:2]
	v_lshlrev_b32_sdwa v1, v6, v1 dst_sel:DWORD dst_unused:UNUSED_PAD src0_sel:DWORD src1_sel:BYTE_0
	ds_add_u32 v1, v5
.LBB154_10:                             ;   in Loop: Header=BB154_7 Depth=1
	s_or_b64 exec, exec, s[4:5]
	v_add_u32_e32 v1, 0x100, v7
	v_cmp_gt_u32_e64 s[0:1], s13, v1
	s_and_saveexec_b64 s[4:5], s[0:1]
	s_cbranch_execz .LBB154_6
; %bb.11:                               ;   in Loop: Header=BB154_7 Depth=1
	v_mad_u64_u32 v[8:9], s[0:1], s10, v1, 0
	v_mov_b32_e32 v10, s15
	v_mov_b32_e32 v2, v9
	v_mad_u64_u32 v[1:2], s[0:1], s11, v1, v[2:3]
	v_mov_b32_e32 v9, v1
	v_lshlrev_b64 v[1:2], 3, v[8:9]
	v_add_co_u32_e64 v1, s[0:1], s14, v1
	v_addc_co_u32_e64 v2, s[0:1], v10, v2, s[0:1]
	global_load_dwordx2 v[1:2], v[1:2], off
	s_waitcnt vmcnt(0)
	v_xor_b32_e32 v2, 0x80000000, v2
	v_xor_b32_e32 v8, s2, v1
	;; [unrolled: 1-line block ×3, first 2 shown]
	v_and_b32_e32 v9, s9, v9
	v_and_b32_e32 v8, s8, v8
	v_cmp_eq_u64_e64 s[0:1], 0, v[8:9]
	s_and_b64 exec, exec, s[0:1]
	s_cbranch_execz .LBB154_6
; %bb.12:                               ;   in Loop: Header=BB154_7 Depth=1
	v_lshrrev_b64 v[1:2], s12, v[1:2]
	v_lshlrev_b32_sdwa v1, v6, v1 dst_sel:DWORD dst_unused:UNUSED_PAD src0_sel:DWORD src1_sel:BYTE_0
	ds_add_u32 v1, v5
	s_branch .LBB154_6
.LBB154_13:
	s_lshl_b32 s1, s18, 8
.LBB154_14:
	s_bitcmp0_b32 s17, 0
	s_cbranch_scc1 .LBB154_19
; %bb.15:
	v_add_u32_e32 v1, s1, v4
	v_cmp_gt_u32_e64 s[0:1], s13, v1
	s_and_saveexec_b64 s[4:5], s[0:1]
	s_cbranch_execz .LBB154_18
; %bb.16:
	v_mad_u64_u32 v[4:5], s[0:1], s10, v1, 0
	v_mov_b32_e32 v6, s15
	v_mov_b32_e32 v2, v5
	v_mad_u64_u32 v[1:2], s[0:1], s11, v1, v[2:3]
	v_mov_b32_e32 v5, v1
	v_lshlrev_b64 v[1:2], 3, v[4:5]
	v_add_co_u32_e64 v1, s[0:1], s14, v1
	v_addc_co_u32_e64 v2, s[0:1], v6, v2, s[0:1]
	global_load_dwordx2 v[1:2], v[1:2], off
	s_waitcnt vmcnt(0)
	v_xor_b32_e32 v2, 0x80000000, v2
	v_xor_b32_e32 v4, s2, v1
	;; [unrolled: 1-line block ×3, first 2 shown]
	v_and_b32_e32 v5, s9, v5
	v_and_b32_e32 v4, s8, v4
	v_cmp_eq_u64_e64 s[0:1], 0, v[4:5]
	s_and_b64 exec, exec, s[0:1]
	s_cbranch_execz .LBB154_18
; %bb.17:
	v_lshrrev_b64 v[1:2], s12, v[1:2]
	v_mov_b32_e32 v2, 2
	v_lshlrev_b32_sdwa v1, v2, v1 dst_sel:DWORD dst_unused:UNUSED_PAD src0_sel:DWORD src1_sel:BYTE_0
	v_mov_b32_e32 v2, 1
	ds_add_u32 v1, v2
.LBB154_18:
	s_or_b64 exec, exec, s[4:5]
.LBB154_19:
	s_waitcnt lgkmcnt(0)
	s_barrier
	s_and_saveexec_b64 s[0:1], vcc
	s_cbranch_execz .LBB154_21
; %bb.20:
	v_lshl_or_b32 v0, s16, 8, v0
	v_mov_b32_e32 v1, 0
	ds_read_b32 v3, v3
	v_lshlrev_b64 v[0:1], 1, v[0:1]
	v_mov_b32_e32 v2, s7
	v_add_co_u32_e32 v0, vcc, s6, v0
	v_addc_co_u32_e32 v1, vcc, v2, v1, vcc
	s_waitcnt lgkmcnt(0)
	global_store_short v[0:1], v3, off
.LBB154_21:
	s_endpgm
	.section	.rodata,"a",@progbits
	.p2align	6, 0x0
	.amdhsa_kernel _ZN2at6native6mbtopk23computeBlockDigitCountsIlmmLi1EEEvNS_4cuda6detail10TensorInfoIKT_T0_EEjPjjS8_iijT1_PSB_Ps
		.amdhsa_group_segment_fixed_size 1024
		.amdhsa_private_segment_fixed_size 0
		.amdhsa_kernarg_size 744
		.amdhsa_user_sgpr_count 6
		.amdhsa_user_sgpr_private_segment_buffer 1
		.amdhsa_user_sgpr_dispatch_ptr 0
		.amdhsa_user_sgpr_queue_ptr 0
		.amdhsa_user_sgpr_kernarg_segment_ptr 1
		.amdhsa_user_sgpr_dispatch_id 0
		.amdhsa_user_sgpr_flat_scratch_init 0
		.amdhsa_user_sgpr_private_segment_size 0
		.amdhsa_uses_dynamic_stack 0
		.amdhsa_system_sgpr_private_segment_wavefront_offset 0
		.amdhsa_system_sgpr_workgroup_id_x 1
		.amdhsa_system_sgpr_workgroup_id_y 1
		.amdhsa_system_sgpr_workgroup_id_z 1
		.amdhsa_system_sgpr_workgroup_info 0
		.amdhsa_system_vgpr_workitem_id 0
		.amdhsa_next_free_vgpr 11
		.amdhsa_next_free_sgpr 24
		.amdhsa_reserve_vcc 1
		.amdhsa_reserve_flat_scratch 0
		.amdhsa_float_round_mode_32 0
		.amdhsa_float_round_mode_16_64 0
		.amdhsa_float_denorm_mode_32 3
		.amdhsa_float_denorm_mode_16_64 3
		.amdhsa_dx10_clamp 1
		.amdhsa_ieee_mode 1
		.amdhsa_fp16_overflow 0
		.amdhsa_exception_fp_ieee_invalid_op 0
		.amdhsa_exception_fp_denorm_src 0
		.amdhsa_exception_fp_ieee_div_zero 0
		.amdhsa_exception_fp_ieee_overflow 0
		.amdhsa_exception_fp_ieee_underflow 0
		.amdhsa_exception_fp_ieee_inexact 0
		.amdhsa_exception_int_div_zero 0
	.end_amdhsa_kernel
	.section	.text._ZN2at6native6mbtopk23computeBlockDigitCountsIlmmLi1EEEvNS_4cuda6detail10TensorInfoIKT_T0_EEjPjjS8_iijT1_PSB_Ps,"axG",@progbits,_ZN2at6native6mbtopk23computeBlockDigitCountsIlmmLi1EEEvNS_4cuda6detail10TensorInfoIKT_T0_EEjPjjS8_iijT1_PSB_Ps,comdat
.Lfunc_end154:
	.size	_ZN2at6native6mbtopk23computeBlockDigitCountsIlmmLi1EEEvNS_4cuda6detail10TensorInfoIKT_T0_EEjPjjS8_iijT1_PSB_Ps, .Lfunc_end154-_ZN2at6native6mbtopk23computeBlockDigitCountsIlmmLi1EEEvNS_4cuda6detail10TensorInfoIKT_T0_EEjPjjS8_iijT1_PSB_Ps
                                        ; -- End function
	.set _ZN2at6native6mbtopk23computeBlockDigitCountsIlmmLi1EEEvNS_4cuda6detail10TensorInfoIKT_T0_EEjPjjS8_iijT1_PSB_Ps.num_vgpr, 11
	.set _ZN2at6native6mbtopk23computeBlockDigitCountsIlmmLi1EEEvNS_4cuda6detail10TensorInfoIKT_T0_EEjPjjS8_iijT1_PSB_Ps.num_agpr, 0
	.set _ZN2at6native6mbtopk23computeBlockDigitCountsIlmmLi1EEEvNS_4cuda6detail10TensorInfoIKT_T0_EEjPjjS8_iijT1_PSB_Ps.numbered_sgpr, 24
	.set _ZN2at6native6mbtopk23computeBlockDigitCountsIlmmLi1EEEvNS_4cuda6detail10TensorInfoIKT_T0_EEjPjjS8_iijT1_PSB_Ps.num_named_barrier, 0
	.set _ZN2at6native6mbtopk23computeBlockDigitCountsIlmmLi1EEEvNS_4cuda6detail10TensorInfoIKT_T0_EEjPjjS8_iijT1_PSB_Ps.private_seg_size, 0
	.set _ZN2at6native6mbtopk23computeBlockDigitCountsIlmmLi1EEEvNS_4cuda6detail10TensorInfoIKT_T0_EEjPjjS8_iijT1_PSB_Ps.uses_vcc, 1
	.set _ZN2at6native6mbtopk23computeBlockDigitCountsIlmmLi1EEEvNS_4cuda6detail10TensorInfoIKT_T0_EEjPjjS8_iijT1_PSB_Ps.uses_flat_scratch, 0
	.set _ZN2at6native6mbtopk23computeBlockDigitCountsIlmmLi1EEEvNS_4cuda6detail10TensorInfoIKT_T0_EEjPjjS8_iijT1_PSB_Ps.has_dyn_sized_stack, 0
	.set _ZN2at6native6mbtopk23computeBlockDigitCountsIlmmLi1EEEvNS_4cuda6detail10TensorInfoIKT_T0_EEjPjjS8_iijT1_PSB_Ps.has_recursion, 0
	.set _ZN2at6native6mbtopk23computeBlockDigitCountsIlmmLi1EEEvNS_4cuda6detail10TensorInfoIKT_T0_EEjPjjS8_iijT1_PSB_Ps.has_indirect_call, 0
	.section	.AMDGPU.csdata,"",@progbits
; Kernel info:
; codeLenInByte = 960
; TotalNumSgprs: 28
; NumVgprs: 11
; ScratchSize: 0
; MemoryBound: 0
; FloatMode: 240
; IeeeMode: 1
; LDSByteSize: 1024 bytes/workgroup (compile time only)
; SGPRBlocks: 3
; VGPRBlocks: 2
; NumSGPRsForWavesPerEU: 28
; NumVGPRsForWavesPerEU: 11
; Occupancy: 10
; WaveLimiterHint : 1
; COMPUTE_PGM_RSRC2:SCRATCH_EN: 0
; COMPUTE_PGM_RSRC2:USER_SGPR: 6
; COMPUTE_PGM_RSRC2:TRAP_HANDLER: 0
; COMPUTE_PGM_RSRC2:TGID_X_EN: 1
; COMPUTE_PGM_RSRC2:TGID_Y_EN: 1
; COMPUTE_PGM_RSRC2:TGID_Z_EN: 1
; COMPUTE_PGM_RSRC2:TIDIG_COMP_CNT: 0
	.section	.text._ZN2at6native6mbtopk10gatherTopKIlmLi1EEEvNS_4cuda6detail10TensorInfoIKT_T0_EES8_S8_bjS8_NS5_IS6_S8_EES8_NS5_IlS8_EES8_jjPS6_PjSD_j,"axG",@progbits,_ZN2at6native6mbtopk10gatherTopKIlmLi1EEEvNS_4cuda6detail10TensorInfoIKT_T0_EES8_S8_bjS8_NS5_IS6_S8_EES8_NS5_IlS8_EES8_jjPS6_PjSD_j,comdat
	.protected	_ZN2at6native6mbtopk10gatherTopKIlmLi1EEEvNS_4cuda6detail10TensorInfoIKT_T0_EES8_S8_bjS8_NS5_IS6_S8_EES8_NS5_IlS8_EES8_jjPS6_PjSD_j ; -- Begin function _ZN2at6native6mbtopk10gatherTopKIlmLi1EEEvNS_4cuda6detail10TensorInfoIKT_T0_EES8_S8_bjS8_NS5_IS6_S8_EES8_NS5_IlS8_EES8_jjPS6_PjSD_j
	.globl	_ZN2at6native6mbtopk10gatherTopKIlmLi1EEEvNS_4cuda6detail10TensorInfoIKT_T0_EES8_S8_bjS8_NS5_IS6_S8_EES8_NS5_IlS8_EES8_jjPS6_PjSD_j
	.p2align	8
	.type	_ZN2at6native6mbtopk10gatherTopKIlmLi1EEEvNS_4cuda6detail10TensorInfoIKT_T0_EES8_S8_bjS8_NS5_IS6_S8_EES8_NS5_IlS8_EES8_jjPS6_PjSD_j,@function
_ZN2at6native6mbtopk10gatherTopKIlmLi1EEEvNS_4cuda6detail10TensorInfoIKT_T0_EES8_S8_bjS8_NS5_IS6_S8_EES8_NS5_IlS8_EES8_jjPS6_PjSD_j: ; @_ZN2at6native6mbtopk10gatherTopKIlmLi1EEEvNS_4cuda6detail10TensorInfoIKT_T0_EES8_S8_bjS8_NS5_IS6_S8_EES8_NS5_IlS8_EES8_jjPS6_PjSD_j
; %bb.0:
	s_load_dwordx2 s[0:1], s[4:5], 0x538
	s_load_dword s2, s[4:5], 0x530
	s_waitcnt lgkmcnt(0)
	s_mul_i32 s1, s1, s8
	s_add_i32 s1, s1, s7
	s_mul_i32 s0, s1, s0
	s_add_i32 s0, s0, s6
	s_cmp_ge_u32 s0, s2
	s_cbranch_scc1 .LBB155_42
; %bb.1:
	s_load_dwordx2 s[20:21], s[4:5], 0x510
	s_load_dwordx4 s[8:11], s[4:5], 0x1a0
	s_mov_b32 s7, 0
	s_waitcnt lgkmcnt(0)
	v_cvt_f32_u32_e32 v1, s21
	s_sub_i32 s2, 0, s21
	s_lshl_b32 s1, s20, 8
	v_rcp_iflag_f32_e32 v1, v1
	v_mul_f32_e32 v1, 0x4f7ffffe, v1
	v_cvt_u32_f32_e32 v1, v1
	v_readfirstlane_b32 s3, v1
	s_mul_i32 s2, s2, s3
	s_mul_hi_u32 s2, s3, s2
	s_add_i32 s3, s3, s2
	s_mul_hi_u32 s2, s0, s3
	s_mul_i32 s3, s2, s21
	s_sub_i32 s3, s0, s3
	s_add_i32 s6, s2, 1
	s_sub_i32 s12, s3, s21
	s_cmp_ge_u32 s3, s21
	s_cselect_b32 s2, s6, s2
	s_cselect_b32 s3, s12, s3
	s_add_i32 s6, s2, 1
	s_cmp_ge_u32 s3, s21
	s_cselect_b32 s6, s6, s2
	s_mul_i32 s30, s6, s21
	s_sub_i32 s42, s0, s30
	s_add_i32 s0, s42, 1
	s_cmp_lt_u32 s0, s21
	s_mul_i32 s33, s42, s1
	s_cbranch_scc1 .LBB155_3
; %bb.2:
	s_sub_u32 s0, s8, s33
	s_subb_u32 s1, s9, 0
	s_add_u32 s0, s0, 0xff
	s_addc_u32 s1, s1, 0
	s_ashr_i32 s2, s1, 31
	s_lshr_b32 s2, s2, 24
	s_add_u32 s0, s0, s2
	s_addc_u32 s1, s1, 0
	s_lshr_b64 s[0:1], s[0:1], 8
	s_mov_b32 s20, s0
.LBB155_3:
	s_load_dwordx4 s[12:15], s[4:5], 0x518
	s_load_dwordx2 s[24:25], s[4:5], 0x0
	s_load_dwordx2 s[34:35], s[4:5], 0xd0
	s_load_dwordx2 s[28:29], s[4:5], 0x290
	s_load_dwordx2 s[26:27], s[4:5], 0x438
	s_lshl_b64 s[0:1], s[6:7], 3
	s_waitcnt lgkmcnt(0)
	s_add_u32 s0, s12, s0
	s_addc_u32 s1, s13, s1
	s_load_dwordx2 s[22:23], s[0:1], 0x0
	v_cmp_ne_u32_e64 s[0:1], 0, v0
	v_cmp_eq_u32_e64 s[2:3], 0, v0
	s_and_saveexec_b64 s[12:13], s[2:3]
	s_cbranch_execz .LBB155_19
; %bb.4:
	s_load_dwordx2 s[36:37], s[4:5], 0x528
	s_mov_b32 s31, 0
	s_lshl_b64 s[38:39], s[30:31], 2
	s_add_u32 s16, s14, s38
	s_addc_u32 s17, s15, s39
	s_waitcnt lgkmcnt(0)
	s_add_u32 s18, s36, s38
	s_addc_u32 s19, s37, s39
	s_mov_b32 s30, 0
	s_cmp_lt_u32 s21, 4
	s_cbranch_scc1 .LBB155_16
; %bb.5:
	s_mov_b32 s43, 0
.LBB155_6:                              ; =>This Inner Loop Header: Depth=1
	s_add_u32 s40, s14, s38
	s_addc_u32 s41, s15, s39
	s_load_dwordx4 s[16:19], s[40:41], 0x0
	s_add_u32 s40, s36, s38
	s_addc_u32 s41, s37, s39
	s_cmp_ge_u32 s43, s42
	s_cbranch_scc0 .LBB155_13
; %bb.7:                                ;   in Loop: Header=BB155_6 Depth=1
	s_add_i32 s44, s43, 1
	s_cmp_ge_u32 s44, s42
	s_cbranch_scc0 .LBB155_14
.LBB155_8:                              ;   in Loop: Header=BB155_6 Depth=1
	s_add_i32 s44, s44, 1
	s_cmp_ge_u32 s44, s42
	s_cbranch_scc0 .LBB155_15
.LBB155_9:                              ;   in Loop: Header=BB155_6 Depth=1
	s_add_i32 s44, s44, 1
	s_cmp_ge_u32 s44, s42
	s_cbranch_scc1 .LBB155_11
.LBB155_10:                             ;   in Loop: Header=BB155_6 Depth=1
	s_load_dword s40, s[40:41], 0xc
	s_waitcnt lgkmcnt(0)
	s_add_i32 s31, s31, s19
	s_add_i32 s7, s40, s7
.LBB155_11:                             ;   in Loop: Header=BB155_6 Depth=1
	s_waitcnt lgkmcnt(0)
	s_add_i32 s16, s16, s30
	s_add_i32 s16, s16, s17
	s_add_i32 s16, s16, s18
	s_add_i32 s30, s16, s19
	s_add_u32 s14, s14, 16
	s_addc_u32 s15, s15, 0
	s_add_u32 s36, s36, 16
	s_addc_u32 s37, s37, 0
	s_add_i32 s41, s44, 4
	s_add_u32 s18, s36, s38
	s_addc_u32 s19, s37, s39
	s_add_u32 s16, s14, s38
	s_addc_u32 s17, s15, s39
	s_add_i32 s40, s44, 1
	s_cmp_ge_u32 s41, s21
	s_cbranch_scc1 .LBB155_17
; %bb.12:                               ;   in Loop: Header=BB155_6 Depth=1
	s_mov_b32 s43, s40
	s_branch .LBB155_6
.LBB155_13:                             ;   in Loop: Header=BB155_6 Depth=1
	s_load_dword s44, s[40:41], 0x0
	s_waitcnt lgkmcnt(0)
	s_add_i32 s31, s16, s31
	s_add_i32 s7, s44, s7
	;; [unrolled: 1-line block ×3, first 2 shown]
	s_cmp_ge_u32 s44, s42
	s_cbranch_scc1 .LBB155_8
.LBB155_14:                             ;   in Loop: Header=BB155_6 Depth=1
	s_load_dword s45, s[40:41], 0x4
	s_waitcnt lgkmcnt(0)
	s_add_i32 s31, s31, s17
	s_add_i32 s7, s45, s7
	;; [unrolled: 1-line block ×3, first 2 shown]
	s_cmp_ge_u32 s44, s42
	s_cbranch_scc1 .LBB155_9
.LBB155_15:                             ;   in Loop: Header=BB155_6 Depth=1
	s_load_dword s45, s[40:41], 0x8
	s_waitcnt lgkmcnt(0)
	s_add_i32 s31, s31, s18
	s_add_i32 s7, s45, s7
	;; [unrolled: 1-line block ×3, first 2 shown]
	s_cmp_ge_u32 s44, s42
	s_cbranch_scc0 .LBB155_10
	s_branch .LBB155_11
.LBB155_16:
	s_mov_b32 s14, 0
	s_cmp_ge_u32 s14, s21
	s_cbranch_scc0 .LBB155_40
	s_branch .LBB155_18
.LBB155_17:
	s_add_i32 s14, s43, 4
	s_cmp_ge_u32 s14, s21
	s_cbranch_scc0 .LBB155_40
.LBB155_18:
	v_mov_b32_e32 v1, s7
	v_mov_b32_e32 v2, s30
	;; [unrolled: 1-line block ×4, first 2 shown]
	ds_write_b96 v4, v[1:3] offset:1056
.LBB155_19:
	s_or_b64 exec, exec, s[12:13]
	s_load_dwordx4 s[12:15], s[4:5], 0x1b8
	s_load_dwordx4 s[16:19], s[4:5], 0x360
	s_cmp_eq_u32 s20, 0
	s_waitcnt lgkmcnt(0)
	s_barrier
	s_cbranch_scc1 .LBB155_42
; %bb.20:
	s_mul_i32 s7, s35, s6
	s_mul_hi_u32 s21, s34, s6
	s_add_i32 s31, s21, s7
	s_mul_i32 s7, s29, s6
	s_mul_hi_u32 s21, s28, s6
	v_mov_b32_e32 v5, 0
	s_mul_i32 s30, s34, s6
	s_add_i32 s29, s21, s7
	s_mul_i32 s7, s27, s6
	s_mul_hi_u32 s21, s26, s6
	ds_read_b96 v[1:3], v5 offset:1056
	s_mul_i32 s28, s28, s6
	s_add_i32 s7, s21, s7
	s_mul_i32 s6, s26, s6
	s_lshl_b64 s[26:27], s[30:31], 3
	s_add_u32 s21, s24, s26
	s_addc_u32 s26, s25, s27
	s_lshl_b64 s[24:25], s[28:29], 3
	s_add_u32 s27, s14, s24
	s_addc_u32 s28, s15, s25
	s_lshl_b64 s[6:7], s[6:7], 3
	s_waitcnt lgkmcnt(0)
	v_add_u32_e32 v1, v1, v2
	v_lshrrev_b32_e32 v2, 3, v0
	s_add_u32 s29, s18, s6
	s_load_dword s6, s[4:5], 0x1b0
	v_and_b32_e32 v2, 28, v2
	v_lshl_add_u32 v10, v0, 2, v2
	v_lshrrev_b32_e32 v2, 1, v0
	s_addc_u32 s30, s19, s7
	s_load_dwordx2 s[18:19], s[4:5], 0x508
	v_and_b32_e32 v11, 0x7c, v2
	v_add_u32_e32 v2, -1, v0
	v_lshrrev_b32_e32 v4, 3, v2
	s_xor_b32 s15, s23, 0x80000000
	v_and_b32_e32 v4, 0x1ffffffc, v4
	s_waitcnt lgkmcnt(0)
	s_bitcmp1_b32 s6, 0
	v_cmp_gt_u32_e64 s[6:7], 64, v0
	v_lshlrev_b32_e32 v12, 4, v0
	v_lshl_add_u32 v13, v2, 2, v4
	v_add_u32_e32 v4, s33, v0
	v_mbcnt_lo_u32_b32 v0, -1, 0
	s_mov_b32 s14, s22
	s_cselect_b64 s[4:5], -1, 0
	v_mbcnt_hi_u32_b32 v0, -1, v0
                                        ; implicit-def: $vgpr6_vgpr7
	s_branch .LBB155_23
.LBB155_21:                             ;   in Loop: Header=BB155_23 Depth=1
	s_or_b64 exec, exec, s[24:25]
	v_add_u32_e32 v1, v2, v1
.LBB155_22:                             ;   in Loop: Header=BB155_23 Depth=1
	s_add_i32 s20, s20, -1
	v_add_u32_e32 v3, v14, v3
	s_cmp_lg_u32 s20, 0
	v_add_u32_e32 v4, 0x100, v4
	s_cbranch_scc0 .LBB155_42
.LBB155_23:                             ; =>This Inner Loop Header: Depth=1
	v_cmp_gt_u64_e32 vcc, s[8:9], v[4:5]
	v_mov_b32_e32 v2, v5
	v_mov_b32_e32 v8, v5
	s_and_saveexec_b64 s[24:25], vcc
	s_cbranch_execz .LBB155_25
; %bb.24:                               ;   in Loop: Header=BB155_23 Depth=1
	v_mad_u64_u32 v[6:7], s[34:35], s12, v4, 0
	v_mov_b32_e32 v2, v7
	v_mad_u64_u32 v[7:8], s[34:35], s13, v4, v[2:3]
	v_mov_b32_e32 v2, s26
	v_lshlrev_b64 v[6:7], 3, v[6:7]
	v_add_co_u32_e32 v6, vcc, s21, v6
	v_addc_co_u32_e32 v7, vcc, v2, v7, vcc
	global_load_dwordx2 v[6:7], v[6:7], off
	s_waitcnt vmcnt(0)
	v_xor_b32_e32 v9, 0x80000000, v7
	v_mov_b32_e32 v8, v6
	v_cmp_lt_u64_e32 vcc, s[14:15], v[8:9]
	v_cndmask_b32_e64 v2, 0, 1, vcc
	v_cmp_gt_u64_e32 vcc, s[14:15], v[8:9]
	v_cndmask_b32_e64 v8, 0, 1, vcc
	v_cmp_eq_u64_e32 vcc, s[22:23], v[6:7]
	v_cndmask_b32_e64 v2, v8, v2, s[4:5]
	v_and_b32_e32 v2, 1, v2
	v_cndmask_b32_e64 v8, 0, 1, vcc
.LBB155_25:                             ;   in Loop: Header=BB155_23 Depth=1
	s_or_b64 exec, exec, s[24:25]
	ds_write_b32 v10, v2
	s_waitcnt vmcnt(0) lgkmcnt(0)
	s_barrier
	s_and_saveexec_b64 s[24:25], s[6:7]
	s_cbranch_execz .LBB155_27
; %bb.26:                               ;   in Loop: Header=BB155_23 Depth=1
	v_add_u32_e32 v9, v11, v12
	ds_read2_b32 v[14:15], v9 offset1:1
	ds_read2_b32 v[16:17], v9 offset0:2 offset1:3
	v_and_b32_e32 v18, 15, v0
	v_cmp_ne_u32_e32 vcc, 0, v18
	s_waitcnt lgkmcnt(1)
	v_add_u32_e32 v15, v15, v14
	s_waitcnt lgkmcnt(0)
	v_add3_u32 v15, v15, v16, v17
	v_bfe_i32 v17, v0, 4, 1
	; wave barrier
	s_nop 0
	v_mov_b32_dpp v16, v15 row_shr:1 row_mask:0xf bank_mask:0xf
	v_cndmask_b32_e32 v16, 0, v16, vcc
	v_add_u32_e32 v15, v16, v15
	v_cmp_lt_u32_e32 vcc, 1, v18
	s_nop 0
	v_mov_b32_dpp v16, v15 row_shr:2 row_mask:0xf bank_mask:0xf
	v_cndmask_b32_e32 v16, 0, v16, vcc
	v_add_u32_e32 v15, v15, v16
	v_cmp_lt_u32_e32 vcc, 3, v18
	;; [unrolled: 5-line block ×4, first 2 shown]
	s_nop 0
	v_mov_b32_dpp v16, v15 row_bcast:15 row_mask:0xf bank_mask:0xf
	v_and_b32_e32 v16, v17, v16
	v_add_u32_e32 v15, v15, v16
	v_and_b32_e32 v17, 64, v0
	s_nop 0
	v_mov_b32_dpp v16, v15 row_bcast:31 row_mask:0xf bank_mask:0xf
	v_cndmask_b32_e32 v16, 0, v16, vcc
	v_add_u32_e32 v15, v15, v16
	v_add_u32_e32 v16, -1, v0
	v_cmp_lt_i32_e32 vcc, v16, v17
	v_cndmask_b32_e32 v16, v16, v0, vcc
	v_lshlrev_b32_e32 v16, 2, v16
	ds_bpermute_b32 v15, v16, v15
	s_waitcnt lgkmcnt(0)
	v_add_u32_e32 v14, v15, v14
	v_cndmask_b32_e64 v16, v14, v2, s[2:3]
	ds_write_b32 v9, v16
	; wave barrier
	ds_read2_b32 v[14:15], v9 offset0:1 offset1:2
	ds_read_b32 v17, v9 offset:12
	s_waitcnt lgkmcnt(1)
	v_add_u32_e32 v14, v14, v16
	v_add_u32_e32 v15, v15, v14
	ds_write2_b32 v9, v14, v15 offset0:1 offset1:2
	s_waitcnt lgkmcnt(1)
	v_add_u32_e32 v14, v17, v15
	ds_write_b32 v9, v14 offset:12
.LBB155_27:                             ;   in Loop: Header=BB155_23 Depth=1
	s_or_b64 exec, exec, s[24:25]
	v_mov_b32_e32 v9, 0
	s_waitcnt lgkmcnt(0)
	s_barrier
	s_and_saveexec_b64 s[24:25], s[0:1]
; %bb.28:                               ;   in Loop: Header=BB155_23 Depth=1
	ds_read_b32 v9, v13
; %bb.29:                               ;   in Loop: Header=BB155_23 Depth=1
	s_or_b64 exec, exec, s[24:25]
	ds_read_b32 v14, v5 offset:1048
	v_cmp_ne_u32_e32 vcc, 0, v2
	s_waitcnt lgkmcnt(0)
	s_barrier
	s_and_saveexec_b64 s[24:25], vcc
	s_cbranch_execz .LBB155_31
; %bb.30:                               ;   in Loop: Header=BB155_23 Depth=1
	v_add_u32_e32 v9, v9, v3
	v_mad_u64_u32 v[15:16], s[34:35], s16, v9, 0
	v_mad_u64_u32 v[17:18], s[34:35], s18, v9, 0
	v_mov_b32_e32 v2, v16
	v_mad_u64_u32 v[19:20], s[34:35], s17, v9, v[2:3]
	v_mov_b32_e32 v2, v18
	v_mov_b32_e32 v20, s28
	;; [unrolled: 1-line block ×3, first 2 shown]
	v_lshlrev_b64 v[15:16], 3, v[15:16]
	v_mad_u64_u32 v[18:19], s[34:35], s19, v9, v[2:3]
	v_add_co_u32_e32 v15, vcc, s27, v15
	v_addc_co_u32_e32 v16, vcc, v20, v16, vcc
	global_store_dwordx2 v[15:16], v[6:7], off
	v_lshlrev_b64 v[15:16], 3, v[17:18]
	v_mov_b32_e32 v2, s30
	v_add_co_u32_e32 v15, vcc, s29, v15
	v_addc_co_u32_e32 v16, vcc, v2, v16, vcc
	global_store_dwordx2 v[15:16], v[4:5], off
.LBB155_31:                             ;   in Loop: Header=BB155_23 Depth=1
	s_or_b64 exec, exec, s[24:25]
	v_mov_b32_e32 v2, v5
	v_cmp_le_u64_e32 vcc, s[10:11], v[1:2]
	s_cbranch_vccnz .LBB155_22
; %bb.32:                               ;   in Loop: Header=BB155_23 Depth=1
	ds_write_b32 v10, v8
	s_waitcnt vmcnt(0) lgkmcnt(0)
	s_barrier
	s_and_saveexec_b64 s[24:25], s[6:7]
	s_cbranch_execz .LBB155_34
; %bb.33:                               ;   in Loop: Header=BB155_23 Depth=1
	v_add_u32_e32 v2, v11, v12
	ds_read2_b32 v[15:16], v2 offset1:1
	ds_read2_b32 v[17:18], v2 offset0:2 offset1:3
	v_and_b32_e32 v9, 15, v0
	v_cmp_ne_u32_e32 vcc, 0, v9
	s_waitcnt lgkmcnt(1)
	v_add_u32_e32 v16, v16, v15
	s_waitcnt lgkmcnt(0)
	v_add3_u32 v16, v16, v17, v18
	; wave barrier
	s_nop 1
	v_mov_b32_dpp v17, v16 row_shr:1 row_mask:0xf bank_mask:0xf
	v_cndmask_b32_e32 v17, 0, v17, vcc
	v_add_u32_e32 v16, v17, v16
	v_cmp_lt_u32_e32 vcc, 1, v9
	s_nop 0
	v_mov_b32_dpp v17, v16 row_shr:2 row_mask:0xf bank_mask:0xf
	v_cndmask_b32_e32 v17, 0, v17, vcc
	v_add_u32_e32 v16, v16, v17
	v_cmp_lt_u32_e32 vcc, 3, v9
	;; [unrolled: 5-line block ×3, first 2 shown]
	s_nop 0
	v_mov_b32_dpp v17, v16 row_shr:8 row_mask:0xf bank_mask:0xf
	v_cndmask_b32_e32 v9, 0, v17, vcc
	v_add_u32_e32 v9, v16, v9
	v_bfe_i32 v17, v0, 4, 1
	v_cmp_lt_u32_e32 vcc, 31, v0
	v_mov_b32_dpp v16, v9 row_bcast:15 row_mask:0xf bank_mask:0xf
	v_and_b32_e32 v16, v17, v16
	v_add_u32_e32 v9, v9, v16
	v_and_b32_e32 v17, 64, v0
	s_nop 0
	v_mov_b32_dpp v16, v9 row_bcast:31 row_mask:0xf bank_mask:0xf
	v_cndmask_b32_e32 v16, 0, v16, vcc
	v_add_u32_e32 v9, v9, v16
	v_add_u32_e32 v16, -1, v0
	v_cmp_lt_i32_e32 vcc, v16, v17
	v_cndmask_b32_e32 v16, v16, v0, vcc
	v_lshlrev_b32_e32 v16, 2, v16
	ds_bpermute_b32 v9, v16, v9
	s_waitcnt lgkmcnt(0)
	v_add_u32_e32 v9, v9, v15
	v_cndmask_b32_e64 v9, v9, v8, s[2:3]
	ds_write_b32 v2, v9
	; wave barrier
	ds_read2_b32 v[15:16], v2 offset0:1 offset1:2
	ds_read_b32 v17, v2 offset:12
	s_waitcnt lgkmcnt(1)
	v_add_u32_e32 v9, v15, v9
	v_add_u32_e32 v15, v16, v9
	ds_write2_b32 v2, v9, v15 offset0:1 offset1:2
	s_waitcnt lgkmcnt(1)
	v_add_u32_e32 v9, v17, v15
	ds_write_b32 v2, v9 offset:12
.LBB155_34:                             ;   in Loop: Header=BB155_23 Depth=1
	s_or_b64 exec, exec, s[24:25]
	v_mov_b32_e32 v9, 0
	s_waitcnt lgkmcnt(0)
	s_barrier
	s_and_saveexec_b64 s[24:25], s[0:1]
; %bb.35:                               ;   in Loop: Header=BB155_23 Depth=1
	ds_read_b32 v9, v13
; %bb.36:                               ;   in Loop: Header=BB155_23 Depth=1
	s_or_b64 exec, exec, s[24:25]
	ds_read_b32 v2, v5 offset:1048
	v_cmp_ne_u32_e32 vcc, 0, v8
	s_waitcnt lgkmcnt(0)
	s_barrier
	s_and_saveexec_b64 s[24:25], vcc
	s_cbranch_execz .LBB155_21
; %bb.37:                               ;   in Loop: Header=BB155_23 Depth=1
	v_add_u32_e32 v8, v9, v1
	v_mov_b32_e32 v9, v5
	v_cmp_gt_u64_e32 vcc, s[10:11], v[8:9]
	s_and_b64 exec, exec, vcc
	s_cbranch_execz .LBB155_21
; %bb.38:                               ;   in Loop: Header=BB155_23 Depth=1
	v_mad_u64_u32 v[15:16], s[34:35], s16, v8, 0
	v_mad_u64_u32 v[17:18], s[34:35], s18, v8, 0
	v_mov_b32_e32 v9, v16
	v_mad_u64_u32 v[19:20], s[34:35], s17, v8, v[9:10]
	v_mov_b32_e32 v9, v18
	;; [unrolled: 2-line block ×3, first 2 shown]
	v_lshlrev_b64 v[15:16], 3, v[15:16]
	v_mov_b32_e32 v18, v8
	v_mov_b32_e32 v20, s28
	v_add_co_u32_e32 v15, vcc, s27, v15
	v_lshlrev_b64 v[8:9], 3, v[17:18]
	v_addc_co_u32_e32 v16, vcc, v20, v16, vcc
	global_store_dwordx2 v[15:16], v[6:7], off
	v_mov_b32_e32 v15, s30
	v_add_co_u32_e32 v8, vcc, s29, v8
	v_addc_co_u32_e32 v9, vcc, v15, v9, vcc
	global_store_dwordx2 v[8:9], v[4:5], off
	s_branch .LBB155_21
.LBB155_39:                             ;   in Loop: Header=BB155_40 Depth=1
	s_add_u32 s16, s16, 4
	s_addc_u32 s17, s17, 0
	s_waitcnt lgkmcnt(0)
	s_add_i32 s30, s15, s30
	s_add_u32 s18, s18, 4
	s_addc_u32 s19, s19, 0
	s_add_i32 s14, s14, 1
	s_cmp_lt_u32 s14, s21
	s_cbranch_scc0 .LBB155_18
.LBB155_40:                             ; =>This Inner Loop Header: Depth=1
	s_load_dword s15, s[16:17], 0x0
	s_cmp_ge_u32 s14, s42
	s_cbranch_scc1 .LBB155_39
; %bb.41:                               ;   in Loop: Header=BB155_40 Depth=1
	s_load_dword s36, s[18:19], 0x0
	s_waitcnt lgkmcnt(0)
	s_add_i32 s31, s15, s31
	s_add_i32 s7, s36, s7
	s_branch .LBB155_39
.LBB155_42:
	s_endpgm
	.section	.rodata,"a",@progbits
	.p2align	6, 0x0
	.amdhsa_kernel _ZN2at6native6mbtopk10gatherTopKIlmLi1EEEvNS_4cuda6detail10TensorInfoIKT_T0_EES8_S8_bjS8_NS5_IS6_S8_EES8_NS5_IlS8_EES8_jjPS6_PjSD_j
		.amdhsa_group_segment_fixed_size 1068
		.amdhsa_private_segment_fixed_size 0
		.amdhsa_kernarg_size 1592
		.amdhsa_user_sgpr_count 6
		.amdhsa_user_sgpr_private_segment_buffer 1
		.amdhsa_user_sgpr_dispatch_ptr 0
		.amdhsa_user_sgpr_queue_ptr 0
		.amdhsa_user_sgpr_kernarg_segment_ptr 1
		.amdhsa_user_sgpr_dispatch_id 0
		.amdhsa_user_sgpr_flat_scratch_init 0
		.amdhsa_user_sgpr_private_segment_size 0
		.amdhsa_uses_dynamic_stack 0
		.amdhsa_system_sgpr_private_segment_wavefront_offset 0
		.amdhsa_system_sgpr_workgroup_id_x 1
		.amdhsa_system_sgpr_workgroup_id_y 1
		.amdhsa_system_sgpr_workgroup_id_z 1
		.amdhsa_system_sgpr_workgroup_info 0
		.amdhsa_system_vgpr_workitem_id 0
		.amdhsa_next_free_vgpr 21
		.amdhsa_next_free_sgpr 46
		.amdhsa_reserve_vcc 1
		.amdhsa_reserve_flat_scratch 0
		.amdhsa_float_round_mode_32 0
		.amdhsa_float_round_mode_16_64 0
		.amdhsa_float_denorm_mode_32 3
		.amdhsa_float_denorm_mode_16_64 3
		.amdhsa_dx10_clamp 1
		.amdhsa_ieee_mode 1
		.amdhsa_fp16_overflow 0
		.amdhsa_exception_fp_ieee_invalid_op 0
		.amdhsa_exception_fp_denorm_src 0
		.amdhsa_exception_fp_ieee_div_zero 0
		.amdhsa_exception_fp_ieee_overflow 0
		.amdhsa_exception_fp_ieee_underflow 0
		.amdhsa_exception_fp_ieee_inexact 0
		.amdhsa_exception_int_div_zero 0
	.end_amdhsa_kernel
	.section	.text._ZN2at6native6mbtopk10gatherTopKIlmLi1EEEvNS_4cuda6detail10TensorInfoIKT_T0_EES8_S8_bjS8_NS5_IS6_S8_EES8_NS5_IlS8_EES8_jjPS6_PjSD_j,"axG",@progbits,_ZN2at6native6mbtopk10gatherTopKIlmLi1EEEvNS_4cuda6detail10TensorInfoIKT_T0_EES8_S8_bjS8_NS5_IS6_S8_EES8_NS5_IlS8_EES8_jjPS6_PjSD_j,comdat
.Lfunc_end155:
	.size	_ZN2at6native6mbtopk10gatherTopKIlmLi1EEEvNS_4cuda6detail10TensorInfoIKT_T0_EES8_S8_bjS8_NS5_IS6_S8_EES8_NS5_IlS8_EES8_jjPS6_PjSD_j, .Lfunc_end155-_ZN2at6native6mbtopk10gatherTopKIlmLi1EEEvNS_4cuda6detail10TensorInfoIKT_T0_EES8_S8_bjS8_NS5_IS6_S8_EES8_NS5_IlS8_EES8_jjPS6_PjSD_j
                                        ; -- End function
	.set _ZN2at6native6mbtopk10gatherTopKIlmLi1EEEvNS_4cuda6detail10TensorInfoIKT_T0_EES8_S8_bjS8_NS5_IS6_S8_EES8_NS5_IlS8_EES8_jjPS6_PjSD_j.num_vgpr, 21
	.set _ZN2at6native6mbtopk10gatherTopKIlmLi1EEEvNS_4cuda6detail10TensorInfoIKT_T0_EES8_S8_bjS8_NS5_IS6_S8_EES8_NS5_IlS8_EES8_jjPS6_PjSD_j.num_agpr, 0
	.set _ZN2at6native6mbtopk10gatherTopKIlmLi1EEEvNS_4cuda6detail10TensorInfoIKT_T0_EES8_S8_bjS8_NS5_IS6_S8_EES8_NS5_IlS8_EES8_jjPS6_PjSD_j.numbered_sgpr, 46
	.set _ZN2at6native6mbtopk10gatherTopKIlmLi1EEEvNS_4cuda6detail10TensorInfoIKT_T0_EES8_S8_bjS8_NS5_IS6_S8_EES8_NS5_IlS8_EES8_jjPS6_PjSD_j.num_named_barrier, 0
	.set _ZN2at6native6mbtopk10gatherTopKIlmLi1EEEvNS_4cuda6detail10TensorInfoIKT_T0_EES8_S8_bjS8_NS5_IS6_S8_EES8_NS5_IlS8_EES8_jjPS6_PjSD_j.private_seg_size, 0
	.set _ZN2at6native6mbtopk10gatherTopKIlmLi1EEEvNS_4cuda6detail10TensorInfoIKT_T0_EES8_S8_bjS8_NS5_IS6_S8_EES8_NS5_IlS8_EES8_jjPS6_PjSD_j.uses_vcc, 1
	.set _ZN2at6native6mbtopk10gatherTopKIlmLi1EEEvNS_4cuda6detail10TensorInfoIKT_T0_EES8_S8_bjS8_NS5_IS6_S8_EES8_NS5_IlS8_EES8_jjPS6_PjSD_j.uses_flat_scratch, 0
	.set _ZN2at6native6mbtopk10gatherTopKIlmLi1EEEvNS_4cuda6detail10TensorInfoIKT_T0_EES8_S8_bjS8_NS5_IS6_S8_EES8_NS5_IlS8_EES8_jjPS6_PjSD_j.has_dyn_sized_stack, 0
	.set _ZN2at6native6mbtopk10gatherTopKIlmLi1EEEvNS_4cuda6detail10TensorInfoIKT_T0_EES8_S8_bjS8_NS5_IS6_S8_EES8_NS5_IlS8_EES8_jjPS6_PjSD_j.has_recursion, 0
	.set _ZN2at6native6mbtopk10gatherTopKIlmLi1EEEvNS_4cuda6detail10TensorInfoIKT_T0_EES8_S8_bjS8_NS5_IS6_S8_EES8_NS5_IlS8_EES8_jjPS6_PjSD_j.has_indirect_call, 0
	.section	.AMDGPU.csdata,"",@progbits
; Kernel info:
; codeLenInByte = 2200
; TotalNumSgprs: 50
; NumVgprs: 21
; ScratchSize: 0
; MemoryBound: 0
; FloatMode: 240
; IeeeMode: 1
; LDSByteSize: 1068 bytes/workgroup (compile time only)
; SGPRBlocks: 6
; VGPRBlocks: 5
; NumSGPRsForWavesPerEU: 50
; NumVGPRsForWavesPerEU: 21
; Occupancy: 10
; WaveLimiterHint : 1
; COMPUTE_PGM_RSRC2:SCRATCH_EN: 0
; COMPUTE_PGM_RSRC2:USER_SGPR: 6
; COMPUTE_PGM_RSRC2:TRAP_HANDLER: 0
; COMPUTE_PGM_RSRC2:TGID_X_EN: 1
; COMPUTE_PGM_RSRC2:TGID_Y_EN: 1
; COMPUTE_PGM_RSRC2:TGID_Z_EN: 1
; COMPUTE_PGM_RSRC2:TIDIG_COMP_CNT: 0
	.section	.text._ZN2at6native6sbtopk10gatherTopKIlmLi1ELb0EEEvNS_4cuda6detail10TensorInfoIKT_T0_EES8_S8_bS8_S8_NS5_IS6_S8_EES8_NS5_IlS8_EES8_PS6_,"axG",@progbits,_ZN2at6native6sbtopk10gatherTopKIlmLi1ELb0EEEvNS_4cuda6detail10TensorInfoIKT_T0_EES8_S8_bS8_S8_NS5_IS6_S8_EES8_NS5_IlS8_EES8_PS6_,comdat
	.protected	_ZN2at6native6sbtopk10gatherTopKIlmLi1ELb0EEEvNS_4cuda6detail10TensorInfoIKT_T0_EES8_S8_bS8_S8_NS5_IS6_S8_EES8_NS5_IlS8_EES8_PS6_ ; -- Begin function _ZN2at6native6sbtopk10gatherTopKIlmLi1ELb0EEEvNS_4cuda6detail10TensorInfoIKT_T0_EES8_S8_bS8_S8_NS5_IS6_S8_EES8_NS5_IlS8_EES8_PS6_
	.globl	_ZN2at6native6sbtopk10gatherTopKIlmLi1ELb0EEEvNS_4cuda6detail10TensorInfoIKT_T0_EES8_S8_bS8_S8_NS5_IS6_S8_EES8_NS5_IlS8_EES8_PS6_
	.p2align	8
	.type	_ZN2at6native6sbtopk10gatherTopKIlmLi1ELb0EEEvNS_4cuda6detail10TensorInfoIKT_T0_EES8_S8_bS8_S8_NS5_IS6_S8_EES8_NS5_IlS8_EES8_PS6_,@function
_ZN2at6native6sbtopk10gatherTopKIlmLi1ELb0EEEvNS_4cuda6detail10TensorInfoIKT_T0_EES8_S8_bS8_S8_NS5_IS6_S8_EES8_NS5_IlS8_EES8_PS6_: ; @_ZN2at6native6sbtopk10gatherTopKIlmLi1ELb0EEEvNS_4cuda6detail10TensorInfoIKT_T0_EES8_S8_bS8_S8_NS5_IS6_S8_EES8_NS5_IlS8_EES8_PS6_
; %bb.0:
	s_load_dwordx2 s[12:13], s[4:5], 0x520
	s_load_dwordx4 s[20:23], s[4:5], 0x1b8
	s_add_u32 s2, s4, 0x520
	s_addc_u32 s3, s5, 0
	s_mov_b32 s17, 0
	s_waitcnt lgkmcnt(0)
	s_mul_i32 s0, s13, s8
	s_add_i32 s0, s0, s7
	s_mul_i32 s0, s0, s12
	s_add_i32 s16, s0, s6
	v_mov_b32_e32 v1, s16
	v_mov_b32_e32 v2, s17
	v_cmp_le_u64_e32 vcc, s[20:21], v[1:2]
	s_cbranch_vccnz .LBB156_469
; %bb.1:
	s_load_dwordx2 s[0:1], s[4:5], 0x440
                                        ; implicit-def: $vgpr56 : SGPR spill to VGPR lane
	v_cmp_eq_u32_e64 s[8:9], 0, v0
	s_waitcnt lgkmcnt(0)
	v_writelane_b32 v56, s0, 0
	v_writelane_b32 v56, s1, 1
	s_load_dwordx2 s[0:1], s[4:5], 0x370
	s_waitcnt lgkmcnt(0)
	v_writelane_b32 v56, s0, 2
	v_writelane_b32 v56, s1, 3
	s_load_dwordx2 s[0:1], s[4:5], 0x298
	s_waitcnt lgkmcnt(0)
	v_writelane_b32 v56, s0, 4
	v_writelane_b32 v56, s1, 5
	s_load_dwordx4 s[24:27], s[4:5], 0x1a0
	s_load_dwordx2 s[0:1], s[4:5], 0x1c8
	s_waitcnt lgkmcnt(0)
	v_writelane_b32 v56, s0, 6
	v_writelane_b32 v56, s1, 7
	s_load_dwordx2 s[0:1], s[4:5], 0xd0
	s_load_dwordx2 s[10:11], s[4:5], 0x0
	s_mov_b64 s[14:15], exec
	v_writelane_b32 v56, s8, 8
	v_writelane_b32 v56, s9, 9
	s_and_b64 s[8:9], s[14:15], s[8:9]
	s_mov_b64 exec, s[8:9]
	s_cbranch_execz .LBB156_3
; %bb.2:
	v_mov_b32_e32 v1, 0
	v_mov_b32_e32 v3, s24
	;; [unrolled: 1-line block ×4, first 2 shown]
	ds_write_b32 v1, v1 offset:5144
	ds_write_b128 v1, v[1:4] offset:5120
.LBB156_3:
	s_or_b64 exec, exec, s[14:15]
	v_writelane_b32 v56, s4, 10
	s_waitcnt lgkmcnt(0)
	s_mul_i32 s1, s1, s16
	s_mul_hi_u32 s7, s0, s16
	v_writelane_b32 v56, s5, 11
	s_load_dword s4, s[4:5], 0x1b0
	s_add_i32 s1, s7, s1
	s_mov_b32 s8, s16
	s_mul_i32 s0, s0, s16
	v_writelane_b32 v56, s8, 12
	s_lshl_b64 s[0:1], s[0:1], 3
	v_writelane_b32 v56, s9, 13
	s_add_u32 s46, s10, s0
	v_writelane_b32 v56, s0, 14
	s_addc_u32 s47, s11, s1
	s_waitcnt lgkmcnt(0)
	s_bitcmp1_b32 s4, 0
	v_mbcnt_lo_u32_b32 v1, -1, 0
	v_writelane_b32 v56, s1, 15
	s_cselect_b64 s[0:1], -1, 0
	v_mbcnt_hi_u32_b32 v43, -1, v1
	v_writelane_b32 v56, s0, 16
	v_cmp_gt_u32_e32 vcc, 64, v0
	v_cmp_gt_i32_e64 s[10:11], 4, v43
	v_mad_u64_u32 v[2:3], s[4:5], s22, v0, 0
	v_writelane_b32 v56, s1, 17
	v_mov_b32_e32 v4, 0x180
	s_and_b64 s[4:5], vcc, s[10:11]
	v_mov_b32_e32 v5, 0
	v_writelane_b32 v56, s4, 18
	v_writelane_b32 v56, s5, 19
	v_cmp_gt_u64_e64 s[4:5], s[24:25], v[4:5]
	v_mov_b32_e32 v1, v3
	v_writelane_b32 v56, s4, 20
	v_mov_b32_e32 v19, 0
	v_writelane_b32 v56, s5, 21
	v_mad_u64_u32 v[3:4], s[4:5], s23, v0, v[1:2]
	v_mov_b32_e32 v1, v19
	v_cmp_gt_u64_e64 s[4:5], s[24:25], v[0:1]
	v_writelane_b32 v56, s4, 22
	v_writelane_b32 v56, s5, 23
	v_cmp_gt_u32_e64 s[4:5], 2, v0
	v_writelane_b32 v56, s4, 24
	s_barrier
	v_writelane_b32 v56, s5, 25
	s_load_dword s4, s[2:3], 0xc
	s_xor_b64 s[52:53], s[0:1], -1
	v_lshlrev_b64 v[4:5], 3, v[2:3]
	v_mov_b32_e32 v6, s47
	v_add_co_u32_e32 v16, vcc, s46, v4
	s_waitcnt lgkmcnt(0)
	s_and_b32 s33, s4, 0xffff
	s_bfe_u32 s7, s4, 0xa0006
	s_cmp_gt_u32 s33, 63
	s_cselect_b64 s[4:5], -1, 0
	v_writelane_b32 v56, s4, 26
	v_addc_co_u32_e32 v17, vcc, v6, v5, vcc
	v_lshlrev_b64 v[4:5], v43, -1
	v_writelane_b32 v56, s5, 27
	s_add_u32 s4, s33, -1
	s_addc_u32 s8, 0, -1
	v_lshlrev_b32_e32 v46, 5, v0
	v_not_b32_e32 v41, v5
	v_writelane_b32 v56, s4, 28
	s_add_u32 s4, s4, s24
	v_or_b32_e32 v5, 24, v46
	v_lshlrev_b32_e32 v6, 2, v43
	v_writelane_b32 v56, s4, 29
	v_mad_u64_u32 v[22:23], s[4:5], s22, v5, 0
	v_and_b32_e32 v40, 0x100, v6
	v_or_b32_e32 v6, 16, v46
	v_mad_u64_u32 v[24:25], s[4:5], s22, v6, 0
	v_not_b32_e32 v42, v4
	v_mov_b32_e32 v4, v23
	v_mad_u64_u32 v[4:5], s[4:5], s23, v5, v[4:5]
	v_mov_b32_e32 v5, v25
	v_mad_u64_u32 v[5:6], s[4:5], s23, v6, v[5:6]
	v_or_b32_e32 v6, 8, v46
	v_mad_u64_u32 v[25:26], s[4:5], s22, v6, 0
	v_writelane_b32 v56, s8, 30
	s_addc_u32 s5, s8, s25
	v_writelane_b32 v56, s4, 31
	v_mov_b32_e32 v23, v4
	v_mov_b32_e32 v4, v26
	v_writelane_b32 v56, s5, 32
	v_mov_b32_e32 v47, v5
	v_mad_u64_u32 v[4:5], s[4:5], s23, v6, v[4:5]
	s_cmp_lt_u32 s6, s12
	s_cselect_b32 s4, 12, 18
	s_add_u32 s2, s2, s4
	s_addc_u32 s3, s3, 0
	v_writelane_b32 v56, s2, 33
	v_writelane_b32 v56, s3, 34
	s_add_i32 s2, s7, -1
	s_bfe_u32 s3, s33, 0x30006
	s_and_b32 s2, s2, 0xffff
	s_cmp_gt_u32 s2, 6
	s_cselect_b64 s[4:5], -1, 0
	v_writelane_b32 v56, s4, 35
	s_and_b32 s59, s7, 0x3f8
	v_writelane_b32 v56, s5, 36
	s_cmp_lg_u32 s3, 0
	v_writelane_b32 v56, s3, 37
	s_cselect_b64 s[2:3], -1, 0
	v_writelane_b32 v56, s2, 38
	v_writelane_b32 v56, s3, 39
	s_lshl_b64 s[2:3], s[22:23], 3
	v_writelane_b32 v56, s2, 40
	v_lshrrev_b32_e32 v5, 1, v0
	v_writelane_b32 v56, s3, 41
	s_mul_i32 s2, s23, s33
	s_mul_hi_u32 s3, s22, s33
	v_lshlrev_b32_e32 v44, 3, v0
	v_and_b32_e32 v5, 0x1e0, v5
	v_lshlrev_b64 v[28:29], 5, v[2:3]
	v_mov_b32_e32 v2, 0xc00
	s_add_i32 s3, s3, s2
	s_mul_i32 s2, s22, s33
	v_mov_b32_e32 v33, s27
	v_mov_b32_e32 v26, 0
	;; [unrolled: 1-line block ×4, first 2 shown]
	s_mov_b32 s51, 0
	v_cmp_eq_u32_e64 s[0:1], 0, v43
	v_lshlrev_b32_e32 v20, 2, v0
	v_mov_b32_e32 v21, v19
	v_add_u32_e32 v45, 0xc00, v44
	v_or_b32_e32 v48, 0xc00, v5
	s_lshl_b64 s[66:67], s[22:23], 5
	v_mov_b32_e32 v49, v4
	v_lshl_or_b32 v50, v43, 3, v2
	s_lshl_b32 s58, s33, 3
	s_lshl_b64 s[28:29], s[2:3], 3
	s_mov_b32 s56, 62
	s_mov_b64 s[68:69], 0
	v_mov_b32_e32 v32, s26
	v_mov_b32_e32 v27, 0
	;; [unrolled: 1-line block ×4, first 2 shown]
	s_mov_b32 s57, 0
	v_mov_b32_e32 v7, 0
	v_mov_b32_e32 v2, 1
	v_writelane_b32 v56, s52, 42
                                        ; implicit-def: $sgpr70_sgpr71
                                        ; implicit-def: $sgpr72_sgpr73
                                        ; implicit-def: $sgpr76_sgpr77
                                        ; implicit-def: $sgpr78_sgpr79
                                        ; implicit-def: $sgpr74_sgpr75
                                        ; implicit-def: $sgpr80_sgpr81
                                        ; implicit-def: $sgpr82_sgpr83
                                        ; implicit-def: $sgpr84_sgpr85
                                        ; implicit-def: $sgpr86_sgpr87
                                        ; implicit-def: $sgpr88_sgpr89
	v_writelane_b32 v56, s53, 43
	s_branch .LBB156_6
.LBB156_4:                              ;   in Loop: Header=BB156_6 Depth=1
	s_or_b64 exec, exec, s[8:9]
	s_andn2_b64 s[8:9], s[88:89], exec
	s_and_b64 s[6:7], s[6:7], exec
	v_mov_b32_e32 v32, v34
	s_or_b64 s[88:89], s[8:9], s[6:7]
	s_andn2_b64 s[86:87], s[86:87], exec
	s_andn2_b64 s[84:85], s[84:85], exec
	;; [unrolled: 1-line block ×4, first 2 shown]
	s_orn2_b64 s[4:5], s[4:5], exec
	v_mov_b32_e32 v33, v35
.LBB156_5:                              ;   in Loop: Header=BB156_6 Depth=1
	s_or_b64 exec, exec, s[2:3]
	s_and_b64 s[2:3], exec, s[4:5]
	s_or_b64 s[68:69], s[2:3], s[68:69]
	s_andn2_b64 s[2:3], s[74:75], exec
	s_and_b64 s[4:5], s[88:89], exec
	s_or_b64 s[74:75], s[2:3], s[4:5]
	s_andn2_b64 s[2:3], s[78:79], exec
	s_and_b64 s[4:5], s[86:87], exec
	;; [unrolled: 3-line block ×5, first 2 shown]
	s_or_b64 s[70:71], s[2:3], s[4:5]
	s_andn2_b64 exec, exec, s[68:69]
	s_cbranch_execz .LBB156_465
.LBB156_6:                              ; =>This Loop Header: Depth=1
                                        ;     Child Loop BB156_12 Depth 2
                                        ;     Child Loop BB156_25 Depth 2
	;; [unrolled: 1-line block ×24, first 2 shown]
	ds_read_b128 v[8:11], v19 offset:5120
	s_waitcnt lgkmcnt(0)
	v_readfirstlane_b32 s3, v9
	v_readfirstlane_b32 s2, v8
	s_cmp_lg_u64 s[2:3], 0
	s_cbranch_scc1 .LBB156_33
; %bb.7:                                ;   in Loop: Header=BB156_6 Depth=1
	v_readlane_b32 s2, v56, 20
	v_readlane_b32 s3, v56, 21
	s_and_b64 vcc, exec, s[2:3]
	s_cbranch_vccz .LBB156_20
; %bb.8:                                ;   in Loop: Header=BB156_6 Depth=1
	s_mov_b64 s[2:3], 0x181
	v_cmp_gt_u64_e32 vcc, s[2:3], v[10:11]
	s_mov_b64 s[2:3], 0
	s_mov_b64 s[4:5], 0
	s_cbranch_vccz .LBB156_21
; %bb.9:                                ;   in Loop: Header=BB156_6 Depth=1
	s_mov_b64 s[8:9], exec
	v_readlane_b32 s4, v56, 22
	v_readlane_b32 s5, v56, 23
	s_and_b64 s[4:5], s[8:9], s[4:5]
	s_mov_b64 exec, s[4:5]
	s_cbranch_execz .LBB156_88
; %bb.10:                               ;   in Loop: Header=BB156_6 Depth=1
	v_readlane_b32 s4, v56, 33
	v_readlane_b32 s5, v56, 34
	s_nop 4
	global_load_ushort v5, v19, s[4:5]
	global_load_dwordx2 v[8:9], v[16:17], off
	v_mov_b32_e32 v3, s46
	v_mov_b32_e32 v4, s47
	v_readlane_b32 s12, v56, 40
	v_readlane_b32 s13, v56, 41
	s_waitcnt vmcnt(1)
	v_readfirstlane_b32 s4, v5
	s_and_b32 s10, 0xffff, s4
	v_add_u32_e32 v10, s10, v0
	v_mad_u64_u32 v[3:4], s[4:5], s12, v10, v[3:4]
	s_mul_i32 s11, s13, s10
	s_mov_b64 s[4:5], 0
	v_mad_u64_u32 v[10:11], s[6:7], s13, v10, v[4:5]
	s_mul_hi_u32 s6, s12, s10
	s_mul_i32 s18, s12, s10
	v_mov_b32_e32 v4, v10
	v_mov_b32_e32 v11, v1
	s_add_i32 s19, s6, s11
	v_mov_b32_e32 v10, v0
	s_branch .LBB156_12
.LBB156_11:                             ;   in Loop: Header=BB156_12 Depth=2
	s_or_b64 exec, exec, s[6:7]
	v_mov_b32_e32 v8, s19
	v_add_co_u32_e32 v3, vcc, s18, v3
	v_addc_co_u32_e32 v4, vcc, v4, v8, vcc
	v_mov_b32_e32 v8, v12
	v_mov_b32_e32 v9, v13
	s_andn2_b64 exec, exec, s[4:5]
	s_cbranch_execz .LBB156_88
.LBB156_12:                             ;   Parent Loop BB156_6 Depth=1
                                        ; =>  This Inner Loop Header: Depth=2
	v_add_co_u32_sdwa v10, vcc, v10, v5 dst_sel:DWORD dst_unused:UNUSED_PAD src0_sel:DWORD src1_sel:WORD_0
	v_addc_co_u32_e32 v11, vcc, 0, v11, vcc
	v_cmp_gt_u64_e64 s[6:7], s[24:25], v[10:11]
	v_cmp_le_u64_e32 vcc, s[24:25], v[10:11]
	v_mov_b32_e32 v12, 0
	v_mov_b32_e32 v13, 0
	s_and_saveexec_b64 s[10:11], s[6:7]
	s_cbranch_execz .LBB156_14
; %bb.13:                               ;   in Loop: Header=BB156_12 Depth=2
	global_load_dwordx2 v[12:13], v[3:4], off
.LBB156_14:                             ;   in Loop: Header=BB156_12 Depth=2
	s_or_b64 exec, exec, s[10:11]
	s_waitcnt vmcnt(0) lgkmcnt(0)
	v_xor_b32_e32 v14, 0x80000000, v9
	v_and_b32_e32 v15, v14, v31
	v_and_b32_e32 v14, v8, v30
	v_cmp_eq_u64_e64 s[14:15], v[14:15], v[26:27]
	v_mov_b32_e32 v14, 0
	s_cmp_lg_u64 s[14:15], 0
	s_cselect_b64 s[6:7], -1, 0
	s_and_b64 s[6:7], s[0:1], s[6:7]
	s_and_saveexec_b64 s[10:11], s[6:7]
	s_cbranch_execz .LBB156_18
; %bb.15:                               ;   in Loop: Header=BB156_12 Depth=2
	s_mov_b64 s[16:17], exec
	v_mbcnt_lo_u32_b32 v14, s16, 0
	v_mbcnt_hi_u32_b32 v14, s17, v14
	s_bcnt1_i32_b64 s20, s[14:15]
	v_cmp_eq_u32_e64 s[6:7], 0, v14
                                        ; implicit-def: $vgpr15
	s_and_saveexec_b64 s[12:13], s[6:7]
; %bb.16:                               ;   in Loop: Header=BB156_12 Depth=2
	s_bcnt1_i32_b64 s6, s[16:17]
	s_mul_i32 s6, s20, s6
	v_mov_b32_e32 v15, s6
	ds_add_rtn_u32 v15, v19, v15 offset:5144
; %bb.17:                               ;   in Loop: Header=BB156_12 Depth=2
	s_or_b64 exec, exec, s[12:13]
	s_waitcnt lgkmcnt(0)
	v_readfirstlane_b32 s6, v15
	v_mov_b32_e32 v15, s6
	v_mad_u32_u24 v14, s20, v14, v15
.LBB156_18:                             ;   in Loop: Header=BB156_12 Depth=2
	s_or_b64 exec, exec, s[10:11]
	ds_bpermute_b32 v14, v40, v14
	s_and_b64 s[6:7], exec, vcc
	s_or_b64 s[4:5], s[6:7], s[4:5]
	s_and_saveexec_b64 s[6:7], s[14:15]
	s_cbranch_execz .LBB156_11
; %bb.19:                               ;   in Loop: Header=BB156_12 Depth=2
	v_and_b32_e32 v18, s14, v42
	v_and_b32_e32 v15, s15, v41
	v_bcnt_u32_b32 v18, v18, 0
	v_bcnt_u32_b32 v15, v15, v18
	v_lshlrev_b32_e32 v15, 3, v15
	s_waitcnt lgkmcnt(0)
	v_lshl_add_u32 v14, v14, 3, v15
	ds_write_b64 v14, v[8:9]
	s_branch .LBB156_11
.LBB156_20:                             ;   in Loop: Header=BB156_6 Depth=1
	s_mov_b64 s[2:3], -1
	s_mov_b64 s[4:5], 0
.LBB156_21:                             ;   in Loop: Header=BB156_6 Depth=1
	s_and_b64 vcc, exec, s[2:3]
	s_cbranch_vccz .LBB156_31
.LBB156_22:                             ;   in Loop: Header=BB156_6 Depth=1
	s_mov_b64 s[2:3], exec
	v_readlane_b32 s4, v56, 22
	v_readlane_b32 s5, v56, 23
	s_and_b64 s[4:5], s[2:3], s[4:5]
	s_mov_b64 exec, s[4:5]
	s_cbranch_execz .LBB156_28
; %bb.23:                               ;   in Loop: Header=BB156_6 Depth=1
	v_readlane_b32 s4, v56, 33
	v_readlane_b32 s5, v56, 34
	s_nop 4
	global_load_ushort v5, v19, s[4:5]
	global_load_dwordx2 v[3:4], v[16:17], off
	s_waitcnt vmcnt(1)
	v_add_u32_sdwa v18, v5, v0 dst_sel:DWORD dst_unused:UNUSED_PAD src0_sel:WORD_0 src1_sel:DWORD
	v_cmp_gt_u64_e32 vcc, s[24:25], v[18:19]
	v_readfirstlane_b32 s6, v5
	v_mov_b32_e32 v5, v0
	s_and_saveexec_b64 s[4:5], vcc
	s_cbranch_execz .LBB156_27
; %bb.24:                               ;   in Loop: Header=BB156_6 Depth=1
	v_mov_b32_e32 v8, s46
	v_mov_b32_e32 v9, s47
	v_readlane_b32 s10, v56, 40
	v_mad_u64_u32 v[8:9], s[8:9], s10, v18, v[8:9]
	v_readlane_b32 s11, v56, 41
	s_and_b32 s8, s6, 0xffff
	v_mov_b32_e32 v5, v9
	v_mad_u64_u32 v[9:10], s[6:7], s11, v18, v[5:6]
	s_mul_i32 s6, s11, s8
	s_mul_hi_u32 s7, s10, s8
	v_mov_b32_e32 v12, v18
	v_mov_b32_e32 v15, v1
	s_add_i32 s9, s7, s6
	s_mul_i32 s10, s10, s8
	s_mov_b64 s[6:7], 0
	v_mov_b32_e32 v13, v19
	v_mov_b32_e32 v14, v0
.LBB156_25:                             ;   Parent Loop BB156_6 Depth=1
                                        ; =>  This Inner Loop Header: Depth=2
	global_load_dwordx2 v[10:11], v[8:9], off
	v_mov_b32_e32 v35, v13
	v_mov_b32_e32 v34, v12
	;; [unrolled: 1-line block ×3, first 2 shown]
	v_add_co_u32_e32 v8, vcc, s10, v8
	v_addc_co_u32_e32 v9, vcc, v9, v12, vcc
	v_add_co_u32_e32 v12, vcc, s8, v34
	v_addc_co_u32_e32 v13, vcc, 0, v35, vcc
	v_lshlrev_b32_e32 v5, 3, v14
	v_cmp_le_u64_e32 vcc, s[24:25], v[12:13]
	s_waitcnt vmcnt(1)
	ds_write_b64 v5, v[3:4]
	v_mov_b32_e32 v14, v34
	s_or_b64 s[6:7], vcc, s[6:7]
	v_mov_b32_e32 v15, v35
	s_waitcnt vmcnt(0)
	v_mov_b32_e32 v3, v10
	v_mov_b32_e32 v4, v11
	s_andn2_b64 exec, exec, s[6:7]
	s_cbranch_execnz .LBB156_25
; %bb.26:                               ;   in Loop: Header=BB156_6 Depth=1
	s_or_b64 exec, exec, s[6:7]
	v_mov_b32_e32 v3, v10
	v_subrev_u32_e32 v5, s8, v12
	v_mov_b32_e32 v4, v11
.LBB156_27:                             ;   in Loop: Header=BB156_6 Depth=1
	s_or_b64 exec, exec, s[4:5]
	v_lshlrev_b32_e32 v5, 3, v5
	s_waitcnt vmcnt(0)
	ds_write_b64 v5, v[3:4]
.LBB156_28:                             ;   in Loop: Header=BB156_6 Depth=1
	s_or_b64 exec, exec, s[2:3]
	s_waitcnt lgkmcnt(0)
	s_barrier
	s_mov_b64 s[2:3], exec
	v_readlane_b32 s4, v56, 8
	v_readlane_b32 s5, v56, 9
	s_and_b64 s[4:5], s[2:3], s[4:5]
	s_mov_b64 exec, s[4:5]
; %bb.29:                               ;   in Loop: Header=BB156_6 Depth=1
	v_mov_b32_e32 v3, s24
	v_mov_b32_e32 v4, s25
	ds_write_b64 v19, v[3:4] offset:5120
; %bb.30:                               ;   in Loop: Header=BB156_6 Depth=1
	s_or_b64 exec, exec, s[2:3]
	s_mov_b64 s[4:5], -1
	s_waitcnt lgkmcnt(0)
	s_barrier
.LBB156_31:                             ;   in Loop: Header=BB156_6 Depth=1
	s_mov_b64 s[2:3], 0
	s_and_b64 vcc, exec, s[4:5]
	s_cbranch_vccz .LBB156_33
; %bb.32:                               ;   in Loop: Header=BB156_6 Depth=1
	ds_read_b64 v[3:4], v19 offset:5120
	s_waitcnt lgkmcnt(0)
	v_readfirstlane_b32 s2, v3
.LBB156_33:                             ;   in Loop: Header=BB156_6 Depth=1
	s_cmp_lt_i32 s2, 1
	s_mov_b64 s[4:5], -1
                                        ; implicit-def: $vgpr14_vgpr15
                                        ; implicit-def: $vgpr10_vgpr11
	s_cbranch_scc1 .LBB156_43
; %bb.34:                               ;   in Loop: Header=BB156_6 Depth=1
	s_and_b64 vcc, exec, s[4:5]
	s_cbranch_vccnz .LBB156_57
.LBB156_35:                             ;   in Loop: Header=BB156_6 Depth=1
	s_lshl_b32 s4, s57, 6
	s_and_saveexec_b64 s[2:3], s[0:1]
	s_cbranch_execz .LBB156_37
.LBB156_36:                             ;   in Loop: Header=BB156_6 Depth=1
	v_lshl_add_u32 v3, s4, 3, v48
	ds_write_b128 v3, v[8:11]
	ds_write_b128 v3, v[12:15] offset:16
.LBB156_37:                             ;   in Loop: Header=BB156_6 Depth=1
	s_or_b64 exec, exec, s[2:3]
	s_waitcnt lgkmcnt(0)
	s_barrier
	s_mov_b64 s[2:3], exec
	v_readlane_b32 s6, v56, 18
	v_readlane_b32 s7, v56, 19
	s_and_b64 s[6:7], s[2:3], s[6:7]
	s_mov_b64 exec, s[6:7]
	s_cbranch_execz .LBB156_72
; %bb.38:                               ;   in Loop: Header=BB156_6 Depth=1
	v_readlane_b32 s6, v56, 26
	v_mov_b32_e32 v3, 0
	v_readlane_b32 s7, v56, 27
	v_mov_b32_e32 v4, 0
	s_andn2_b64 vcc, exec, s[6:7]
	s_cbranch_vccnz .LBB156_71
; %bb.39:                               ;   in Loop: Header=BB156_6 Depth=1
	v_readlane_b32 s6, v56, 35
	v_readlane_b32 s7, v56, 36
	s_andn2_b64 vcc, exec, s[6:7]
	s_cbranch_vccnz .LBB156_67
; %bb.40:                               ;   in Loop: Header=BB156_6 Depth=1
	v_mov_b32_e32 v3, 0
	v_lshl_add_u32 v5, s57, 9, v50
	v_mov_b32_e32 v4, 0
	s_mov_b32 s5, 0
.LBB156_41:                             ;   Parent Loop BB156_6 Depth=1
                                        ; =>  This Inner Loop Header: Depth=2
	ds_read2_b64 v[8:11], v5 offset1:4
	ds_read2_b64 v[12:15], v5 offset0:8 offset1:12
	ds_read2_b64 v[34:37], v5 offset0:16 offset1:20
	;; [unrolled: 1-line block ×3, first 2 shown]
	s_add_i32 s5, s5, 8
	s_waitcnt lgkmcnt(3)
	v_add_co_u32_e32 v3, vcc, v8, v3
	v_addc_co_u32_e32 v4, vcc, v9, v4, vcc
	v_add_co_u32_e32 v3, vcc, v10, v3
	v_addc_co_u32_e32 v4, vcc, v11, v4, vcc
	s_waitcnt lgkmcnt(2)
	v_add_co_u32_e32 v3, vcc, v12, v3
	v_addc_co_u32_e32 v4, vcc, v13, v4, vcc
	v_add_co_u32_e32 v3, vcc, v14, v3
	v_addc_co_u32_e32 v4, vcc, v15, v4, vcc
	;; [unrolled: 5-line block ×3, first 2 shown]
	s_waitcnt lgkmcnt(0)
	v_add_co_u32_e32 v3, vcc, v52, v3
	v_addc_co_u32_e32 v4, vcc, v53, v4, vcc
	v_add_co_u32_e32 v3, vcc, v54, v3
	v_add_u32_e32 v5, 0x100, v5
	s_cmp_eq_u32 s59, s5
	v_addc_co_u32_e32 v4, vcc, v55, v4, vcc
	s_cbranch_scc0 .LBB156_41
; %bb.42:                               ;   in Loop: Header=BB156_6 Depth=1
	s_mov_b32 s5, s59
	s_branch .LBB156_68
.LBB156_43:                             ;   in Loop: Header=BB156_6 Depth=1
	v_readlane_b32 s4, v56, 33
	v_readlane_b32 s5, v56, 34
	s_nop 4
	global_load_ushort v3, v19, s[4:5]
	s_mov_b32 s4, s51
	s_mov_b32 s5, s25
	s_waitcnt vmcnt(0)
	v_readfirstlane_b32 s3, v3
	s_and_b32 s3, s3, 0xffff
	s_lshl_b32 s10, s3, 2
	s_cmp_lg_u64 s[4:5], 0
	s_cbranch_scc0 .LBB156_66
; %bb.44:                               ;   in Loop: Header=BB156_6 Depth=1
	v_cvt_f32_u32_e32 v3, s10
	s_sub_u32 s6, 0, s10
	s_subb_u32 s7, 0, 0
	v_mac_f32_e32 v3, 0, v51
	v_rcp_f32_e32 v3, v3
	v_mul_f32_e32 v3, 0x5f7ffffc, v3
	v_mul_f32_e32 v4, 0x2f800000, v3
	v_trunc_f32_e32 v4, v4
	v_mac_f32_e32 v3, 0xcf800000, v4
	v_cvt_u32_f32_e32 v4, v4
	v_cvt_u32_f32_e32 v3, v3
	v_readfirstlane_b32 s8, v4
	v_readfirstlane_b32 s4, v3
	s_mul_i32 s5, s6, s8
	s_mul_hi_u32 s11, s6, s4
	s_mul_i32 s9, s7, s4
	s_add_i32 s5, s11, s5
	s_mul_i32 s12, s6, s4
	s_add_i32 s5, s5, s9
	s_mul_hi_u32 s11, s4, s12
	s_mul_i32 s13, s4, s5
	s_mul_hi_u32 s9, s4, s5
	s_add_u32 s11, s11, s13
	s_addc_u32 s9, 0, s9
	s_mul_hi_u32 s14, s8, s12
	s_mul_i32 s12, s8, s12
	s_add_u32 s11, s11, s12
	s_mul_hi_u32 s13, s8, s5
	s_addc_u32 s9, s9, s14
	s_addc_u32 s11, s13, 0
	s_mul_i32 s5, s8, s5
	s_add_u32 s5, s9, s5
	s_addc_u32 s9, 0, s11
	s_add_u32 s11, s4, s5
	s_cselect_b64 s[4:5], -1, 0
	s_cmp_lg_u64 s[4:5], 0
	s_addc_u32 s8, s8, s9
	s_mul_i32 s4, s6, s8
	s_mul_hi_u32 s5, s6, s11
	s_add_i32 s4, s5, s4
	s_mul_i32 s7, s7, s11
	s_add_i32 s4, s4, s7
	s_mul_i32 s6, s6, s11
	s_mul_hi_u32 s7, s8, s6
	s_mul_i32 s9, s8, s6
	s_mul_i32 s13, s11, s4
	s_mul_hi_u32 s6, s11, s6
	s_mul_hi_u32 s12, s11, s4
	s_add_u32 s6, s6, s13
	s_addc_u32 s12, 0, s12
	s_add_u32 s6, s6, s9
	s_mul_hi_u32 s5, s8, s4
	s_addc_u32 s6, s12, s7
	s_addc_u32 s5, s5, 0
	s_mul_i32 s4, s8, s4
	s_add_u32 s4, s6, s4
	s_addc_u32 s6, 0, s5
	s_add_u32 s7, s11, s4
	s_cselect_b64 s[4:5], -1, 0
	s_cmp_lg_u64 s[4:5], 0
	s_addc_u32 s4, s8, s6
	s_mul_i32 s6, s24, s4
	s_mul_hi_u32 s8, s24, s7
	s_mul_hi_u32 s5, s24, s4
	s_add_u32 s6, s8, s6
	s_addc_u32 s5, 0, s5
	s_mul_hi_u32 s9, s25, s7
	s_mul_i32 s7, s25, s7
	s_add_u32 s6, s6, s7
	s_mul_hi_u32 s8, s25, s4
	s_addc_u32 s5, s5, s9
	s_addc_u32 s6, s8, 0
	s_mul_i32 s4, s25, s4
	s_add_u32 s4, s5, s4
	s_addc_u32 s5, 0, s6
	s_mul_i32 s5, s10, s5
	s_mul_hi_u32 s6, s10, s4
	s_add_i32 s6, s6, s5
	s_mul_i32 s4, s10, s4
	s_sub_u32 s7, s24, s4
	s_cselect_b64 s[4:5], -1, 0
	s_cmp_lg_u64 s[4:5], 0
	s_subb_u32 s6, s25, s6
	s_sub_u32 s8, s7, s10
	s_cselect_b64 s[4:5], -1, 0
	s_cmp_lg_u64 s[4:5], 0
	s_subb_u32 s9, s6, 0
	;; [unrolled: 4-line block ×3, first 2 shown]
	s_cmp_ge_u32 s8, s10
	s_cselect_b32 s5, -1, 0
	s_cmp_eq_u32 s9, 0
	s_cselect_b32 s5, s5, -1
	s_cmp_lg_u32 s5, 0
	s_cselect_b32 s4, s4, s9
	s_cselect_b32 s8, s11, s8
	s_cmp_ge_u32 s7, s10
	s_cselect_b32 s5, -1, 0
	s_cmp_eq_u32 s6, 0
	s_cselect_b32 s5, s5, -1
	s_cmp_lg_u32 s5, 0
	s_cselect_b32 s5, s4, s6
	s_cselect_b32 s4, s8, s7
	s_cbranch_execnz .LBB156_46
.LBB156_45:                             ;   in Loop: Header=BB156_6 Depth=1
	v_cvt_f32_u32_e32 v3, s10
	s_sub_i32 s4, 0, s10
	v_rcp_iflag_f32_e32 v3, v3
	v_mul_f32_e32 v3, 0x4f7ffffe, v3
	v_cvt_u32_f32_e32 v3, v3
	v_readfirstlane_b32 s5, v3
	s_mul_i32 s4, s4, s5
	s_mul_hi_u32 s4, s5, s4
	s_add_i32 s5, s5, s4
	s_mul_hi_u32 s4, s24, s5
	s_mul_i32 s4, s4, s10
	s_sub_i32 s4, s24, s4
	s_sub_i32 s5, s4, s10
	s_cmp_ge_u32 s4, s10
	s_cselect_b32 s4, s5, s4
	s_sub_i32 s5, s4, s10
	s_cmp_ge_u32 s4, s10
	s_cselect_b32 s50, s5, s4
	s_mov_b64 s[4:5], s[50:51]
.LBB156_46:                             ;   in Loop: Header=BB156_6 Depth=1
	s_sub_u32 s8, s24, s4
	s_subb_u32 s9, s25, s5
	v_cmp_gt_u64_e32 vcc, s[8:9], v[20:21]
	v_mov_b32_e32 v8, 0
	v_mov_b32_e32 v10, 0
	v_mov_b32_e32 v12, 0
	v_mov_b32_e32 v14, 0
	v_mov_b32_e32 v9, 0
	v_mov_b32_e32 v11, 0
	v_mov_b32_e32 v13, 0
	v_mov_b32_e32 v15, 0
	s_and_saveexec_b64 s[20:21], vcc
	s_cbranch_execz .LBB156_50
; %bb.47:                               ;   in Loop: Header=BB156_6 Depth=1
	s_mul_i32 s4, s67, s3
	s_mul_hi_u32 s5, s66, s3
	v_mov_b32_e32 v3, v20
	s_add_i32 s4, s5, s4
	s_mov_b64 s[30:31], 0
	s_mov_b64 s[34:35], s[46:47]
	;; [unrolled: 1-line block ×6, first 2 shown]
	v_mov_b32_e32 v4, v21
.LBB156_48:                             ;   Parent Loop BB156_6 Depth=1
                                        ; =>  This Inner Loop Header: Depth=2
	v_add_co_u32_e32 v8, vcc, s34, v28
	v_mov_b32_e32 v5, s35
	v_addc_co_u32_e32 v9, vcc, v5, v29, vcc
	global_load_dwordx2 v[8:9], v[8:9], off
	v_add_co_u32_e32 v10, vcc, s34, v25
	v_addc_co_u32_e32 v11, vcc, v5, v49, vcc
	global_load_dwordx2 v[14:15], v[10:11], off
	v_add_co_u32_e32 v10, vcc, s34, v24
	;; [unrolled: 3-line block ×3, first 2 shown]
	v_addc_co_u32_e32 v13, vcc, v5, v23, vcc
	global_load_dwordx2 v[12:13], v[12:13], off
	s_waitcnt vmcnt(3)
	v_xor_b32_e32 v9, 0x80000000, v9
	v_and_b32_e32 v35, v9, v31
	v_and_b32_e32 v34, v8, v30
	v_lshrrev_b64 v[8:9], s56, v[8:9]
	v_cmp_eq_u64_e32 vcc, v[34:35], v[26:27]
	s_waitcnt vmcnt(2)
	v_xor_b32_e32 v15, 0x80000000, v15
	v_and_b32_e32 v18, 3, v8
	v_lshrrev_b64 v[8:9], s56, v[14:15]
	v_and_b32_e32 v35, v15, v31
	v_and_b32_e32 v34, v14, v30
	s_waitcnt vmcnt(1)
	v_xor_b32_e32 v11, 0x80000000, v11
	v_cmp_eq_u64_e64 s[6:7], 0, v[18:19]
	v_cmp_eq_u64_e64 s[14:15], v[34:35], v[26:27]
	v_and_b32_e32 v35, v11, v31
	v_and_b32_e32 v34, v10, v30
	;; [unrolled: 1-line block ×3, first 2 shown]
	v_mov_b32_e32 v9, v19
	v_lshrrev_b64 v[10:11], s56, v[10:11]
	s_waitcnt vmcnt(0)
	v_xor_b32_e32 v13, 0x80000000, v13
	s_and_b64 s[12:13], vcc, s[6:7]
	v_cmp_eq_u64_e64 s[6:7], 0, v[8:9]
	v_cmp_eq_u64_e64 s[16:17], v[34:35], v[26:27]
	v_and_b32_e32 v35, v13, v31
	v_and_b32_e32 v34, v12, v30
	;; [unrolled: 1-line block ×3, first 2 shown]
	v_mov_b32_e32 v11, v19
	v_lshrrev_b64 v[12:13], s56, v[12:13]
	s_and_b64 s[44:45], s[14:15], s[6:7]
	v_cmp_eq_u64_e64 s[6:7], 0, v[10:11]
	v_and_b32_e32 v12, 3, v12
	v_mov_b32_e32 v13, v19
	v_cmp_eq_u64_e64 s[18:19], v[34:35], v[26:27]
	s_and_b64 s[48:49], s[16:17], s[6:7]
	v_cmp_eq_u64_e64 s[6:7], 0, v[12:13]
	v_cndmask_b32_e64 v5, 0, 1, s[12:13]
	s_and_b64 s[52:53], s[18:19], s[6:7]
	v_cmp_ne_u32_e64 s[6:7], 0, v5
	v_cndmask_b32_e64 v5, 0, 1, s[44:45]
	s_bcnt1_i32_b64 s5, s[6:7]
	v_cmp_ne_u32_e64 s[6:7], 0, v5
	v_cndmask_b32_e64 v5, 0, 1, s[48:49]
	s_bcnt1_i32_b64 s11, s[6:7]
	v_cmp_ne_u32_e64 s[6:7], 0, v5
	v_cndmask_b32_e64 v5, 0, 1, s[52:53]
	s_bcnt1_i32_b64 s12, s[6:7]
	v_cmp_ne_u32_e64 s[6:7], 0, v5
	s_bcnt1_i32_b64 s6, s[6:7]
	s_add_u32 s5, s5, s42
	s_addc_u32 s7, 0, s43
	s_add_u32 s5, s5, s11
	s_addc_u32 s7, s7, 0
	;; [unrolled: 2-line block ×4, first 2 shown]
	v_cmp_eq_u64_e64 s[6:7], 1, v[18:19]
	s_and_b64 s[12:13], vcc, s[6:7]
	v_cmp_eq_u64_e64 s[6:7], 1, v[8:9]
	v_cndmask_b32_e64 v5, 0, 1, s[12:13]
	s_and_b64 s[44:45], s[14:15], s[6:7]
	v_cmp_eq_u64_e64 s[6:7], 1, v[10:11]
	s_and_b64 s[48:49], s[16:17], s[6:7]
	v_cmp_eq_u64_e64 s[6:7], 1, v[12:13]
	s_and_b64 s[52:53], s[18:19], s[6:7]
	v_cmp_ne_u32_e64 s[6:7], 0, v5
	v_cndmask_b32_e64 v5, 0, 1, s[44:45]
	s_bcnt1_i32_b64 s5, s[6:7]
	v_cmp_ne_u32_e64 s[6:7], 0, v5
	v_cndmask_b32_e64 v5, 0, 1, s[48:49]
	s_bcnt1_i32_b64 s11, s[6:7]
	;; [unrolled: 3-line block ×3, first 2 shown]
	v_cmp_ne_u32_e64 s[6:7], 0, v5
	s_bcnt1_i32_b64 s6, s[6:7]
	s_add_u32 s5, s5, s40
	s_addc_u32 s7, 0, s41
	s_add_u32 s5, s5, s11
	s_addc_u32 s7, s7, 0
	;; [unrolled: 2-line block ×4, first 2 shown]
	v_cmp_eq_u64_e64 s[6:7], 2, v[18:19]
	s_and_b64 s[12:13], vcc, s[6:7]
	v_cmp_eq_u64_e64 s[6:7], 2, v[8:9]
	v_cndmask_b32_e64 v5, 0, 1, s[12:13]
	s_and_b64 s[44:45], s[14:15], s[6:7]
	v_cmp_eq_u64_e64 s[6:7], 2, v[10:11]
	s_and_b64 s[48:49], s[16:17], s[6:7]
	v_cmp_eq_u64_e64 s[6:7], 2, v[12:13]
	s_and_b64 s[52:53], s[18:19], s[6:7]
	v_cmp_ne_u32_e64 s[6:7], 0, v5
	v_cndmask_b32_e64 v5, 0, 1, s[44:45]
	s_bcnt1_i32_b64 s5, s[6:7]
	v_cmp_ne_u32_e64 s[6:7], 0, v5
	v_cndmask_b32_e64 v5, 0, 1, s[48:49]
	s_bcnt1_i32_b64 s11, s[6:7]
	;; [unrolled: 3-line block ×3, first 2 shown]
	v_cmp_ne_u32_e64 s[6:7], 0, v5
	s_bcnt1_i32_b64 s6, s[6:7]
	s_add_u32 s5, s5, s38
	s_addc_u32 s7, 0, s39
	s_add_u32 s5, s5, s11
	s_addc_u32 s7, s7, 0
	;; [unrolled: 2-line block ×4, first 2 shown]
	v_cmp_eq_u64_e64 s[6:7], 3, v[18:19]
	s_and_b64 s[6:7], vcc, s[6:7]
	v_cmp_eq_u64_e32 vcc, 3, v[8:9]
	v_cndmask_b32_e64 v5, 0, 1, s[6:7]
	s_and_b64 s[12:13], s[14:15], vcc
	v_cmp_eq_u64_e32 vcc, 3, v[10:11]
	v_mov_b32_e32 v8, s42
	s_and_b64 s[14:15], s[16:17], vcc
	v_cmp_eq_u64_e32 vcc, 3, v[12:13]
	v_mov_b32_e32 v10, s40
	s_and_b64 s[16:17], s[18:19], vcc
	v_cmp_ne_u32_e32 vcc, 0, v5
	v_cndmask_b32_e64 v5, 0, 1, s[12:13]
	s_bcnt1_i32_b64 s5, vcc
	v_cmp_ne_u32_e32 vcc, 0, v5
	v_cndmask_b32_e64 v5, 0, 1, s[14:15]
	s_bcnt1_i32_b64 s6, vcc
	;; [unrolled: 3-line block ×3, first 2 shown]
	v_cmp_ne_u32_e32 vcc, 0, v5
	s_bcnt1_i32_b64 s11, vcc
	s_add_u32 s5, s5, s36
	s_addc_u32 s12, 0, s37
	s_add_u32 s5, s5, s6
	s_addc_u32 s6, s12, 0
	;; [unrolled: 2-line block ×3, first 2 shown]
	s_add_u32 s36, s5, s11
	v_add_co_u32_e32 v3, vcc, s10, v3
	s_addc_u32 s37, s6, 0
	v_addc_co_u32_e32 v4, vcc, 0, v4, vcc
	s_mul_i32 s5, s66, s3
	s_add_u32 s34, s34, s5
	v_cmp_le_u64_e32 vcc, s[8:9], v[3:4]
	s_addc_u32 s35, s35, s4
	v_mov_b32_e32 v12, s38
	v_mov_b32_e32 v14, s36
	s_or_b64 s[30:31], vcc, s[30:31]
	v_mov_b32_e32 v9, s43
	v_mov_b32_e32 v11, s41
	;; [unrolled: 1-line block ×4, first 2 shown]
	s_andn2_b64 exec, exec, s[30:31]
	s_cbranch_execnz .LBB156_48
; %bb.49:                               ;   in Loop: Header=BB156_6 Depth=1
	s_or_b64 exec, exec, s[30:31]
	v_readlane_b32 s52, v56, 42
	v_readlane_b32 s53, v56, 43
.LBB156_50:                             ;   in Loop: Header=BB156_6 Depth=1
	s_or_b64 exec, exec, s[20:21]
	v_mov_b32_e32 v4, s9
	v_add_co_u32_e32 v3, vcc, s8, v0
	v_addc_co_u32_e32 v4, vcc, 0, v4, vcc
	v_cmp_gt_u64_e32 vcc, s[24:25], v[3:4]
	s_and_saveexec_b64 s[8:9], vcc
	s_cbranch_execz .LBB156_56
; %bb.51:                               ;   in Loop: Header=BB156_6 Depth=1
	v_mul_lo_u32 v5, v4, s22
	v_mul_lo_u32 v18, v3, s23
	v_mad_u64_u32 v[34:35], s[4:5], v3, s22, 0
	s_mov_b64 s[4:5], 0
	v_add3_u32 v35, v35, v18, v5
	v_lshlrev_b64 v[34:35], 3, v[34:35]
	v_mov_b32_e32 v5, s47
	v_add_co_u32_e32 v34, vcc, s46, v34
	v_addc_co_u32_e32 v35, vcc, v5, v35, vcc
	global_load_dwordx2 v[36:37], v[34:35], off
	s_branch .LBB156_53
.LBB156_52:                             ;   in Loop: Header=BB156_53 Depth=2
	s_or_b64 exec, exec, s[10:11]
	s_waitcnt vmcnt(0)
	v_xor_b32_e32 v37, 0x80000000, v37
	v_and_b32_e32 v39, v37, v31
	v_and_b32_e32 v38, v36, v30
	v_lshrrev_b64 v[36:37], s56, v[36:37]
	s_and_b64 s[10:11], exec, vcc
	v_and_b32_e32 v18, 3, v36
	v_cmp_eq_u64_e32 vcc, v[38:39], v[26:27]
	v_cmp_eq_u64_e64 s[6:7], 0, v[18:19]
	s_or_b64 s[4:5], s[10:11], s[4:5]
	s_and_b64 s[6:7], vcc, s[6:7]
	v_cndmask_b32_e64 v5, 0, 1, s[6:7]
	v_cmp_ne_u32_e64 s[6:7], 0, v5
	s_bcnt1_i32_b64 s10, s[6:7]
	v_cmp_eq_u64_e64 s[6:7], 1, v[18:19]
	v_add_co_u32_e64 v8, s[14:15], s10, v8
	s_and_b64 s[6:7], vcc, s[6:7]
	v_cndmask_b32_e64 v5, 0, 1, s[6:7]
	v_cmp_ne_u32_e64 s[6:7], 0, v5
	s_bcnt1_i32_b64 s10, s[6:7]
	v_cmp_eq_u64_e64 s[6:7], 2, v[18:19]
	v_addc_co_u32_e64 v9, s[14:15], 0, v9, s[14:15]
	s_and_b64 s[6:7], vcc, s[6:7]
	v_cndmask_b32_e64 v5, 0, 1, s[6:7]
	v_cmp_ne_u32_e64 s[6:7], 0, v5
	v_add_co_u32_e64 v10, s[14:15], s10, v10
	s_bcnt1_i32_b64 s10, s[6:7]
	v_cmp_eq_u64_e64 s[6:7], 3, v[18:19]
	v_addc_co_u32_e64 v11, s[14:15], 0, v11, s[14:15]
	s_and_b64 s[6:7], vcc, s[6:7]
	v_cndmask_b32_e64 v5, 0, 1, s[6:7]
	v_cmp_ne_u32_e32 vcc, 0, v5
	s_bcnt1_i32_b64 s6, vcc
	v_add_co_u32_e64 v12, s[14:15], s10, v12
	v_add_co_u32_e32 v14, vcc, s6, v14
	v_mov_b32_e32 v37, v35
	v_addc_co_u32_e64 v13, s[14:15], 0, v13, s[14:15]
	v_addc_co_u32_e32 v15, vcc, 0, v15, vcc
	v_mov_b32_e32 v36, v34
	s_andn2_b64 exec, exec, s[4:5]
	s_cbranch_execz .LBB156_55
.LBB156_53:                             ;   Parent Loop BB156_6 Depth=1
                                        ; =>  This Inner Loop Header: Depth=2
	v_add_co_u32_e32 v3, vcc, s3, v3
	v_addc_co_u32_e32 v4, vcc, 0, v4, vcc
	v_cmp_gt_u64_e64 s[6:7], s[24:25], v[3:4]
	v_cmp_le_u64_e32 vcc, s[24:25], v[3:4]
	v_mov_b32_e32 v34, 0
	v_mov_b32_e32 v35, 0
	s_and_saveexec_b64 s[10:11], s[6:7]
	s_cbranch_execz .LBB156_52
; %bb.54:                               ;   in Loop: Header=BB156_53 Depth=2
	v_mul_lo_u32 v5, v4, s22
	v_mul_lo_u32 v18, v3, s23
	v_mad_u64_u32 v[34:35], s[6:7], v3, s22, 0
	v_add3_u32 v35, v35, v18, v5
	v_lshlrev_b64 v[34:35], 3, v[34:35]
	v_mov_b32_e32 v5, s47
	v_add_co_u32_e64 v34, s[6:7], s46, v34
	v_addc_co_u32_e64 v35, s[6:7], v5, v35, s[6:7]
	global_load_dwordx2 v[34:35], v[34:35], off
	s_branch .LBB156_52
.LBB156_55:                             ;   in Loop: Header=BB156_6 Depth=1
	s_or_b64 exec, exec, s[4:5]
.LBB156_56:                             ;   in Loop: Header=BB156_6 Depth=1
	s_or_b64 exec, exec, s[8:9]
	s_branch .LBB156_35
.LBB156_57:                             ;   in Loop: Header=BB156_6 Depth=1
	v_readlane_b32 s4, v56, 33
	v_readlane_b32 s5, v56, 34
	v_mov_b32_e32 v8, 0
	v_mov_b32_e32 v10, 0
	;; [unrolled: 1-line block ×5, first 2 shown]
	global_load_ushort v5, v19, s[4:5]
	v_mov_b32_e32 v11, 0
	v_mov_b32_e32 v13, 0
	;; [unrolled: 1-line block ×3, first 2 shown]
	s_waitcnt vmcnt(0)
	v_readfirstlane_b32 s3, v5
	s_and_b32 s4, 0xffff, s3
	s_lshl_b32 s3, s4, 2
	v_cvt_f32_u32_e32 v3, s3
	s_sub_i32 s5, 0, s3
	v_rcp_iflag_f32_e32 v3, v3
	v_mul_f32_e32 v3, 0x4f7ffffe, v3
	v_cvt_u32_f32_e32 v3, v3
	v_readfirstlane_b32 s6, v3
	s_mul_i32 s5, s5, s6
	s_mul_hi_u32 s5, s6, s5
	s_add_i32 s6, s6, s5
	s_mul_hi_u32 s5, s2, s6
	s_mul_i32 s6, s5, s3
	s_sub_i32 s6, s2, s6
	s_add_i32 s7, s5, 1
	s_sub_i32 s8, s6, s3
	s_cmp_ge_u32 s6, s3
	s_cselect_b32 s5, s7, s5
	s_cselect_b32 s6, s8, s6
	s_add_i32 s7, s5, 1
	s_cmp_ge_u32 s6, s3
	s_cselect_b32 s5, s7, s5
	s_mul_hi_u32 s9, s4, s5
	s_mul_i32 s8, s4, s5
	s_lshl_b64 s[20:21], s[8:9], 2
	v_cmp_gt_u64_e32 vcc, s[20:21], v[20:21]
	s_and_saveexec_b64 s[30:31], vcc
	s_cbranch_execz .LBB156_61
; %bb.58:                               ;   in Loop: Header=BB156_6 Depth=1
	v_mov_b32_e32 v3, v20
	s_lshl_b32 s5, s4, 5
	s_mov_b64 s[34:35], 0
	v_mov_b32_e32 v34, v46
	s_mov_b64 s[36:37], 0
	s_mov_b64 s[38:39], 0
	;; [unrolled: 1-line block ×4, first 2 shown]
	v_mov_b32_e32 v4, v21
.LBB156_59:                             ;   Parent Loop BB156_6 Depth=1
                                        ; =>  This Inner Loop Header: Depth=2
	ds_read_b128 v[12:15], v34
	ds_read_b128 v[8:11], v34 offset:16
	v_add_u32_e32 v34, s5, v34
	s_waitcnt lgkmcnt(1)
	v_xor_b32_e32 v13, 0x80000000, v13
	v_and_b32_e32 v36, v13, v31
	v_and_b32_e32 v35, v12, v30
	v_lshrrev_b64 v[12:13], s56, v[12:13]
	v_xor_b32_e32 v15, 0x80000000, v15
	v_and_b32_e32 v18, 3, v12
	v_lshrrev_b64 v[12:13], s56, v[14:15]
	s_waitcnt lgkmcnt(0)
	v_xor_b32_e32 v9, 0x80000000, v9
	v_cmp_eq_u64_e32 vcc, v[35:36], v[26:27]
	v_and_b32_e32 v36, v15, v31
	v_and_b32_e32 v35, v14, v30
	v_cmp_eq_u64_e64 s[6:7], 0, v[18:19]
	v_cmp_eq_u64_e64 s[14:15], v[35:36], v[26:27]
	v_and_b32_e32 v36, v9, v31
	v_and_b32_e32 v35, v8, v30
	;; [unrolled: 1-line block ×3, first 2 shown]
	v_mov_b32_e32 v13, v19
	v_lshrrev_b64 v[8:9], s56, v[8:9]
	v_xor_b32_e32 v11, 0x80000000, v11
	s_and_b64 s[10:11], vcc, s[6:7]
	v_cmp_eq_u64_e64 s[6:7], 0, v[12:13]
	v_cmp_eq_u64_e64 s[16:17], v[35:36], v[26:27]
	v_and_b32_e32 v36, v11, v31
	v_and_b32_e32 v35, v10, v30
	;; [unrolled: 1-line block ×3, first 2 shown]
	v_mov_b32_e32 v9, v19
	v_lshrrev_b64 v[10:11], s56, v[10:11]
	s_and_b64 s[12:13], s[14:15], s[6:7]
	v_cmp_eq_u64_e64 s[6:7], 0, v[8:9]
	v_and_b32_e32 v10, 3, v10
	v_mov_b32_e32 v11, v19
	v_cmp_eq_u64_e64 s[18:19], v[35:36], v[26:27]
	s_and_b64 s[44:45], s[16:17], s[6:7]
	v_cmp_eq_u64_e64 s[6:7], 0, v[10:11]
	v_cndmask_b32_e64 v14, 0, 1, s[10:11]
	s_and_b64 s[48:49], s[18:19], s[6:7]
	v_cmp_ne_u32_e64 s[6:7], 0, v14
	v_cndmask_b32_e64 v14, 0, 1, s[12:13]
	s_bcnt1_i32_b64 s9, s[6:7]
	v_cmp_ne_u32_e64 s[6:7], 0, v14
	v_cndmask_b32_e64 v14, 0, 1, s[44:45]
	s_bcnt1_i32_b64 s10, s[6:7]
	;; [unrolled: 3-line block ×3, first 2 shown]
	v_cmp_ne_u32_e64 s[6:7], 0, v14
	s_bcnt1_i32_b64 s6, s[6:7]
	s_add_u32 s7, s9, s42
	s_addc_u32 s9, 0, s43
	s_add_u32 s7, s7, s10
	s_addc_u32 s9, s9, 0
	;; [unrolled: 2-line block ×3, first 2 shown]
	s_add_u32 s42, s7, s6
	v_cmp_eq_u64_e64 s[6:7], 1, v[18:19]
	s_addc_u32 s43, s9, 0
	s_and_b64 s[10:11], vcc, s[6:7]
	v_cmp_eq_u64_e64 s[6:7], 1, v[12:13]
	v_cndmask_b32_e64 v14, 0, 1, s[10:11]
	s_and_b64 s[12:13], s[14:15], s[6:7]
	v_cmp_eq_u64_e64 s[6:7], 1, v[8:9]
	s_and_b64 s[44:45], s[16:17], s[6:7]
	v_cmp_eq_u64_e64 s[6:7], 1, v[10:11]
	s_and_b64 s[48:49], s[18:19], s[6:7]
	v_cmp_ne_u32_e64 s[6:7], 0, v14
	v_cndmask_b32_e64 v14, 0, 1, s[12:13]
	s_bcnt1_i32_b64 s9, s[6:7]
	v_cmp_ne_u32_e64 s[6:7], 0, v14
	v_cndmask_b32_e64 v14, 0, 1, s[44:45]
	s_bcnt1_i32_b64 s10, s[6:7]
	;; [unrolled: 3-line block ×3, first 2 shown]
	v_cmp_ne_u32_e64 s[6:7], 0, v14
	s_bcnt1_i32_b64 s6, s[6:7]
	s_add_u32 s7, s9, s40
	s_addc_u32 s9, 0, s41
	s_add_u32 s7, s7, s10
	s_addc_u32 s9, s9, 0
	;; [unrolled: 2-line block ×3, first 2 shown]
	s_add_u32 s40, s7, s6
	v_cmp_eq_u64_e64 s[6:7], 2, v[18:19]
	s_addc_u32 s41, s9, 0
	s_and_b64 s[10:11], vcc, s[6:7]
	v_cmp_eq_u64_e64 s[6:7], 2, v[12:13]
	v_cndmask_b32_e64 v14, 0, 1, s[10:11]
	s_and_b64 s[12:13], s[14:15], s[6:7]
	v_cmp_eq_u64_e64 s[6:7], 2, v[8:9]
	s_and_b64 s[44:45], s[16:17], s[6:7]
	v_cmp_eq_u64_e64 s[6:7], 2, v[10:11]
	s_and_b64 s[48:49], s[18:19], s[6:7]
	v_cmp_ne_u32_e64 s[6:7], 0, v14
	v_cndmask_b32_e64 v14, 0, 1, s[12:13]
	s_bcnt1_i32_b64 s9, s[6:7]
	v_cmp_ne_u32_e64 s[6:7], 0, v14
	v_cndmask_b32_e64 v14, 0, 1, s[44:45]
	s_bcnt1_i32_b64 s10, s[6:7]
	;; [unrolled: 3-line block ×3, first 2 shown]
	v_cmp_ne_u32_e64 s[6:7], 0, v14
	s_bcnt1_i32_b64 s6, s[6:7]
	s_add_u32 s7, s9, s38
	s_addc_u32 s9, 0, s39
	s_add_u32 s7, s7, s10
	s_addc_u32 s9, s9, 0
	s_add_u32 s7, s7, s11
	s_addc_u32 s9, s9, 0
	s_add_u32 s38, s7, s6
	v_cmp_eq_u64_e64 s[6:7], 3, v[18:19]
	s_addc_u32 s39, s9, 0
	s_and_b64 s[6:7], vcc, s[6:7]
	v_cmp_eq_u64_e32 vcc, 3, v[12:13]
	v_mov_b32_e32 v12, s38
	s_and_b64 s[10:11], s[14:15], vcc
	v_cmp_eq_u64_e32 vcc, 3, v[8:9]
	v_cndmask_b32_e64 v8, 0, 1, s[6:7]
	s_and_b64 s[12:13], s[16:17], vcc
	v_cmp_eq_u64_e32 vcc, 3, v[10:11]
	v_mov_b32_e32 v10, s40
	s_and_b64 s[14:15], s[18:19], vcc
	v_cmp_ne_u32_e32 vcc, 0, v8
	v_cndmask_b32_e64 v8, 0, 1, s[10:11]
	s_bcnt1_i32_b64 s6, vcc
	v_cmp_ne_u32_e32 vcc, 0, v8
	v_cndmask_b32_e64 v8, 0, 1, s[12:13]
	s_bcnt1_i32_b64 s7, vcc
	;; [unrolled: 3-line block ×3, first 2 shown]
	v_cmp_ne_u32_e32 vcc, 0, v8
	s_bcnt1_i32_b64 s10, vcc
	s_add_u32 s6, s6, s36
	s_addc_u32 s11, 0, s37
	s_add_u32 s6, s6, s7
	s_addc_u32 s7, s11, 0
	s_add_u32 s6, s6, s9
	v_add_co_u32_e32 v3, vcc, s3, v3
	s_addc_u32 s7, s7, 0
	v_addc_co_u32_e32 v4, vcc, 0, v4, vcc
	s_add_u32 s36, s6, s10
	v_cmp_le_u64_e32 vcc, s[20:21], v[3:4]
	s_addc_u32 s37, s7, 0
	v_mov_b32_e32 v8, s42
	v_mov_b32_e32 v14, s36
	s_or_b64 s[34:35], vcc, s[34:35]
	v_mov_b32_e32 v9, s43
	v_mov_b32_e32 v11, s41
	;; [unrolled: 1-line block ×4, first 2 shown]
	s_andn2_b64 exec, exec, s[34:35]
	s_cbranch_execnz .LBB156_59
; %bb.60:                               ;   in Loop: Header=BB156_6 Depth=1
	s_or_b64 exec, exec, s[34:35]
.LBB156_61:                             ;   in Loop: Header=BB156_6 Depth=1
	s_or_b64 exec, exec, s[30:31]
	v_mov_b32_e32 v4, s21
	v_add_co_u32_e32 v3, vcc, s20, v0
	s_and_b32 s50, s2, 0x7fffffff
	v_addc_co_u32_e32 v4, vcc, 0, v4, vcc
	v_cmp_gt_u64_e32 vcc, s[50:51], v[3:4]
	s_and_saveexec_b64 s[2:3], vcc
	s_cbranch_execz .LBB156_65
; %bb.62:                               ;   in Loop: Header=BB156_6 Depth=1
	v_lshl_add_u32 v34, s8, 5, v44
	s_lshl_b32 s4, s4, 3
	s_mov_b64 s[8:9], 0
.LBB156_63:                             ;   Parent Loop BB156_6 Depth=1
                                        ; =>  This Inner Loop Header: Depth=2
	ds_read_b64 v[35:36], v34
	v_add_u32_e32 v34, s4, v34
	s_waitcnt lgkmcnt(0)
	v_xor_b32_e32 v36, 0x80000000, v36
	v_and_b32_e32 v38, v36, v31
	v_and_b32_e32 v37, v35, v30
	v_lshrrev_b64 v[35:36], s56, v[35:36]
	v_cmp_eq_u64_e32 vcc, v[37:38], v[26:27]
	v_and_b32_e32 v18, 3, v35
	v_cmp_eq_u64_e64 s[6:7], 0, v[18:19]
	s_and_b64 s[6:7], vcc, s[6:7]
	v_cndmask_b32_e64 v35, 0, 1, s[6:7]
	v_cmp_ne_u32_e64 s[6:7], 0, v35
	s_bcnt1_i32_b64 s5, s[6:7]
	v_add_co_u32_e64 v8, s[6:7], s5, v8
	v_addc_co_u32_e64 v9, s[6:7], 0, v9, s[6:7]
	v_cmp_eq_u64_e64 s[6:7], 1, v[18:19]
	s_and_b64 s[6:7], vcc, s[6:7]
	v_cndmask_b32_e64 v35, 0, 1, s[6:7]
	v_cmp_ne_u32_e64 s[6:7], 0, v35
	s_bcnt1_i32_b64 s5, s[6:7]
	v_add_co_u32_e64 v10, s[6:7], s5, v10
	v_addc_co_u32_e64 v11, s[6:7], 0, v11, s[6:7]
	;; [unrolled: 7-line block ×3, first 2 shown]
	v_cmp_eq_u64_e64 s[6:7], 3, v[18:19]
	s_and_b64 s[6:7], vcc, s[6:7]
	v_cndmask_b32_e64 v18, 0, 1, s[6:7]
	v_cmp_ne_u32_e32 vcc, 0, v18
	s_bcnt1_i32_b64 s5, vcc
	v_add_co_u32_e32 v14, vcc, s5, v14
	v_addc_co_u32_e32 v15, vcc, 0, v15, vcc
	v_add_co_u32_sdwa v3, vcc, v3, v5 dst_sel:DWORD dst_unused:UNUSED_PAD src0_sel:DWORD src1_sel:WORD_0
	v_addc_co_u32_e32 v4, vcc, 0, v4, vcc
	v_cmp_le_u64_e32 vcc, s[50:51], v[3:4]
	s_or_b64 s[8:9], vcc, s[8:9]
	s_andn2_b64 exec, exec, s[8:9]
	s_cbranch_execnz .LBB156_63
; %bb.64:                               ;   in Loop: Header=BB156_6 Depth=1
	s_or_b64 exec, exec, s[8:9]
.LBB156_65:                             ;   in Loop: Header=BB156_6 Depth=1
	s_or_b64 exec, exec, s[2:3]
	s_lshl_b32 s4, s57, 6
	s_and_saveexec_b64 s[2:3], s[0:1]
	s_cbranch_execnz .LBB156_36
	s_branch .LBB156_37
.LBB156_66:                             ;   in Loop: Header=BB156_6 Depth=1
                                        ; implicit-def: $sgpr4_sgpr5
	s_branch .LBB156_45
.LBB156_67:                             ;   in Loop: Header=BB156_6 Depth=1
	v_mov_b32_e32 v3, 0
	v_mov_b32_e32 v4, 0
	s_mov_b32 s5, 0
.LBB156_68:                             ;   in Loop: Header=BB156_6 Depth=1
	v_readlane_b32 s6, v56, 38
	v_readlane_b32 s7, v56, 39
	s_andn2_b64 vcc, exec, s[6:7]
	s_cbranch_vccnz .LBB156_71
; %bb.69:                               ;   in Loop: Header=BB156_6 Depth=1
	s_lshl_b32 s6, s57, 9
	s_lshl_b32 s5, s5, 5
	s_add_i32 s6, s6, s5
	v_add_u32_e32 v5, s6, v50
	v_readlane_b32 s5, v56, 37
.LBB156_70:                             ;   Parent Loop BB156_6 Depth=1
                                        ; =>  This Inner Loop Header: Depth=2
	ds_read_b64 v[8:9], v5
	s_add_i32 s5, s5, -1
	v_add_u32_e32 v5, 32, v5
	s_cmp_lg_u32 s5, 0
	s_waitcnt lgkmcnt(0)
	v_add_co_u32_e32 v3, vcc, v8, v3
	v_addc_co_u32_e32 v4, vcc, v9, v4, vcc
	s_cbranch_scc1 .LBB156_70
.LBB156_71:                             ;   in Loop: Header=BB156_6 Depth=1
	v_add_lshl_u32 v5, s4, v43, 3
	ds_write_b64 v5, v[3:4] offset:3072
.LBB156_72:                             ;   in Loop: Header=BB156_6 Depth=1
	s_or_b64 exec, exec, s[2:3]
	s_lshl_b32 s2, s4, 3
	v_mov_b32_e32 v3, s2
	s_waitcnt lgkmcnt(0)
	s_barrier
	ds_read_b128 v[8:11], v3 offset:3072
	ds_read_b128 v[12:15], v3 offset:3088
	s_lshl_b64 s[18:19], 3, s56
	v_cmp_eq_u64_e64 s[14:15], 1, v[32:33]
	s_not_b64 s[90:91], s[18:19]
	s_waitcnt lgkmcnt(1)
	v_readfirstlane_b32 s17, v9
	v_readfirstlane_b32 s16, v8
	;; [unrolled: 1-line block ×4, first 2 shown]
	s_waitcnt lgkmcnt(0)
	v_readfirstlane_b32 s39, v13
	v_readfirstlane_b32 s38, v12
	v_readfirstlane_b32 s41, v15
	v_readfirstlane_b32 s40, v14
	s_mov_b64 s[34:35], -1
	s_mov_b64 s[92:93], 0
	s_andn2_b64 vcc, exec, s[52:53]
	s_mov_b64 s[44:45], 0
	s_mov_b64 s[42:43], 0
                                        ; implicit-def: $sgpr2_sgpr3
                                        ; implicit-def: $sgpr30_sgpr31
                                        ; implicit-def: $vgpr34_vgpr35
                                        ; implicit-def: $vgpr52
                                        ; implicit-def: $vgpr12_vgpr13
                                        ; implicit-def: $vgpr14_vgpr15
                                        ; implicit-def: $vgpr10_vgpr11
	s_cbranch_vccnz .LBB156_268
; %bb.73:                               ;   in Loop: Header=BB156_6 Depth=1
	s_cmp_eq_u64 s[16:17], 1
	s_cselect_b64 s[2:3], -1, 0
	v_mov_b32_e32 v12, v26
	v_mov_b32_e32 v14, v30
	;; [unrolled: 1-line block ×3, first 2 shown]
	s_and_b64 s[6:7], s[2:3], s[14:15]
	s_mov_b64 s[4:5], -1
	v_mov_b32_e32 v13, v27
	v_mov_b32_e32 v15, v31
	;; [unrolled: 1-line block ×3, first 2 shown]
                                        ; implicit-def: $sgpr30_sgpr31
                                        ; implicit-def: $sgpr2_sgpr3
	s_and_saveexec_b64 s[8:9], s[6:7]
	s_cbranch_execz .LBB156_108
; %bb.74:                               ;   in Loop: Header=BB156_6 Depth=1
	ds_read_b64 v[3:4], v19 offset:5120
	s_waitcnt lgkmcnt(0)
	s_barrier
	v_readfirstlane_b32 s12, v3
	v_readfirstlane_b32 s13, v4
	s_mov_b64 s[2:3], exec
	v_readlane_b32 s4, v56, 24
	v_readlane_b32 s5, v56, 25
	s_and_b64 s[4:5], s[2:3], s[4:5]
	s_mov_b64 exec, s[4:5]
; %bb.75:                               ;   in Loop: Header=BB156_6 Depth=1
	v_mov_b32_e32 v18, v19
	ds_write_b64 v45, v[18:19]
; %bb.76:                               ;   in Loop: Header=BB156_6 Depth=1
	s_or_b64 exec, exec, s[2:3]
	v_and_b32_e32 v13, s91, v27
	v_and_b32_e32 v12, s90, v26
	v_or_b32_e32 v15, s19, v31
	v_or_b32_e32 v14, s18, v30
	s_mov_b64 s[2:3], -1
	s_mov_b64 s[30:31], 0
	s_cmp_eq_u64 s[12:13], 0
	s_mov_b64 s[10:11], 0
	s_mov_b64 s[4:5], -1
	s_waitcnt lgkmcnt(0)
	s_barrier
                                        ; implicit-def: $vgpr10_vgpr11
	s_cbranch_scc1 .LBB156_93
; %bb.77:                               ;   in Loop: Header=BB156_6 Depth=1
	v_readlane_b32 s4, v56, 28
	s_add_u32 s34, s12, s4
	v_readlane_b32 s4, v56, 30
	s_addc_u32 s11, s13, s4
	s_mov_b32 s10, s51
	s_cmp_lg_u64 s[10:11], 0
	s_cbranch_scc0 .LBB156_134
; %bb.78:                               ;   in Loop: Header=BB156_6 Depth=1
	v_cvt_f32_u32_e32 v3, s33
	s_sub_u32 s10, 0, s33
	s_subb_u32 s20, 0, 0
	v_mac_f32_e32 v3, 0, v51
	v_rcp_f32_e32 v3, v3
	v_mul_f32_e32 v3, 0x5f7ffffc, v3
	v_mul_f32_e32 v4, 0x2f800000, v3
	v_trunc_f32_e32 v4, v4
	v_mac_f32_e32 v3, 0xcf800000, v4
	v_cvt_u32_f32_e32 v4, v4
	v_cvt_u32_f32_e32 v3, v3
	v_readfirstlane_b32 s21, v4
	v_readfirstlane_b32 s4, v3
	s_mul_i32 s5, s10, s21
	s_mul_hi_u32 s36, s10, s4
	s_mul_i32 s35, s20, s4
	s_add_i32 s5, s36, s5
	s_mul_i32 s37, s10, s4
	s_add_i32 s5, s5, s35
	s_mul_hi_u32 s36, s4, s37
	s_mul_i32 s42, s4, s5
	s_mul_hi_u32 s35, s4, s5
	s_add_u32 s36, s36, s42
	s_addc_u32 s35, 0, s35
	s_mul_hi_u32 s43, s21, s37
	s_mul_i32 s37, s21, s37
	s_add_u32 s36, s36, s37
	s_mul_hi_u32 s42, s21, s5
	s_addc_u32 s35, s35, s43
	s_addc_u32 s36, s42, 0
	s_mul_i32 s5, s21, s5
	s_add_u32 s5, s35, s5
	s_addc_u32 s35, 0, s36
	s_add_u32 s36, s4, s5
	s_cselect_b64 s[4:5], -1, 0
	s_cmp_lg_u64 s[4:5], 0
	s_addc_u32 s21, s21, s35
	s_mul_i32 s4, s10, s21
	s_mul_hi_u32 s5, s10, s36
	s_add_i32 s4, s5, s4
	s_mul_i32 s20, s20, s36
	s_add_i32 s4, s4, s20
	s_mul_i32 s10, s10, s36
	s_mul_hi_u32 s20, s21, s10
	s_mul_i32 s35, s21, s10
	s_mul_i32 s42, s36, s4
	s_mul_hi_u32 s10, s36, s10
	s_mul_hi_u32 s37, s36, s4
	s_add_u32 s10, s10, s42
	s_addc_u32 s37, 0, s37
	s_add_u32 s10, s10, s35
	s_mul_hi_u32 s5, s21, s4
	s_addc_u32 s10, s37, s20
	s_addc_u32 s5, s5, 0
	s_mul_i32 s4, s21, s4
	s_add_u32 s4, s10, s4
	s_addc_u32 s10, 0, s5
	s_add_u32 s20, s36, s4
	s_cselect_b64 s[4:5], -1, 0
	s_cmp_lg_u64 s[4:5], 0
	s_addc_u32 s4, s21, s10
	s_mul_i32 s10, s34, s4
	s_mul_hi_u32 s21, s34, s20
	s_mul_hi_u32 s5, s34, s4
	s_add_u32 s10, s21, s10
	s_addc_u32 s5, 0, s5
	s_mul_hi_u32 s35, s11, s20
	s_mul_i32 s20, s11, s20
	s_add_u32 s10, s10, s20
	s_mul_hi_u32 s21, s11, s4
	s_addc_u32 s5, s5, s35
	s_addc_u32 s10, s21, 0
	s_mul_i32 s4, s11, s4
	s_add_u32 s4, s5, s4
	s_addc_u32 s5, 0, s10
	s_mul_i32 s5, s33, s5
	s_mul_hi_u32 s10, s33, s4
	s_add_i32 s10, s10, s5
	s_mul_i32 s4, s33, s4
	s_sub_u32 s20, s34, s4
	s_cselect_b64 s[4:5], -1, 0
	s_cmp_lg_u64 s[4:5], 0
	s_subb_u32 s10, s11, s10
	s_sub_u32 s21, s20, s33
	s_cselect_b64 s[4:5], -1, 0
	s_cmp_lg_u64 s[4:5], 0
	s_subb_u32 s35, s10, 0
	;; [unrolled: 4-line block ×3, first 2 shown]
	s_cmp_ge_u32 s21, s33
	s_cselect_b32 s5, -1, 0
	s_cmp_eq_u32 s35, 0
	s_cselect_b32 s5, s5, -1
	s_cmp_lg_u32 s5, 0
	s_cselect_b32 s4, s4, s35
	s_cselect_b32 s21, s36, s21
	s_cmp_ge_u32 s20, s33
	s_cselect_b32 s5, -1, 0
	s_cmp_eq_u32 s10, 0
	s_cselect_b32 s5, s5, -1
	s_cmp_lg_u32 s5, 0
	s_cselect_b32 s5, s4, s10
	s_cselect_b32 s4, s21, s20
	s_cbranch_execnz .LBB156_80
.LBB156_79:                             ;   in Loop: Header=BB156_6 Depth=1
	v_cvt_f32_u32_e32 v3, s33
	s_sub_i32 s4, 0, s33
	v_rcp_iflag_f32_e32 v3, v3
	v_mul_f32_e32 v3, 0x4f7ffffe, v3
	v_cvt_u32_f32_e32 v3, v3
	v_readfirstlane_b32 s5, v3
	s_mul_i32 s4, s4, s5
	s_mul_hi_u32 s4, s5, s4
	s_add_i32 s5, s5, s4
	s_mul_hi_u32 s4, s34, s5
	s_mul_i32 s4, s4, s33
	s_sub_i32 s4, s34, s4
	s_sub_i32 s5, s4, s33
	s_cmp_ge_u32 s4, s33
	s_cselect_b32 s4, s5, s4
	s_sub_i32 s5, s4, s33
	s_cmp_ge_u32 s4, s33
	s_cselect_b32 s50, s5, s4
	s_mov_b64 s[4:5], s[50:51]
.LBB156_80:                             ;   in Loop: Header=BB156_6 Depth=1
	s_sub_u32 s34, s34, s4
	s_subb_u32 s35, s11, s5
	v_cmp_gt_u64_e32 vcc, s[34:35], v[0:1]
	s_mov_b64 s[4:5], 0
	s_mov_b64 s[10:11], 0
                                        ; implicit-def: $vgpr10_vgpr11
	s_and_saveexec_b64 s[20:21], vcc
	s_cbranch_execz .LBB156_92
; %bb.81:                               ;   in Loop: Header=BB156_6 Depth=1
	v_mov_b32_e32 v35, v1
	v_mov_b32_e32 v18, v44
	;; [unrolled: 1-line block ×3, first 2 shown]
                                        ; implicit-def: $sgpr36_sgpr37
	s_branch .LBB156_84
.LBB156_82:                             ;   in Loop: Header=BB156_84 Depth=2
	s_or_b64 exec, exec, s[42:43]
	s_waitcnt lgkmcnt(0)
	s_barrier
	ds_read_b128 v[8:11], v19 offset:3072
	s_mov_b64 s[42:43], -1
	s_mov_b64 s[44:45], -1
	s_waitcnt lgkmcnt(0)
	s_barrier
	v_cmp_ne_u64_e32 vcc, 0, v[8:9]
	s_cbranch_vccz .LBB156_87
.LBB156_83:                             ;   in Loop: Header=BB156_84 Depth=2
	s_and_b64 s[42:43], exec, s[42:43]
	s_or_b64 s[10:11], s[42:43], s[10:11]
	s_andn2_b64 s[36:37], s[36:37], exec
	s_and_b64 s[42:43], s[44:45], exec
	s_or_b64 s[36:37], s[36:37], s[42:43]
	s_andn2_b64 exec, exec, s[10:11]
	s_cbranch_execz .LBB156_91
.LBB156_84:                             ;   Parent Loop BB156_6 Depth=1
                                        ; =>  This Inner Loop Header: Depth=2
	v_cmp_gt_u64_e32 vcc, s[12:13], v[34:35]
	s_and_saveexec_b64 s[42:43], vcc
	s_cbranch_execz .LBB156_82
; %bb.85:                               ;   in Loop: Header=BB156_84 Depth=2
	ds_read_b64 v[4:5], v18
	s_waitcnt lgkmcnt(0)
	v_xor_b32_e32 v3, 0x80000000, v5
	v_and_b32_e32 v9, v3, v15
	v_and_b32_e32 v8, v4, v14
	v_cmp_eq_u64_e32 vcc, v[8:9], v[12:13]
	s_and_b64 exec, exec, vcc
	s_cbranch_execz .LBB156_82
; %bb.86:                               ;   in Loop: Header=BB156_84 Depth=2
	v_mov_b32_e32 v3, v19
	ds_write_b128 v19, v[2:5] offset:3072
	s_branch .LBB156_82
.LBB156_87:                             ;   in Loop: Header=BB156_84 Depth=2
	v_add_co_u32_e32 v34, vcc, s33, v34
	v_addc_co_u32_e32 v35, vcc, 0, v35, vcc
	v_cmp_le_u64_e32 vcc, s[34:35], v[34:35]
	v_add_u32_e32 v18, s58, v18
	s_mov_b64 s[44:45], 0
	s_orn2_b64 s[42:43], vcc, exec
	s_branch .LBB156_83
.LBB156_88:                             ;   in Loop: Header=BB156_6 Depth=1
	s_or_b64 exec, exec, s[8:9]
	s_waitcnt lgkmcnt(0)
	s_barrier
	s_mov_b64 s[4:5], exec
	v_readlane_b32 s6, v56, 8
	v_readlane_b32 s7, v56, 9
	s_and_b64 s[6:7], s[4:5], s[6:7]
	s_mov_b64 exec, s[6:7]
	s_cbranch_execz .LBB156_90
; %bb.89:                               ;   in Loop: Header=BB156_6 Depth=1
	ds_read_b32 v3, v19 offset:5144
	s_waitcnt lgkmcnt(0)
	v_ashrrev_i32_e32 v4, 31, v3
	ds_write_b64 v19, v[3:4] offset:5120
.LBB156_90:                             ;   in Loop: Header=BB156_6 Depth=1
	s_or_b64 exec, exec, s[4:5]
	s_waitcnt lgkmcnt(0)
	s_barrier
	s_mov_b64 s[4:5], -1
	s_and_b64 vcc, exec, s[2:3]
	s_cbranch_vccnz .LBB156_22
	s_branch .LBB156_31
.LBB156_91:                             ;   in Loop: Header=BB156_6 Depth=1
	s_or_b64 exec, exec, s[10:11]
	s_and_b64 s[10:11], s[36:37], exec
.LBB156_92:                             ;   in Loop: Header=BB156_6 Depth=1
	s_or_b64 exec, exec, s[20:21]
.LBB156_93:                             ;   in Loop: Header=BB156_6 Depth=1
	s_and_b64 vcc, exec, s[4:5]
	s_cbranch_vccz .LBB156_107
; %bb.94:                               ;   in Loop: Header=BB156_6 Depth=1
	v_readlane_b32 s34, v56, 31
	v_readlane_b32 s35, v56, 32
	s_mov_b32 s34, s51
	s_cmp_lg_u64 s[34:35], 0
	v_writelane_b32 v56, s34, 31
	v_writelane_b32 v56, s35, 32
	s_cbranch_scc0 .LBB156_135
; %bb.95:                               ;   in Loop: Header=BB156_6 Depth=1
	v_cvt_f32_u32_e32 v3, s33
	s_sub_u32 s4, 0, s33
	s_subb_u32 s5, 0, 0
	v_mac_f32_e32 v3, 0, v51
	v_rcp_f32_e32 v3, v3
	v_mul_f32_e32 v3, 0x5f7ffffc, v3
	v_mul_f32_e32 v4, 0x2f800000, v3
	v_trunc_f32_e32 v4, v4
	v_mac_f32_e32 v3, 0xcf800000, v4
	v_cvt_u32_f32_e32 v4, v4
	v_cvt_u32_f32_e32 v3, v3
	v_readfirstlane_b32 s12, v4
	v_readfirstlane_b32 s2, v3
	s_mul_i32 s3, s4, s12
	s_mul_hi_u32 s20, s4, s2
	s_mul_i32 s13, s5, s2
	s_add_i32 s3, s20, s3
	s_mul_i32 s21, s4, s2
	s_add_i32 s3, s3, s13
	s_mul_hi_u32 s20, s2, s21
	s_mul_i32 s30, s2, s3
	s_mul_hi_u32 s13, s2, s3
	s_add_u32 s20, s20, s30
	s_addc_u32 s13, 0, s13
	s_mul_hi_u32 s31, s12, s21
	s_mul_i32 s21, s12, s21
	s_add_u32 s20, s20, s21
	s_mul_hi_u32 s30, s12, s3
	s_addc_u32 s13, s13, s31
	s_addc_u32 s20, s30, 0
	s_mul_i32 s3, s12, s3
	s_add_u32 s3, s13, s3
	s_addc_u32 s13, 0, s20
	s_add_u32 s20, s2, s3
	s_cselect_b64 s[2:3], -1, 0
	s_cmp_lg_u64 s[2:3], 0
	s_addc_u32 s12, s12, s13
	s_mul_i32 s2, s4, s12
	s_mul_hi_u32 s3, s4, s20
	s_add_i32 s2, s3, s2
	s_mul_i32 s5, s5, s20
	s_add_i32 s2, s2, s5
	s_mul_i32 s4, s4, s20
	s_mul_hi_u32 s5, s12, s4
	s_mul_i32 s13, s12, s4
	s_mul_i32 s30, s20, s2
	s_mul_hi_u32 s4, s20, s4
	s_mul_hi_u32 s21, s20, s2
	s_add_u32 s4, s4, s30
	s_addc_u32 s21, 0, s21
	s_add_u32 s4, s4, s13
	s_mul_hi_u32 s3, s12, s2
	s_addc_u32 s4, s21, s5
	s_addc_u32 s3, s3, 0
	s_mul_i32 s2, s12, s2
	s_add_u32 s2, s4, s2
	s_addc_u32 s4, 0, s3
	s_add_u32 s5, s20, s2
	s_cselect_b64 s[2:3], -1, 0
	s_cmp_lg_u64 s[2:3], 0
	s_addc_u32 s2, s12, s4
	v_readlane_b32 s20, v56, 29
	s_mul_i32 s4, s20, s2
	s_mul_hi_u32 s12, s20, s5
	s_mul_hi_u32 s3, s20, s2
	s_add_u32 s4, s12, s4
	s_addc_u32 s3, 0, s3
	s_mul_hi_u32 s13, s35, s5
	s_mul_i32 s5, s35, s5
	s_add_u32 s4, s4, s5
	s_mul_hi_u32 s12, s35, s2
	s_addc_u32 s3, s3, s13
	s_addc_u32 s4, s12, 0
	s_mul_i32 s2, s35, s2
	s_add_u32 s2, s3, s2
	s_addc_u32 s3, 0, s4
	s_mul_i32 s3, s33, s3
	s_mul_hi_u32 s4, s33, s2
	s_add_i32 s4, s4, s3
	s_mul_i32 s2, s33, s2
	s_sub_u32 s5, s20, s2
	s_cselect_b64 s[2:3], -1, 0
	s_cmp_lg_u64 s[2:3], 0
	s_subb_u32 s4, s35, s4
	s_sub_u32 s12, s5, s33
	s_cselect_b64 s[2:3], -1, 0
	s_cmp_lg_u64 s[2:3], 0
	s_subb_u32 s13, s4, 0
	;; [unrolled: 4-line block ×3, first 2 shown]
	s_cmp_ge_u32 s12, s33
	s_cselect_b32 s3, -1, 0
	s_cmp_eq_u32 s13, 0
	s_cselect_b32 s3, s3, -1
	s_cmp_lg_u32 s3, 0
	s_cselect_b32 s2, s2, s13
	s_cselect_b32 s12, s20, s12
	s_cmp_ge_u32 s5, s33
	s_cselect_b32 s3, -1, 0
	s_cmp_eq_u32 s4, 0
	s_cselect_b32 s3, s3, -1
	s_cmp_lg_u32 s3, 0
	s_cselect_b32 s3, s2, s4
	s_cselect_b32 s2, s12, s5
	s_cbranch_execnz .LBB156_97
.LBB156_96:                             ;   in Loop: Header=BB156_6 Depth=1
	v_cvt_f32_u32_e32 v3, s33
	s_sub_i32 s2, 0, s33
	v_readlane_b32 s4, v56, 29
	v_rcp_iflag_f32_e32 v3, v3
	v_mul_f32_e32 v3, 0x4f7ffffe, v3
	v_cvt_u32_f32_e32 v3, v3
	v_readfirstlane_b32 s3, v3
	s_mul_i32 s2, s2, s3
	s_mul_hi_u32 s2, s3, s2
	s_add_i32 s3, s3, s2
	s_mul_hi_u32 s2, s4, s3
	s_mul_i32 s2, s2, s33
	s_sub_i32 s2, s4, s2
	s_sub_i32 s3, s2, s33
	s_cmp_ge_u32 s2, s33
	s_cselect_b32 s2, s3, s2
	s_sub_i32 s3, s2, s33
	s_cmp_ge_u32 s2, s33
	s_cselect_b32 s50, s3, s2
	s_mov_b64 s[2:3], s[50:51]
.LBB156_97:                             ;   in Loop: Header=BB156_6 Depth=1
	v_readlane_b32 s4, v56, 29
	v_readlane_b32 s12, v56, 31
	s_sub_u32 s4, s4, s2
	v_readlane_b32 s13, v56, 32
	s_subb_u32 s5, s13, s3
	v_cmp_gt_u64_e32 vcc, s[4:5], v[0:1]
                                        ; implicit-def: $vgpr10_vgpr11
	s_and_saveexec_b64 s[2:3], vcc
	s_cbranch_execz .LBB156_106
; %bb.98:                               ;   in Loop: Header=BB156_6 Depth=1
	v_mov_b32_e32 v35, v17
	v_mov_b32_e32 v37, v1
	s_mov_b64 s[20:21], 0
	v_mov_b32_e32 v34, v16
	v_mov_b32_e32 v36, v0
                                        ; implicit-def: $sgpr12_sgpr13
	s_branch .LBB156_101
.LBB156_99:                             ;   in Loop: Header=BB156_101 Depth=2
	s_or_b64 exec, exec, s[30:31]
	s_waitcnt lgkmcnt(0)
	s_barrier
	ds_read_b128 v[8:11], v19 offset:3072
	s_mov_b64 s[30:31], -1
	s_mov_b64 s[34:35], -1
	s_waitcnt lgkmcnt(0)
	s_barrier
	v_cmp_ne_u64_e32 vcc, 0, v[8:9]
	s_cbranch_vccz .LBB156_104
.LBB156_100:                            ;   in Loop: Header=BB156_101 Depth=2
	s_and_b64 s[30:31], exec, s[30:31]
	s_or_b64 s[20:21], s[30:31], s[20:21]
	s_andn2_b64 s[12:13], s[12:13], exec
	s_and_b64 s[30:31], s[34:35], exec
	s_or_b64 s[12:13], s[12:13], s[30:31]
	s_andn2_b64 exec, exec, s[20:21]
	s_cbranch_execz .LBB156_105
.LBB156_101:                            ;   Parent Loop BB156_6 Depth=1
                                        ; =>  This Inner Loop Header: Depth=2
	v_cmp_gt_u64_e32 vcc, s[24:25], v[36:37]
	s_and_saveexec_b64 s[30:31], vcc
	s_cbranch_execz .LBB156_99
; %bb.102:                              ;   in Loop: Header=BB156_101 Depth=2
	global_load_dwordx2 v[4:5], v[34:35], off
	s_waitcnt vmcnt(0)
	v_xor_b32_e32 v3, 0x80000000, v5
	v_and_b32_e32 v9, v3, v15
	v_and_b32_e32 v8, v4, v14
	v_cmp_eq_u64_e32 vcc, v[8:9], v[12:13]
	s_and_b64 exec, exec, vcc
	s_cbranch_execz .LBB156_99
; %bb.103:                              ;   in Loop: Header=BB156_101 Depth=2
	v_mov_b32_e32 v3, v19
	ds_write_b128 v19, v[2:5] offset:3072
	s_branch .LBB156_99
.LBB156_104:                            ;   in Loop: Header=BB156_101 Depth=2
	v_add_co_u32_e32 v36, vcc, s33, v36
	v_addc_co_u32_e32 v37, vcc, 0, v37, vcc
	v_mov_b32_e32 v3, s29
	v_add_co_u32_e32 v34, vcc, s28, v34
	v_addc_co_u32_e32 v35, vcc, v35, v3, vcc
	v_cmp_le_u64_e32 vcc, s[4:5], v[36:37]
	s_mov_b64 s[34:35], 0
	s_orn2_b64 s[30:31], vcc, exec
	s_branch .LBB156_100
.LBB156_105:                            ;   in Loop: Header=BB156_6 Depth=1
	s_or_b64 exec, exec, s[20:21]
	s_andn2_b64 s[4:5], s[10:11], exec
	s_and_b64 s[10:11], s[12:13], exec
	s_or_b64 s[10:11], s[4:5], s[10:11]
.LBB156_106:                            ;   in Loop: Header=BB156_6 Depth=1
	s_or_b64 exec, exec, s[2:3]
	s_mov_b64 s[2:3], 0
	s_mov_b64 s[30:31], -1
.LBB156_107:                            ;   in Loop: Header=BB156_6 Depth=1
	s_orn2_b64 s[4:5], s[10:11], exec
.LBB156_108:                            ;   in Loop: Header=BB156_6 Depth=1
	s_or_b64 exec, exec, s[8:9]
	s_mov_b64 s[34:35], 0
	s_mov_b64 s[44:45], 0
	;; [unrolled: 1-line block ×3, first 2 shown]
                                        ; implicit-def: $vgpr34_vgpr35
                                        ; implicit-def: $vgpr52
	s_and_saveexec_b64 s[60:61], s[4:5]
	s_cbranch_execz .LBB156_267
; %bb.109:                              ;   in Loop: Header=BB156_6 Depth=1
	v_mov_b32_e32 v34, 1
	s_xor_b64 s[4:5], s[6:7], -1
	v_mov_b32_e32 v52, 1
	v_mov_b32_e32 v35, 0
	s_mov_b64 s[8:9], 0
	s_and_saveexec_b64 s[6:7], s[4:5]
	s_cbranch_execz .LBB156_118
; %bb.110:                              ;   in Loop: Header=BB156_6 Depth=1
	v_cmp_ge_u64_e32 vcc, s[16:17], v[32:33]
	s_and_saveexec_b64 s[4:5], vcc
	s_xor_b64 s[4:5], exec, s[4:5]
	s_cbranch_execz .LBB156_115
; %bb.111:                              ;   in Loop: Header=BB156_6 Depth=1
	ds_read_b64 v[3:4], v19 offset:5120
	v_and_b32_e32 v13, s91, v13
	v_and_b32_e32 v12, s90, v12
	v_or_b32_e32 v15, s19, v15
	v_or_b32_e32 v14, s18, v14
	s_waitcnt lgkmcnt(0)
	v_cmp_ne_u64_e32 vcc, 0, v[3:4]
	s_cbranch_vccnz .LBB156_115
; %bb.112:                              ;   in Loop: Header=BB156_6 Depth=1
	s_mov_b64 s[8:9], exec
	v_readlane_b32 s10, v56, 8
	v_readlane_b32 s11, v56, 9
	s_and_b64 s[10:11], s[8:9], s[10:11]
	s_mov_b64 exec, s[10:11]
; %bb.113:                              ;   in Loop: Header=BB156_6 Depth=1
	v_mov_b32_e32 v3, s16
	v_mov_b32_e32 v4, s17
	ds_write_b64 v19, v[3:4] offset:5128
; %bb.114:                              ;   in Loop: Header=BB156_6 Depth=1
	s_or_b64 exec, exec, s[8:9]
	s_waitcnt lgkmcnt(0)
	s_barrier
.LBB156_115:                            ;   in Loop: Header=BB156_6 Depth=1
	s_or_saveexec_b64 s[4:5], s[4:5]
	v_mov_b32_e32 v35, v33
	s_mov_b64 s[8:9], 0
	v_mov_b32_e32 v52, 8
	v_mov_b32_e32 v34, v32
	s_xor_b64 exec, exec, s[4:5]
; %bb.116:                              ;   in Loop: Header=BB156_6 Depth=1
	v_subrev_co_u32_e32 v34, vcc, s16, v32
	v_mov_b32_e32 v3, s17
	v_subb_co_u32_e32 v35, vcc, v33, v3, vcc
	v_mov_b32_e32 v52, 0
	s_mov_b64 s[8:9], exec
; %bb.117:                              ;   in Loop: Header=BB156_6 Depth=1
	s_or_b64 exec, exec, s[4:5]
	s_and_b64 s[8:9], s[8:9], exec
.LBB156_118:                            ;   in Loop: Header=BB156_6 Depth=1
	s_or_b64 exec, exec, s[6:7]
	s_mov_b64 s[4:5], -1
                                        ; implicit-def: $sgpr42_sgpr43
                                        ; implicit-def: $sgpr44_sgpr45
	s_and_saveexec_b64 s[6:7], s[8:9]
	s_xor_b64 s[6:7], exec, s[6:7]
	s_cbranch_execz .LBB156_264
; %bb.119:                              ;   in Loop: Header=BB156_6 Depth=1
	s_cmp_eq_u64 s[94:95], 1
	v_cmp_eq_u64_e32 vcc, 1, v[34:35]
	s_cselect_b64 s[4:5], -1, 0
	s_and_b64 s[8:9], s[4:5], vcc
	s_mov_b64 s[4:5], -1
                                        ; implicit-def: $sgpr44_sgpr45
                                        ; implicit-def: $sgpr42_sgpr43
	s_and_saveexec_b64 s[10:11], s[8:9]
	s_cbranch_execz .LBB156_153
; %bb.120:                              ;   in Loop: Header=BB156_6 Depth=1
	ds_read_b64 v[3:4], v19 offset:5120
	s_waitcnt lgkmcnt(0)
	s_barrier
	v_readfirstlane_b32 s36, v3
	v_readfirstlane_b32 s37, v4
	s_mov_b64 s[4:5], exec
	v_readlane_b32 s12, v56, 24
	v_readlane_b32 s13, v56, 25
	s_and_b64 s[12:13], s[4:5], s[12:13]
	s_mov_b64 exec, s[12:13]
; %bb.121:                              ;   in Loop: Header=BB156_6 Depth=1
	v_mov_b32_e32 v18, v19
	ds_write_b64 v45, v[18:19]
; %bb.122:                              ;   in Loop: Header=BB156_6 Depth=1
	s_or_b64 exec, exec, s[4:5]
	s_lshl_b64 s[4:5], 1, s56
	v_and_b32_e32 v3, s91, v13
	v_and_b32_e32 v4, s90, v12
	v_or_b32_e32 v13, s5, v3
	v_or_b32_e32 v12, s4, v4
	v_or_b32_e32 v15, s19, v15
	v_or_b32_e32 v14, s18, v14
	s_mov_b64 s[42:43], -1
	s_mov_b64 s[44:45], 0
	s_cmp_eq_u64 s[36:37], 0
	s_mov_b64 s[20:21], 0
	s_mov_b64 s[12:13], -1
	s_waitcnt lgkmcnt(0)
	s_barrier
                                        ; implicit-def: $vgpr10_vgpr11
	s_cbranch_scc1 .LBB156_138
; %bb.123:                              ;   in Loop: Header=BB156_6 Depth=1
	v_readlane_b32 s4, v56, 28
	s_add_u32 s48, s36, s4
	v_readlane_b32 s4, v56, 30
	s_addc_u32 s13, s37, s4
	s_mov_b32 s12, s51
	s_cmp_lg_u64 s[12:13], 0
	s_cbranch_scc0 .LBB156_179
; %bb.124:                              ;   in Loop: Header=BB156_6 Depth=1
	v_cvt_f32_u32_e32 v3, s33
	s_sub_u32 s12, 0, s33
	s_subb_u32 s20, 0, 0
	v_mac_f32_e32 v3, 0, v51
	v_rcp_f32_e32 v3, v3
	v_mul_f32_e32 v3, 0x5f7ffffc, v3
	v_mul_f32_e32 v4, 0x2f800000, v3
	v_trunc_f32_e32 v4, v4
	v_mac_f32_e32 v3, 0xcf800000, v4
	v_cvt_u32_f32_e32 v4, v4
	v_cvt_u32_f32_e32 v3, v3
	v_readfirstlane_b32 s21, v4
	v_readfirstlane_b32 s4, v3
	s_mul_i32 s5, s12, s21
	s_mul_hi_u32 s50, s12, s4
	s_mul_i32 s49, s20, s4
	s_add_i32 s5, s50, s5
	s_mul_i32 s52, s12, s4
	s_add_i32 s5, s5, s49
	s_mul_hi_u32 s50, s4, s52
	s_mul_i32 s53, s4, s5
	s_mul_hi_u32 s49, s4, s5
	s_add_u32 s50, s50, s53
	s_addc_u32 s49, 0, s49
	s_mul_hi_u32 s54, s21, s52
	s_mul_i32 s52, s21, s52
	s_add_u32 s50, s50, s52
	s_mul_hi_u32 s53, s21, s5
	s_addc_u32 s49, s49, s54
	s_addc_u32 s50, s53, 0
	s_mul_i32 s5, s21, s5
	s_add_u32 s5, s49, s5
	s_addc_u32 s49, 0, s50
	s_add_u32 s50, s4, s5
	s_cselect_b64 s[4:5], -1, 0
	s_cmp_lg_u64 s[4:5], 0
	s_addc_u32 s21, s21, s49
	s_mul_i32 s4, s12, s21
	s_mul_hi_u32 s5, s12, s50
	s_add_i32 s4, s5, s4
	s_mul_i32 s20, s20, s50
	s_add_i32 s4, s4, s20
	s_mul_i32 s12, s12, s50
	s_mul_hi_u32 s20, s21, s12
	s_mul_i32 s49, s21, s12
	s_mul_i32 s53, s50, s4
	s_mul_hi_u32 s12, s50, s12
	s_mul_hi_u32 s52, s50, s4
	s_add_u32 s12, s12, s53
	s_addc_u32 s52, 0, s52
	s_add_u32 s12, s12, s49
	s_mul_hi_u32 s5, s21, s4
	s_addc_u32 s12, s52, s20
	s_addc_u32 s5, s5, 0
	s_mul_i32 s4, s21, s4
	s_add_u32 s4, s12, s4
	s_addc_u32 s12, 0, s5
	s_add_u32 s20, s50, s4
	s_cselect_b64 s[4:5], -1, 0
	s_cmp_lg_u64 s[4:5], 0
	s_addc_u32 s4, s21, s12
	s_mul_i32 s12, s48, s4
	s_mul_hi_u32 s21, s48, s20
	s_mul_hi_u32 s5, s48, s4
	s_add_u32 s12, s21, s12
	s_addc_u32 s5, 0, s5
	s_mul_hi_u32 s49, s13, s20
	s_mul_i32 s20, s13, s20
	s_add_u32 s12, s12, s20
	s_mul_hi_u32 s21, s13, s4
	s_addc_u32 s5, s5, s49
	s_addc_u32 s12, s21, 0
	s_mul_i32 s4, s13, s4
	s_add_u32 s4, s5, s4
	s_addc_u32 s5, 0, s12
	s_mul_i32 s5, s33, s5
	s_mul_hi_u32 s12, s33, s4
	s_add_i32 s12, s12, s5
	s_mul_i32 s4, s33, s4
	s_sub_u32 s20, s48, s4
	s_cselect_b64 s[4:5], -1, 0
	s_cmp_lg_u64 s[4:5], 0
	s_subb_u32 s12, s13, s12
	s_sub_u32 s21, s20, s33
	s_cselect_b64 s[4:5], -1, 0
	s_cmp_lg_u64 s[4:5], 0
	s_subb_u32 s49, s12, 0
	;; [unrolled: 4-line block ×3, first 2 shown]
	s_cmp_ge_u32 s21, s33
	s_cselect_b32 s5, -1, 0
	s_cmp_eq_u32 s49, 0
	s_cselect_b32 s5, s5, -1
	s_cmp_lg_u32 s5, 0
	s_cselect_b32 s4, s4, s49
	s_cselect_b32 s21, s50, s21
	s_cmp_ge_u32 s20, s33
	s_cselect_b32 s5, -1, 0
	s_cmp_eq_u32 s12, 0
	s_cselect_b32 s5, s5, -1
	s_cmp_lg_u32 s5, 0
	s_cselect_b32 s5, s4, s12
	s_cselect_b32 s4, s21, s20
	s_cbranch_execnz .LBB156_126
.LBB156_125:                            ;   in Loop: Header=BB156_6 Depth=1
	v_cvt_f32_u32_e32 v3, s33
	s_sub_i32 s4, 0, s33
	v_rcp_iflag_f32_e32 v3, v3
	v_mul_f32_e32 v3, 0x4f7ffffe, v3
	v_cvt_u32_f32_e32 v3, v3
	v_readfirstlane_b32 s5, v3
	s_mul_i32 s4, s4, s5
	s_mul_hi_u32 s4, s5, s4
	s_add_i32 s5, s5, s4
	s_mul_hi_u32 s4, s48, s5
	s_mul_i32 s4, s4, s33
	s_sub_i32 s4, s48, s4
	s_sub_i32 s5, s4, s33
	s_cmp_ge_u32 s4, s33
	s_cselect_b32 s4, s5, s4
	s_sub_i32 s5, s4, s33
	s_cmp_ge_u32 s4, s33
	s_cselect_b32 s50, s5, s4
	s_mov_b64 s[4:5], s[50:51]
.LBB156_126:                            ;   in Loop: Header=BB156_6 Depth=1
	s_sub_u32 s54, s48, s4
	s_subb_u32 s55, s13, s5
	v_cmp_gt_u64_e32 vcc, s[54:55], v[0:1]
	s_mov_b64 s[12:13], 0
	s_mov_b64 s[20:21], 0
                                        ; implicit-def: $vgpr10_vgpr11
	s_and_saveexec_b64 s[4:5], vcc
	s_cbranch_execz .LBB156_137
; %bb.127:                              ;   in Loop: Header=BB156_6 Depth=1
	v_mov_b32_e32 v37, v1
	v_mov_b32_e32 v18, v44
	;; [unrolled: 1-line block ×3, first 2 shown]
                                        ; implicit-def: $sgpr62_sgpr63
	s_branch .LBB156_130
.LBB156_128:                            ;   in Loop: Header=BB156_130 Depth=2
	s_or_b64 exec, exec, s[48:49]
	s_waitcnt lgkmcnt(0)
	s_barrier
	ds_read_b128 v[8:11], v19 offset:3072
	s_mov_b64 s[48:49], -1
	s_mov_b64 s[52:53], -1
	s_waitcnt lgkmcnt(0)
	s_barrier
	v_cmp_ne_u64_e32 vcc, 0, v[8:9]
	s_cbranch_vccz .LBB156_133
.LBB156_129:                            ;   in Loop: Header=BB156_130 Depth=2
	s_and_b64 s[48:49], exec, s[48:49]
	s_or_b64 s[20:21], s[48:49], s[20:21]
	s_andn2_b64 s[48:49], s[62:63], exec
	s_and_b64 s[52:53], s[52:53], exec
	s_or_b64 s[62:63], s[48:49], s[52:53]
	s_andn2_b64 exec, exec, s[20:21]
	s_cbranch_execz .LBB156_136
.LBB156_130:                            ;   Parent Loop BB156_6 Depth=1
                                        ; =>  This Inner Loop Header: Depth=2
	v_cmp_gt_u64_e32 vcc, s[36:37], v[36:37]
	s_and_saveexec_b64 s[48:49], vcc
	s_cbranch_execz .LBB156_128
; %bb.131:                              ;   in Loop: Header=BB156_130 Depth=2
	ds_read_b64 v[4:5], v18
	s_waitcnt lgkmcnt(0)
	v_xor_b32_e32 v3, 0x80000000, v5
	v_and_b32_e32 v9, v3, v15
	v_and_b32_e32 v8, v4, v14
	v_cmp_eq_u64_e32 vcc, v[8:9], v[12:13]
	s_and_b64 exec, exec, vcc
	s_cbranch_execz .LBB156_128
; %bb.132:                              ;   in Loop: Header=BB156_130 Depth=2
	v_mov_b32_e32 v3, v19
	ds_write_b128 v19, v[2:5] offset:3072
	s_branch .LBB156_128
.LBB156_133:                            ;   in Loop: Header=BB156_130 Depth=2
	v_add_co_u32_e32 v36, vcc, s33, v36
	v_addc_co_u32_e32 v37, vcc, 0, v37, vcc
	v_cmp_le_u64_e32 vcc, s[54:55], v[36:37]
	v_add_u32_e32 v18, s58, v18
	s_mov_b64 s[52:53], 0
	s_orn2_b64 s[48:49], vcc, exec
	s_branch .LBB156_129
.LBB156_134:                            ;   in Loop: Header=BB156_6 Depth=1
                                        ; implicit-def: $sgpr4_sgpr5
	s_branch .LBB156_79
.LBB156_135:                            ;   in Loop: Header=BB156_6 Depth=1
                                        ; implicit-def: $sgpr2_sgpr3
	s_branch .LBB156_96
.LBB156_136:                            ;   in Loop: Header=BB156_6 Depth=1
	s_or_b64 exec, exec, s[20:21]
	s_and_b64 s[20:21], s[62:63], exec
.LBB156_137:                            ;   in Loop: Header=BB156_6 Depth=1
	s_or_b64 exec, exec, s[4:5]
	v_readlane_b32 s52, v56, 42
	v_readlane_b32 s53, v56, 43
.LBB156_138:                            ;   in Loop: Header=BB156_6 Depth=1
	s_and_b64 vcc, exec, s[12:13]
	s_cbranch_vccz .LBB156_152
; %bb.139:                              ;   in Loop: Header=BB156_6 Depth=1
	v_readlane_b32 s48, v56, 31
	v_readlane_b32 s49, v56, 32
	s_mov_b32 s48, s51
	s_cmp_lg_u64 s[48:49], 0
	v_writelane_b32 v56, s48, 31
	v_writelane_b32 v56, s49, 32
	s_cbranch_scc0 .LBB156_180
; %bb.140:                              ;   in Loop: Header=BB156_6 Depth=1
	v_cvt_f32_u32_e32 v3, s33
	s_sub_u32 s12, 0, s33
	s_subb_u32 s13, 0, 0
	v_mac_f32_e32 v3, 0, v51
	v_rcp_f32_e32 v3, v3
	v_mul_f32_e32 v3, 0x5f7ffffc, v3
	v_mul_f32_e32 v4, 0x2f800000, v3
	v_trunc_f32_e32 v4, v4
	v_mac_f32_e32 v3, 0xcf800000, v4
	v_cvt_u32_f32_e32 v4, v4
	v_cvt_u32_f32_e32 v3, v3
	v_readfirstlane_b32 s36, v4
	v_readfirstlane_b32 s4, v3
	s_mul_i32 s5, s12, s36
	s_mul_hi_u32 s42, s12, s4
	s_mul_i32 s37, s13, s4
	s_add_i32 s5, s42, s5
	s_mul_i32 s43, s12, s4
	s_add_i32 s5, s5, s37
	s_mul_hi_u32 s42, s4, s43
	s_mul_i32 s44, s4, s5
	s_mul_hi_u32 s37, s4, s5
	s_add_u32 s42, s42, s44
	s_addc_u32 s37, 0, s37
	s_mul_hi_u32 s45, s36, s43
	s_mul_i32 s43, s36, s43
	s_add_u32 s42, s42, s43
	s_mul_hi_u32 s44, s36, s5
	s_addc_u32 s37, s37, s45
	s_addc_u32 s42, s44, 0
	s_mul_i32 s5, s36, s5
	s_add_u32 s5, s37, s5
	s_addc_u32 s37, 0, s42
	s_add_u32 s42, s4, s5
	s_cselect_b64 s[4:5], -1, 0
	s_cmp_lg_u64 s[4:5], 0
	s_addc_u32 s36, s36, s37
	s_mul_i32 s4, s12, s36
	s_mul_hi_u32 s5, s12, s42
	s_add_i32 s4, s5, s4
	s_mul_i32 s13, s13, s42
	s_add_i32 s4, s4, s13
	s_mul_i32 s12, s12, s42
	s_mul_hi_u32 s13, s36, s12
	s_mul_i32 s37, s36, s12
	s_mul_i32 s44, s42, s4
	s_mul_hi_u32 s12, s42, s12
	s_mul_hi_u32 s43, s42, s4
	s_add_u32 s12, s12, s44
	s_addc_u32 s43, 0, s43
	s_add_u32 s12, s12, s37
	s_mul_hi_u32 s5, s36, s4
	s_addc_u32 s12, s43, s13
	s_addc_u32 s5, s5, 0
	s_mul_i32 s4, s36, s4
	s_add_u32 s4, s12, s4
	s_addc_u32 s12, 0, s5
	s_add_u32 s13, s42, s4
	s_cselect_b64 s[4:5], -1, 0
	s_cmp_lg_u64 s[4:5], 0
	s_addc_u32 s4, s36, s12
	v_readlane_b32 s42, v56, 29
	s_mul_i32 s12, s42, s4
	s_mul_hi_u32 s36, s42, s13
	s_mul_hi_u32 s5, s42, s4
	s_add_u32 s12, s36, s12
	s_addc_u32 s5, 0, s5
	s_mul_hi_u32 s37, s49, s13
	s_mul_i32 s13, s49, s13
	s_add_u32 s12, s12, s13
	s_mul_hi_u32 s36, s49, s4
	s_addc_u32 s5, s5, s37
	s_addc_u32 s12, s36, 0
	s_mul_i32 s4, s49, s4
	s_add_u32 s4, s5, s4
	s_addc_u32 s5, 0, s12
	s_mul_i32 s5, s33, s5
	s_mul_hi_u32 s12, s33, s4
	s_add_i32 s12, s12, s5
	s_mul_i32 s4, s33, s4
	s_sub_u32 s13, s42, s4
	s_cselect_b64 s[4:5], -1, 0
	s_cmp_lg_u64 s[4:5], 0
	s_subb_u32 s12, s49, s12
	s_sub_u32 s36, s13, s33
	s_cselect_b64 s[4:5], -1, 0
	s_cmp_lg_u64 s[4:5], 0
	s_subb_u32 s37, s12, 0
	s_sub_u32 s42, s36, s33
	s_cselect_b64 s[4:5], -1, 0
	s_cmp_lg_u64 s[4:5], 0
	s_subb_u32 s4, s37, 0
	s_cmp_ge_u32 s36, s33
	s_cselect_b32 s5, -1, 0
	s_cmp_eq_u32 s37, 0
	s_cselect_b32 s5, s5, -1
	s_cmp_lg_u32 s5, 0
	s_cselect_b32 s4, s4, s37
	s_cselect_b32 s36, s42, s36
	s_cmp_ge_u32 s13, s33
	s_cselect_b32 s5, -1, 0
	s_cmp_eq_u32 s12, 0
	s_cselect_b32 s5, s5, -1
	s_cmp_lg_u32 s5, 0
	s_cselect_b32 s5, s4, s12
	s_cselect_b32 s4, s36, s13
	s_cbranch_execnz .LBB156_142
.LBB156_141:                            ;   in Loop: Header=BB156_6 Depth=1
	v_cvt_f32_u32_e32 v3, s33
	s_sub_i32 s4, 0, s33
	v_readlane_b32 s12, v56, 29
	v_rcp_iflag_f32_e32 v3, v3
	v_mul_f32_e32 v3, 0x4f7ffffe, v3
	v_cvt_u32_f32_e32 v3, v3
	v_readfirstlane_b32 s5, v3
	s_mul_i32 s4, s4, s5
	s_mul_hi_u32 s4, s5, s4
	s_add_i32 s5, s5, s4
	s_mul_hi_u32 s4, s12, s5
	s_mul_i32 s4, s4, s33
	s_sub_i32 s4, s12, s4
	s_sub_i32 s5, s4, s33
	s_cmp_ge_u32 s4, s33
	s_cselect_b32 s4, s5, s4
	s_sub_i32 s5, s4, s33
	s_cmp_ge_u32 s4, s33
	s_cselect_b32 s50, s5, s4
	s_mov_b64 s[4:5], s[50:51]
.LBB156_142:                            ;   in Loop: Header=BB156_6 Depth=1
	v_readlane_b32 s12, v56, 29
	v_readlane_b32 s36, v56, 31
	s_sub_u32 s12, s12, s4
	v_readlane_b32 s37, v56, 32
	s_subb_u32 s13, s37, s5
	v_cmp_gt_u64_e32 vcc, s[12:13], v[0:1]
                                        ; implicit-def: $vgpr10_vgpr11
	s_and_saveexec_b64 s[4:5], vcc
	s_cbranch_execz .LBB156_151
; %bb.143:                              ;   in Loop: Header=BB156_6 Depth=1
	v_mov_b32_e32 v37, v17
	v_mov_b32_e32 v39, v1
	s_mov_b64 s[36:37], 0
	v_mov_b32_e32 v36, v16
	v_mov_b32_e32 v38, v0
                                        ; implicit-def: $sgpr42_sgpr43
	s_branch .LBB156_146
.LBB156_144:                            ;   in Loop: Header=BB156_146 Depth=2
	s_or_b64 exec, exec, s[44:45]
	s_waitcnt lgkmcnt(0)
	s_barrier
	ds_read_b128 v[8:11], v19 offset:3072
	s_mov_b64 s[44:45], -1
	s_mov_b64 s[48:49], -1
	s_waitcnt lgkmcnt(0)
	s_barrier
	v_cmp_eq_u64_e32 vcc, 0, v[8:9]
	s_cbranch_vccnz .LBB156_149
.LBB156_145:                            ;   in Loop: Header=BB156_146 Depth=2
	s_and_b64 s[44:45], exec, s[44:45]
	s_or_b64 s[36:37], s[44:45], s[36:37]
	s_andn2_b64 s[42:43], s[42:43], exec
	s_and_b64 s[44:45], s[48:49], exec
	s_or_b64 s[42:43], s[42:43], s[44:45]
	s_andn2_b64 exec, exec, s[36:37]
	s_cbranch_execz .LBB156_150
.LBB156_146:                            ;   Parent Loop BB156_6 Depth=1
                                        ; =>  This Inner Loop Header: Depth=2
	v_cmp_gt_u64_e32 vcc, s[24:25], v[38:39]
	s_and_saveexec_b64 s[44:45], vcc
	s_cbranch_execz .LBB156_144
; %bb.147:                              ;   in Loop: Header=BB156_146 Depth=2
	global_load_dwordx2 v[4:5], v[36:37], off
	s_waitcnt vmcnt(0)
	v_xor_b32_e32 v3, 0x80000000, v5
	v_and_b32_e32 v9, v3, v15
	v_and_b32_e32 v8, v4, v14
	v_cmp_eq_u64_e32 vcc, v[8:9], v[12:13]
	s_and_b64 exec, exec, vcc
	s_cbranch_execz .LBB156_144
; %bb.148:                              ;   in Loop: Header=BB156_146 Depth=2
	v_mov_b32_e32 v3, v19
	ds_write_b128 v19, v[2:5] offset:3072
	s_branch .LBB156_144
.LBB156_149:                            ;   in Loop: Header=BB156_146 Depth=2
	v_add_co_u32_e32 v38, vcc, s33, v38
	v_addc_co_u32_e32 v39, vcc, 0, v39, vcc
	v_mov_b32_e32 v3, s29
	v_add_co_u32_e32 v36, vcc, s28, v36
	v_addc_co_u32_e32 v37, vcc, v37, v3, vcc
	v_cmp_le_u64_e32 vcc, s[12:13], v[38:39]
	s_mov_b64 s[48:49], 0
	s_orn2_b64 s[44:45], vcc, exec
	s_branch .LBB156_145
.LBB156_150:                            ;   in Loop: Header=BB156_6 Depth=1
	s_or_b64 exec, exec, s[36:37]
	s_andn2_b64 s[12:13], s[20:21], exec
	s_and_b64 s[20:21], s[42:43], exec
	s_or_b64 s[20:21], s[12:13], s[20:21]
.LBB156_151:                            ;   in Loop: Header=BB156_6 Depth=1
	s_or_b64 exec, exec, s[4:5]
	s_mov_b64 s[42:43], 0
	s_mov_b64 s[44:45], -1
.LBB156_152:                            ;   in Loop: Header=BB156_6 Depth=1
	s_orn2_b64 s[4:5], s[20:21], exec
.LBB156_153:                            ;   in Loop: Header=BB156_6 Depth=1
	s_or_b64 exec, exec, s[10:11]
	s_mov_b64 s[10:11], 0
	s_and_saveexec_b64 s[62:63], s[4:5]
	s_cbranch_execz .LBB156_263
; %bb.154:                              ;   in Loop: Header=BB156_6 Depth=1
	v_mov_b32_e32 v36, 1
	s_xor_b64 s[4:5], s[8:9], -1
	v_mov_b32_e32 v52, 1
	v_mov_b32_e32 v37, 0
	s_and_saveexec_b64 s[8:9], s[4:5]
	s_cbranch_execz .LBB156_163
; %bb.155:                              ;   in Loop: Header=BB156_6 Depth=1
	v_cmp_ge_u64_e32 vcc, s[94:95], v[34:35]
	s_and_saveexec_b64 s[4:5], vcc
	s_xor_b64 s[4:5], exec, s[4:5]
	s_cbranch_execz .LBB156_160
; %bb.156:                              ;   in Loop: Header=BB156_6 Depth=1
	s_lshl_b64 s[10:11], 1, s56
	v_and_b32_e32 v3, s91, v13
	v_and_b32_e32 v4, s90, v12
	v_or_b32_e32 v13, s11, v3
	v_or_b32_e32 v12, s10, v4
	ds_read_b64 v[3:4], v19 offset:5120
	v_or_b32_e32 v15, s19, v15
	v_or_b32_e32 v14, s18, v14
	s_waitcnt lgkmcnt(0)
	v_cmp_ne_u64_e32 vcc, 0, v[3:4]
	s_cbranch_vccnz .LBB156_160
; %bb.157:                              ;   in Loop: Header=BB156_6 Depth=1
	s_mov_b64 s[10:11], exec
	v_readlane_b32 s12, v56, 8
	v_readlane_b32 s13, v56, 9
	s_and_b64 s[12:13], s[10:11], s[12:13]
	s_mov_b64 exec, s[12:13]
; %bb.158:                              ;   in Loop: Header=BB156_6 Depth=1
	v_mov_b32_e32 v3, s94
	v_mov_b32_e32 v4, s95
	ds_write_b64 v19, v[3:4] offset:5128
; %bb.159:                              ;   in Loop: Header=BB156_6 Depth=1
	s_or_b64 exec, exec, s[10:11]
	s_waitcnt lgkmcnt(0)
	s_barrier
.LBB156_160:                            ;   in Loop: Header=BB156_6 Depth=1
	s_or_saveexec_b64 s[4:5], s[4:5]
	s_mov_b64 s[10:11], 0
	v_mov_b32_e32 v52, 8
	s_xor_b64 exec, exec, s[4:5]
; %bb.161:                              ;   in Loop: Header=BB156_6 Depth=1
	v_subrev_co_u32_e32 v34, vcc, s94, v34
	v_mov_b32_e32 v3, s95
	v_subb_co_u32_e32 v35, vcc, v35, v3, vcc
	v_mov_b32_e32 v52, 0
	s_mov_b64 s[10:11], exec
; %bb.162:                              ;   in Loop: Header=BB156_6 Depth=1
	s_or_b64 exec, exec, s[4:5]
	v_mov_b32_e32 v37, v35
	s_and_b64 s[10:11], s[10:11], exec
	v_mov_b32_e32 v36, v34
.LBB156_163:                            ;   in Loop: Header=BB156_6 Depth=1
	s_or_b64 exec, exec, s[8:9]
	s_mov_b64 s[4:5], -1
                                        ; implicit-def: $sgpr12_sgpr13
                                        ; implicit-def: $sgpr8_sgpr9
                                        ; kill: killed $sgpr8_sgpr9
	s_and_saveexec_b64 s[20:21], s[10:11]
	s_cbranch_execz .LBB156_262
; %bb.164:                              ;   in Loop: Header=BB156_6 Depth=1
	s_cmp_eq_u64 s[38:39], 1
	v_cmp_eq_u64_e32 vcc, 1, v[36:37]
	s_cselect_b64 s[4:5], -1, 0
	v_writelane_b32 v56, s20, 44
	s_and_b64 s[64:65], s[4:5], vcc
	s_mov_b64 s[4:5], -1
	v_writelane_b32 v56, s21, 45
                                        ; implicit-def: $sgpr8_sgpr9
                                        ; kill: killed $sgpr8_sgpr9
                                        ; implicit-def: $sgpr12_sgpr13
	s_and_saveexec_b64 s[10:11], s[64:65]
	s_cbranch_execz .LBB156_199
; %bb.165:                              ;   in Loop: Header=BB156_6 Depth=1
	ds_read_b64 v[3:4], v19 offset:5120
	s_waitcnt lgkmcnt(0)
	s_barrier
	v_readfirstlane_b32 s12, v3
	v_readfirstlane_b32 s13, v4
	s_mov_b64 s[4:5], exec
	v_readlane_b32 s8, v56, 24
	v_readlane_b32 s9, v56, 25
	s_and_b64 s[8:9], s[4:5], s[8:9]
	s_mov_b64 exec, s[8:9]
; %bb.166:                              ;   in Loop: Header=BB156_6 Depth=1
	v_mov_b32_e32 v18, v19
	ds_write_b64 v45, v[18:19]
; %bb.167:                              ;   in Loop: Header=BB156_6 Depth=1
	s_or_b64 exec, exec, s[4:5]
	s_lshl_b64 s[4:5], 2, s56
	v_and_b32_e32 v3, s91, v13
	v_and_b32_e32 v4, s90, v12
	v_or_b32_e32 v13, s5, v3
	v_or_b32_e32 v12, s4, v4
	s_mov_b64 s[4:5], 0
	v_writelane_b32 v56, s4, 46
	v_or_b32_e32 v15, s19, v15
	v_or_b32_e32 v14, s18, v14
	v_writelane_b32 v56, s5, 47
	s_cmp_eq_u64 s[12:13], 0
	s_mov_b64 s[54:55], 0
	s_mov_b64 s[4:5], -1
	s_waitcnt lgkmcnt(0)
	s_barrier
                                        ; implicit-def: $vgpr10_vgpr11
	s_cbranch_scc1 .LBB156_183
; %bb.168:                              ;   in Loop: Header=BB156_6 Depth=1
	v_readlane_b32 s4, v56, 28
	s_add_u32 s20, s12, s4
	v_readlane_b32 s4, v56, 30
	s_addc_u32 s55, s13, s4
	s_mov_b32 s54, s51
	s_cmp_lg_u64 s[54:55], 0
	s_cbranch_scc0 .LBB156_216
; %bb.169:                              ;   in Loop: Header=BB156_6 Depth=1
	v_cvt_f32_u32_e32 v3, s33
	s_sub_u32 s8, 0, s33
	s_subb_u32 s9, 0, 0
	v_mac_f32_e32 v3, 0, v51
	v_rcp_f32_e32 v3, v3
	v_mul_f32_e32 v3, 0x5f7ffffc, v3
	v_mul_f32_e32 v4, 0x2f800000, v3
	v_trunc_f32_e32 v4, v4
	v_mac_f32_e32 v3, 0xcf800000, v4
	v_cvt_u32_f32_e32 v4, v4
	v_cvt_u32_f32_e32 v3, v3
	v_readfirstlane_b32 s21, v4
	v_readfirstlane_b32 s4, v3
	s_mul_i32 s5, s8, s21
	s_mul_hi_u32 s37, s8, s4
	s_mul_i32 s36, s9, s4
	s_add_i32 s5, s37, s5
	s_mul_i32 s48, s8, s4
	s_add_i32 s5, s5, s36
	s_mul_hi_u32 s37, s4, s48
	s_mul_i32 s49, s4, s5
	s_mul_hi_u32 s36, s4, s5
	s_add_u32 s37, s37, s49
	s_addc_u32 s36, 0, s36
	s_mul_hi_u32 s50, s21, s48
	s_mul_i32 s48, s21, s48
	s_add_u32 s37, s37, s48
	s_mul_hi_u32 s49, s21, s5
	s_addc_u32 s36, s36, s50
	s_addc_u32 s37, s49, 0
	s_mul_i32 s5, s21, s5
	s_add_u32 s5, s36, s5
	s_addc_u32 s36, 0, s37
	s_add_u32 s37, s4, s5
	s_cselect_b64 s[4:5], -1, 0
	s_cmp_lg_u64 s[4:5], 0
	s_addc_u32 s21, s21, s36
	s_mul_i32 s4, s8, s21
	s_mul_hi_u32 s5, s8, s37
	s_add_i32 s4, s5, s4
	s_mul_i32 s9, s9, s37
	s_add_i32 s4, s4, s9
	s_mul_i32 s8, s8, s37
	s_mul_hi_u32 s9, s21, s8
	s_mul_i32 s36, s21, s8
	s_mul_i32 s49, s37, s4
	s_mul_hi_u32 s8, s37, s8
	s_mul_hi_u32 s48, s37, s4
	s_add_u32 s8, s8, s49
	s_addc_u32 s48, 0, s48
	s_add_u32 s8, s8, s36
	s_mul_hi_u32 s5, s21, s4
	s_addc_u32 s8, s48, s9
	s_addc_u32 s5, s5, 0
	s_mul_i32 s4, s21, s4
	s_add_u32 s4, s8, s4
	s_addc_u32 s8, 0, s5
	s_add_u32 s9, s37, s4
	s_cselect_b64 s[4:5], -1, 0
	s_cmp_lg_u64 s[4:5], 0
	s_addc_u32 s4, s21, s8
	s_mul_i32 s8, s20, s4
	s_mul_hi_u32 s21, s20, s9
	s_mul_hi_u32 s5, s20, s4
	s_add_u32 s8, s21, s8
	s_addc_u32 s5, 0, s5
	s_mul_hi_u32 s36, s55, s9
	s_mul_i32 s9, s55, s9
	s_add_u32 s8, s8, s9
	s_mul_hi_u32 s21, s55, s4
	s_addc_u32 s5, s5, s36
	s_addc_u32 s8, s21, 0
	s_mul_i32 s4, s55, s4
	s_add_u32 s4, s5, s4
	s_addc_u32 s5, 0, s8
	s_mul_i32 s5, s33, s5
	s_mul_hi_u32 s8, s33, s4
	s_add_i32 s8, s8, s5
	s_mul_i32 s4, s33, s4
	s_sub_u32 s9, s20, s4
	s_cselect_b64 s[4:5], -1, 0
	s_cmp_lg_u64 s[4:5], 0
	s_subb_u32 s8, s55, s8
	s_sub_u32 s21, s9, s33
	s_cselect_b64 s[4:5], -1, 0
	s_cmp_lg_u64 s[4:5], 0
	s_subb_u32 s36, s8, 0
	;; [unrolled: 4-line block ×3, first 2 shown]
	s_cmp_ge_u32 s21, s33
	s_cselect_b32 s5, -1, 0
	s_cmp_eq_u32 s36, 0
	s_cselect_b32 s5, s5, -1
	s_cmp_lg_u32 s5, 0
	s_cselect_b32 s4, s4, s36
	s_cselect_b32 s21, s37, s21
	s_cmp_ge_u32 s9, s33
	s_cselect_b32 s5, -1, 0
	s_cmp_eq_u32 s8, 0
	s_cselect_b32 s5, s5, -1
	s_cmp_lg_u32 s5, 0
	s_cselect_b32 s5, s4, s8
	s_cselect_b32 s4, s21, s9
	s_cbranch_execnz .LBB156_171
.LBB156_170:                            ;   in Loop: Header=BB156_6 Depth=1
	v_cvt_f32_u32_e32 v3, s33
	s_sub_i32 s4, 0, s33
	v_rcp_iflag_f32_e32 v3, v3
	v_mul_f32_e32 v3, 0x4f7ffffe, v3
	v_cvt_u32_f32_e32 v3, v3
	v_readfirstlane_b32 s5, v3
	s_mul_i32 s4, s4, s5
	s_mul_hi_u32 s4, s5, s4
	s_add_i32 s5, s5, s4
	s_mul_hi_u32 s4, s20, s5
	s_mul_i32 s4, s4, s33
	s_sub_i32 s4, s20, s4
	s_sub_i32 s5, s4, s33
	s_cmp_ge_u32 s4, s33
	s_cselect_b32 s4, s5, s4
	s_sub_i32 s5, s4, s33
	s_cmp_ge_u32 s4, s33
	s_cselect_b32 s50, s5, s4
	s_mov_b64 s[4:5], s[50:51]
.LBB156_171:                            ;   in Loop: Header=BB156_6 Depth=1
	s_sub_u32 s8, s20, s4
	s_subb_u32 s9, s55, s5
	v_cmp_gt_u64_e32 vcc, s[8:9], v[0:1]
	s_mov_b64 s[4:5], 0
	s_mov_b64 s[54:55], 0
                                        ; implicit-def: $vgpr10_vgpr11
	s_and_saveexec_b64 s[36:37], vcc
	s_cbranch_execz .LBB156_182
; %bb.172:                              ;   in Loop: Header=BB156_6 Depth=1
	v_mov_b32_e32 v35, v1
	v_mov_b32_e32 v18, v44
	;; [unrolled: 1-line block ×3, first 2 shown]
                                        ; implicit-def: $sgpr48_sgpr49
	s_branch .LBB156_175
.LBB156_173:                            ;   in Loop: Header=BB156_175 Depth=2
	s_or_b64 exec, exec, s[52:53]
	s_waitcnt lgkmcnt(0)
	s_barrier
	ds_read_b128 v[8:11], v19 offset:3072
	s_mov_b64 s[52:53], -1
	s_mov_b64 s[20:21], -1
	s_waitcnt lgkmcnt(0)
	s_barrier
	v_cmp_ne_u64_e32 vcc, 0, v[8:9]
	s_cbranch_vccz .LBB156_178
.LBB156_174:                            ;   in Loop: Header=BB156_175 Depth=2
	s_and_b64 s[52:53], exec, s[52:53]
	s_or_b64 s[54:55], s[52:53], s[54:55]
	s_andn2_b64 s[48:49], s[48:49], exec
	s_and_b64 s[20:21], s[20:21], exec
	s_or_b64 s[48:49], s[48:49], s[20:21]
	s_andn2_b64 exec, exec, s[54:55]
	s_cbranch_execz .LBB156_181
.LBB156_175:                            ;   Parent Loop BB156_6 Depth=1
                                        ; =>  This Inner Loop Header: Depth=2
	v_cmp_gt_u64_e32 vcc, s[12:13], v[34:35]
	s_and_saveexec_b64 s[52:53], vcc
	s_cbranch_execz .LBB156_173
; %bb.176:                              ;   in Loop: Header=BB156_175 Depth=2
	ds_read_b64 v[4:5], v18
	s_waitcnt lgkmcnt(0)
	v_xor_b32_e32 v3, 0x80000000, v5
	v_and_b32_e32 v9, v3, v15
	v_and_b32_e32 v8, v4, v14
	v_cmp_eq_u64_e32 vcc, v[8:9], v[12:13]
	s_and_b64 exec, exec, vcc
	s_cbranch_execz .LBB156_173
; %bb.177:                              ;   in Loop: Header=BB156_175 Depth=2
	v_mov_b32_e32 v3, v19
	ds_write_b128 v19, v[2:5] offset:3072
	s_branch .LBB156_173
.LBB156_178:                            ;   in Loop: Header=BB156_175 Depth=2
	v_add_co_u32_e32 v34, vcc, s33, v34
	v_addc_co_u32_e32 v35, vcc, 0, v35, vcc
	v_cmp_le_u64_e32 vcc, s[8:9], v[34:35]
	v_add_u32_e32 v18, s58, v18
	s_mov_b64 s[20:21], 0
	s_orn2_b64 s[52:53], vcc, exec
	s_branch .LBB156_174
.LBB156_179:                            ;   in Loop: Header=BB156_6 Depth=1
                                        ; implicit-def: $sgpr4_sgpr5
	s_branch .LBB156_125
.LBB156_180:                            ;   in Loop: Header=BB156_6 Depth=1
                                        ; implicit-def: $sgpr4_sgpr5
	s_branch .LBB156_141
.LBB156_181:                            ;   in Loop: Header=BB156_6 Depth=1
	s_or_b64 exec, exec, s[54:55]
	v_readlane_b32 s52, v56, 42
	s_and_b64 s[54:55], s[48:49], exec
	v_readlane_b32 s53, v56, 43
.LBB156_182:                            ;   in Loop: Header=BB156_6 Depth=1
	s_or_b64 exec, exec, s[36:37]
.LBB156_183:                            ;   in Loop: Header=BB156_6 Depth=1
	s_and_b64 vcc, exec, s[4:5]
	s_cbranch_vccz .LBB156_195
; %bb.184:                              ;   in Loop: Header=BB156_6 Depth=1
	v_readlane_b32 s48, v56, 31
	v_readlane_b32 s49, v56, 32
	s_mov_b32 s48, s51
	s_cmp_lg_u64 s[48:49], 0
	v_writelane_b32 v56, s48, 31
	v_writelane_b32 v56, s49, 32
	s_cbranch_scc0 .LBB156_217
; %bb.185:                              ;   in Loop: Header=BB156_6 Depth=1
	v_cvt_f32_u32_e32 v3, s33
	s_sub_u32 s8, 0, s33
	s_subb_u32 s9, 0, 0
	v_mac_f32_e32 v3, 0, v51
	v_rcp_f32_e32 v3, v3
	v_mul_f32_e32 v3, 0x5f7ffffc, v3
	v_mul_f32_e32 v4, 0x2f800000, v3
	v_trunc_f32_e32 v4, v4
	v_mac_f32_e32 v3, 0xcf800000, v4
	v_cvt_u32_f32_e32 v4, v4
	v_cvt_u32_f32_e32 v3, v3
	v_readfirstlane_b32 s12, v4
	v_readfirstlane_b32 s4, v3
	s_mul_i32 s5, s8, s12
	s_mul_hi_u32 s20, s8, s4
	s_mul_i32 s13, s9, s4
	s_add_i32 s5, s20, s5
	s_mul_i32 s21, s8, s4
	s_add_i32 s5, s5, s13
	s_mul_hi_u32 s20, s4, s21
	s_mul_i32 s36, s4, s5
	s_mul_hi_u32 s13, s4, s5
	s_add_u32 s20, s20, s36
	s_addc_u32 s13, 0, s13
	s_mul_hi_u32 s37, s12, s21
	s_mul_i32 s21, s12, s21
	s_add_u32 s20, s20, s21
	s_mul_hi_u32 s36, s12, s5
	s_addc_u32 s13, s13, s37
	s_addc_u32 s20, s36, 0
	s_mul_i32 s5, s12, s5
	s_add_u32 s5, s13, s5
	s_addc_u32 s13, 0, s20
	s_add_u32 s20, s4, s5
	s_cselect_b64 s[4:5], -1, 0
	s_cmp_lg_u64 s[4:5], 0
	s_addc_u32 s12, s12, s13
	s_mul_i32 s4, s8, s12
	s_mul_hi_u32 s5, s8, s20
	s_add_i32 s4, s5, s4
	s_mul_i32 s9, s9, s20
	s_add_i32 s4, s4, s9
	s_mul_i32 s8, s8, s20
	s_mul_hi_u32 s9, s12, s8
	s_mul_i32 s13, s12, s8
	s_mul_i32 s36, s20, s4
	s_mul_hi_u32 s8, s20, s8
	s_mul_hi_u32 s21, s20, s4
	s_add_u32 s8, s8, s36
	s_addc_u32 s21, 0, s21
	s_add_u32 s8, s8, s13
	s_mul_hi_u32 s5, s12, s4
	s_addc_u32 s8, s21, s9
	s_addc_u32 s5, s5, 0
	s_mul_i32 s4, s12, s4
	s_add_u32 s4, s8, s4
	s_addc_u32 s8, 0, s5
	s_add_u32 s9, s20, s4
	s_cselect_b64 s[4:5], -1, 0
	s_cmp_lg_u64 s[4:5], 0
	s_addc_u32 s4, s12, s8
	v_readlane_b32 s20, v56, 29
	s_mul_i32 s8, s20, s4
	s_mul_hi_u32 s12, s20, s9
	s_mul_hi_u32 s5, s20, s4
	s_add_u32 s8, s12, s8
	s_addc_u32 s5, 0, s5
	s_mul_hi_u32 s13, s49, s9
	s_mul_i32 s9, s49, s9
	s_add_u32 s8, s8, s9
	s_mul_hi_u32 s12, s49, s4
	s_addc_u32 s5, s5, s13
	s_addc_u32 s8, s12, 0
	s_mul_i32 s4, s49, s4
	s_add_u32 s4, s5, s4
	s_addc_u32 s5, 0, s8
	s_mul_i32 s5, s33, s5
	s_mul_hi_u32 s8, s33, s4
	s_add_i32 s8, s8, s5
	s_mul_i32 s4, s33, s4
	s_sub_u32 s9, s20, s4
	s_cselect_b64 s[4:5], -1, 0
	s_cmp_lg_u64 s[4:5], 0
	s_subb_u32 s8, s49, s8
	s_sub_u32 s12, s9, s33
	s_cselect_b64 s[4:5], -1, 0
	s_cmp_lg_u64 s[4:5], 0
	s_subb_u32 s13, s8, 0
	;; [unrolled: 4-line block ×3, first 2 shown]
	s_cmp_ge_u32 s12, s33
	s_cselect_b32 s5, -1, 0
	s_cmp_eq_u32 s13, 0
	s_cselect_b32 s5, s5, -1
	s_cmp_lg_u32 s5, 0
	s_cselect_b32 s4, s4, s13
	s_cselect_b32 s12, s20, s12
	s_cmp_ge_u32 s9, s33
	s_cselect_b32 s5, -1, 0
	s_cmp_eq_u32 s8, 0
	s_cselect_b32 s5, s5, -1
	s_cmp_lg_u32 s5, 0
	s_cselect_b32 s5, s4, s8
	s_cselect_b32 s4, s12, s9
	s_cbranch_execnz .LBB156_187
.LBB156_186:                            ;   in Loop: Header=BB156_6 Depth=1
	v_cvt_f32_u32_e32 v3, s33
	s_sub_i32 s4, 0, s33
	v_readlane_b32 s8, v56, 29
	v_rcp_iflag_f32_e32 v3, v3
	v_mul_f32_e32 v3, 0x4f7ffffe, v3
	v_cvt_u32_f32_e32 v3, v3
	v_readfirstlane_b32 s5, v3
	s_mul_i32 s4, s4, s5
	s_mul_hi_u32 s4, s5, s4
	s_add_i32 s5, s5, s4
	s_mul_hi_u32 s4, s8, s5
	s_mul_i32 s4, s4, s33
	s_sub_i32 s4, s8, s4
	s_sub_i32 s5, s4, s33
	s_cmp_ge_u32 s4, s33
	s_cselect_b32 s4, s5, s4
	s_sub_i32 s5, s4, s33
	s_cmp_ge_u32 s4, s33
	s_cselect_b32 s50, s5, s4
	s_mov_b64 s[4:5], s[50:51]
.LBB156_187:                            ;   in Loop: Header=BB156_6 Depth=1
	v_readlane_b32 s8, v56, 29
	v_readlane_b32 s12, v56, 31
	s_sub_u32 s8, s8, s4
	v_readlane_b32 s13, v56, 32
	s_subb_u32 s9, s13, s5
	v_cmp_gt_u64_e32 vcc, s[8:9], v[0:1]
                                        ; implicit-def: $vgpr10_vgpr11
	s_and_saveexec_b64 s[4:5], vcc
	s_cbranch_execz .LBB156_197
; %bb.188:                              ;   in Loop: Header=BB156_6 Depth=1
	v_mov_b32_e32 v35, v17
	v_mov_b32_e32 v39, v1
	s_mov_b64 s[12:13], 0
	v_mov_b32_e32 v34, v16
	v_mov_b32_e32 v38, v0
                                        ; implicit-def: $sgpr36_sgpr37
	s_branch .LBB156_191
.LBB156_189:                            ;   in Loop: Header=BB156_191 Depth=2
	s_or_b64 exec, exec, s[48:49]
	s_waitcnt lgkmcnt(0)
	s_barrier
	ds_read_b128 v[8:11], v19 offset:3072
	s_mov_b64 s[20:21], -1
	s_mov_b64 s[48:49], -1
	s_waitcnt lgkmcnt(0)
	s_barrier
	v_cmp_eq_u64_e32 vcc, 0, v[8:9]
	s_cbranch_vccnz .LBB156_194
.LBB156_190:                            ;   in Loop: Header=BB156_191 Depth=2
	s_and_b64 s[20:21], exec, s[20:21]
	s_or_b64 s[12:13], s[20:21], s[12:13]
	s_andn2_b64 s[20:21], s[36:37], exec
	s_and_b64 s[36:37], s[48:49], exec
	s_or_b64 s[36:37], s[20:21], s[36:37]
	s_andn2_b64 exec, exec, s[12:13]
	s_cbranch_execz .LBB156_196
.LBB156_191:                            ;   Parent Loop BB156_6 Depth=1
                                        ; =>  This Inner Loop Header: Depth=2
	v_cmp_gt_u64_e32 vcc, s[24:25], v[38:39]
	s_and_saveexec_b64 s[48:49], vcc
	s_cbranch_execz .LBB156_189
; %bb.192:                              ;   in Loop: Header=BB156_191 Depth=2
	global_load_dwordx2 v[4:5], v[34:35], off
	s_waitcnt vmcnt(0)
	v_xor_b32_e32 v3, 0x80000000, v5
	v_and_b32_e32 v9, v3, v15
	v_and_b32_e32 v8, v4, v14
	v_cmp_eq_u64_e32 vcc, v[8:9], v[12:13]
	s_and_b64 exec, exec, vcc
	s_cbranch_execz .LBB156_189
; %bb.193:                              ;   in Loop: Header=BB156_191 Depth=2
	v_mov_b32_e32 v3, v19
	ds_write_b128 v19, v[2:5] offset:3072
	s_branch .LBB156_189
.LBB156_194:                            ;   in Loop: Header=BB156_191 Depth=2
	v_add_co_u32_e32 v38, vcc, s33, v38
	v_addc_co_u32_e32 v39, vcc, 0, v39, vcc
	v_mov_b32_e32 v3, s29
	v_add_co_u32_e32 v34, vcc, s28, v34
	v_addc_co_u32_e32 v35, vcc, v35, v3, vcc
	v_cmp_le_u64_e32 vcc, s[8:9], v[38:39]
	s_mov_b64 s[48:49], 0
	s_orn2_b64 s[20:21], vcc, exec
	s_branch .LBB156_190
.LBB156_195:                            ;   in Loop: Header=BB156_6 Depth=1
	s_mov_b64 s[12:13], -1
	s_branch .LBB156_198
.LBB156_196:                            ;   in Loop: Header=BB156_6 Depth=1
	s_or_b64 exec, exec, s[12:13]
	s_andn2_b64 s[8:9], s[54:55], exec
	s_and_b64 s[12:13], s[36:37], exec
	s_or_b64 s[54:55], s[8:9], s[12:13]
.LBB156_197:                            ;   in Loop: Header=BB156_6 Depth=1
	s_or_b64 exec, exec, s[4:5]
	s_mov_b64 s[4:5], -1
	v_writelane_b32 v56, s4, 46
	s_mov_b64 s[12:13], 0
	v_writelane_b32 v56, s5, 47
.LBB156_198:                            ;   in Loop: Header=BB156_6 Depth=1
	s_orn2_b64 s[4:5], s[54:55], exec
.LBB156_199:                            ;   in Loop: Header=BB156_6 Depth=1
	s_or_b64 exec, exec, s[10:11]
	s_mov_b64 s[8:9], 0
	s_and_saveexec_b64 s[10:11], s[4:5]
	v_readlane_b32 s20, v56, 44
	v_readlane_b32 s21, v56, 45
	s_cbranch_execz .LBB156_261
; %bb.200:                              ;   in Loop: Header=BB156_6 Depth=1
	v_mov_b32_e32 v34, 1
	v_writelane_b32 v56, s12, 48
	s_xor_b64 s[4:5], s[64:65], -1
	v_mov_b32_e32 v52, 1
	v_mov_b32_e32 v35, 0
	v_writelane_b32 v56, s13, 49
	s_and_saveexec_b64 s[12:13], s[4:5]
	s_cbranch_execz .LBB156_209
; %bb.201:                              ;   in Loop: Header=BB156_6 Depth=1
	v_cmp_ge_u64_e32 vcc, s[38:39], v[36:37]
	s_and_saveexec_b64 s[4:5], vcc
	s_xor_b64 s[4:5], exec, s[4:5]
	s_cbranch_execz .LBB156_206
; %bb.202:                              ;   in Loop: Header=BB156_6 Depth=1
	s_lshl_b64 s[8:9], 2, s56
	v_and_b32_e32 v3, s91, v13
	v_and_b32_e32 v4, s90, v12
	v_or_b32_e32 v13, s9, v3
	v_or_b32_e32 v12, s8, v4
	ds_read_b64 v[3:4], v19 offset:5120
	v_or_b32_e32 v15, s19, v15
	v_or_b32_e32 v14, s18, v14
	s_waitcnt lgkmcnt(0)
	v_cmp_ne_u64_e32 vcc, 0, v[3:4]
	s_cbranch_vccnz .LBB156_206
; %bb.203:                              ;   in Loop: Header=BB156_6 Depth=1
	s_mov_b64 s[8:9], exec
	v_readlane_b32 s20, v56, 8
	v_readlane_b32 s21, v56, 9
	s_and_b64 s[20:21], s[8:9], s[20:21]
	s_mov_b64 exec, s[20:21]
; %bb.204:                              ;   in Loop: Header=BB156_6 Depth=1
	v_mov_b32_e32 v3, s38
	v_mov_b32_e32 v4, s39
	ds_write_b64 v19, v[3:4] offset:5128
; %bb.205:                              ;   in Loop: Header=BB156_6 Depth=1
	s_or_b64 exec, exec, s[8:9]
	s_waitcnt lgkmcnt(0)
	s_barrier
.LBB156_206:                            ;   in Loop: Header=BB156_6 Depth=1
	s_or_saveexec_b64 s[4:5], s[4:5]
	s_mov_b64 s[8:9], 0
	v_mov_b32_e32 v52, 8
	s_xor_b64 exec, exec, s[4:5]
; %bb.207:                              ;   in Loop: Header=BB156_6 Depth=1
	v_subrev_co_u32_e32 v36, vcc, s38, v36
	v_mov_b32_e32 v3, s39
	v_subb_co_u32_e32 v37, vcc, v37, v3, vcc
	v_mov_b32_e32 v52, 0
	s_mov_b64 s[8:9], exec
; %bb.208:                              ;   in Loop: Header=BB156_6 Depth=1
	s_or_b64 exec, exec, s[4:5]
	v_mov_b32_e32 v34, v36
	v_readlane_b32 s20, v56, 44
	s_and_b64 s[8:9], s[8:9], exec
	v_mov_b32_e32 v35, v37
	v_readlane_b32 s21, v56, 45
.LBB156_209:                            ;   in Loop: Header=BB156_6 Depth=1
	s_or_b64 exec, exec, s[12:13]
	s_mov_b64 s[4:5], -1
                                        ; implicit-def: $sgpr54_sgpr55
                                        ; implicit-def: $sgpr48_sgpr49
	s_and_saveexec_b64 s[64:65], s[8:9]
	s_cbranch_execz .LBB156_260
; %bb.210:                              ;   in Loop: Header=BB156_6 Depth=1
	s_cmp_eq_u64 s[40:41], 1
	v_cmp_eq_u64_e32 vcc, 1, v[34:35]
	s_cselect_b64 s[4:5], -1, 0
	s_mov_b64 s[8:9], -1
	s_and_b64 s[4:5], s[4:5], vcc
                                        ; implicit-def: $sgpr54_sgpr55
                                        ; implicit-def: $sgpr48_sgpr49
	s_mov_b64 s[12:13], exec
	v_writelane_b32 v56, s4, 50
	v_writelane_b32 v56, s5, 51
	;; [unrolled: 1-line block ×3, first 2 shown]
	s_and_b64 s[4:5], s[12:13], s[4:5]
	v_writelane_b32 v56, s13, 53
	s_mov_b64 exec, s[4:5]
	s_cbranch_execz .LBB156_248
; %bb.211:                              ;   in Loop: Header=BB156_6 Depth=1
	ds_read_b64 v[3:4], v19 offset:5120
	s_waitcnt lgkmcnt(0)
	s_barrier
	v_readfirstlane_b32 s12, v3
	v_readfirstlane_b32 s13, v4
	s_mov_b64 s[4:5], exec
	v_readlane_b32 s8, v56, 24
	v_readlane_b32 s9, v56, 25
	s_and_b64 s[8:9], s[4:5], s[8:9]
	s_mov_b64 exec, s[8:9]
; %bb.212:                              ;   in Loop: Header=BB156_6 Depth=1
	v_mov_b32_e32 v18, v19
	ds_write_b64 v45, v[18:19]
; %bb.213:                              ;   in Loop: Header=BB156_6 Depth=1
	s_or_b64 exec, exec, s[4:5]
	s_mov_b64 s[4:5], -1
	v_writelane_b32 v56, s4, 54
	v_writelane_b32 v56, s5, 55
	s_mov_b64 s[4:5], 0
	v_writelane_b32 v56, s4, 56
	v_or_b32_e32 v13, s19, v13
	v_or_b32_e32 v12, s18, v12
	;; [unrolled: 1-line block ×4, first 2 shown]
	v_writelane_b32 v56, s5, 57
	s_cmp_eq_u64 s[12:13], 0
	s_mov_b64 s[54:55], 0
	s_mov_b64 s[4:5], -1
	s_waitcnt lgkmcnt(0)
	s_barrier
                                        ; implicit-def: $vgpr10_vgpr11
	s_cbranch_scc1 .LBB156_231
; %bb.214:                              ;   in Loop: Header=BB156_6 Depth=1
	v_readlane_b32 s4, v56, 28
	s_add_u32 s20, s12, s4
	v_readlane_b32 s4, v56, 30
	s_addc_u32 s55, s13, s4
	s_mov_b32 s54, s51
	s_cmp_lg_u64 s[54:55], 0
	s_cbranch_scc0 .LBB156_218
; %bb.215:                              ;   in Loop: Header=BB156_6 Depth=1
	v_cvt_f32_u32_e32 v3, s33
	s_sub_u32 s8, 0, s33
	s_subb_u32 s9, 0, 0
	v_mac_f32_e32 v3, 0, v51
	v_rcp_f32_e32 v3, v3
	v_mul_f32_e32 v3, 0x5f7ffffc, v3
	v_mul_f32_e32 v4, 0x2f800000, v3
	v_trunc_f32_e32 v4, v4
	v_mac_f32_e32 v3, 0xcf800000, v4
	v_cvt_u32_f32_e32 v4, v4
	v_cvt_u32_f32_e32 v3, v3
	v_readfirstlane_b32 s21, v4
	v_readfirstlane_b32 s4, v3
	s_mul_i32 s5, s8, s21
	s_mul_hi_u32 s37, s8, s4
	s_mul_i32 s36, s9, s4
	s_add_i32 s5, s37, s5
	s_mul_i32 s48, s8, s4
	s_add_i32 s5, s5, s36
	s_mul_hi_u32 s37, s4, s48
	s_mul_i32 s49, s4, s5
	s_mul_hi_u32 s36, s4, s5
	s_add_u32 s37, s37, s49
	s_addc_u32 s36, 0, s36
	s_mul_hi_u32 s50, s21, s48
	s_mul_i32 s48, s21, s48
	s_add_u32 s37, s37, s48
	s_mul_hi_u32 s49, s21, s5
	s_addc_u32 s36, s36, s50
	s_addc_u32 s37, s49, 0
	s_mul_i32 s5, s21, s5
	s_add_u32 s5, s36, s5
	s_addc_u32 s36, 0, s37
	s_add_u32 s37, s4, s5
	s_cselect_b64 s[4:5], -1, 0
	s_cmp_lg_u64 s[4:5], 0
	s_addc_u32 s21, s21, s36
	s_mul_i32 s4, s8, s21
	s_mul_hi_u32 s5, s8, s37
	s_add_i32 s4, s5, s4
	s_mul_i32 s9, s9, s37
	s_add_i32 s4, s4, s9
	s_mul_i32 s8, s8, s37
	s_mul_hi_u32 s9, s21, s8
	s_mul_i32 s36, s21, s8
	s_mul_i32 s49, s37, s4
	s_mul_hi_u32 s8, s37, s8
	s_mul_hi_u32 s48, s37, s4
	s_add_u32 s8, s8, s49
	s_addc_u32 s48, 0, s48
	s_add_u32 s8, s8, s36
	s_mul_hi_u32 s5, s21, s4
	s_addc_u32 s8, s48, s9
	s_addc_u32 s5, s5, 0
	s_mul_i32 s4, s21, s4
	s_add_u32 s4, s8, s4
	s_addc_u32 s8, 0, s5
	s_add_u32 s9, s37, s4
	s_cselect_b64 s[4:5], -1, 0
	s_cmp_lg_u64 s[4:5], 0
	s_addc_u32 s4, s21, s8
	s_mul_i32 s8, s20, s4
	s_mul_hi_u32 s21, s20, s9
	s_mul_hi_u32 s5, s20, s4
	s_add_u32 s8, s21, s8
	s_addc_u32 s5, 0, s5
	s_mul_hi_u32 s36, s55, s9
	s_mul_i32 s9, s55, s9
	s_add_u32 s8, s8, s9
	s_mul_hi_u32 s21, s55, s4
	s_addc_u32 s5, s5, s36
	s_addc_u32 s8, s21, 0
	s_mul_i32 s4, s55, s4
	s_add_u32 s4, s5, s4
	s_addc_u32 s5, 0, s8
	s_mul_i32 s5, s33, s5
	s_mul_hi_u32 s8, s33, s4
	s_add_i32 s8, s8, s5
	s_mul_i32 s4, s33, s4
	s_sub_u32 s9, s20, s4
	s_cselect_b64 s[4:5], -1, 0
	s_cmp_lg_u64 s[4:5], 0
	s_subb_u32 s8, s55, s8
	s_sub_u32 s21, s9, s33
	s_cselect_b64 s[4:5], -1, 0
	s_cmp_lg_u64 s[4:5], 0
	s_subb_u32 s36, s8, 0
	;; [unrolled: 4-line block ×3, first 2 shown]
	s_cmp_ge_u32 s21, s33
	s_cselect_b32 s5, -1, 0
	s_cmp_eq_u32 s36, 0
	s_cselect_b32 s5, s5, -1
	s_cmp_lg_u32 s5, 0
	s_cselect_b32 s4, s4, s36
	s_cselect_b32 s21, s37, s21
	s_cmp_ge_u32 s9, s33
	s_cselect_b32 s5, -1, 0
	s_cmp_eq_u32 s8, 0
	s_cselect_b32 s5, s5, -1
	s_cmp_lg_u32 s5, 0
	s_cselect_b32 s5, s4, s8
	s_cselect_b32 s4, s21, s9
	s_mov_b64 s[8:9], 0
	s_branch .LBB156_219
.LBB156_216:                            ;   in Loop: Header=BB156_6 Depth=1
                                        ; implicit-def: $sgpr4_sgpr5
	s_branch .LBB156_170
.LBB156_217:                            ;   in Loop: Header=BB156_6 Depth=1
                                        ; implicit-def: $sgpr4_sgpr5
	s_branch .LBB156_186
.LBB156_218:                            ;   in Loop: Header=BB156_6 Depth=1
	s_mov_b64 s[8:9], -1
                                        ; implicit-def: $sgpr4_sgpr5
.LBB156_219:                            ;   in Loop: Header=BB156_6 Depth=1
	s_andn2_b64 vcc, exec, s[8:9]
	s_cbranch_vccnz .LBB156_221
; %bb.220:                              ;   in Loop: Header=BB156_6 Depth=1
	v_cvt_f32_u32_e32 v3, s33
	s_sub_i32 s4, 0, s33
	v_rcp_iflag_f32_e32 v3, v3
	v_mul_f32_e32 v3, 0x4f7ffffe, v3
	v_cvt_u32_f32_e32 v3, v3
	v_readfirstlane_b32 s5, v3
	s_mul_i32 s4, s4, s5
	s_mul_hi_u32 s4, s5, s4
	s_add_i32 s5, s5, s4
	s_mul_hi_u32 s4, s20, s5
	s_mul_i32 s4, s4, s33
	s_sub_i32 s4, s20, s4
	s_sub_i32 s5, s4, s33
	s_cmp_ge_u32 s4, s33
	s_cselect_b32 s4, s5, s4
	s_sub_i32 s5, s4, s33
	s_cmp_ge_u32 s4, s33
	s_cselect_b32 s50, s5, s4
	s_mov_b64 s[4:5], s[50:51]
.LBB156_221:                            ;   in Loop: Header=BB156_6 Depth=1
	s_sub_u32 s8, s20, s4
	s_subb_u32 s9, s55, s5
	v_cmp_gt_u64_e32 vcc, s[8:9], v[0:1]
	s_mov_b64 s[4:5], 0
	s_mov_b64 s[54:55], 0
                                        ; implicit-def: $vgpr10_vgpr11
	s_and_saveexec_b64 s[36:37], vcc
	s_cbranch_execz .LBB156_230
; %bb.222:                              ;   in Loop: Header=BB156_6 Depth=1
	v_mov_b32_e32 v37, v1
	v_mov_b32_e32 v18, v44
	;; [unrolled: 1-line block ×3, first 2 shown]
                                        ; implicit-def: $sgpr48_sgpr49
	s_branch .LBB156_225
.LBB156_223:                            ;   in Loop: Header=BB156_225 Depth=2
	s_or_b64 exec, exec, s[52:53]
	s_waitcnt lgkmcnt(0)
	s_barrier
	ds_read_b128 v[8:11], v19 offset:3072
	s_mov_b64 s[20:21], -1
	s_mov_b64 s[52:53], -1
	s_waitcnt lgkmcnt(0)
	s_barrier
	v_cmp_ne_u64_e32 vcc, 0, v[8:9]
	s_cbranch_vccz .LBB156_228
.LBB156_224:                            ;   in Loop: Header=BB156_225 Depth=2
	s_and_b64 s[20:21], exec, s[20:21]
	s_or_b64 s[54:55], s[20:21], s[54:55]
	s_andn2_b64 s[20:21], s[48:49], exec
	s_and_b64 s[48:49], s[52:53], exec
	s_or_b64 s[48:49], s[20:21], s[48:49]
	s_andn2_b64 exec, exec, s[54:55]
	s_cbranch_execz .LBB156_229
.LBB156_225:                            ;   Parent Loop BB156_6 Depth=1
                                        ; =>  This Inner Loop Header: Depth=2
	v_cmp_gt_u64_e32 vcc, s[12:13], v[36:37]
	s_and_saveexec_b64 s[52:53], vcc
	s_cbranch_execz .LBB156_223
; %bb.226:                              ;   in Loop: Header=BB156_225 Depth=2
	ds_read_b64 v[4:5], v18
	s_waitcnt lgkmcnt(0)
	v_xor_b32_e32 v3, 0x80000000, v5
	v_and_b32_e32 v9, v3, v15
	v_and_b32_e32 v8, v4, v14
	v_cmp_eq_u64_e32 vcc, v[8:9], v[12:13]
	s_and_b64 exec, exec, vcc
	s_cbranch_execz .LBB156_223
; %bb.227:                              ;   in Loop: Header=BB156_225 Depth=2
	v_mov_b32_e32 v3, v19
	ds_write_b128 v19, v[2:5] offset:3072
	s_branch .LBB156_223
.LBB156_228:                            ;   in Loop: Header=BB156_225 Depth=2
	v_add_co_u32_e32 v36, vcc, s33, v36
	v_addc_co_u32_e32 v37, vcc, 0, v37, vcc
	v_cmp_le_u64_e32 vcc, s[8:9], v[36:37]
	v_add_u32_e32 v18, s58, v18
	s_mov_b64 s[52:53], 0
	s_orn2_b64 s[20:21], vcc, exec
	s_branch .LBB156_224
.LBB156_229:                            ;   in Loop: Header=BB156_6 Depth=1
	s_or_b64 exec, exec, s[54:55]
	v_readlane_b32 s52, v56, 42
	s_and_b64 s[54:55], s[48:49], exec
	v_readlane_b32 s53, v56, 43
.LBB156_230:                            ;   in Loop: Header=BB156_6 Depth=1
	s_or_b64 exec, exec, s[36:37]
.LBB156_231:                            ;   in Loop: Header=BB156_6 Depth=1
	s_and_b64 vcc, exec, s[4:5]
	s_cbranch_vccz .LBB156_247
; %bb.232:                              ;   in Loop: Header=BB156_6 Depth=1
	v_readlane_b32 s48, v56, 31
	v_readlane_b32 s49, v56, 32
	s_mov_b32 s48, s51
	s_cmp_lg_u64 s[48:49], 0
	v_writelane_b32 v56, s48, 31
	v_writelane_b32 v56, s49, 32
	s_cbranch_scc0 .LBB156_234
; %bb.233:                              ;   in Loop: Header=BB156_6 Depth=1
	v_cvt_f32_u32_e32 v3, s33
	s_sub_u32 s8, 0, s33
	s_subb_u32 s9, 0, 0
	v_mac_f32_e32 v3, 0, v51
	v_rcp_f32_e32 v3, v3
	v_mul_f32_e32 v3, 0x5f7ffffc, v3
	v_mul_f32_e32 v4, 0x2f800000, v3
	v_trunc_f32_e32 v4, v4
	v_mac_f32_e32 v3, 0xcf800000, v4
	v_cvt_u32_f32_e32 v4, v4
	v_cvt_u32_f32_e32 v3, v3
	v_readfirstlane_b32 s12, v4
	v_readfirstlane_b32 s4, v3
	s_mul_i32 s5, s8, s12
	s_mul_hi_u32 s20, s8, s4
	s_mul_i32 s13, s9, s4
	s_add_i32 s5, s20, s5
	s_mul_i32 s21, s8, s4
	s_add_i32 s5, s5, s13
	s_mul_hi_u32 s20, s4, s21
	s_mul_i32 s36, s4, s5
	s_mul_hi_u32 s13, s4, s5
	s_add_u32 s20, s20, s36
	s_addc_u32 s13, 0, s13
	s_mul_hi_u32 s37, s12, s21
	s_mul_i32 s21, s12, s21
	s_add_u32 s20, s20, s21
	s_mul_hi_u32 s36, s12, s5
	s_addc_u32 s13, s13, s37
	s_addc_u32 s20, s36, 0
	s_mul_i32 s5, s12, s5
	s_add_u32 s5, s13, s5
	s_addc_u32 s13, 0, s20
	s_add_u32 s20, s4, s5
	s_cselect_b64 s[4:5], -1, 0
	s_cmp_lg_u64 s[4:5], 0
	s_addc_u32 s12, s12, s13
	s_mul_i32 s4, s8, s12
	s_mul_hi_u32 s5, s8, s20
	s_add_i32 s4, s5, s4
	s_mul_i32 s9, s9, s20
	s_add_i32 s4, s4, s9
	s_mul_i32 s8, s8, s20
	s_mul_hi_u32 s9, s12, s8
	s_mul_i32 s13, s12, s8
	s_mul_i32 s36, s20, s4
	s_mul_hi_u32 s8, s20, s8
	s_mul_hi_u32 s21, s20, s4
	s_add_u32 s8, s8, s36
	s_addc_u32 s21, 0, s21
	s_add_u32 s8, s8, s13
	s_mul_hi_u32 s5, s12, s4
	s_addc_u32 s8, s21, s9
	s_addc_u32 s5, s5, 0
	s_mul_i32 s4, s12, s4
	s_add_u32 s4, s8, s4
	s_addc_u32 s8, 0, s5
	s_add_u32 s9, s20, s4
	s_cselect_b64 s[4:5], -1, 0
	s_cmp_lg_u64 s[4:5], 0
	s_addc_u32 s4, s12, s8
	v_readlane_b32 s20, v56, 29
	s_mul_i32 s8, s20, s4
	s_mul_hi_u32 s12, s20, s9
	s_mul_hi_u32 s5, s20, s4
	s_add_u32 s8, s12, s8
	s_addc_u32 s5, 0, s5
	s_mul_hi_u32 s13, s49, s9
	s_mul_i32 s9, s49, s9
	s_add_u32 s8, s8, s9
	s_mul_hi_u32 s12, s49, s4
	s_addc_u32 s5, s5, s13
	s_addc_u32 s8, s12, 0
	s_mul_i32 s4, s49, s4
	s_add_u32 s4, s5, s4
	s_addc_u32 s5, 0, s8
	s_mul_i32 s5, s33, s5
	s_mul_hi_u32 s8, s33, s4
	s_add_i32 s8, s8, s5
	s_mul_i32 s4, s33, s4
	s_sub_u32 s9, s20, s4
	s_cselect_b64 s[4:5], -1, 0
	s_cmp_lg_u64 s[4:5], 0
	s_subb_u32 s8, s49, s8
	s_sub_u32 s12, s9, s33
	s_cselect_b64 s[4:5], -1, 0
	s_cmp_lg_u64 s[4:5], 0
	s_subb_u32 s13, s8, 0
	;; [unrolled: 4-line block ×3, first 2 shown]
	s_cmp_ge_u32 s12, s33
	s_cselect_b32 s5, -1, 0
	s_cmp_eq_u32 s13, 0
	s_cselect_b32 s5, s5, -1
	s_cmp_lg_u32 s5, 0
	s_cselect_b32 s4, s4, s13
	s_cselect_b32 s12, s20, s12
	s_cmp_ge_u32 s9, s33
	s_cselect_b32 s5, -1, 0
	s_cmp_eq_u32 s8, 0
	s_cselect_b32 s5, s5, -1
	s_cmp_lg_u32 s5, 0
	s_cselect_b32 s5, s4, s8
	s_cselect_b32 s4, s12, s9
	s_mov_b64 s[8:9], 0
	s_branch .LBB156_235
.LBB156_234:                            ;   in Loop: Header=BB156_6 Depth=1
	s_mov_b64 s[8:9], -1
                                        ; implicit-def: $sgpr4_sgpr5
.LBB156_235:                            ;   in Loop: Header=BB156_6 Depth=1
	s_andn2_b64 vcc, exec, s[8:9]
	s_cbranch_vccnz .LBB156_237
; %bb.236:                              ;   in Loop: Header=BB156_6 Depth=1
	v_cvt_f32_u32_e32 v3, s33
	s_sub_i32 s4, 0, s33
	v_readlane_b32 s8, v56, 29
	v_rcp_iflag_f32_e32 v3, v3
	v_mul_f32_e32 v3, 0x4f7ffffe, v3
	v_cvt_u32_f32_e32 v3, v3
	v_readfirstlane_b32 s5, v3
	s_mul_i32 s4, s4, s5
	s_mul_hi_u32 s4, s5, s4
	s_add_i32 s5, s5, s4
	s_mul_hi_u32 s4, s8, s5
	s_mul_i32 s4, s4, s33
	s_sub_i32 s4, s8, s4
	s_sub_i32 s5, s4, s33
	s_cmp_ge_u32 s4, s33
	s_cselect_b32 s4, s5, s4
	s_sub_i32 s5, s4, s33
	s_cmp_ge_u32 s4, s33
	s_cselect_b32 s50, s5, s4
	s_mov_b64 s[4:5], s[50:51]
.LBB156_237:                            ;   in Loop: Header=BB156_6 Depth=1
	v_readlane_b32 s8, v56, 29
	s_sub_u32 s12, s8, s4
	v_readlane_b32 s8, v56, 31
	v_readlane_b32 s9, v56, 32
	s_subb_u32 s13, s9, s5
	v_cmp_gt_u64_e32 vcc, s[12:13], v[0:1]
                                        ; implicit-def: $vgpr10_vgpr11
	s_and_saveexec_b64 s[4:5], vcc
	s_cbranch_execz .LBB156_246
; %bb.238:                              ;   in Loop: Header=BB156_6 Depth=1
	v_mov_b32_e32 v37, v17
	v_mov_b32_e32 v39, v1
	s_mov_b64 s[8:9], 0
	v_mov_b32_e32 v36, v16
	v_mov_b32_e32 v38, v0
                                        ; implicit-def: $sgpr36_sgpr37
	s_branch .LBB156_241
.LBB156_239:                            ;   in Loop: Header=BB156_241 Depth=2
	s_or_b64 exec, exec, s[48:49]
	s_waitcnt lgkmcnt(0)
	s_barrier
	ds_read_b128 v[8:11], v19 offset:3072
	s_mov_b64 s[20:21], -1
	s_mov_b64 s[48:49], -1
	s_waitcnt lgkmcnt(0)
	s_barrier
	v_cmp_eq_u64_e32 vcc, 0, v[8:9]
	s_cbranch_vccnz .LBB156_244
.LBB156_240:                            ;   in Loop: Header=BB156_241 Depth=2
	s_and_b64 s[20:21], exec, s[20:21]
	s_or_b64 s[8:9], s[20:21], s[8:9]
	s_andn2_b64 s[20:21], s[36:37], exec
	s_and_b64 s[36:37], s[48:49], exec
	s_or_b64 s[36:37], s[20:21], s[36:37]
	s_andn2_b64 exec, exec, s[8:9]
	s_cbranch_execz .LBB156_245
.LBB156_241:                            ;   Parent Loop BB156_6 Depth=1
                                        ; =>  This Inner Loop Header: Depth=2
	v_cmp_gt_u64_e32 vcc, s[24:25], v[38:39]
	s_and_saveexec_b64 s[48:49], vcc
	s_cbranch_execz .LBB156_239
; %bb.242:                              ;   in Loop: Header=BB156_241 Depth=2
	global_load_dwordx2 v[4:5], v[36:37], off
	s_waitcnt vmcnt(0)
	v_xor_b32_e32 v3, 0x80000000, v5
	v_and_b32_e32 v9, v3, v15
	v_and_b32_e32 v8, v4, v14
	v_cmp_eq_u64_e32 vcc, v[8:9], v[12:13]
	s_and_b64 exec, exec, vcc
	s_cbranch_execz .LBB156_239
; %bb.243:                              ;   in Loop: Header=BB156_241 Depth=2
	v_mov_b32_e32 v3, v19
	ds_write_b128 v19, v[2:5] offset:3072
	s_branch .LBB156_239
.LBB156_244:                            ;   in Loop: Header=BB156_241 Depth=2
	v_add_co_u32_e32 v38, vcc, s33, v38
	v_addc_co_u32_e32 v39, vcc, 0, v39, vcc
	v_mov_b32_e32 v3, s29
	v_add_co_u32_e32 v36, vcc, s28, v36
	v_addc_co_u32_e32 v37, vcc, v37, v3, vcc
	v_cmp_le_u64_e32 vcc, s[12:13], v[38:39]
	s_mov_b64 s[48:49], 0
	s_orn2_b64 s[20:21], vcc, exec
	s_branch .LBB156_240
.LBB156_245:                            ;   in Loop: Header=BB156_6 Depth=1
	s_or_b64 exec, exec, s[8:9]
	s_andn2_b64 s[8:9], s[54:55], exec
	s_and_b64 s[12:13], s[36:37], exec
	s_or_b64 s[54:55], s[8:9], s[12:13]
.LBB156_246:                            ;   in Loop: Header=BB156_6 Depth=1
	s_or_b64 exec, exec, s[4:5]
	s_mov_b64 s[4:5], 0
	v_writelane_b32 v56, s4, 54
	v_writelane_b32 v56, s5, 55
	s_mov_b64 s[4:5], -1
	v_writelane_b32 v56, s4, 56
	v_writelane_b32 v56, s5, 57
.LBB156_247:                            ;   in Loop: Header=BB156_6 Depth=1
	s_orn2_b64 s[8:9], s[54:55], exec
	v_readlane_b32 s48, v56, 54
	v_readlane_b32 s54, v56, 56
	;; [unrolled: 1-line block ×4, first 2 shown]
.LBB156_248:                            ;   in Loop: Header=BB156_6 Depth=1
	v_readlane_b32 s4, v56, 52
	v_readlane_b32 s5, v56, 53
	s_or_b64 exec, exec, s[4:5]
	s_mov_b64 s[12:13], 0
	s_and_saveexec_b64 s[4:5], s[8:9]
	v_readlane_b32 s20, v56, 44
	v_readlane_b32 s21, v56, 45
	s_cbranch_execz .LBB156_259
; %bb.249:                              ;   in Loop: Header=BB156_6 Depth=1
	v_readlane_b32 s8, v56, 50
	v_readlane_b32 s9, v56, 51
	v_mov_b32_e32 v3, 1
	s_xor_b64 s[12:13], s[8:9], -1
	v_mov_b32_e32 v4, 0
	v_mov_b32_e32 v52, 1
	s_and_saveexec_b64 s[8:9], s[12:13]
	s_cbranch_execz .LBB156_258
; %bb.250:                              ;   in Loop: Header=BB156_6 Depth=1
	v_cmp_ge_u64_e32 vcc, s[40:41], v[34:35]
	s_and_saveexec_b64 s[12:13], vcc
	s_xor_b64 s[12:13], exec, s[12:13]
	s_cbranch_execz .LBB156_255
; %bb.251:                              ;   in Loop: Header=BB156_6 Depth=1
	ds_read_b64 v[3:4], v19 offset:5120
	v_or_b32_e32 v13, s19, v13
	v_or_b32_e32 v12, s18, v12
	;; [unrolled: 1-line block ×4, first 2 shown]
	s_waitcnt lgkmcnt(0)
	v_cmp_ne_u64_e32 vcc, 0, v[3:4]
	s_cbranch_vccnz .LBB156_255
; %bb.252:                              ;   in Loop: Header=BB156_6 Depth=1
	s_mov_b64 s[20:21], exec
	v_readlane_b32 s36, v56, 8
	v_readlane_b32 s37, v56, 9
	s_and_b64 s[36:37], s[20:21], s[36:37]
	s_mov_b64 exec, s[36:37]
; %bb.253:                              ;   in Loop: Header=BB156_6 Depth=1
	v_mov_b32_e32 v3, s40
	v_mov_b32_e32 v4, s41
	ds_write_b64 v19, v[3:4] offset:5128
; %bb.254:                              ;   in Loop: Header=BB156_6 Depth=1
	s_or_b64 exec, exec, s[20:21]
	s_waitcnt lgkmcnt(0)
	s_barrier
.LBB156_255:                            ;   in Loop: Header=BB156_6 Depth=1
	s_andn2_saveexec_b64 s[12:13], s[12:13]
; %bb.256:                              ;   in Loop: Header=BB156_6 Depth=1
	v_mov_b32_e32 v3, s41
	v_subrev_co_u32_e32 v34, vcc, s40, v34
	v_subb_co_u32_e32 v35, vcc, v35, v3, vcc
; %bb.257:                              ;   in Loop: Header=BB156_6 Depth=1
	s_or_b64 exec, exec, s[12:13]
	v_mov_b32_e32 v3, v34
	v_readlane_b32 s20, v56, 44
	v_mov_b32_e32 v52, 8
	v_mov_b32_e32 v4, v35
	v_readlane_b32 s21, v56, 45
.LBB156_258:                            ;   in Loop: Header=BB156_6 Depth=1
	s_or_b64 exec, exec, s[8:9]
	v_mov_b32_e32 v35, v4
	s_mov_b64 s[12:13], exec
	v_mov_b32_e32 v34, v3
.LBB156_259:                            ;   in Loop: Header=BB156_6 Depth=1
	s_or_b64 exec, exec, s[4:5]
	s_orn2_b64 s[4:5], s[12:13], exec
.LBB156_260:                            ;   in Loop: Header=BB156_6 Depth=1
	s_or_b64 exec, exec, s[64:65]
	v_readlane_b32 s8, v56, 46
	v_readlane_b32 s9, v56, 47
	s_andn2_b64 s[8:9], s[8:9], exec
	s_and_b64 s[12:13], s[54:55], exec
	s_or_b64 s[8:9], s[8:9], s[12:13]
	v_writelane_b32 v56, s8, 46
	v_writelane_b32 v56, s9, 47
	v_readlane_b32 s8, v56, 48
	v_readlane_b32 s9, v56, 49
	s_andn2_b64 s[8:9], s[8:9], exec
	s_and_b64 s[12:13], s[48:49], exec
	v_mov_b32_e32 v37, v35
	s_or_b64 s[12:13], s[8:9], s[12:13]
	s_and_b64 s[8:9], s[4:5], exec
	v_mov_b32_e32 v36, v34
.LBB156_261:                            ;   in Loop: Header=BB156_6 Depth=1
	s_or_b64 exec, exec, s[10:11]
	s_orn2_b64 s[4:5], s[8:9], exec
.LBB156_262:                            ;   in Loop: Header=BB156_6 Depth=1
	s_or_b64 exec, exec, s[20:21]
	v_readlane_b32 s10, v56, 46
	v_readlane_b32 s11, v56, 47
	s_andn2_b64 s[8:9], s[44:45], exec
	s_and_b64 s[10:11], s[10:11], exec
	s_or_b64 s[44:45], s[8:9], s[10:11]
	s_andn2_b64 s[8:9], s[42:43], exec
	s_and_b64 s[10:11], s[12:13], exec
	v_mov_b32_e32 v34, v36
	s_or_b64 s[42:43], s[8:9], s[10:11]
	s_and_b64 s[10:11], s[4:5], exec
	v_mov_b32_e32 v35, v37
.LBB156_263:                            ;   in Loop: Header=BB156_6 Depth=1
	s_or_b64 exec, exec, s[62:63]
	s_orn2_b64 s[4:5], s[10:11], exec
.LBB156_264:                            ;   in Loop: Header=BB156_6 Depth=1
	s_or_b64 exec, exec, s[6:7]
	s_mov_b64 s[6:7], 0
	s_mov_b64 s[8:9], 0
	s_and_saveexec_b64 s[10:11], s[4:5]
	s_xor_b64 s[4:5], exec, s[10:11]
; %bb.265:                              ;   in Loop: Header=BB156_6 Depth=1
	v_cmp_eq_u32_e32 vcc, 8, v52
	v_cmp_ne_u32_e64 s[6:7], 8, v52
	s_and_b64 s[8:9], s[6:7], exec
	s_and_b64 s[6:7], vcc, exec
; %bb.266:                              ;   in Loop: Header=BB156_6 Depth=1
	s_or_b64 exec, exec, s[4:5]
	s_andn2_b64 s[4:5], s[30:31], exec
	s_and_b64 s[10:11], s[44:45], exec
	s_or_b64 s[30:31], s[4:5], s[10:11]
	s_andn2_b64 s[2:3], s[2:3], exec
	s_and_b64 s[4:5], s[42:43], exec
	s_or_b64 s[2:3], s[2:3], s[4:5]
	s_and_b64 s[42:43], s[8:9], exec
	s_and_b64 s[44:45], s[6:7], exec
.LBB156_267:                            ;   in Loop: Header=BB156_6 Depth=1
	s_or_b64 exec, exec, s[60:61]
.LBB156_268:                            ;   in Loop: Header=BB156_6 Depth=1
	s_and_b64 vcc, exec, s[34:35]
	s_cbranch_vccz .LBB156_284
; %bb.269:                              ;   in Loop: Header=BB156_6 Depth=1
	s_cmp_eq_u64 s[40:41], 1
	s_cselect_b64 s[2:3], -1, 0
	s_and_b64 s[6:7], s[2:3], s[14:15]
	s_mov_b64 s[4:5], -1
                                        ; implicit-def: $sgpr14_sgpr15
                                        ; implicit-def: $sgpr92_sgpr93
	s_and_saveexec_b64 s[2:3], s[6:7]
	s_cbranch_execz .LBB156_302
; %bb.270:                              ;   in Loop: Header=BB156_6 Depth=1
	ds_read_b64 v[3:4], v19 offset:5120
	s_waitcnt lgkmcnt(0)
	s_barrier
	v_readfirstlane_b32 s10, v3
	v_readfirstlane_b32 s11, v4
	s_mov_b64 s[4:5], exec
	v_readlane_b32 s8, v56, 24
	v_readlane_b32 s9, v56, 25
	s_and_b64 s[8:9], s[4:5], s[8:9]
	s_mov_b64 exec, s[8:9]
; %bb.271:                              ;   in Loop: Header=BB156_6 Depth=1
	v_mov_b32_e32 v18, v19
	ds_write_b64 v45, v[18:19]
; %bb.272:                              ;   in Loop: Header=BB156_6 Depth=1
	s_or_b64 exec, exec, s[4:5]
	v_or_b32_e32 v27, s19, v27
	v_or_b32_e32 v26, s18, v26
	;; [unrolled: 1-line block ×4, first 2 shown]
	s_mov_b64 s[92:93], -1
	s_mov_b64 s[14:15], 0
	s_cmp_eq_u64 s[10:11], 0
	s_mov_b64 s[8:9], 0
	s_mov_b64 s[12:13], -1
	s_waitcnt lgkmcnt(0)
	s_barrier
                                        ; implicit-def: $vgpr6_vgpr7
	s_cbranch_scc1 .LBB156_287
; %bb.273:                              ;   in Loop: Header=BB156_6 Depth=1
	v_readlane_b32 s4, v56, 28
	s_add_u32 s20, s10, s4
	v_readlane_b32 s4, v56, 30
	s_addc_u32 s9, s11, s4
	s_mov_b32 s8, s51
	s_cmp_lg_u64 s[8:9], 0
	s_cbranch_scc0 .LBB156_328
; %bb.274:                              ;   in Loop: Header=BB156_6 Depth=1
	v_cvt_f32_u32_e32 v3, s33
	s_sub_u32 s8, 0, s33
	s_subb_u32 s12, 0, 0
	v_mac_f32_e32 v3, 0, v51
	v_rcp_f32_e32 v3, v3
	v_mul_f32_e32 v3, 0x5f7ffffc, v3
	v_mul_f32_e32 v4, 0x2f800000, v3
	v_trunc_f32_e32 v4, v4
	v_mac_f32_e32 v3, 0xcf800000, v4
	v_cvt_u32_f32_e32 v4, v4
	v_cvt_u32_f32_e32 v3, v3
	v_readfirstlane_b32 s13, v4
	v_readfirstlane_b32 s4, v3
	s_mul_i32 s5, s8, s13
	s_mul_hi_u32 s30, s8, s4
	s_mul_i32 s21, s12, s4
	s_add_i32 s5, s30, s5
	s_mul_i32 s31, s8, s4
	s_add_i32 s5, s5, s21
	s_mul_hi_u32 s30, s4, s31
	s_mul_i32 s34, s4, s5
	s_mul_hi_u32 s21, s4, s5
	s_add_u32 s30, s30, s34
	s_addc_u32 s21, 0, s21
	s_mul_hi_u32 s35, s13, s31
	s_mul_i32 s31, s13, s31
	s_add_u32 s30, s30, s31
	s_mul_hi_u32 s34, s13, s5
	s_addc_u32 s21, s21, s35
	s_addc_u32 s30, s34, 0
	s_mul_i32 s5, s13, s5
	s_add_u32 s5, s21, s5
	s_addc_u32 s21, 0, s30
	s_add_u32 s30, s4, s5
	s_cselect_b64 s[4:5], -1, 0
	s_cmp_lg_u64 s[4:5], 0
	s_addc_u32 s13, s13, s21
	s_mul_i32 s4, s8, s13
	s_mul_hi_u32 s5, s8, s30
	s_add_i32 s4, s5, s4
	s_mul_i32 s12, s12, s30
	s_add_i32 s4, s4, s12
	s_mul_i32 s8, s8, s30
	s_mul_hi_u32 s12, s13, s8
	s_mul_i32 s21, s13, s8
	s_mul_i32 s34, s30, s4
	s_mul_hi_u32 s8, s30, s8
	s_mul_hi_u32 s31, s30, s4
	s_add_u32 s8, s8, s34
	s_addc_u32 s31, 0, s31
	s_add_u32 s8, s8, s21
	s_mul_hi_u32 s5, s13, s4
	s_addc_u32 s8, s31, s12
	s_addc_u32 s5, s5, 0
	s_mul_i32 s4, s13, s4
	s_add_u32 s4, s8, s4
	s_addc_u32 s8, 0, s5
	s_add_u32 s12, s30, s4
	s_cselect_b64 s[4:5], -1, 0
	s_cmp_lg_u64 s[4:5], 0
	s_addc_u32 s4, s13, s8
	s_mul_i32 s8, s20, s4
	s_mul_hi_u32 s13, s20, s12
	s_mul_hi_u32 s5, s20, s4
	s_add_u32 s8, s13, s8
	s_addc_u32 s5, 0, s5
	s_mul_hi_u32 s21, s9, s12
	s_mul_i32 s12, s9, s12
	s_add_u32 s8, s8, s12
	s_mul_hi_u32 s13, s9, s4
	s_addc_u32 s5, s5, s21
	s_addc_u32 s8, s13, 0
	s_mul_i32 s4, s9, s4
	s_add_u32 s4, s5, s4
	s_addc_u32 s5, 0, s8
	s_mul_i32 s5, s33, s5
	s_mul_hi_u32 s8, s33, s4
	s_add_i32 s8, s8, s5
	s_mul_i32 s4, s33, s4
	s_sub_u32 s12, s20, s4
	s_cselect_b64 s[4:5], -1, 0
	s_cmp_lg_u64 s[4:5], 0
	s_subb_u32 s8, s9, s8
	s_sub_u32 s13, s12, s33
	s_cselect_b64 s[4:5], -1, 0
	s_cmp_lg_u64 s[4:5], 0
	s_subb_u32 s21, s8, 0
	;; [unrolled: 4-line block ×3, first 2 shown]
	s_cmp_ge_u32 s13, s33
	s_cselect_b32 s5, -1, 0
	s_cmp_eq_u32 s21, 0
	s_cselect_b32 s5, s5, -1
	s_cmp_lg_u32 s5, 0
	s_cselect_b32 s4, s4, s21
	s_cselect_b32 s13, s30, s13
	s_cmp_ge_u32 s12, s33
	s_cselect_b32 s5, -1, 0
	s_cmp_eq_u32 s8, 0
	s_cselect_b32 s5, s5, -1
	s_cmp_lg_u32 s5, 0
	s_cselect_b32 s5, s4, s8
	s_cselect_b32 s4, s13, s12
	s_cbranch_execnz .LBB156_276
.LBB156_275:                            ;   in Loop: Header=BB156_6 Depth=1
	v_cvt_f32_u32_e32 v3, s33
	s_sub_i32 s4, 0, s33
	v_rcp_iflag_f32_e32 v3, v3
	v_mul_f32_e32 v3, 0x4f7ffffe, v3
	v_cvt_u32_f32_e32 v3, v3
	v_readfirstlane_b32 s5, v3
	s_mul_i32 s4, s4, s5
	s_mul_hi_u32 s4, s5, s4
	s_add_i32 s5, s5, s4
	s_mul_hi_u32 s4, s20, s5
	s_mul_i32 s4, s4, s33
	s_sub_i32 s4, s20, s4
	s_sub_i32 s5, s4, s33
	s_cmp_ge_u32 s4, s33
	s_cselect_b32 s4, s5, s4
	s_sub_i32 s5, s4, s33
	s_cmp_ge_u32 s4, s33
	s_cselect_b32 s50, s5, s4
	s_mov_b64 s[4:5], s[50:51]
.LBB156_276:                            ;   in Loop: Header=BB156_6 Depth=1
	s_sub_u32 s20, s20, s4
	s_subb_u32 s21, s9, s5
	v_cmp_gt_u64_e32 vcc, s[20:21], v[0:1]
	s_mov_b64 s[12:13], 0
	s_mov_b64 s[8:9], 0
                                        ; implicit-def: $vgpr6_vgpr7
	s_and_saveexec_b64 s[4:5], vcc
	s_cbranch_execz .LBB156_286
; %bb.277:                              ;   in Loop: Header=BB156_6 Depth=1
	v_mov_b32_e32 v9, v1
	v_mov_b32_e32 v10, v44
	;; [unrolled: 1-line block ×3, first 2 shown]
                                        ; implicit-def: $sgpr30_sgpr31
	s_branch .LBB156_280
.LBB156_278:                            ;   in Loop: Header=BB156_280 Depth=2
	s_or_b64 exec, exec, s[34:35]
	s_waitcnt lgkmcnt(0)
	s_barrier
	ds_read_b128 v[4:7], v19 offset:3072
	s_mov_b64 s[34:35], -1
	s_mov_b64 s[36:37], -1
	s_waitcnt lgkmcnt(0)
	s_barrier
	v_cmp_ne_u64_e32 vcc, 0, v[4:5]
	s_cbranch_vccz .LBB156_283
.LBB156_279:                            ;   in Loop: Header=BB156_280 Depth=2
	s_and_b64 s[34:35], exec, s[34:35]
	s_or_b64 s[8:9], s[34:35], s[8:9]
	s_andn2_b64 s[30:31], s[30:31], exec
	s_and_b64 s[34:35], s[36:37], exec
	s_or_b64 s[30:31], s[30:31], s[34:35]
	s_andn2_b64 exec, exec, s[8:9]
	s_cbranch_execz .LBB156_285
.LBB156_280:                            ;   Parent Loop BB156_6 Depth=1
                                        ; =>  This Inner Loop Header: Depth=2
	v_cmp_gt_u64_e32 vcc, s[10:11], v[8:9]
	s_and_saveexec_b64 s[34:35], vcc
	s_cbranch_execz .LBB156_278
; %bb.281:                              ;   in Loop: Header=BB156_280 Depth=2
	ds_read_b64 v[4:5], v10
	s_waitcnt lgkmcnt(0)
	v_xor_b32_e32 v3, 0x80000000, v5
	v_and_b32_e32 v7, v3, v31
	v_and_b32_e32 v6, v4, v30
	v_cmp_eq_u64_e32 vcc, v[6:7], v[26:27]
	s_and_b64 exec, exec, vcc
	s_cbranch_execz .LBB156_278
; %bb.282:                              ;   in Loop: Header=BB156_280 Depth=2
	v_mov_b32_e32 v3, v19
	ds_write_b128 v19, v[2:5] offset:3072
	s_branch .LBB156_278
.LBB156_283:                            ;   in Loop: Header=BB156_280 Depth=2
	v_add_co_u32_e32 v8, vcc, s33, v8
	v_addc_co_u32_e32 v9, vcc, 0, v9, vcc
	v_cmp_le_u64_e32 vcc, s[20:21], v[8:9]
	v_add_u32_e32 v10, s58, v10
	s_mov_b64 s[36:37], 0
	s_orn2_b64 s[34:35], vcc, exec
	s_branch .LBB156_279
.LBB156_284:                            ;   in Loop: Header=BB156_6 Depth=1
	v_mov_b32_e32 v27, v13
	v_mov_b32_e32 v31, v15
	;; [unrolled: 1-line block ×3, first 2 shown]
	s_mov_b64 s[14:15], 0
	v_mov_b32_e32 v26, v12
	v_mov_b32_e32 v30, v14
	;; [unrolled: 1-line block ×3, first 2 shown]
	s_and_saveexec_b64 s[4:5], s[44:45]
	s_cbranch_execnz .LBB156_461
	s_branch .LBB156_462
.LBB156_285:                            ;   in Loop: Header=BB156_6 Depth=1
	s_or_b64 exec, exec, s[8:9]
	s_and_b64 s[8:9], s[30:31], exec
.LBB156_286:                            ;   in Loop: Header=BB156_6 Depth=1
	s_or_b64 exec, exec, s[4:5]
.LBB156_287:                            ;   in Loop: Header=BB156_6 Depth=1
	s_and_b64 vcc, exec, s[12:13]
	s_cbranch_vccz .LBB156_301
; %bb.288:                              ;   in Loop: Header=BB156_6 Depth=1
	v_readlane_b32 s30, v56, 31
	v_readlane_b32 s31, v56, 32
	s_mov_b32 s30, s51
	s_cmp_lg_u64 s[30:31], 0
	v_writelane_b32 v56, s30, 31
	v_writelane_b32 v56, s31, 32
	s_cbranch_scc0 .LBB156_329
; %bb.289:                              ;   in Loop: Header=BB156_6 Depth=1
	v_cvt_f32_u32_e32 v3, s33
	s_sub_u32 s10, 0, s33
	s_subb_u32 s11, 0, 0
	v_mac_f32_e32 v3, 0, v51
	v_rcp_f32_e32 v3, v3
	v_mul_f32_e32 v3, 0x5f7ffffc, v3
	v_mul_f32_e32 v4, 0x2f800000, v3
	v_trunc_f32_e32 v4, v4
	v_mac_f32_e32 v3, 0xcf800000, v4
	v_cvt_u32_f32_e32 v4, v4
	v_cvt_u32_f32_e32 v3, v3
	v_readfirstlane_b32 s12, v4
	v_readfirstlane_b32 s4, v3
	s_mul_i32 s5, s10, s12
	s_mul_hi_u32 s14, s10, s4
	s_mul_i32 s13, s11, s4
	s_add_i32 s5, s14, s5
	s_mul_i32 s15, s10, s4
	s_add_i32 s5, s5, s13
	s_mul_hi_u32 s14, s4, s15
	s_mul_i32 s20, s4, s5
	s_mul_hi_u32 s13, s4, s5
	s_add_u32 s14, s14, s20
	s_addc_u32 s13, 0, s13
	s_mul_hi_u32 s21, s12, s15
	s_mul_i32 s15, s12, s15
	s_add_u32 s14, s14, s15
	s_mul_hi_u32 s20, s12, s5
	s_addc_u32 s13, s13, s21
	s_addc_u32 s14, s20, 0
	s_mul_i32 s5, s12, s5
	s_add_u32 s5, s13, s5
	s_addc_u32 s13, 0, s14
	s_add_u32 s14, s4, s5
	s_cselect_b64 s[4:5], -1, 0
	s_cmp_lg_u64 s[4:5], 0
	s_addc_u32 s12, s12, s13
	s_mul_i32 s4, s10, s12
	s_mul_hi_u32 s5, s10, s14
	s_add_i32 s4, s5, s4
	s_mul_i32 s11, s11, s14
	s_add_i32 s4, s4, s11
	s_mul_i32 s10, s10, s14
	s_mul_hi_u32 s11, s12, s10
	s_mul_i32 s13, s12, s10
	s_mul_i32 s20, s14, s4
	s_mul_hi_u32 s10, s14, s10
	s_mul_hi_u32 s15, s14, s4
	s_add_u32 s10, s10, s20
	s_addc_u32 s15, 0, s15
	s_add_u32 s10, s10, s13
	s_mul_hi_u32 s5, s12, s4
	s_addc_u32 s10, s15, s11
	s_addc_u32 s5, s5, 0
	s_mul_i32 s4, s12, s4
	s_add_u32 s4, s10, s4
	s_addc_u32 s10, 0, s5
	s_add_u32 s11, s14, s4
	s_cselect_b64 s[4:5], -1, 0
	s_cmp_lg_u64 s[4:5], 0
	s_addc_u32 s4, s12, s10
	v_readlane_b32 s14, v56, 29
	s_mul_i32 s10, s14, s4
	s_mul_hi_u32 s12, s14, s11
	s_mul_hi_u32 s5, s14, s4
	s_add_u32 s10, s12, s10
	s_addc_u32 s5, 0, s5
	s_mul_hi_u32 s13, s31, s11
	s_mul_i32 s11, s31, s11
	s_add_u32 s10, s10, s11
	s_mul_hi_u32 s12, s31, s4
	s_addc_u32 s5, s5, s13
	s_addc_u32 s10, s12, 0
	s_mul_i32 s4, s31, s4
	s_add_u32 s4, s5, s4
	s_addc_u32 s5, 0, s10
	s_mul_i32 s5, s33, s5
	s_mul_hi_u32 s10, s33, s4
	s_add_i32 s10, s10, s5
	s_mul_i32 s4, s33, s4
	s_sub_u32 s11, s14, s4
	s_cselect_b64 s[4:5], -1, 0
	s_cmp_lg_u64 s[4:5], 0
	s_subb_u32 s10, s31, s10
	s_sub_u32 s12, s11, s33
	s_cselect_b64 s[4:5], -1, 0
	s_cmp_lg_u64 s[4:5], 0
	s_subb_u32 s13, s10, 0
	;; [unrolled: 4-line block ×3, first 2 shown]
	s_cmp_ge_u32 s12, s33
	s_cselect_b32 s5, -1, 0
	s_cmp_eq_u32 s13, 0
	s_cselect_b32 s5, s5, -1
	s_cmp_lg_u32 s5, 0
	s_cselect_b32 s4, s4, s13
	s_cselect_b32 s12, s14, s12
	s_cmp_ge_u32 s11, s33
	s_cselect_b32 s5, -1, 0
	s_cmp_eq_u32 s10, 0
	s_cselect_b32 s5, s5, -1
	s_cmp_lg_u32 s5, 0
	s_cselect_b32 s5, s4, s10
	s_cselect_b32 s4, s12, s11
	s_cbranch_execnz .LBB156_291
.LBB156_290:                            ;   in Loop: Header=BB156_6 Depth=1
	v_cvt_f32_u32_e32 v3, s33
	s_sub_i32 s4, 0, s33
	v_readlane_b32 s10, v56, 29
	v_rcp_iflag_f32_e32 v3, v3
	v_mul_f32_e32 v3, 0x4f7ffffe, v3
	v_cvt_u32_f32_e32 v3, v3
	v_readfirstlane_b32 s5, v3
	s_mul_i32 s4, s4, s5
	s_mul_hi_u32 s4, s5, s4
	s_add_i32 s5, s5, s4
	s_mul_hi_u32 s4, s10, s5
	s_mul_i32 s4, s4, s33
	s_sub_i32 s4, s10, s4
	s_sub_i32 s5, s4, s33
	s_cmp_ge_u32 s4, s33
	s_cselect_b32 s4, s5, s4
	s_sub_i32 s5, s4, s33
	s_cmp_ge_u32 s4, s33
	s_cselect_b32 s50, s5, s4
	s_mov_b64 s[4:5], s[50:51]
.LBB156_291:                            ;   in Loop: Header=BB156_6 Depth=1
	v_readlane_b32 s10, v56, 29
	v_readlane_b32 s12, v56, 31
	s_sub_u32 s10, s10, s4
	v_readlane_b32 s13, v56, 32
	s_subb_u32 s11, s13, s5
	v_cmp_gt_u64_e32 vcc, s[10:11], v[0:1]
                                        ; implicit-def: $vgpr6_vgpr7
	s_and_saveexec_b64 s[4:5], vcc
	s_cbranch_execz .LBB156_300
; %bb.292:                              ;   in Loop: Header=BB156_6 Depth=1
	v_mov_b32_e32 v8, v16
	v_mov_b32_e32 v11, v1
	s_mov_b64 s[14:15], 0
	v_mov_b32_e32 v9, v17
	v_mov_b32_e32 v10, v0
                                        ; implicit-def: $sgpr12_sgpr13
	s_branch .LBB156_295
.LBB156_293:                            ;   in Loop: Header=BB156_295 Depth=2
	s_or_b64 exec, exec, s[20:21]
	s_waitcnt lgkmcnt(0)
	s_barrier
	ds_read_b128 v[4:7], v19 offset:3072
	s_mov_b64 s[20:21], -1
	s_mov_b64 s[30:31], -1
	s_waitcnt lgkmcnt(0)
	s_barrier
	v_cmp_ne_u64_e32 vcc, 0, v[4:5]
	s_cbranch_vccz .LBB156_298
.LBB156_294:                            ;   in Loop: Header=BB156_295 Depth=2
	s_and_b64 s[20:21], exec, s[20:21]
	s_or_b64 s[14:15], s[20:21], s[14:15]
	s_andn2_b64 s[12:13], s[12:13], exec
	s_and_b64 s[20:21], s[30:31], exec
	s_or_b64 s[12:13], s[12:13], s[20:21]
	s_andn2_b64 exec, exec, s[14:15]
	s_cbranch_execz .LBB156_299
.LBB156_295:                            ;   Parent Loop BB156_6 Depth=1
                                        ; =>  This Inner Loop Header: Depth=2
	v_cmp_gt_u64_e32 vcc, s[24:25], v[10:11]
	s_and_saveexec_b64 s[20:21], vcc
	s_cbranch_execz .LBB156_293
; %bb.296:                              ;   in Loop: Header=BB156_295 Depth=2
	global_load_dwordx2 v[4:5], v[8:9], off
	s_waitcnt vmcnt(0)
	v_xor_b32_e32 v3, 0x80000000, v5
	v_and_b32_e32 v7, v3, v31
	v_and_b32_e32 v6, v4, v30
	v_cmp_eq_u64_e32 vcc, v[6:7], v[26:27]
	s_and_b64 exec, exec, vcc
	s_cbranch_execz .LBB156_293
; %bb.297:                              ;   in Loop: Header=BB156_295 Depth=2
	v_mov_b32_e32 v3, v19
	ds_write_b128 v19, v[2:5] offset:3072
	s_branch .LBB156_293
.LBB156_298:                            ;   in Loop: Header=BB156_295 Depth=2
	v_add_co_u32_e32 v10, vcc, s33, v10
	v_addc_co_u32_e32 v11, vcc, 0, v11, vcc
	v_mov_b32_e32 v3, s29
	v_add_co_u32_e32 v8, vcc, s28, v8
	v_addc_co_u32_e32 v9, vcc, v9, v3, vcc
	v_cmp_le_u64_e32 vcc, s[10:11], v[10:11]
	s_mov_b64 s[30:31], 0
	s_orn2_b64 s[20:21], vcc, exec
	s_branch .LBB156_294
.LBB156_299:                            ;   in Loop: Header=BB156_6 Depth=1
	s_or_b64 exec, exec, s[14:15]
	s_andn2_b64 s[8:9], s[8:9], exec
	s_and_b64 s[10:11], s[12:13], exec
	s_or_b64 s[8:9], s[8:9], s[10:11]
.LBB156_300:                            ;   in Loop: Header=BB156_6 Depth=1
	s_or_b64 exec, exec, s[4:5]
	s_mov_b64 s[92:93], 0
	s_mov_b64 s[14:15], -1
.LBB156_301:                            ;   in Loop: Header=BB156_6 Depth=1
	s_orn2_b64 s[4:5], s[8:9], exec
.LBB156_302:                            ;   in Loop: Header=BB156_6 Depth=1
	s_or_b64 exec, exec, s[2:3]
                                        ; implicit-def: $vgpr34_vgpr35
                                        ; implicit-def: $vgpr52
	s_and_saveexec_b64 s[2:3], s[4:5]
	s_cbranch_execz .LBB156_460
; %bb.303:                              ;   in Loop: Header=BB156_6 Depth=1
	v_mov_b32_e32 v34, 1
	s_xor_b64 s[4:5], s[6:7], -1
	v_mov_b32_e32 v52, 1
	v_mov_b32_e32 v35, 0
	s_mov_b64 s[8:9], 0
	s_and_saveexec_b64 s[6:7], s[4:5]
	s_cbranch_execz .LBB156_312
; %bb.304:                              ;   in Loop: Header=BB156_6 Depth=1
	v_cmp_ge_u64_e32 vcc, s[40:41], v[32:33]
	s_and_saveexec_b64 s[4:5], vcc
	s_xor_b64 s[4:5], exec, s[4:5]
	s_cbranch_execz .LBB156_309
; %bb.305:                              ;   in Loop: Header=BB156_6 Depth=1
	ds_read_b64 v[3:4], v19 offset:5120
	v_or_b32_e32 v27, s19, v27
	v_or_b32_e32 v26, s18, v26
	;; [unrolled: 1-line block ×4, first 2 shown]
	s_waitcnt lgkmcnt(0)
	v_cmp_ne_u64_e32 vcc, 0, v[3:4]
	s_cbranch_vccnz .LBB156_309
; %bb.306:                              ;   in Loop: Header=BB156_6 Depth=1
	s_mov_b64 s[8:9], exec
	v_readlane_b32 s10, v56, 8
	v_readlane_b32 s11, v56, 9
	s_and_b64 s[10:11], s[8:9], s[10:11]
	s_mov_b64 exec, s[10:11]
; %bb.307:                              ;   in Loop: Header=BB156_6 Depth=1
	v_mov_b32_e32 v3, s40
	v_mov_b32_e32 v4, s41
	ds_write_b64 v19, v[3:4] offset:5128
; %bb.308:                              ;   in Loop: Header=BB156_6 Depth=1
	s_or_b64 exec, exec, s[8:9]
	s_waitcnt lgkmcnt(0)
	s_barrier
.LBB156_309:                            ;   in Loop: Header=BB156_6 Depth=1
	s_or_saveexec_b64 s[4:5], s[4:5]
	s_mov_b64 s[8:9], 0
	v_mov_b32_e32 v52, 5
	s_xor_b64 exec, exec, s[4:5]
; %bb.310:                              ;   in Loop: Header=BB156_6 Depth=1
	v_subrev_co_u32_e32 v32, vcc, s40, v32
	v_mov_b32_e32 v3, s41
	v_subb_co_u32_e32 v33, vcc, v33, v3, vcc
	v_mov_b32_e32 v52, 0
	s_mov_b64 s[8:9], exec
; %bb.311:                              ;   in Loop: Header=BB156_6 Depth=1
	s_or_b64 exec, exec, s[4:5]
	v_mov_b32_e32 v35, v33
	s_and_b64 s[8:9], s[8:9], exec
	v_mov_b32_e32 v34, v32
.LBB156_312:                            ;   in Loop: Header=BB156_6 Depth=1
	s_or_b64 exec, exec, s[6:7]
	s_mov_b64 s[4:5], -1
                                        ; implicit-def: $sgpr30_sgpr31
                                        ; implicit-def: $sgpr34_sgpr35
	s_and_saveexec_b64 s[6:7], s[8:9]
	s_xor_b64 s[6:7], exec, s[6:7]
	s_cbranch_execz .LBB156_457
; %bb.313:                              ;   in Loop: Header=BB156_6 Depth=1
	s_cmp_eq_u64 s[38:39], 1
	v_cmp_eq_u64_e32 vcc, 1, v[34:35]
	s_cselect_b64 s[4:5], -1, 0
	s_and_b64 s[8:9], s[4:5], vcc
	s_mov_b64 s[4:5], -1
                                        ; implicit-def: $sgpr34_sgpr35
                                        ; implicit-def: $sgpr30_sgpr31
	s_and_saveexec_b64 s[10:11], s[8:9]
	s_cbranch_execz .LBB156_347
; %bb.314:                              ;   in Loop: Header=BB156_6 Depth=1
	ds_read_b64 v[3:4], v19 offset:5120
	s_waitcnt lgkmcnt(0)
	s_barrier
	v_readfirstlane_b32 s36, v3
	v_readfirstlane_b32 s37, v4
	s_mov_b64 s[4:5], exec
	v_readlane_b32 s12, v56, 24
	v_readlane_b32 s13, v56, 25
	s_and_b64 s[12:13], s[4:5], s[12:13]
	s_mov_b64 exec, s[12:13]
; %bb.315:                              ;   in Loop: Header=BB156_6 Depth=1
	v_mov_b32_e32 v18, v19
	ds_write_b64 v45, v[18:19]
; %bb.316:                              ;   in Loop: Header=BB156_6 Depth=1
	s_or_b64 exec, exec, s[4:5]
	s_lshl_b64 s[4:5], 2, s56
	v_and_b32_e32 v3, s91, v27
	v_and_b32_e32 v4, s90, v26
	v_or_b32_e32 v27, s5, v3
	v_or_b32_e32 v26, s4, v4
	;; [unrolled: 1-line block ×4, first 2 shown]
	s_mov_b64 s[30:31], -1
	s_mov_b64 s[34:35], 0
	s_cmp_eq_u64 s[36:37], 0
	s_mov_b64 s[20:21], 0
	s_mov_b64 s[12:13], -1
	s_waitcnt lgkmcnt(0)
	s_barrier
                                        ; implicit-def: $vgpr6_vgpr7
	s_cbranch_scc1 .LBB156_332
; %bb.317:                              ;   in Loop: Header=BB156_6 Depth=1
	v_readlane_b32 s4, v56, 28
	s_add_u32 s40, s36, s4
	v_readlane_b32 s4, v56, 30
	s_addc_u32 s13, s37, s4
	s_mov_b32 s12, s51
	s_cmp_lg_u64 s[12:13], 0
	s_cbranch_scc0 .LBB156_373
; %bb.318:                              ;   in Loop: Header=BB156_6 Depth=1
	v_cvt_f32_u32_e32 v3, s33
	s_sub_u32 s12, 0, s33
	s_subb_u32 s20, 0, 0
	v_mac_f32_e32 v3, 0, v51
	v_rcp_f32_e32 v3, v3
	v_mul_f32_e32 v3, 0x5f7ffffc, v3
	v_mul_f32_e32 v4, 0x2f800000, v3
	v_trunc_f32_e32 v4, v4
	v_mac_f32_e32 v3, 0xcf800000, v4
	v_cvt_u32_f32_e32 v4, v4
	v_cvt_u32_f32_e32 v3, v3
	v_readfirstlane_b32 s21, v4
	v_readfirstlane_b32 s4, v3
	s_mul_i32 s5, s12, s21
	s_mul_hi_u32 s48, s12, s4
	s_mul_i32 s41, s20, s4
	s_add_i32 s5, s48, s5
	s_mul_i32 s49, s12, s4
	s_add_i32 s5, s5, s41
	s_mul_hi_u32 s48, s4, s49
	s_mul_i32 s50, s4, s5
	s_mul_hi_u32 s41, s4, s5
	s_add_u32 s48, s48, s50
	s_addc_u32 s41, 0, s41
	s_mul_hi_u32 s52, s21, s49
	s_mul_i32 s49, s21, s49
	s_add_u32 s48, s48, s49
	s_mul_hi_u32 s50, s21, s5
	s_addc_u32 s41, s41, s52
	s_addc_u32 s48, s50, 0
	s_mul_i32 s5, s21, s5
	s_add_u32 s5, s41, s5
	s_addc_u32 s41, 0, s48
	s_add_u32 s48, s4, s5
	s_cselect_b64 s[4:5], -1, 0
	s_cmp_lg_u64 s[4:5], 0
	s_addc_u32 s21, s21, s41
	s_mul_i32 s4, s12, s21
	s_mul_hi_u32 s5, s12, s48
	s_add_i32 s4, s5, s4
	s_mul_i32 s20, s20, s48
	s_add_i32 s4, s4, s20
	s_mul_i32 s12, s12, s48
	s_mul_hi_u32 s20, s21, s12
	s_mul_i32 s41, s21, s12
	s_mul_i32 s50, s48, s4
	s_mul_hi_u32 s12, s48, s12
	s_mul_hi_u32 s49, s48, s4
	s_add_u32 s12, s12, s50
	s_addc_u32 s49, 0, s49
	s_add_u32 s12, s12, s41
	s_mul_hi_u32 s5, s21, s4
	s_addc_u32 s12, s49, s20
	s_addc_u32 s5, s5, 0
	s_mul_i32 s4, s21, s4
	s_add_u32 s4, s12, s4
	s_addc_u32 s12, 0, s5
	s_add_u32 s20, s48, s4
	s_cselect_b64 s[4:5], -1, 0
	s_cmp_lg_u64 s[4:5], 0
	s_addc_u32 s4, s21, s12
	s_mul_i32 s12, s40, s4
	s_mul_hi_u32 s21, s40, s20
	s_mul_hi_u32 s5, s40, s4
	s_add_u32 s12, s21, s12
	s_addc_u32 s5, 0, s5
	s_mul_hi_u32 s41, s13, s20
	s_mul_i32 s20, s13, s20
	s_add_u32 s12, s12, s20
	s_mul_hi_u32 s21, s13, s4
	s_addc_u32 s5, s5, s41
	s_addc_u32 s12, s21, 0
	s_mul_i32 s4, s13, s4
	s_add_u32 s4, s5, s4
	s_addc_u32 s5, 0, s12
	s_mul_i32 s5, s33, s5
	s_mul_hi_u32 s12, s33, s4
	s_add_i32 s12, s12, s5
	s_mul_i32 s4, s33, s4
	s_sub_u32 s20, s40, s4
	s_cselect_b64 s[4:5], -1, 0
	s_cmp_lg_u64 s[4:5], 0
	s_subb_u32 s12, s13, s12
	s_sub_u32 s21, s20, s33
	s_cselect_b64 s[4:5], -1, 0
	s_cmp_lg_u64 s[4:5], 0
	s_subb_u32 s41, s12, 0
	;; [unrolled: 4-line block ×3, first 2 shown]
	s_cmp_ge_u32 s21, s33
	s_cselect_b32 s5, -1, 0
	s_cmp_eq_u32 s41, 0
	s_cselect_b32 s5, s5, -1
	s_cmp_lg_u32 s5, 0
	s_cselect_b32 s4, s4, s41
	s_cselect_b32 s21, s48, s21
	s_cmp_ge_u32 s20, s33
	s_cselect_b32 s5, -1, 0
	s_cmp_eq_u32 s12, 0
	s_cselect_b32 s5, s5, -1
	s_cmp_lg_u32 s5, 0
	s_cselect_b32 s5, s4, s12
	s_cselect_b32 s4, s21, s20
	s_cbranch_execnz .LBB156_320
.LBB156_319:                            ;   in Loop: Header=BB156_6 Depth=1
	v_cvt_f32_u32_e32 v3, s33
	s_sub_i32 s4, 0, s33
	v_rcp_iflag_f32_e32 v3, v3
	v_mul_f32_e32 v3, 0x4f7ffffe, v3
	v_cvt_u32_f32_e32 v3, v3
	v_readfirstlane_b32 s5, v3
	s_mul_i32 s4, s4, s5
	s_mul_hi_u32 s4, s5, s4
	s_add_i32 s5, s5, s4
	s_mul_hi_u32 s4, s40, s5
	s_mul_i32 s4, s4, s33
	s_sub_i32 s4, s40, s4
	s_sub_i32 s5, s4, s33
	s_cmp_ge_u32 s4, s33
	s_cselect_b32 s4, s5, s4
	s_sub_i32 s5, s4, s33
	s_cmp_ge_u32 s4, s33
	s_cselect_b32 s50, s5, s4
	s_mov_b64 s[4:5], s[50:51]
.LBB156_320:                            ;   in Loop: Header=BB156_6 Depth=1
	s_sub_u32 s40, s40, s4
	s_subb_u32 s41, s13, s5
	v_cmp_gt_u64_e32 vcc, s[40:41], v[0:1]
	s_mov_b64 s[12:13], 0
	s_mov_b64 s[20:21], 0
                                        ; implicit-def: $vgpr6_vgpr7
	s_and_saveexec_b64 s[4:5], vcc
	s_cbranch_execz .LBB156_331
; %bb.321:                              ;   in Loop: Header=BB156_6 Depth=1
	v_mov_b32_e32 v9, v1
	v_mov_b32_e32 v10, v44
	;; [unrolled: 1-line block ×3, first 2 shown]
                                        ; implicit-def: $sgpr54_sgpr55
	s_branch .LBB156_324
.LBB156_322:                            ;   in Loop: Header=BB156_324 Depth=2
	s_or_b64 exec, exec, s[48:49]
	s_waitcnt lgkmcnt(0)
	s_barrier
	ds_read_b128 v[4:7], v19 offset:3072
	s_mov_b64 s[48:49], -1
	s_mov_b64 s[52:53], -1
	s_waitcnt lgkmcnt(0)
	s_barrier
	v_cmp_ne_u64_e32 vcc, 0, v[4:5]
	s_cbranch_vccz .LBB156_327
.LBB156_323:                            ;   in Loop: Header=BB156_324 Depth=2
	s_and_b64 s[48:49], exec, s[48:49]
	s_or_b64 s[20:21], s[48:49], s[20:21]
	s_andn2_b64 s[48:49], s[54:55], exec
	s_and_b64 s[52:53], s[52:53], exec
	s_or_b64 s[54:55], s[48:49], s[52:53]
	s_andn2_b64 exec, exec, s[20:21]
	s_cbranch_execz .LBB156_330
.LBB156_324:                            ;   Parent Loop BB156_6 Depth=1
                                        ; =>  This Inner Loop Header: Depth=2
	v_cmp_gt_u64_e32 vcc, s[36:37], v[8:9]
	s_and_saveexec_b64 s[48:49], vcc
	s_cbranch_execz .LBB156_322
; %bb.325:                              ;   in Loop: Header=BB156_324 Depth=2
	ds_read_b64 v[4:5], v10
	s_waitcnt lgkmcnt(0)
	v_xor_b32_e32 v3, 0x80000000, v5
	v_and_b32_e32 v7, v3, v31
	v_and_b32_e32 v6, v4, v30
	v_cmp_eq_u64_e32 vcc, v[6:7], v[26:27]
	s_and_b64 exec, exec, vcc
	s_cbranch_execz .LBB156_322
; %bb.326:                              ;   in Loop: Header=BB156_324 Depth=2
	v_mov_b32_e32 v3, v19
	ds_write_b128 v19, v[2:5] offset:3072
	s_branch .LBB156_322
.LBB156_327:                            ;   in Loop: Header=BB156_324 Depth=2
	v_add_co_u32_e32 v8, vcc, s33, v8
	v_addc_co_u32_e32 v9, vcc, 0, v9, vcc
	v_cmp_le_u64_e32 vcc, s[40:41], v[8:9]
	v_add_u32_e32 v10, s58, v10
	s_mov_b64 s[52:53], 0
	s_orn2_b64 s[48:49], vcc, exec
	s_branch .LBB156_323
.LBB156_328:                            ;   in Loop: Header=BB156_6 Depth=1
                                        ; implicit-def: $sgpr4_sgpr5
	s_andn2_b64 vcc, exec, s[12:13]
	s_cbranch_vccz .LBB156_275
	s_branch .LBB156_276
.LBB156_329:                            ;   in Loop: Header=BB156_6 Depth=1
                                        ; implicit-def: $sgpr4_sgpr5
	s_branch .LBB156_290
.LBB156_330:                            ;   in Loop: Header=BB156_6 Depth=1
	s_or_b64 exec, exec, s[20:21]
	s_and_b64 s[20:21], s[54:55], exec
.LBB156_331:                            ;   in Loop: Header=BB156_6 Depth=1
	s_or_b64 exec, exec, s[4:5]
	v_readlane_b32 s52, v56, 42
	v_readlane_b32 s53, v56, 43
.LBB156_332:                            ;   in Loop: Header=BB156_6 Depth=1
	s_and_b64 vcc, exec, s[12:13]
	s_cbranch_vccz .LBB156_346
; %bb.333:                              ;   in Loop: Header=BB156_6 Depth=1
	v_readlane_b32 s40, v56, 31
	v_readlane_b32 s41, v56, 32
	s_mov_b32 s40, s51
	s_cmp_lg_u64 s[40:41], 0
	v_writelane_b32 v56, s40, 31
	v_writelane_b32 v56, s41, 32
	s_cbranch_scc0 .LBB156_374
; %bb.334:                              ;   in Loop: Header=BB156_6 Depth=1
	v_cvt_f32_u32_e32 v3, s33
	s_sub_u32 s12, 0, s33
	s_subb_u32 s13, 0, 0
	v_mac_f32_e32 v3, 0, v51
	v_rcp_f32_e32 v3, v3
	v_mul_f32_e32 v3, 0x5f7ffffc, v3
	v_mul_f32_e32 v4, 0x2f800000, v3
	v_trunc_f32_e32 v4, v4
	v_mac_f32_e32 v3, 0xcf800000, v4
	v_cvt_u32_f32_e32 v4, v4
	v_cvt_u32_f32_e32 v3, v3
	v_readfirstlane_b32 s30, v4
	v_readfirstlane_b32 s4, v3
	s_mul_i32 s5, s12, s30
	s_mul_hi_u32 s34, s12, s4
	s_mul_i32 s31, s13, s4
	s_add_i32 s5, s34, s5
	s_mul_i32 s35, s12, s4
	s_add_i32 s5, s5, s31
	s_mul_hi_u32 s34, s4, s35
	s_mul_i32 s36, s4, s5
	s_mul_hi_u32 s31, s4, s5
	s_add_u32 s34, s34, s36
	s_addc_u32 s31, 0, s31
	s_mul_hi_u32 s37, s30, s35
	s_mul_i32 s35, s30, s35
	s_add_u32 s34, s34, s35
	s_mul_hi_u32 s36, s30, s5
	s_addc_u32 s31, s31, s37
	s_addc_u32 s34, s36, 0
	s_mul_i32 s5, s30, s5
	s_add_u32 s5, s31, s5
	s_addc_u32 s31, 0, s34
	s_add_u32 s34, s4, s5
	s_cselect_b64 s[4:5], -1, 0
	s_cmp_lg_u64 s[4:5], 0
	s_addc_u32 s30, s30, s31
	s_mul_i32 s4, s12, s30
	s_mul_hi_u32 s5, s12, s34
	s_add_i32 s4, s5, s4
	s_mul_i32 s13, s13, s34
	s_add_i32 s4, s4, s13
	s_mul_i32 s12, s12, s34
	s_mul_hi_u32 s13, s30, s12
	s_mul_i32 s31, s30, s12
	s_mul_i32 s36, s34, s4
	s_mul_hi_u32 s12, s34, s12
	s_mul_hi_u32 s35, s34, s4
	s_add_u32 s12, s12, s36
	s_addc_u32 s35, 0, s35
	s_add_u32 s12, s12, s31
	s_mul_hi_u32 s5, s30, s4
	s_addc_u32 s12, s35, s13
	s_addc_u32 s5, s5, 0
	s_mul_i32 s4, s30, s4
	s_add_u32 s4, s12, s4
	s_addc_u32 s12, 0, s5
	s_add_u32 s13, s34, s4
	s_cselect_b64 s[4:5], -1, 0
	s_cmp_lg_u64 s[4:5], 0
	s_addc_u32 s4, s30, s12
	v_readlane_b32 s34, v56, 29
	s_mul_i32 s12, s34, s4
	s_mul_hi_u32 s30, s34, s13
	s_mul_hi_u32 s5, s34, s4
	s_add_u32 s12, s30, s12
	s_addc_u32 s5, 0, s5
	s_mul_hi_u32 s31, s41, s13
	s_mul_i32 s13, s41, s13
	s_add_u32 s12, s12, s13
	s_mul_hi_u32 s30, s41, s4
	s_addc_u32 s5, s5, s31
	s_addc_u32 s12, s30, 0
	s_mul_i32 s4, s41, s4
	s_add_u32 s4, s5, s4
	s_addc_u32 s5, 0, s12
	s_mul_i32 s5, s33, s5
	s_mul_hi_u32 s12, s33, s4
	s_add_i32 s12, s12, s5
	s_mul_i32 s4, s33, s4
	s_sub_u32 s13, s34, s4
	s_cselect_b64 s[4:5], -1, 0
	s_cmp_lg_u64 s[4:5], 0
	s_subb_u32 s12, s41, s12
	s_sub_u32 s30, s13, s33
	s_cselect_b64 s[4:5], -1, 0
	s_cmp_lg_u64 s[4:5], 0
	s_subb_u32 s31, s12, 0
	;; [unrolled: 4-line block ×3, first 2 shown]
	s_cmp_ge_u32 s30, s33
	s_cselect_b32 s5, -1, 0
	s_cmp_eq_u32 s31, 0
	s_cselect_b32 s5, s5, -1
	s_cmp_lg_u32 s5, 0
	s_cselect_b32 s4, s4, s31
	s_cselect_b32 s30, s34, s30
	s_cmp_ge_u32 s13, s33
	s_cselect_b32 s5, -1, 0
	s_cmp_eq_u32 s12, 0
	s_cselect_b32 s5, s5, -1
	s_cmp_lg_u32 s5, 0
	s_cselect_b32 s5, s4, s12
	s_cselect_b32 s4, s30, s13
	s_cbranch_execnz .LBB156_336
.LBB156_335:                            ;   in Loop: Header=BB156_6 Depth=1
	v_cvt_f32_u32_e32 v3, s33
	s_sub_i32 s4, 0, s33
	v_readlane_b32 s12, v56, 29
	v_rcp_iflag_f32_e32 v3, v3
	v_mul_f32_e32 v3, 0x4f7ffffe, v3
	v_cvt_u32_f32_e32 v3, v3
	v_readfirstlane_b32 s5, v3
	s_mul_i32 s4, s4, s5
	s_mul_hi_u32 s4, s5, s4
	s_add_i32 s5, s5, s4
	s_mul_hi_u32 s4, s12, s5
	s_mul_i32 s4, s4, s33
	s_sub_i32 s4, s12, s4
	s_sub_i32 s5, s4, s33
	s_cmp_ge_u32 s4, s33
	s_cselect_b32 s4, s5, s4
	s_sub_i32 s5, s4, s33
	s_cmp_ge_u32 s4, s33
	s_cselect_b32 s50, s5, s4
	s_mov_b64 s[4:5], s[50:51]
.LBB156_336:                            ;   in Loop: Header=BB156_6 Depth=1
	v_readlane_b32 s12, v56, 29
	v_readlane_b32 s30, v56, 31
	s_sub_u32 s12, s12, s4
	v_readlane_b32 s31, v56, 32
	s_subb_u32 s13, s31, s5
	v_cmp_gt_u64_e32 vcc, s[12:13], v[0:1]
                                        ; implicit-def: $vgpr6_vgpr7
	s_and_saveexec_b64 s[4:5], vcc
	s_cbranch_execz .LBB156_345
; %bb.337:                              ;   in Loop: Header=BB156_6 Depth=1
	v_mov_b32_e32 v8, v16
	v_mov_b32_e32 v11, v1
	s_mov_b64 s[30:31], 0
	v_mov_b32_e32 v9, v17
	v_mov_b32_e32 v10, v0
                                        ; implicit-def: $sgpr34_sgpr35
	s_branch .LBB156_340
.LBB156_338:                            ;   in Loop: Header=BB156_340 Depth=2
	s_or_b64 exec, exec, s[36:37]
	s_waitcnt lgkmcnt(0)
	s_barrier
	ds_read_b128 v[4:7], v19 offset:3072
	s_mov_b64 s[36:37], -1
	s_mov_b64 s[40:41], -1
	s_waitcnt lgkmcnt(0)
	s_barrier
	v_cmp_eq_u64_e32 vcc, 0, v[4:5]
	s_cbranch_vccnz .LBB156_343
.LBB156_339:                            ;   in Loop: Header=BB156_340 Depth=2
	s_and_b64 s[36:37], exec, s[36:37]
	s_or_b64 s[30:31], s[36:37], s[30:31]
	s_andn2_b64 s[34:35], s[34:35], exec
	s_and_b64 s[36:37], s[40:41], exec
	s_or_b64 s[34:35], s[34:35], s[36:37]
	s_andn2_b64 exec, exec, s[30:31]
	s_cbranch_execz .LBB156_344
.LBB156_340:                            ;   Parent Loop BB156_6 Depth=1
                                        ; =>  This Inner Loop Header: Depth=2
	v_cmp_gt_u64_e32 vcc, s[24:25], v[10:11]
	s_and_saveexec_b64 s[36:37], vcc
	s_cbranch_execz .LBB156_338
; %bb.341:                              ;   in Loop: Header=BB156_340 Depth=2
	global_load_dwordx2 v[4:5], v[8:9], off
	s_waitcnt vmcnt(0)
	v_xor_b32_e32 v3, 0x80000000, v5
	v_and_b32_e32 v7, v3, v31
	v_and_b32_e32 v6, v4, v30
	v_cmp_eq_u64_e32 vcc, v[6:7], v[26:27]
	s_and_b64 exec, exec, vcc
	s_cbranch_execz .LBB156_338
; %bb.342:                              ;   in Loop: Header=BB156_340 Depth=2
	v_mov_b32_e32 v3, v19
	ds_write_b128 v19, v[2:5] offset:3072
	s_branch .LBB156_338
.LBB156_343:                            ;   in Loop: Header=BB156_340 Depth=2
	v_add_co_u32_e32 v10, vcc, s33, v10
	v_addc_co_u32_e32 v11, vcc, 0, v11, vcc
	v_mov_b32_e32 v3, s29
	v_add_co_u32_e32 v8, vcc, s28, v8
	v_addc_co_u32_e32 v9, vcc, v9, v3, vcc
	v_cmp_le_u64_e32 vcc, s[12:13], v[10:11]
	s_mov_b64 s[40:41], 0
	s_orn2_b64 s[36:37], vcc, exec
	s_branch .LBB156_339
.LBB156_344:                            ;   in Loop: Header=BB156_6 Depth=1
	s_or_b64 exec, exec, s[30:31]
	s_andn2_b64 s[12:13], s[20:21], exec
	s_and_b64 s[20:21], s[34:35], exec
	s_or_b64 s[20:21], s[12:13], s[20:21]
.LBB156_345:                            ;   in Loop: Header=BB156_6 Depth=1
	s_or_b64 exec, exec, s[4:5]
	s_mov_b64 s[30:31], 0
	s_mov_b64 s[34:35], -1
.LBB156_346:                            ;   in Loop: Header=BB156_6 Depth=1
	s_orn2_b64 s[4:5], s[20:21], exec
.LBB156_347:                            ;   in Loop: Header=BB156_6 Depth=1
	s_or_b64 exec, exec, s[10:11]
	s_mov_b64 s[10:11], 0
	s_and_saveexec_b64 s[40:41], s[4:5]
	s_cbranch_execz .LBB156_456
; %bb.348:                              ;   in Loop: Header=BB156_6 Depth=1
	v_mov_b32_e32 v8, 1
	s_xor_b64 s[4:5], s[8:9], -1
	v_mov_b32_e32 v52, 1
	v_mov_b32_e32 v9, 0
	s_and_saveexec_b64 s[8:9], s[4:5]
	s_cbranch_execz .LBB156_357
; %bb.349:                              ;   in Loop: Header=BB156_6 Depth=1
	v_cmp_ge_u64_e32 vcc, s[38:39], v[34:35]
	s_and_saveexec_b64 s[4:5], vcc
	s_xor_b64 s[4:5], exec, s[4:5]
	s_cbranch_execz .LBB156_354
; %bb.350:                              ;   in Loop: Header=BB156_6 Depth=1
	s_lshl_b64 s[10:11], 2, s56
	v_and_b32_e32 v3, s91, v27
	v_and_b32_e32 v4, s90, v26
	v_or_b32_e32 v27, s11, v3
	v_or_b32_e32 v26, s10, v4
	ds_read_b64 v[3:4], v19 offset:5120
	v_or_b32_e32 v31, s19, v31
	v_or_b32_e32 v30, s18, v30
	s_waitcnt lgkmcnt(0)
	v_cmp_ne_u64_e32 vcc, 0, v[3:4]
	s_cbranch_vccnz .LBB156_354
; %bb.351:                              ;   in Loop: Header=BB156_6 Depth=1
	s_mov_b64 s[10:11], exec
	v_readlane_b32 s12, v56, 8
	v_readlane_b32 s13, v56, 9
	s_and_b64 s[12:13], s[10:11], s[12:13]
	s_mov_b64 exec, s[12:13]
; %bb.352:                              ;   in Loop: Header=BB156_6 Depth=1
	v_mov_b32_e32 v3, s38
	v_mov_b32_e32 v4, s39
	ds_write_b64 v19, v[3:4] offset:5128
; %bb.353:                              ;   in Loop: Header=BB156_6 Depth=1
	s_or_b64 exec, exec, s[10:11]
	s_waitcnt lgkmcnt(0)
	s_barrier
.LBB156_354:                            ;   in Loop: Header=BB156_6 Depth=1
	s_or_saveexec_b64 s[4:5], s[4:5]
	s_mov_b64 s[10:11], 0
	v_mov_b32_e32 v52, 5
	s_xor_b64 exec, exec, s[4:5]
; %bb.355:                              ;   in Loop: Header=BB156_6 Depth=1
	v_subrev_co_u32_e32 v34, vcc, s38, v34
	v_mov_b32_e32 v3, s39
	v_subb_co_u32_e32 v35, vcc, v35, v3, vcc
	v_mov_b32_e32 v52, 0
	s_mov_b64 s[10:11], exec
; %bb.356:                              ;   in Loop: Header=BB156_6 Depth=1
	s_or_b64 exec, exec, s[4:5]
	v_mov_b32_e32 v8, v34
	s_and_b64 s[10:11], s[10:11], exec
	v_mov_b32_e32 v9, v35
.LBB156_357:                            ;   in Loop: Header=BB156_6 Depth=1
	s_or_b64 exec, exec, s[8:9]
	s_mov_b64 s[4:5], -1
                                        ; implicit-def: $sgpr20_sgpr21
                                        ; implicit-def: $sgpr36_sgpr37
	s_and_saveexec_b64 s[38:39], s[10:11]
	s_cbranch_execz .LBB156_455
; %bb.358:                              ;   in Loop: Header=BB156_6 Depth=1
	s_cmp_eq_u64 s[94:95], 1
	v_cmp_eq_u64_e32 vcc, 1, v[8:9]
	s_cselect_b64 s[4:5], -1, 0
	s_and_b64 s[10:11], s[4:5], vcc
	s_mov_b64 s[4:5], -1
                                        ; implicit-def: $sgpr36_sgpr37
                                        ; implicit-def: $sgpr20_sgpr21
	s_and_saveexec_b64 s[8:9], s[10:11]
	s_cbranch_execz .LBB156_392
; %bb.359:                              ;   in Loop: Header=BB156_6 Depth=1
	ds_read_b64 v[3:4], v19 offset:5120
	s_waitcnt lgkmcnt(0)
	s_barrier
	v_readfirstlane_b32 s54, v3
	v_readfirstlane_b32 s55, v4
	s_mov_b64 s[4:5], exec
	v_readlane_b32 s12, v56, 24
	v_readlane_b32 s13, v56, 25
	s_and_b64 s[12:13], s[4:5], s[12:13]
	s_mov_b64 exec, s[12:13]
; %bb.360:                              ;   in Loop: Header=BB156_6 Depth=1
	v_mov_b32_e32 v18, v19
	ds_write_b64 v45, v[18:19]
; %bb.361:                              ;   in Loop: Header=BB156_6 Depth=1
	s_or_b64 exec, exec, s[4:5]
	s_lshl_b64 s[4:5], 1, s56
	v_and_b32_e32 v3, s91, v27
	v_and_b32_e32 v4, s90, v26
	v_or_b32_e32 v27, s5, v3
	v_or_b32_e32 v26, s4, v4
	;; [unrolled: 1-line block ×4, first 2 shown]
	s_mov_b64 s[20:21], -1
	s_mov_b64 s[36:37], 0
	s_cmp_eq_u64 s[54:55], 0
	s_mov_b64 s[60:61], 0
	s_mov_b64 s[12:13], -1
	s_waitcnt lgkmcnt(0)
	s_barrier
                                        ; implicit-def: $vgpr6_vgpr7
	s_cbranch_scc1 .LBB156_377
; %bb.362:                              ;   in Loop: Header=BB156_6 Depth=1
	v_readlane_b32 s4, v56, 28
	s_add_u32 s52, s54, s4
	v_readlane_b32 s4, v56, 30
	s_addc_u32 s13, s55, s4
	s_mov_b32 s12, s51
	s_cmp_lg_u64 s[12:13], 0
	s_cbranch_scc0 .LBB156_409
; %bb.363:                              ;   in Loop: Header=BB156_6 Depth=1
	v_cvt_f32_u32_e32 v3, s33
	s_sub_u32 s12, 0, s33
	s_subb_u32 s48, 0, 0
	v_mac_f32_e32 v3, 0, v51
	v_rcp_f32_e32 v3, v3
	v_mul_f32_e32 v3, 0x5f7ffffc, v3
	v_mul_f32_e32 v4, 0x2f800000, v3
	v_trunc_f32_e32 v4, v4
	v_mac_f32_e32 v3, 0xcf800000, v4
	v_cvt_u32_f32_e32 v4, v4
	v_cvt_u32_f32_e32 v3, v3
	v_readfirstlane_b32 s49, v4
	v_readfirstlane_b32 s4, v3
	s_mul_i32 s5, s12, s49
	s_mul_hi_u32 s53, s12, s4
	s_mul_i32 s50, s48, s4
	s_add_i32 s5, s53, s5
	s_mul_i32 s60, s12, s4
	s_add_i32 s5, s5, s50
	s_mul_hi_u32 s53, s4, s60
	s_mul_i32 s61, s4, s5
	s_mul_hi_u32 s50, s4, s5
	s_add_u32 s53, s53, s61
	s_addc_u32 s50, 0, s50
	s_mul_hi_u32 s62, s49, s60
	s_mul_i32 s60, s49, s60
	s_add_u32 s53, s53, s60
	s_mul_hi_u32 s61, s49, s5
	s_addc_u32 s50, s50, s62
	s_addc_u32 s53, s61, 0
	s_mul_i32 s5, s49, s5
	s_add_u32 s5, s50, s5
	s_addc_u32 s50, 0, s53
	s_add_u32 s53, s4, s5
	s_cselect_b64 s[4:5], -1, 0
	s_cmp_lg_u64 s[4:5], 0
	s_addc_u32 s49, s49, s50
	s_mul_i32 s4, s12, s49
	s_mul_hi_u32 s5, s12, s53
	s_add_i32 s4, s5, s4
	s_mul_i32 s48, s48, s53
	s_add_i32 s4, s4, s48
	s_mul_i32 s12, s12, s53
	s_mul_hi_u32 s48, s49, s12
	s_mul_i32 s50, s49, s12
	s_mul_i32 s61, s53, s4
	s_mul_hi_u32 s12, s53, s12
	s_mul_hi_u32 s60, s53, s4
	s_add_u32 s12, s12, s61
	s_addc_u32 s60, 0, s60
	s_add_u32 s12, s12, s50
	s_mul_hi_u32 s5, s49, s4
	s_addc_u32 s12, s60, s48
	s_addc_u32 s5, s5, 0
	s_mul_i32 s4, s49, s4
	s_add_u32 s4, s12, s4
	s_addc_u32 s12, 0, s5
	s_add_u32 s48, s53, s4
	s_cselect_b64 s[4:5], -1, 0
	s_cmp_lg_u64 s[4:5], 0
	s_addc_u32 s4, s49, s12
	s_mul_i32 s12, s52, s4
	s_mul_hi_u32 s49, s52, s48
	s_mul_hi_u32 s5, s52, s4
	s_add_u32 s12, s49, s12
	s_addc_u32 s5, 0, s5
	s_mul_hi_u32 s50, s13, s48
	s_mul_i32 s48, s13, s48
	s_add_u32 s12, s12, s48
	s_mul_hi_u32 s49, s13, s4
	s_addc_u32 s5, s5, s50
	s_addc_u32 s12, s49, 0
	s_mul_i32 s4, s13, s4
	s_add_u32 s4, s5, s4
	s_addc_u32 s5, 0, s12
	s_mul_i32 s5, s33, s5
	s_mul_hi_u32 s12, s33, s4
	s_add_i32 s12, s12, s5
	s_mul_i32 s4, s33, s4
	s_sub_u32 s48, s52, s4
	s_cselect_b64 s[4:5], -1, 0
	s_cmp_lg_u64 s[4:5], 0
	s_subb_u32 s12, s13, s12
	s_sub_u32 s49, s48, s33
	s_cselect_b64 s[4:5], -1, 0
	s_cmp_lg_u64 s[4:5], 0
	s_subb_u32 s50, s12, 0
	;; [unrolled: 4-line block ×3, first 2 shown]
	s_cmp_ge_u32 s49, s33
	s_cselect_b32 s5, -1, 0
	s_cmp_eq_u32 s50, 0
	s_cselect_b32 s5, s5, -1
	s_cmp_lg_u32 s5, 0
	s_cselect_b32 s4, s4, s50
	s_cselect_b32 s49, s53, s49
	s_cmp_ge_u32 s48, s33
	s_cselect_b32 s5, -1, 0
	s_cmp_eq_u32 s12, 0
	s_cselect_b32 s5, s5, -1
	s_cmp_lg_u32 s5, 0
	s_cselect_b32 s5, s4, s12
	s_cselect_b32 s4, s49, s48
	s_cbranch_execnz .LBB156_365
.LBB156_364:                            ;   in Loop: Header=BB156_6 Depth=1
	v_cvt_f32_u32_e32 v3, s33
	s_sub_i32 s4, 0, s33
	v_rcp_iflag_f32_e32 v3, v3
	v_mul_f32_e32 v3, 0x4f7ffffe, v3
	v_cvt_u32_f32_e32 v3, v3
	v_readfirstlane_b32 s5, v3
	s_mul_i32 s4, s4, s5
	s_mul_hi_u32 s4, s5, s4
	s_add_i32 s5, s5, s4
	s_mul_hi_u32 s4, s52, s5
	s_mul_i32 s4, s4, s33
	s_sub_i32 s4, s52, s4
	s_sub_i32 s5, s4, s33
	s_cmp_ge_u32 s4, s33
	s_cselect_b32 s4, s5, s4
	s_sub_i32 s5, s4, s33
	s_cmp_ge_u32 s4, s33
	s_cselect_b32 s50, s5, s4
	s_mov_b64 s[4:5], s[50:51]
.LBB156_365:                            ;   in Loop: Header=BB156_6 Depth=1
	s_sub_u32 s62, s52, s4
	s_subb_u32 s63, s13, s5
	v_cmp_gt_u64_e32 vcc, s[62:63], v[0:1]
	s_mov_b64 s[12:13], 0
	s_mov_b64 s[60:61], 0
                                        ; implicit-def: $vgpr6_vgpr7
	s_and_saveexec_b64 s[4:5], vcc
	s_cbranch_execz .LBB156_376
; %bb.366:                              ;   in Loop: Header=BB156_6 Depth=1
	v_mov_b32_e32 v11, v1
	v_mov_b32_e32 v12, v44
	;; [unrolled: 1-line block ×3, first 2 shown]
                                        ; implicit-def: $sgpr64_sgpr65
	s_branch .LBB156_369
.LBB156_367:                            ;   in Loop: Header=BB156_369 Depth=2
	s_or_b64 exec, exec, s[48:49]
	s_waitcnt lgkmcnt(0)
	s_barrier
	ds_read_b128 v[4:7], v19 offset:3072
	s_mov_b64 s[48:49], -1
	s_mov_b64 s[52:53], -1
	s_waitcnt lgkmcnt(0)
	s_barrier
	v_cmp_ne_u64_e32 vcc, 0, v[4:5]
	s_cbranch_vccz .LBB156_372
.LBB156_368:                            ;   in Loop: Header=BB156_369 Depth=2
	s_and_b64 s[48:49], exec, s[48:49]
	s_or_b64 s[60:61], s[48:49], s[60:61]
	s_andn2_b64 s[48:49], s[64:65], exec
	s_and_b64 s[52:53], s[52:53], exec
	s_or_b64 s[64:65], s[48:49], s[52:53]
	s_andn2_b64 exec, exec, s[60:61]
	s_cbranch_execz .LBB156_375
.LBB156_369:                            ;   Parent Loop BB156_6 Depth=1
                                        ; =>  This Inner Loop Header: Depth=2
	v_cmp_gt_u64_e32 vcc, s[54:55], v[10:11]
	s_and_saveexec_b64 s[48:49], vcc
	s_cbranch_execz .LBB156_367
; %bb.370:                              ;   in Loop: Header=BB156_369 Depth=2
	ds_read_b64 v[4:5], v12
	s_waitcnt lgkmcnt(0)
	v_xor_b32_e32 v3, 0x80000000, v5
	v_and_b32_e32 v7, v3, v31
	v_and_b32_e32 v6, v4, v30
	v_cmp_eq_u64_e32 vcc, v[6:7], v[26:27]
	s_and_b64 exec, exec, vcc
	s_cbranch_execz .LBB156_367
; %bb.371:                              ;   in Loop: Header=BB156_369 Depth=2
	v_mov_b32_e32 v3, v19
	ds_write_b128 v19, v[2:5] offset:3072
	s_branch .LBB156_367
.LBB156_372:                            ;   in Loop: Header=BB156_369 Depth=2
	v_add_co_u32_e32 v10, vcc, s33, v10
	v_addc_co_u32_e32 v11, vcc, 0, v11, vcc
	v_cmp_le_u64_e32 vcc, s[62:63], v[10:11]
	v_add_u32_e32 v12, s58, v12
	s_mov_b64 s[52:53], 0
	s_orn2_b64 s[48:49], vcc, exec
	s_branch .LBB156_368
.LBB156_373:                            ;   in Loop: Header=BB156_6 Depth=1
                                        ; implicit-def: $sgpr4_sgpr5
	s_branch .LBB156_319
.LBB156_374:                            ;   in Loop: Header=BB156_6 Depth=1
                                        ; implicit-def: $sgpr4_sgpr5
	s_branch .LBB156_335
.LBB156_375:                            ;   in Loop: Header=BB156_6 Depth=1
	s_or_b64 exec, exec, s[60:61]
	s_and_b64 s[60:61], s[64:65], exec
.LBB156_376:                            ;   in Loop: Header=BB156_6 Depth=1
	s_or_b64 exec, exec, s[4:5]
	v_readlane_b32 s52, v56, 42
	v_readlane_b32 s53, v56, 43
.LBB156_377:                            ;   in Loop: Header=BB156_6 Depth=1
	s_and_b64 vcc, exec, s[12:13]
	s_cbranch_vccz .LBB156_391
; %bb.378:                              ;   in Loop: Header=BB156_6 Depth=1
	v_readlane_b32 s54, v56, 31
	v_readlane_b32 s55, v56, 32
	s_mov_b32 s54, s51
	s_cmp_lg_u64 s[54:55], 0
	v_writelane_b32 v56, s54, 31
	v_writelane_b32 v56, s55, 32
	s_cbranch_scc0 .LBB156_410
; %bb.379:                              ;   in Loop: Header=BB156_6 Depth=1
	v_cvt_f32_u32_e32 v3, s33
	s_sub_u32 s12, 0, s33
	s_subb_u32 s13, 0, 0
	v_mac_f32_e32 v3, 0, v51
	v_rcp_f32_e32 v3, v3
	v_mul_f32_e32 v3, 0x5f7ffffc, v3
	v_mul_f32_e32 v4, 0x2f800000, v3
	v_trunc_f32_e32 v4, v4
	v_mac_f32_e32 v3, 0xcf800000, v4
	v_cvt_u32_f32_e32 v4, v4
	v_cvt_u32_f32_e32 v3, v3
	v_readfirstlane_b32 s20, v4
	v_readfirstlane_b32 s4, v3
	s_mul_i32 s5, s12, s20
	s_mul_hi_u32 s36, s12, s4
	s_mul_i32 s21, s13, s4
	s_add_i32 s5, s36, s5
	s_mul_i32 s37, s12, s4
	s_add_i32 s5, s5, s21
	s_mul_hi_u32 s36, s4, s37
	s_mul_i32 s48, s4, s5
	s_mul_hi_u32 s21, s4, s5
	s_add_u32 s36, s36, s48
	s_addc_u32 s21, 0, s21
	s_mul_hi_u32 s49, s20, s37
	s_mul_i32 s37, s20, s37
	s_add_u32 s36, s36, s37
	s_mul_hi_u32 s48, s20, s5
	s_addc_u32 s21, s21, s49
	s_addc_u32 s36, s48, 0
	s_mul_i32 s5, s20, s5
	s_add_u32 s5, s21, s5
	s_addc_u32 s21, 0, s36
	s_add_u32 s36, s4, s5
	s_cselect_b64 s[4:5], -1, 0
	s_cmp_lg_u64 s[4:5], 0
	s_addc_u32 s20, s20, s21
	s_mul_i32 s4, s12, s20
	s_mul_hi_u32 s5, s12, s36
	s_add_i32 s4, s5, s4
	s_mul_i32 s13, s13, s36
	s_add_i32 s4, s4, s13
	s_mul_i32 s12, s12, s36
	s_mul_hi_u32 s13, s20, s12
	s_mul_i32 s21, s20, s12
	s_mul_i32 s48, s36, s4
	s_mul_hi_u32 s12, s36, s12
	s_mul_hi_u32 s37, s36, s4
	s_add_u32 s12, s12, s48
	s_addc_u32 s37, 0, s37
	s_add_u32 s12, s12, s21
	s_mul_hi_u32 s5, s20, s4
	s_addc_u32 s12, s37, s13
	s_addc_u32 s5, s5, 0
	s_mul_i32 s4, s20, s4
	s_add_u32 s4, s12, s4
	s_addc_u32 s12, 0, s5
	s_add_u32 s13, s36, s4
	s_cselect_b64 s[4:5], -1, 0
	s_cmp_lg_u64 s[4:5], 0
	s_addc_u32 s4, s20, s12
	v_readlane_b32 s36, v56, 29
	s_mul_i32 s12, s36, s4
	s_mul_hi_u32 s20, s36, s13
	s_mul_hi_u32 s5, s36, s4
	s_add_u32 s12, s20, s12
	s_addc_u32 s5, 0, s5
	s_mul_hi_u32 s21, s55, s13
	s_mul_i32 s13, s55, s13
	s_add_u32 s12, s12, s13
	s_mul_hi_u32 s20, s55, s4
	s_addc_u32 s5, s5, s21
	s_addc_u32 s12, s20, 0
	s_mul_i32 s4, s55, s4
	s_add_u32 s4, s5, s4
	s_addc_u32 s5, 0, s12
	s_mul_i32 s5, s33, s5
	s_mul_hi_u32 s12, s33, s4
	s_add_i32 s12, s12, s5
	s_mul_i32 s4, s33, s4
	s_sub_u32 s13, s36, s4
	s_cselect_b64 s[4:5], -1, 0
	s_cmp_lg_u64 s[4:5], 0
	s_subb_u32 s12, s55, s12
	s_sub_u32 s20, s13, s33
	s_cselect_b64 s[4:5], -1, 0
	s_cmp_lg_u64 s[4:5], 0
	s_subb_u32 s21, s12, 0
	;; [unrolled: 4-line block ×3, first 2 shown]
	s_cmp_ge_u32 s20, s33
	s_cselect_b32 s5, -1, 0
	s_cmp_eq_u32 s21, 0
	s_cselect_b32 s5, s5, -1
	s_cmp_lg_u32 s5, 0
	s_cselect_b32 s4, s4, s21
	s_cselect_b32 s20, s36, s20
	s_cmp_ge_u32 s13, s33
	s_cselect_b32 s5, -1, 0
	s_cmp_eq_u32 s12, 0
	s_cselect_b32 s5, s5, -1
	s_cmp_lg_u32 s5, 0
	s_cselect_b32 s5, s4, s12
	s_cselect_b32 s4, s20, s13
	s_cbranch_execnz .LBB156_381
.LBB156_380:                            ;   in Loop: Header=BB156_6 Depth=1
	v_cvt_f32_u32_e32 v3, s33
	s_sub_i32 s4, 0, s33
	v_readlane_b32 s12, v56, 29
	v_rcp_iflag_f32_e32 v3, v3
	v_mul_f32_e32 v3, 0x4f7ffffe, v3
	v_cvt_u32_f32_e32 v3, v3
	v_readfirstlane_b32 s5, v3
	s_mul_i32 s4, s4, s5
	s_mul_hi_u32 s4, s5, s4
	s_add_i32 s5, s5, s4
	s_mul_hi_u32 s4, s12, s5
	s_mul_i32 s4, s4, s33
	s_sub_i32 s4, s12, s4
	s_sub_i32 s5, s4, s33
	s_cmp_ge_u32 s4, s33
	s_cselect_b32 s4, s5, s4
	s_sub_i32 s5, s4, s33
	s_cmp_ge_u32 s4, s33
	s_cselect_b32 s50, s5, s4
	s_mov_b64 s[4:5], s[50:51]
.LBB156_381:                            ;   in Loop: Header=BB156_6 Depth=1
	v_readlane_b32 s12, v56, 29
	v_readlane_b32 s20, v56, 31
	s_sub_u32 s12, s12, s4
	v_readlane_b32 s21, v56, 32
	s_subb_u32 s13, s21, s5
	v_cmp_gt_u64_e32 vcc, s[12:13], v[0:1]
                                        ; implicit-def: $vgpr6_vgpr7
	s_and_saveexec_b64 s[4:5], vcc
	s_cbranch_execz .LBB156_390
; %bb.382:                              ;   in Loop: Header=BB156_6 Depth=1
	v_mov_b32_e32 v10, v16
	v_mov_b32_e32 v13, v1
	s_mov_b64 s[20:21], 0
	v_mov_b32_e32 v11, v17
	v_mov_b32_e32 v12, v0
                                        ; implicit-def: $sgpr36_sgpr37
	s_branch .LBB156_385
.LBB156_383:                            ;   in Loop: Header=BB156_385 Depth=2
	s_or_b64 exec, exec, s[48:49]
	s_waitcnt lgkmcnt(0)
	s_barrier
	ds_read_b128 v[4:7], v19 offset:3072
	s_mov_b64 s[48:49], -1
	s_mov_b64 s[52:53], -1
	s_waitcnt lgkmcnt(0)
	s_barrier
	v_cmp_eq_u64_e32 vcc, 0, v[4:5]
	s_cbranch_vccnz .LBB156_388
.LBB156_384:                            ;   in Loop: Header=BB156_385 Depth=2
	s_and_b64 s[48:49], exec, s[48:49]
	s_or_b64 s[20:21], s[48:49], s[20:21]
	s_andn2_b64 s[36:37], s[36:37], exec
	s_and_b64 s[48:49], s[52:53], exec
	s_or_b64 s[36:37], s[36:37], s[48:49]
	s_andn2_b64 exec, exec, s[20:21]
	s_cbranch_execz .LBB156_389
.LBB156_385:                            ;   Parent Loop BB156_6 Depth=1
                                        ; =>  This Inner Loop Header: Depth=2
	v_cmp_gt_u64_e32 vcc, s[24:25], v[12:13]
	s_and_saveexec_b64 s[48:49], vcc
	s_cbranch_execz .LBB156_383
; %bb.386:                              ;   in Loop: Header=BB156_385 Depth=2
	global_load_dwordx2 v[4:5], v[10:11], off
	s_waitcnt vmcnt(0)
	v_xor_b32_e32 v3, 0x80000000, v5
	v_and_b32_e32 v7, v3, v31
	v_and_b32_e32 v6, v4, v30
	v_cmp_eq_u64_e32 vcc, v[6:7], v[26:27]
	s_and_b64 exec, exec, vcc
	s_cbranch_execz .LBB156_383
; %bb.387:                              ;   in Loop: Header=BB156_385 Depth=2
	v_mov_b32_e32 v3, v19
	ds_write_b128 v19, v[2:5] offset:3072
	s_branch .LBB156_383
.LBB156_388:                            ;   in Loop: Header=BB156_385 Depth=2
	v_add_co_u32_e32 v12, vcc, s33, v12
	v_addc_co_u32_e32 v13, vcc, 0, v13, vcc
	v_mov_b32_e32 v3, s29
	v_add_co_u32_e32 v10, vcc, s28, v10
	v_addc_co_u32_e32 v11, vcc, v11, v3, vcc
	v_cmp_le_u64_e32 vcc, s[12:13], v[12:13]
	s_mov_b64 s[52:53], 0
	s_orn2_b64 s[48:49], vcc, exec
	s_branch .LBB156_384
.LBB156_389:                            ;   in Loop: Header=BB156_6 Depth=1
	s_or_b64 exec, exec, s[20:21]
	s_andn2_b64 s[12:13], s[60:61], exec
	s_and_b64 s[20:21], s[36:37], exec
	v_readlane_b32 s52, v56, 42
	s_or_b64 s[60:61], s[12:13], s[20:21]
	v_readlane_b32 s53, v56, 43
.LBB156_390:                            ;   in Loop: Header=BB156_6 Depth=1
	s_or_b64 exec, exec, s[4:5]
	s_mov_b64 s[20:21], 0
	s_mov_b64 s[36:37], -1
.LBB156_391:                            ;   in Loop: Header=BB156_6 Depth=1
	s_orn2_b64 s[4:5], s[60:61], exec
.LBB156_392:                            ;   in Loop: Header=BB156_6 Depth=1
	s_or_b64 exec, exec, s[8:9]
	s_mov_b64 s[12:13], 0
	s_and_saveexec_b64 s[8:9], s[4:5]
	s_cbranch_execz .LBB156_454
; %bb.393:                              ;   in Loop: Header=BB156_6 Depth=1
	v_mov_b32_e32 v10, 1
	s_xor_b64 s[4:5], s[10:11], -1
	v_mov_b32_e32 v52, 1
	v_mov_b32_e32 v11, 0
	s_and_saveexec_b64 s[10:11], s[4:5]
	s_cbranch_execz .LBB156_402
; %bb.394:                              ;   in Loop: Header=BB156_6 Depth=1
	v_cmp_ge_u64_e32 vcc, s[94:95], v[8:9]
	s_and_saveexec_b64 s[4:5], vcc
	s_xor_b64 s[4:5], exec, s[4:5]
	s_cbranch_execz .LBB156_399
; %bb.395:                              ;   in Loop: Header=BB156_6 Depth=1
	s_lshl_b64 s[12:13], 1, s56
	v_and_b32_e32 v3, s91, v27
	v_and_b32_e32 v4, s90, v26
	v_or_b32_e32 v27, s13, v3
	v_or_b32_e32 v26, s12, v4
	ds_read_b64 v[3:4], v19 offset:5120
	v_or_b32_e32 v31, s19, v31
	v_or_b32_e32 v30, s18, v30
	s_waitcnt lgkmcnt(0)
	v_cmp_ne_u64_e32 vcc, 0, v[3:4]
	s_cbranch_vccnz .LBB156_399
; %bb.396:                              ;   in Loop: Header=BB156_6 Depth=1
	s_mov_b64 s[12:13], exec
	v_readlane_b32 s48, v56, 8
	v_readlane_b32 s49, v56, 9
	s_and_b64 s[48:49], s[12:13], s[48:49]
	s_mov_b64 exec, s[48:49]
; %bb.397:                              ;   in Loop: Header=BB156_6 Depth=1
	v_mov_b32_e32 v3, s94
	v_mov_b32_e32 v4, s95
	ds_write_b64 v19, v[3:4] offset:5128
; %bb.398:                              ;   in Loop: Header=BB156_6 Depth=1
	s_or_b64 exec, exec, s[12:13]
	s_waitcnt lgkmcnt(0)
	s_barrier
.LBB156_399:                            ;   in Loop: Header=BB156_6 Depth=1
	s_or_saveexec_b64 s[4:5], s[4:5]
	s_mov_b64 s[12:13], 0
	v_mov_b32_e32 v52, 5
	s_xor_b64 exec, exec, s[4:5]
; %bb.400:                              ;   in Loop: Header=BB156_6 Depth=1
	v_subrev_co_u32_e32 v8, vcc, s94, v8
	v_mov_b32_e32 v3, s95
	v_subb_co_u32_e32 v9, vcc, v9, v3, vcc
	v_mov_b32_e32 v52, 0
	s_mov_b64 s[12:13], exec
; %bb.401:                              ;   in Loop: Header=BB156_6 Depth=1
	s_or_b64 exec, exec, s[4:5]
	v_mov_b32_e32 v11, v9
	s_and_b64 s[12:13], s[12:13], exec
	v_mov_b32_e32 v10, v8
.LBB156_402:                            ;   in Loop: Header=BB156_6 Depth=1
	s_or_b64 exec, exec, s[10:11]
	s_mov_b64 s[4:5], -1
                                        ; implicit-def: $sgpr94_sgpr95
                                        ; implicit-def: $sgpr62_sgpr63
	s_and_saveexec_b64 s[10:11], s[12:13]
	s_cbranch_execz .LBB156_453
; %bb.403:                              ;   in Loop: Header=BB156_6 Depth=1
	s_cmp_eq_u64 s[16:17], 1
	v_cmp_eq_u64_e32 vcc, 1, v[10:11]
	s_cselect_b64 s[4:5], -1, 0
	s_mov_b64 s[12:13], -1
	s_and_b64 s[4:5], s[4:5], vcc
                                        ; implicit-def: $sgpr94_sgpr95
                                        ; implicit-def: $sgpr62_sgpr63
	s_mov_b64 s[48:49], exec
	v_writelane_b32 v56, s4, 44
	v_writelane_b32 v56, s5, 45
	;; [unrolled: 1-line block ×3, first 2 shown]
	s_and_b64 s[4:5], s[48:49], s[4:5]
	v_writelane_b32 v56, s49, 47
	s_mov_b64 exec, s[4:5]
	s_cbranch_execz .LBB156_441
; %bb.404:                              ;   in Loop: Header=BB156_6 Depth=1
	ds_read_b64 v[3:4], v19 offset:5120
	s_waitcnt lgkmcnt(0)
	s_barrier
	v_readfirstlane_b32 s12, v3
	v_readfirstlane_b32 s13, v4
	s_mov_b64 s[4:5], exec
	v_readlane_b32 s48, v56, 24
	v_readlane_b32 s49, v56, 25
	s_and_b64 s[48:49], s[4:5], s[48:49]
	s_mov_b64 exec, s[48:49]
; %bb.405:                              ;   in Loop: Header=BB156_6 Depth=1
	v_mov_b32_e32 v18, v19
	ds_write_b64 v45, v[18:19]
; %bb.406:                              ;   in Loop: Header=BB156_6 Depth=1
	s_or_b64 exec, exec, s[4:5]
	v_and_b32_e32 v27, s91, v27
	v_and_b32_e32 v26, s90, v26
	v_or_b32_e32 v31, s19, v31
	v_or_b32_e32 v30, s18, v30
	s_mov_b64 s[62:63], -1
	s_mov_b64 s[94:95], 0
	s_cmp_eq_u64 s[12:13], 0
	s_mov_b64 s[60:61], 0
	s_mov_b64 s[54:55], -1
	s_waitcnt lgkmcnt(0)
	s_barrier
                                        ; implicit-def: $vgpr6_vgpr7
	s_cbranch_scc1 .LBB156_424
; %bb.407:                              ;   in Loop: Header=BB156_6 Depth=1
	v_readlane_b32 s4, v56, 28
	s_add_u32 s52, s12, s4
	v_readlane_b32 s4, v56, 30
	s_addc_u32 s55, s13, s4
	s_mov_b32 s54, s51
	s_cmp_lg_u64 s[54:55], 0
	s_cbranch_scc0 .LBB156_411
; %bb.408:                              ;   in Loop: Header=BB156_6 Depth=1
	v_cvt_f32_u32_e32 v3, s33
	s_sub_u32 s48, 0, s33
	s_subb_u32 s49, 0, 0
	v_mac_f32_e32 v3, 0, v51
	v_rcp_f32_e32 v3, v3
	v_mul_f32_e32 v3, 0x5f7ffffc, v3
	v_mul_f32_e32 v4, 0x2f800000, v3
	v_trunc_f32_e32 v4, v4
	v_mac_f32_e32 v3, 0xcf800000, v4
	v_cvt_u32_f32_e32 v4, v4
	v_cvt_u32_f32_e32 v3, v3
	v_readfirstlane_b32 s50, v4
	v_readfirstlane_b32 s4, v3
	s_mul_i32 s5, s48, s50
	s_mul_hi_u32 s54, s48, s4
	s_mul_i32 s53, s49, s4
	s_add_i32 s5, s54, s5
	s_mul_i32 s60, s48, s4
	s_add_i32 s5, s5, s53
	s_mul_hi_u32 s54, s4, s60
	s_mul_i32 s61, s4, s5
	s_mul_hi_u32 s53, s4, s5
	s_add_u32 s54, s54, s61
	s_addc_u32 s53, 0, s53
	s_mul_hi_u32 s62, s50, s60
	s_mul_i32 s60, s50, s60
	s_add_u32 s54, s54, s60
	s_mul_hi_u32 s61, s50, s5
	s_addc_u32 s53, s53, s62
	s_addc_u32 s54, s61, 0
	s_mul_i32 s5, s50, s5
	s_add_u32 s5, s53, s5
	s_addc_u32 s53, 0, s54
	s_add_u32 s54, s4, s5
	s_cselect_b64 s[4:5], -1, 0
	s_cmp_lg_u64 s[4:5], 0
	s_addc_u32 s50, s50, s53
	s_mul_i32 s4, s48, s50
	s_mul_hi_u32 s5, s48, s54
	s_add_i32 s4, s5, s4
	s_mul_i32 s49, s49, s54
	s_add_i32 s4, s4, s49
	s_mul_i32 s48, s48, s54
	s_mul_hi_u32 s49, s50, s48
	s_mul_i32 s53, s50, s48
	s_mul_i32 s61, s54, s4
	s_mul_hi_u32 s48, s54, s48
	s_mul_hi_u32 s60, s54, s4
	s_add_u32 s48, s48, s61
	s_addc_u32 s60, 0, s60
	s_add_u32 s48, s48, s53
	s_mul_hi_u32 s5, s50, s4
	s_addc_u32 s48, s60, s49
	s_addc_u32 s5, s5, 0
	s_mul_i32 s4, s50, s4
	s_add_u32 s4, s48, s4
	s_addc_u32 s48, 0, s5
	s_add_u32 s49, s54, s4
	s_cselect_b64 s[4:5], -1, 0
	s_cmp_lg_u64 s[4:5], 0
	s_addc_u32 s4, s50, s48
	s_mul_i32 s48, s52, s4
	s_mul_hi_u32 s50, s52, s49
	s_mul_hi_u32 s5, s52, s4
	s_add_u32 s48, s50, s48
	s_addc_u32 s5, 0, s5
	s_mul_hi_u32 s53, s55, s49
	s_mul_i32 s49, s55, s49
	s_add_u32 s48, s48, s49
	s_mul_hi_u32 s50, s55, s4
	s_addc_u32 s5, s5, s53
	s_addc_u32 s48, s50, 0
	s_mul_i32 s4, s55, s4
	s_add_u32 s4, s5, s4
	s_addc_u32 s5, 0, s48
	s_mul_i32 s5, s33, s5
	s_mul_hi_u32 s48, s33, s4
	s_add_i32 s48, s48, s5
	s_mul_i32 s4, s33, s4
	s_sub_u32 s49, s52, s4
	s_cselect_b64 s[4:5], -1, 0
	s_cmp_lg_u64 s[4:5], 0
	s_subb_u32 s48, s55, s48
	s_sub_u32 s50, s49, s33
	s_cselect_b64 s[4:5], -1, 0
	s_cmp_lg_u64 s[4:5], 0
	s_subb_u32 s53, s48, 0
	;; [unrolled: 4-line block ×3, first 2 shown]
	s_cmp_ge_u32 s50, s33
	s_cselect_b32 s5, -1, 0
	s_cmp_eq_u32 s53, 0
	s_cselect_b32 s5, s5, -1
	s_cmp_lg_u32 s5, 0
	s_cselect_b32 s4, s4, s53
	s_cselect_b32 s50, s54, s50
	s_cmp_ge_u32 s49, s33
	s_cselect_b32 s5, -1, 0
	s_cmp_eq_u32 s48, 0
	s_cselect_b32 s5, s5, -1
	s_cmp_lg_u32 s5, 0
	s_cselect_b32 s5, s4, s48
	s_cselect_b32 s4, s50, s49
	s_mov_b64 s[48:49], 0
	s_branch .LBB156_412
.LBB156_409:                            ;   in Loop: Header=BB156_6 Depth=1
                                        ; implicit-def: $sgpr4_sgpr5
	s_branch .LBB156_364
.LBB156_410:                            ;   in Loop: Header=BB156_6 Depth=1
                                        ; implicit-def: $sgpr4_sgpr5
	s_branch .LBB156_380
.LBB156_411:                            ;   in Loop: Header=BB156_6 Depth=1
	s_mov_b64 s[48:49], -1
                                        ; implicit-def: $sgpr4_sgpr5
.LBB156_412:                            ;   in Loop: Header=BB156_6 Depth=1
	s_andn2_b64 vcc, exec, s[48:49]
	s_cbranch_vccnz .LBB156_414
; %bb.413:                              ;   in Loop: Header=BB156_6 Depth=1
	v_cvt_f32_u32_e32 v3, s33
	s_sub_i32 s4, 0, s33
	v_rcp_iflag_f32_e32 v3, v3
	v_mul_f32_e32 v3, 0x4f7ffffe, v3
	v_cvt_u32_f32_e32 v3, v3
	v_readfirstlane_b32 s5, v3
	s_mul_i32 s4, s4, s5
	s_mul_hi_u32 s4, s5, s4
	s_add_i32 s5, s5, s4
	s_mul_hi_u32 s4, s52, s5
	s_mul_i32 s4, s4, s33
	s_sub_i32 s4, s52, s4
	s_sub_i32 s5, s4, s33
	s_cmp_ge_u32 s4, s33
	s_cselect_b32 s4, s5, s4
	s_sub_i32 s5, s4, s33
	s_cmp_ge_u32 s4, s33
	s_cselect_b32 s50, s5, s4
	s_mov_b64 s[4:5], s[50:51]
.LBB156_414:                            ;   in Loop: Header=BB156_6 Depth=1
	s_sub_u32 s62, s52, s4
	s_subb_u32 s63, s55, s5
	v_cmp_gt_u64_e32 vcc, s[62:63], v[0:1]
	s_mov_b64 s[54:55], 0
	s_mov_b64 s[60:61], 0
                                        ; implicit-def: $vgpr6_vgpr7
	s_and_saveexec_b64 s[4:5], vcc
	s_cbranch_execz .LBB156_423
; %bb.415:                              ;   in Loop: Header=BB156_6 Depth=1
	v_mov_b32_e32 v9, v1
	v_mov_b32_e32 v12, v44
	;; [unrolled: 1-line block ×3, first 2 shown]
                                        ; implicit-def: $sgpr64_sgpr65
	s_branch .LBB156_418
.LBB156_416:                            ;   in Loop: Header=BB156_418 Depth=2
	s_or_b64 exec, exec, s[48:49]
	s_waitcnt lgkmcnt(0)
	s_barrier
	ds_read_b128 v[4:7], v19 offset:3072
	s_mov_b64 s[48:49], -1
	s_mov_b64 s[52:53], -1
	s_waitcnt lgkmcnt(0)
	s_barrier
	v_cmp_ne_u64_e32 vcc, 0, v[4:5]
	s_cbranch_vccz .LBB156_421
.LBB156_417:                            ;   in Loop: Header=BB156_418 Depth=2
	s_and_b64 s[48:49], exec, s[48:49]
	s_or_b64 s[60:61], s[48:49], s[60:61]
	s_andn2_b64 s[48:49], s[64:65], exec
	s_and_b64 s[52:53], s[52:53], exec
	s_or_b64 s[64:65], s[48:49], s[52:53]
	s_andn2_b64 exec, exec, s[60:61]
	s_cbranch_execz .LBB156_422
.LBB156_418:                            ;   Parent Loop BB156_6 Depth=1
                                        ; =>  This Inner Loop Header: Depth=2
	v_cmp_gt_u64_e32 vcc, s[12:13], v[8:9]
	s_and_saveexec_b64 s[48:49], vcc
	s_cbranch_execz .LBB156_416
; %bb.419:                              ;   in Loop: Header=BB156_418 Depth=2
	ds_read_b64 v[4:5], v12
	s_waitcnt lgkmcnt(0)
	v_xor_b32_e32 v3, 0x80000000, v5
	v_and_b32_e32 v7, v3, v31
	v_and_b32_e32 v6, v4, v30
	v_cmp_eq_u64_e32 vcc, v[6:7], v[26:27]
	s_and_b64 exec, exec, vcc
	s_cbranch_execz .LBB156_416
; %bb.420:                              ;   in Loop: Header=BB156_418 Depth=2
	v_mov_b32_e32 v3, v19
	ds_write_b128 v19, v[2:5] offset:3072
	s_branch .LBB156_416
.LBB156_421:                            ;   in Loop: Header=BB156_418 Depth=2
	v_add_co_u32_e32 v8, vcc, s33, v8
	v_addc_co_u32_e32 v9, vcc, 0, v9, vcc
	v_cmp_le_u64_e32 vcc, s[62:63], v[8:9]
	v_add_u32_e32 v12, s58, v12
	s_mov_b64 s[52:53], 0
	s_orn2_b64 s[48:49], vcc, exec
	s_branch .LBB156_417
.LBB156_422:                            ;   in Loop: Header=BB156_6 Depth=1
	s_or_b64 exec, exec, s[60:61]
	s_and_b64 s[60:61], s[64:65], exec
.LBB156_423:                            ;   in Loop: Header=BB156_6 Depth=1
	s_or_b64 exec, exec, s[4:5]
	v_readlane_b32 s52, v56, 42
	v_readlane_b32 s53, v56, 43
	s_mov_b64 s[62:63], -1
.LBB156_424:                            ;   in Loop: Header=BB156_6 Depth=1
	s_and_b64 vcc, exec, s[54:55]
	s_cbranch_vccz .LBB156_440
; %bb.425:                              ;   in Loop: Header=BB156_6 Depth=1
	v_readlane_b32 s54, v56, 31
	v_readlane_b32 s55, v56, 32
	s_mov_b32 s54, s51
	s_cmp_lg_u64 s[54:55], 0
	v_writelane_b32 v56, s54, 31
	v_writelane_b32 v56, s55, 32
	s_cbranch_scc0 .LBB156_427
; %bb.426:                              ;   in Loop: Header=BB156_6 Depth=1
	v_cvt_f32_u32_e32 v3, s33
	s_sub_u32 s12, 0, s33
	s_subb_u32 s13, 0, 0
	v_mac_f32_e32 v3, 0, v51
	v_rcp_f32_e32 v3, v3
	v_mul_f32_e32 v3, 0x5f7ffffc, v3
	v_mul_f32_e32 v4, 0x2f800000, v3
	v_trunc_f32_e32 v4, v4
	v_mac_f32_e32 v3, 0xcf800000, v4
	v_cvt_u32_f32_e32 v4, v4
	v_cvt_u32_f32_e32 v3, v3
	v_readfirstlane_b32 s48, v4
	v_readfirstlane_b32 s4, v3
	s_mul_i32 s5, s12, s48
	s_mul_hi_u32 s50, s12, s4
	s_mul_i32 s49, s13, s4
	s_add_i32 s5, s50, s5
	s_mul_i32 s52, s12, s4
	s_add_i32 s5, s5, s49
	s_mul_hi_u32 s50, s4, s52
	s_mul_i32 s53, s4, s5
	s_mul_hi_u32 s49, s4, s5
	s_add_u32 s50, s50, s53
	s_addc_u32 s49, 0, s49
	s_mul_hi_u32 s54, s48, s52
	s_mul_i32 s52, s48, s52
	s_add_u32 s50, s50, s52
	s_mul_hi_u32 s53, s48, s5
	s_addc_u32 s49, s49, s54
	s_addc_u32 s50, s53, 0
	s_mul_i32 s5, s48, s5
	s_add_u32 s5, s49, s5
	s_addc_u32 s49, 0, s50
	s_add_u32 s50, s4, s5
	s_cselect_b64 s[4:5], -1, 0
	s_cmp_lg_u64 s[4:5], 0
	s_addc_u32 s48, s48, s49
	s_mul_i32 s4, s12, s48
	s_mul_hi_u32 s5, s12, s50
	s_add_i32 s4, s5, s4
	s_mul_i32 s13, s13, s50
	s_add_i32 s4, s4, s13
	s_mul_i32 s12, s12, s50
	s_mul_hi_u32 s13, s48, s12
	s_mul_i32 s49, s48, s12
	s_mul_i32 s53, s50, s4
	s_mul_hi_u32 s12, s50, s12
	s_mul_hi_u32 s52, s50, s4
	s_add_u32 s12, s12, s53
	s_addc_u32 s52, 0, s52
	s_add_u32 s12, s12, s49
	s_mul_hi_u32 s5, s48, s4
	s_addc_u32 s12, s52, s13
	s_addc_u32 s5, s5, 0
	s_mul_i32 s4, s48, s4
	s_add_u32 s4, s12, s4
	s_addc_u32 s12, 0, s5
	s_add_u32 s13, s50, s4
	s_cselect_b64 s[4:5], -1, 0
	s_cmp_lg_u64 s[4:5], 0
	s_addc_u32 s4, s48, s12
	v_readlane_b32 s50, v56, 29
	s_mul_i32 s12, s50, s4
	s_mul_hi_u32 s48, s50, s13
	s_mul_hi_u32 s5, s50, s4
	s_add_u32 s12, s48, s12
	s_addc_u32 s5, 0, s5
	s_mul_hi_u32 s49, s55, s13
	s_mul_i32 s13, s55, s13
	s_add_u32 s12, s12, s13
	s_mul_hi_u32 s48, s55, s4
	s_addc_u32 s5, s5, s49
	s_addc_u32 s12, s48, 0
	s_mul_i32 s4, s55, s4
	s_add_u32 s4, s5, s4
	s_addc_u32 s5, 0, s12
	s_mul_i32 s5, s33, s5
	s_mul_hi_u32 s12, s33, s4
	s_add_i32 s12, s12, s5
	s_mul_i32 s4, s33, s4
	s_sub_u32 s13, s50, s4
	s_cselect_b64 s[4:5], -1, 0
	s_cmp_lg_u64 s[4:5], 0
	s_subb_u32 s12, s55, s12
	s_sub_u32 s48, s13, s33
	s_cselect_b64 s[4:5], -1, 0
	s_cmp_lg_u64 s[4:5], 0
	s_subb_u32 s49, s12, 0
	;; [unrolled: 4-line block ×3, first 2 shown]
	s_cmp_ge_u32 s48, s33
	s_cselect_b32 s5, -1, 0
	s_cmp_eq_u32 s49, 0
	s_cselect_b32 s5, s5, -1
	s_cmp_lg_u32 s5, 0
	s_cselect_b32 s4, s4, s49
	s_cselect_b32 s48, s50, s48
	s_cmp_ge_u32 s13, s33
	s_cselect_b32 s5, -1, 0
	s_cmp_eq_u32 s12, 0
	s_cselect_b32 s5, s5, -1
	v_readlane_b32 s52, v56, 42
	s_cmp_lg_u32 s5, 0
	v_readlane_b32 s53, v56, 43
	s_cselect_b32 s5, s4, s12
	s_cselect_b32 s4, s48, s13
	s_mov_b64 s[12:13], 0
	s_branch .LBB156_428
.LBB156_427:                            ;   in Loop: Header=BB156_6 Depth=1
	s_mov_b64 s[12:13], -1
                                        ; implicit-def: $sgpr4_sgpr5
.LBB156_428:                            ;   in Loop: Header=BB156_6 Depth=1
	s_andn2_b64 vcc, exec, s[12:13]
	s_cbranch_vccnz .LBB156_430
; %bb.429:                              ;   in Loop: Header=BB156_6 Depth=1
	v_cvt_f32_u32_e32 v3, s33
	s_sub_i32 s4, 0, s33
	v_readlane_b32 s12, v56, 29
	v_rcp_iflag_f32_e32 v3, v3
	v_mul_f32_e32 v3, 0x4f7ffffe, v3
	v_cvt_u32_f32_e32 v3, v3
	v_readfirstlane_b32 s5, v3
	s_mul_i32 s4, s4, s5
	s_mul_hi_u32 s4, s5, s4
	s_add_i32 s5, s5, s4
	s_mul_hi_u32 s4, s12, s5
	s_mul_i32 s4, s4, s33
	s_sub_i32 s4, s12, s4
	s_sub_i32 s5, s4, s33
	s_cmp_ge_u32 s4, s33
	s_cselect_b32 s4, s5, s4
	s_sub_i32 s5, s4, s33
	s_cmp_ge_u32 s4, s33
	s_cselect_b32 s50, s5, s4
	s_mov_b64 s[4:5], s[50:51]
.LBB156_430:                            ;   in Loop: Header=BB156_6 Depth=1
	v_readlane_b32 s12, v56, 29
	v_readlane_b32 s48, v56, 31
	s_sub_u32 s12, s12, s4
	v_readlane_b32 s49, v56, 32
	s_subb_u32 s13, s49, s5
	v_cmp_gt_u64_e32 vcc, s[12:13], v[0:1]
                                        ; implicit-def: $vgpr6_vgpr7
	s_and_saveexec_b64 s[4:5], vcc
	s_cbranch_execz .LBB156_439
; %bb.431:                              ;   in Loop: Header=BB156_6 Depth=1
	v_mov_b32_e32 v8, v16
	v_mov_b32_e32 v13, v1
	s_mov_b64 s[54:55], 0
	v_mov_b32_e32 v9, v17
	v_mov_b32_e32 v12, v0
                                        ; implicit-def: $sgpr62_sgpr63
	s_branch .LBB156_434
.LBB156_432:                            ;   in Loop: Header=BB156_434 Depth=2
	s_or_b64 exec, exec, s[48:49]
	s_waitcnt lgkmcnt(0)
	s_barrier
	ds_read_b128 v[4:7], v19 offset:3072
	s_mov_b64 s[48:49], -1
	s_mov_b64 s[52:53], -1
	s_waitcnt lgkmcnt(0)
	s_barrier
	v_cmp_eq_u64_e32 vcc, 0, v[4:5]
	s_cbranch_vccnz .LBB156_437
.LBB156_433:                            ;   in Loop: Header=BB156_434 Depth=2
	s_and_b64 s[48:49], exec, s[48:49]
	s_or_b64 s[54:55], s[48:49], s[54:55]
	s_andn2_b64 s[48:49], s[62:63], exec
	s_and_b64 s[52:53], s[52:53], exec
	s_or_b64 s[62:63], s[48:49], s[52:53]
	s_andn2_b64 exec, exec, s[54:55]
	s_cbranch_execz .LBB156_438
.LBB156_434:                            ;   Parent Loop BB156_6 Depth=1
                                        ; =>  This Inner Loop Header: Depth=2
	v_cmp_gt_u64_e32 vcc, s[24:25], v[12:13]
	s_and_saveexec_b64 s[48:49], vcc
	s_cbranch_execz .LBB156_432
; %bb.435:                              ;   in Loop: Header=BB156_434 Depth=2
	global_load_dwordx2 v[4:5], v[8:9], off
	s_waitcnt vmcnt(0)
	v_xor_b32_e32 v3, 0x80000000, v5
	v_and_b32_e32 v7, v3, v31
	v_and_b32_e32 v6, v4, v30
	v_cmp_eq_u64_e32 vcc, v[6:7], v[26:27]
	s_and_b64 exec, exec, vcc
	s_cbranch_execz .LBB156_432
; %bb.436:                              ;   in Loop: Header=BB156_434 Depth=2
	v_mov_b32_e32 v3, v19
	ds_write_b128 v19, v[2:5] offset:3072
	s_branch .LBB156_432
.LBB156_437:                            ;   in Loop: Header=BB156_434 Depth=2
	v_add_co_u32_e32 v12, vcc, s33, v12
	v_addc_co_u32_e32 v13, vcc, 0, v13, vcc
	v_mov_b32_e32 v3, s29
	v_add_co_u32_e32 v8, vcc, s28, v8
	v_addc_co_u32_e32 v9, vcc, v9, v3, vcc
	v_cmp_le_u64_e32 vcc, s[12:13], v[12:13]
	s_mov_b64 s[52:53], 0
	s_orn2_b64 s[48:49], vcc, exec
	s_branch .LBB156_433
.LBB156_438:                            ;   in Loop: Header=BB156_6 Depth=1
	s_or_b64 exec, exec, s[54:55]
	s_andn2_b64 s[12:13], s[60:61], exec
	s_and_b64 s[48:49], s[62:63], exec
	v_readlane_b32 s52, v56, 42
	s_or_b64 s[60:61], s[12:13], s[48:49]
	v_readlane_b32 s53, v56, 43
.LBB156_439:                            ;   in Loop: Header=BB156_6 Depth=1
	s_or_b64 exec, exec, s[4:5]
	s_mov_b64 s[62:63], 0
	s_mov_b64 s[94:95], -1
.LBB156_440:                            ;   in Loop: Header=BB156_6 Depth=1
	s_orn2_b64 s[12:13], s[60:61], exec
.LBB156_441:                            ;   in Loop: Header=BB156_6 Depth=1
	v_readlane_b32 s4, v56, 46
	v_readlane_b32 s5, v56, 47
	s_or_b64 exec, exec, s[4:5]
	s_mov_b64 s[48:49], 0
	s_and_saveexec_b64 s[4:5], s[12:13]
	s_cbranch_execz .LBB156_452
; %bb.442:                              ;   in Loop: Header=BB156_6 Depth=1
	v_readlane_b32 s12, v56, 44
	v_readlane_b32 s13, v56, 45
	v_mov_b32_e32 v3, 1
	s_xor_b64 s[48:49], s[12:13], -1
	v_mov_b32_e32 v4, 0
	v_mov_b32_e32 v52, 1
	s_and_saveexec_b64 s[12:13], s[48:49]
	s_cbranch_execz .LBB156_451
; %bb.443:                              ;   in Loop: Header=BB156_6 Depth=1
	v_cmp_ge_u64_e32 vcc, s[16:17], v[10:11]
	s_and_saveexec_b64 s[48:49], vcc
	s_xor_b64 s[48:49], exec, s[48:49]
	s_cbranch_execz .LBB156_448
; %bb.444:                              ;   in Loop: Header=BB156_6 Depth=1
	ds_read_b64 v[3:4], v19 offset:5120
	v_and_b32_e32 v27, s91, v27
	v_and_b32_e32 v26, s90, v26
	v_or_b32_e32 v31, s19, v31
	v_or_b32_e32 v30, s18, v30
	s_waitcnt lgkmcnt(0)
	v_cmp_ne_u64_e32 vcc, 0, v[3:4]
	s_cbranch_vccnz .LBB156_448
; %bb.445:                              ;   in Loop: Header=BB156_6 Depth=1
	s_mov_b64 s[18:19], exec
	v_readlane_b32 s52, v56, 8
	v_readlane_b32 s53, v56, 9
	s_and_b64 s[52:53], s[18:19], s[52:53]
	s_mov_b64 exec, s[52:53]
; %bb.446:                              ;   in Loop: Header=BB156_6 Depth=1
	v_mov_b32_e32 v3, s16
	v_mov_b32_e32 v4, s17
	ds_write_b64 v19, v[3:4] offset:5128
; %bb.447:                              ;   in Loop: Header=BB156_6 Depth=1
	s_or_b64 exec, exec, s[18:19]
	s_waitcnt lgkmcnt(0)
	s_barrier
.LBB156_448:                            ;   in Loop: Header=BB156_6 Depth=1
	s_andn2_saveexec_b64 s[18:19], s[48:49]
; %bb.449:                              ;   in Loop: Header=BB156_6 Depth=1
	v_mov_b32_e32 v3, s17
	v_subrev_co_u32_e32 v10, vcc, s16, v10
	v_subb_co_u32_e32 v11, vcc, v11, v3, vcc
; %bb.450:                              ;   in Loop: Header=BB156_6 Depth=1
	s_or_b64 exec, exec, s[18:19]
	v_mov_b32_e32 v3, v10
	v_readlane_b32 s52, v56, 42
	v_mov_b32_e32 v52, 5
	v_mov_b32_e32 v4, v11
	v_readlane_b32 s53, v56, 43
.LBB156_451:                            ;   in Loop: Header=BB156_6 Depth=1
	s_or_b64 exec, exec, s[12:13]
	v_mov_b32_e32 v11, v4
	s_mov_b64 s[48:49], exec
	v_mov_b32_e32 v10, v3
.LBB156_452:                            ;   in Loop: Header=BB156_6 Depth=1
	s_or_b64 exec, exec, s[4:5]
	s_orn2_b64 s[4:5], s[48:49], exec
.LBB156_453:                            ;   in Loop: Header=BB156_6 Depth=1
	s_or_b64 exec, exec, s[10:11]
	s_andn2_b64 s[10:11], s[36:37], exec
	s_and_b64 s[12:13], s[94:95], exec
	s_or_b64 s[36:37], s[10:11], s[12:13]
	s_andn2_b64 s[10:11], s[20:21], exec
	s_and_b64 s[12:13], s[62:63], exec
	v_mov_b32_e32 v8, v10
	s_or_b64 s[20:21], s[10:11], s[12:13]
	s_and_b64 s[12:13], s[4:5], exec
	v_mov_b32_e32 v9, v11
.LBB156_454:                            ;   in Loop: Header=BB156_6 Depth=1
	s_or_b64 exec, exec, s[8:9]
	s_orn2_b64 s[4:5], s[12:13], exec
.LBB156_455:                            ;   in Loop: Header=BB156_6 Depth=1
	s_or_b64 exec, exec, s[38:39]
	s_andn2_b64 s[8:9], s[34:35], exec
	s_and_b64 s[10:11], s[36:37], exec
	s_or_b64 s[34:35], s[8:9], s[10:11]
	s_andn2_b64 s[8:9], s[30:31], exec
	s_and_b64 s[10:11], s[20:21], exec
	v_mov_b32_e32 v35, v9
	s_or_b64 s[30:31], s[8:9], s[10:11]
	s_and_b64 s[10:11], s[4:5], exec
	v_mov_b32_e32 v34, v8
.LBB156_456:                            ;   in Loop: Header=BB156_6 Depth=1
	s_or_b64 exec, exec, s[40:41]
	s_orn2_b64 s[4:5], s[10:11], exec
.LBB156_457:                            ;   in Loop: Header=BB156_6 Depth=1
	s_or_b64 exec, exec, s[6:7]
	s_mov_b64 s[6:7], s[44:45]
	s_mov_b64 s[8:9], s[42:43]
	s_and_saveexec_b64 s[10:11], s[4:5]
; %bb.458:                              ;   in Loop: Header=BB156_6 Depth=1
	v_cmp_ne_u32_e64 s[6:7], 5, v52
	v_cmp_eq_u32_e32 vcc, 5, v52
	s_andn2_b64 s[4:5], s[42:43], exec
	s_and_b64 s[6:7], s[6:7], exec
	s_or_b64 s[8:9], s[4:5], s[6:7]
	s_andn2_b64 s[4:5], s[44:45], exec
	s_and_b64 s[6:7], vcc, exec
	s_or_b64 s[6:7], s[4:5], s[6:7]
; %bb.459:                              ;   in Loop: Header=BB156_6 Depth=1
	s_or_b64 exec, exec, s[10:11]
	s_andn2_b64 s[4:5], s[14:15], exec
	s_and_b64 s[10:11], s[34:35], exec
	s_or_b64 s[14:15], s[4:5], s[10:11]
	s_andn2_b64 s[4:5], s[92:93], exec
	s_and_b64 s[10:11], s[30:31], exec
	s_or_b64 s[92:93], s[4:5], s[10:11]
	;; [unrolled: 3-line block ×4, first 2 shown]
.LBB156_460:                            ;   in Loop: Header=BB156_6 Depth=1
	s_or_b64 exec, exec, s[2:3]
	s_mov_b64 s[2:3], 0
	s_mov_b64 s[30:31], 0
	s_and_saveexec_b64 s[4:5], s[44:45]
.LBB156_461:                            ;   in Loop: Header=BB156_6 Depth=1
	v_mov_b32_e32 v52, 0
	s_or_b64 s[42:43], s[42:43], exec
.LBB156_462:                            ;   in Loop: Header=BB156_6 Depth=1
	s_or_b64 exec, exec, s[4:5]
	s_andn2_b64 s[6:7], s[86:87], exec
	s_and_b64 s[8:9], s[14:15], exec
	s_or_b64 s[86:87], s[6:7], s[8:9]
	s_andn2_b64 s[6:7], s[84:85], exec
	s_and_b64 s[8:9], s[92:93], exec
	s_or_b64 s[84:85], s[6:7], s[8:9]
	;; [unrolled: 3-line block ×3, first 2 shown]
	s_andn2_b64 s[6:7], s[80:81], exec
	s_and_b64 s[2:3], s[2:3], exec
	v_mov_b32_e32 v32, v34
	s_mov_b64 s[4:5], -1
	s_andn2_b64 s[88:89], s[88:89], exec
	s_or_b64 s[80:81], s[6:7], s[2:3]
	v_mov_b32_e32 v33, v35
	s_and_saveexec_b64 s[2:3], s[42:43]
	s_xor_b64 s[2:3], exec, s[2:3]
	s_cbranch_execz .LBB156_5
; %bb.463:                              ;   in Loop: Header=BB156_6 Depth=1
	v_cmp_eq_u32_e32 vcc, 0, v52
	s_mov_b64 s[6:7], -1
	s_and_saveexec_b64 s[8:9], vcc
	s_cbranch_execz .LBB156_4
; %bb.464:                              ;   in Loop: Header=BB156_6 Depth=1
	s_xor_b32 s57, s57, 1
	s_add_i32 s10, s56, -2
	s_cmp_eq_u32 s56, 0
	s_cselect_b64 s[4:5], -1, 0
	s_xor_b64 s[6:7], exec, -1
	s_orn2_b64 s[4:5], s[4:5], exec
	s_mov_b32 s56, s10
	s_branch .LBB156_4
.LBB156_465:
	s_or_b64 exec, exec, s[68:69]
	s_xor_b64 s[4:5], s[78:79], -1
	s_xor_b64 s[12:13], s[76:77], -1
	;; [unrolled: 1-line block ×5, first 2 shown]
	s_mov_b64 s[6:7], 0
	s_and_saveexec_b64 s[14:15], s[8:9]
	s_xor_b64 s[8:9], exec, s[14:15]
	s_cbranch_execnz .LBB156_470
; %bb.466:
	s_andn2_saveexec_b64 s[0:1], s[8:9]
	s_cbranch_execnz .LBB156_489
.LBB156_467:
	s_or_b64 exec, exec, s[0:1]
	s_and_saveexec_b64 s[0:1], s[6:7]
.LBB156_468:
	; divergent unreachable
.LBB156_469:
	s_endpgm
.LBB156_470:
	s_and_saveexec_b64 s[14:15], s[10:11]
	s_xor_b64 s[10:11], exec, s[14:15]
	s_cbranch_execz .LBB156_487
; %bb.471:
	s_and_saveexec_b64 s[14:15], s[12:13]
	s_xor_b64 s[12:13], exec, s[14:15]
	s_cbranch_execz .LBB156_485
; %bb.472:
	;; [unrolled: 4-line block ×3, first 2 shown]
	s_and_saveexec_b64 s[4:5], s[2:3]
	s_xor_b64 s[2:3], exec, s[4:5]
; %bb.474:
	v_xor_b32_e32 v27, 0x80000000, v27
	v_mov_b32_e32 v6, v26
	v_mov_b32_e32 v7, v27
; %bb.475:
	s_or_b64 exec, exec, s[2:3]
	s_mov_b64 s[2:3], exec
	v_readlane_b32 s6, v56, 10
	v_readlane_b32 s7, v56, 11
	s_load_dwordx2 s[52:53], s[6:7], 0x0
	v_readlane_b32 s4, v56, 8
	v_readlane_b32 s5, v56, 9
	v_readlane_b32 s54, v56, 16
	s_and_b64 s[4:5], s[2:3], s[4:5]
	v_readlane_b32 s55, v56, 17
	s_mov_b64 exec, s[4:5]
; %bb.476:
	v_mov_b32_e32 v2, 0
	v_mov_b32_e32 v3, v2
	ds_write_b64 v2, v[2:3] offset:5136
; %bb.477:
	s_or_b64 exec, exec, s[2:3]
	v_mov_b32_e32 v2, 0
	v_mov_b32_e32 v3, 0
	s_waitcnt lgkmcnt(0)
	s_barrier
	s_mov_b64 s[2:3], exec
	v_readlane_b32 s4, v56, 22
	v_readlane_b32 s5, v56, 23
	s_and_b64 s[4:5], s[2:3], s[4:5]
	s_mov_b64 exec, s[4:5]
	s_cbranch_execz .LBB156_479
; %bb.478:
	global_load_dwordx2 v[2:3], v[16:17], off
.LBB156_479:
	s_or_b64 exec, exec, s[2:3]
	s_add_u32 s2, s24, 63
	s_addc_u32 s17, s25, 0
	s_and_b32 s16, s2, 0xffffffc0
	v_readlane_b32 s2, v56, 12
	v_readlane_b32 s4, v56, 4
	;; [unrolled: 1-line block ×3, first 2 shown]
	s_mov_b32 s18, s2
	v_readlane_b32 s5, v56, 5
	v_readlane_b32 s20, v56, 0
	s_mul_i32 s2, s5, s2
	s_mul_hi_u32 s3, s4, s18
	v_readlane_b32 s21, v56, 1
	s_add_i32 s3, s3, s2
	s_mul_i32 s2, s4, s18
	s_mul_i32 s4, s21, s18
	s_mul_hi_u32 s5, s20, s18
	s_add_i32 s5, s5, s4
	s_mul_i32 s4, s20, s18
	s_lshl_b64 s[2:3], s[2:3], 3
	v_readlane_b32 s18, v56, 6
	v_readlane_b32 s19, v56, 7
	s_add_u32 s46, s18, s2
	s_addc_u32 s47, s19, s3
	s_load_dwordx2 s[18:19], s[6:7], 0x368
	s_load_dwordx2 s[20:21], s[6:7], 0x510
	s_lshl_b64 s[2:3], s[4:5], 3
	v_readlane_b32 s4, v56, 2
	v_readlane_b32 s5, v56, 3
	s_add_u32 s48, s4, s2
	v_cmp_gt_u64_e32 vcc, s[16:17], v[0:1]
	s_addc_u32 s49, s5, s3
	s_mov_b64 s[34:35], -1
	s_mov_b64 s[2:3], 0
	s_mov_b64 s[4:5], 0
	s_and_saveexec_b64 s[30:31], vcc
	s_cbranch_execnz .LBB156_490
; %bb.480:
	s_or_b64 exec, exec, s[30:31]
	s_and_saveexec_b64 s[6:7], s[34:35]
	s_cbranch_execnz .LBB156_505
.LBB156_481:
	s_or_b64 exec, exec, s[6:7]
	s_and_saveexec_b64 s[0:1], s[4:5]
	s_xor_b64 s[0:1], exec, s[0:1]
	s_cbranch_execnz .LBB156_528
.LBB156_482:
	s_or_b64 exec, exec, s[0:1]
	s_and_b64 s[6:7], s[2:3], exec
.LBB156_483:
	s_andn2_saveexec_b64 s[0:1], s[14:15]
	s_cbranch_execnz .LBB156_530
.LBB156_484:
	s_or_b64 exec, exec, s[0:1]
	s_and_b64 s[6:7], s[6:7], exec
.LBB156_485:
	s_andn2_saveexec_b64 s[0:1], s[12:13]
	s_cbranch_execnz .LBB156_529
.LBB156_486:
	s_or_b64 exec, exec, s[0:1]
	s_and_b64 s[6:7], s[6:7], exec
.LBB156_487:
	s_andn2_saveexec_b64 s[0:1], s[10:11]
	s_cbranch_execnz .LBB156_524
.LBB156_488:
	s_or_b64 exec, exec, s[0:1]
	s_and_b64 s[6:7], s[6:7], exec
	s_andn2_saveexec_b64 s[0:1], s[8:9]
	s_cbranch_execz .LBB156_467
.LBB156_489:
	s_or_b64 s[6:7], s[6:7], exec
	s_trap 2
	s_or_b64 exec, exec, s[0:1]
	s_and_saveexec_b64 s[0:1], s[6:7]
	s_cbranch_execnz .LBB156_468
	s_branch .LBB156_469
.LBB156_490:
	v_add_u32_e32 v10, s33, v0
	v_mad_u64_u32 v[8:9], s[4:5], s22, v10, 0
	v_xor_b32_e32 v5, 0x80000000, v7
	v_mov_b32_e32 v21, v1
	v_mov_b32_e32 v4, v9
	v_mad_u64_u32 v[9:10], s[4:5], s23, v10, v[4:5]
	v_readlane_b32 s4, v56, 14
	v_readlane_b32 s5, v56, 15
	s_add_u32 s4, s52, s4
	v_lshlrev_b64 v[8:9], 3, v[8:9]
	s_addc_u32 s5, s53, s5
	v_mov_b32_e32 v10, s5
	v_add_co_u32_e64 v8, s[4:5], s4, v8
	v_mov_b32_e32 v4, v6
	v_addc_co_u32_e64 v9, s[4:5], v10, v9, s[4:5]
	s_mov_b64 s[34:35], 0
	v_mov_b32_e32 v11, 0
	v_mov_b32_e32 v20, v0
                                        ; implicit-def: $sgpr36_sgpr37
                                        ; implicit-def: $vgpr18_vgpr19
	s_branch .LBB156_492
.LBB156_491:                            ;   in Loop: Header=BB156_492 Depth=1
	s_or_b64 exec, exec, s[38:39]
	s_xor_b64 s[4:5], s[40:41], -1
	s_and_b64 s[6:7], exec, s[6:7]
	s_or_b64 s[34:35], s[6:7], s[34:35]
	s_andn2_b64 s[6:7], s[36:37], exec
	s_and_b64 s[4:5], s[4:5], exec
	v_mov_b32_e32 v2, v14
	v_mov_b32_e32 v21, v13
	s_or_b64 s[36:37], s[6:7], s[4:5]
	v_mov_b32_e32 v3, v15
	v_mov_b32_e32 v20, v12
	s_andn2_b64 exec, exec, s[34:35]
	s_cbranch_execz .LBB156_504
.LBB156_492:                            ; =>This Inner Loop Header: Depth=1
	v_add_co_u32_e64 v12, s[4:5], s33, v20
	v_addc_co_u32_e64 v13, s[4:5], 0, v21, s[4:5]
	v_cmp_gt_u64_e64 s[4:5], s[24:25], v[12:13]
	v_mov_b32_e32 v14, 0
	v_mov_b32_e32 v15, 0
	s_and_saveexec_b64 s[6:7], s[4:5]
	s_cbranch_execz .LBB156_494
; %bb.493:                              ;   in Loop: Header=BB156_492 Depth=1
	global_load_dwordx2 v[14:15], v[8:9], off
.LBB156_494:                            ;   in Loop: Header=BB156_492 Depth=1
	s_or_b64 exec, exec, s[6:7]
	s_waitcnt vmcnt(0)
	v_xor_b32_e32 v23, 0x80000000, v3
	v_mov_b32_e32 v22, v2
	v_cmp_gt_u64_e64 s[6:7], v[22:23], v[4:5]
	v_cmp_gt_u64_e64 s[4:5], s[24:25], v[20:21]
	v_cndmask_b32_e64 v10, 0, 1, s[6:7]
	v_cmp_lt_u64_e64 s[6:7], v[22:23], v[4:5]
	v_cndmask_b32_e64 v22, 0, 1, s[6:7]
	v_cndmask_b32_e64 v10, v22, v10, s[54:55]
	v_and_b32_e32 v10, 1, v10
	v_cmp_eq_u32_e64 s[6:7], 1, v10
	s_and_b64 s[40:41], s[4:5], s[6:7]
	v_cndmask_b32_e64 v10, 0, 1, s[40:41]
	v_cmp_ne_u32_e64 s[4:5], 0, v10
	s_cmp_lg_u64 s[4:5], 0
	s_cselect_b64 s[6:7], -1, 0
	s_and_b64 s[6:7], s[0:1], s[6:7]
	s_and_saveexec_b64 s[38:39], s[6:7]
	s_cbranch_execz .LBB156_498
; %bb.495:                              ;   in Loop: Header=BB156_492 Depth=1
	s_mov_b64 s[44:45], exec
	v_mbcnt_lo_u32_b32 v10, s44, 0
	v_mbcnt_hi_u32_b32 v22, s45, v10
	s_bcnt1_i32_b64 s50, s[4:5]
	v_cmp_eq_u32_e64 s[6:7], 0, v22
                                        ; implicit-def: $vgpr18_vgpr19
	s_and_saveexec_b64 s[42:43], s[6:7]
	s_cbranch_execz .LBB156_497
; %bb.496:                              ;   in Loop: Header=BB156_492 Depth=1
	s_bcnt1_i32_b64 s6, s[44:45]
	s_mul_i32 s6, s50, s6
	v_mov_b32_e32 v10, s6
	s_waitcnt lgkmcnt(0)
	ds_add_rtn_u64 v[18:19], v11, v[10:11] offset:5136
.LBB156_497:                            ;   in Loop: Header=BB156_492 Depth=1
	s_or_b64 exec, exec, s[42:43]
	s_waitcnt lgkmcnt(0)
	v_readfirstlane_b32 s6, v19
	v_readfirstlane_b32 s7, v18
	v_mov_b32_e32 v18, s7
	v_mov_b32_e32 v19, s6
	v_mad_u64_u32 v[18:19], s[6:7], s50, v22, v[18:19]
.LBB156_498:                            ;   in Loop: Header=BB156_492 Depth=1
	s_or_b64 exec, exec, s[38:39]
	s_waitcnt lgkmcnt(0)
	ds_bpermute_b32 v18, v40, v18
	ds_bpermute_b32 v19, v40, v19
	s_mov_b64 s[6:7], -1
	s_mov_b64 s[42:43], -1
	s_and_saveexec_b64 s[38:39], s[40:41]
	s_cbranch_execz .LBB156_502
; %bb.499:                              ;   in Loop: Header=BB156_492 Depth=1
	v_and_b32_e32 v22, s4, v42
	v_and_b32_e32 v10, s5, v41
	v_bcnt_u32_b32 v22, v22, 0
	v_bcnt_u32_b32 v10, v10, v22
	s_waitcnt lgkmcnt(0)
	v_add_co_u32_e64 v22, s[4:5], v18, v10
	v_addc_co_u32_e64 v23, s[4:5], 0, v19, s[4:5]
	v_cmp_gt_u64_e64 s[4:5], s[26:27], v[22:23]
	s_mov_b64 s[40:41], 0
	s_and_saveexec_b64 s[42:43], s[4:5]
; %bb.500:                              ;   in Loop: Header=BB156_492 Depth=1
	v_mul_lo_u32 v10, v23, s18
	v_mul_lo_u32 v26, v22, s19
	v_mad_u64_u32 v[24:25], s[4:5], v22, s18, 0
	v_mul_lo_u32 v27, v23, s20
	v_mul_lo_u32 v28, v22, s21
	v_mad_u64_u32 v[22:23], s[4:5], v22, s20, 0
	v_add3_u32 v25, v25, v26, v10
	v_lshlrev_b64 v[24:25], 3, v[24:25]
	v_mov_b32_e32 v10, s47
	v_add_co_u32_e64 v24, s[4:5], s46, v24
	v_add3_u32 v23, v23, v28, v27
	v_addc_co_u32_e64 v25, s[4:5], v10, v25, s[4:5]
	global_store_dwordx2 v[24:25], v[2:3], off
	v_lshlrev_b64 v[2:3], 3, v[22:23]
	v_mov_b32_e32 v10, s49
	v_add_co_u32_e64 v2, s[4:5], s48, v2
	s_mov_b64 s[40:41], exec
	v_addc_co_u32_e64 v3, s[4:5], v10, v3, s[4:5]
	global_store_dwordx2 v[2:3], v[20:21], off
; %bb.501:                              ;   in Loop: Header=BB156_492 Depth=1
	s_or_b64 exec, exec, s[42:43]
	s_orn2_b64 s[42:43], s[40:41], exec
.LBB156_502:                            ;   in Loop: Header=BB156_492 Depth=1
	s_or_b64 exec, exec, s[38:39]
	s_mov_b64 s[40:41], -1
	s_and_saveexec_b64 s[38:39], s[42:43]
	s_cbranch_execz .LBB156_491
; %bb.503:                              ;   in Loop: Header=BB156_492 Depth=1
	v_mov_b32_e32 v2, s29
	v_add_co_u32_e64 v8, s[4:5], s28, v8
	v_addc_co_u32_e64 v9, s[4:5], v9, v2, s[4:5]
	v_cmp_le_u64_e64 s[4:5], s[16:17], v[12:13]
	s_xor_b64 s[40:41], exec, -1
	s_orn2_b64 s[6:7], s[4:5], exec
	s_branch .LBB156_491
.LBB156_504:
	s_or_b64 exec, exec, s[34:35]
	s_mov_b64 s[4:5], exec
	s_orn2_b64 s[34:35], s[36:37], exec
	s_or_b64 exec, exec, s[30:31]
	s_and_saveexec_b64 s[6:7], s[34:35]
	s_cbranch_execz .LBB156_481
.LBB156_505:
	v_mov_b32_e32 v14, 0
	v_mov_b32_e32 v15, 0
	s_waitcnt vmcnt(0) lgkmcnt(0)
	s_barrier
	s_mov_b64 s[2:3], exec
	v_readlane_b32 s30, v56, 22
	v_readlane_b32 s31, v56, 23
	s_and_b64 s[30:31], s[2:3], s[30:31]
	s_mov_b64 exec, s[30:31]
	s_cbranch_execz .LBB156_507
; %bb.506:
	global_load_dwordx2 v[14:15], v[16:17], off
.LBB156_507:
	s_or_b64 exec, exec, s[2:3]
	s_mov_b64 s[2:3], 0
	s_and_saveexec_b64 s[30:31], vcc
	s_cbranch_execz .LBB156_527
; %bb.508:
	v_add_u32_e32 v4, s33, v0
	v_mad_u64_u32 v[2:3], s[2:3], s22, v4, 0
	v_mov_b32_e32 v5, 0
                                        ; implicit-def: $sgpr34_sgpr35
                                        ; implicit-def: $vgpr12_vgpr13
	v_mad_u64_u32 v[3:4], s[2:3], s23, v4, v[3:4]
	v_readlane_b32 s2, v56, 14
	v_readlane_b32 s3, v56, 15
	s_add_u32 s2, s52, s2
	v_lshlrev_b64 v[2:3], 3, v[2:3]
	s_addc_u32 s3, s53, s3
	v_mov_b32_e32 v4, s3
	v_add_co_u32_e32 v2, vcc, s2, v2
	v_addc_co_u32_e32 v3, vcc, v4, v3, vcc
	s_mov_b64 s[22:23], 0
	s_branch .LBB156_511
.LBB156_509:                            ;   in Loop: Header=BB156_511 Depth=1
	s_or_b64 exec, exec, s[38:39]
	s_orn2_b64 s[40:41], s[42:43], exec
	s_orn2_b64 s[38:39], s[36:37], exec
.LBB156_510:                            ;   in Loop: Header=BB156_511 Depth=1
	s_or_b64 exec, exec, s[2:3]
	s_xor_b64 s[2:3], s[40:41], -1
	s_and_b64 s[36:37], exec, s[38:39]
	s_or_b64 s[22:23], s[36:37], s[22:23]
	s_andn2_b64 s[34:35], s[34:35], exec
	s_and_b64 s[2:3], s[2:3], exec
	v_mov_b32_e32 v0, v8
	v_mov_b32_e32 v15, v11
	s_or_b64 s[34:35], s[34:35], s[2:3]
	v_mov_b32_e32 v1, v9
	v_mov_b32_e32 v14, v10
	s_andn2_b64 exec, exec, s[22:23]
	s_cbranch_execz .LBB156_525
.LBB156_511:                            ; =>This Inner Loop Header: Depth=1
	v_add_co_u32_e32 v8, vcc, s33, v0
	v_addc_co_u32_e32 v9, vcc, 0, v1, vcc
	v_cmp_gt_u64_e32 vcc, s[24:25], v[8:9]
	v_mov_b32_e32 v10, 0
	v_mov_b32_e32 v11, 0
	s_and_saveexec_b64 s[2:3], vcc
	s_cbranch_execz .LBB156_513
; %bb.512:                              ;   in Loop: Header=BB156_511 Depth=1
	global_load_dwordx2 v[10:11], v[2:3], off
.LBB156_513:                            ;   in Loop: Header=BB156_511 Depth=1
	s_or_b64 exec, exec, s[2:3]
	v_cmp_gt_u64_e32 vcc, s[24:25], v[0:1]
	s_waitcnt vmcnt(0)
	v_cmp_eq_u64_e64 s[2:3], v[14:15], v[6:7]
	s_and_b64 s[36:37], vcc, s[2:3]
	v_cndmask_b32_e64 v4, 0, 1, s[36:37]
	v_cmp_ne_u32_e32 vcc, 0, v4
	s_cmp_lg_u64 vcc, 0
	s_cselect_b64 s[2:3], -1, 0
	s_and_b64 s[2:3], s[0:1], s[2:3]
	s_and_saveexec_b64 s[38:39], s[2:3]
	s_cbranch_execz .LBB156_517
; %bb.514:                              ;   in Loop: Header=BB156_511 Depth=1
	s_mov_b64 s[42:43], exec
	v_mbcnt_lo_u32_b32 v4, s42, 0
	v_mbcnt_hi_u32_b32 v14, s43, v4
	s_bcnt1_i32_b64 s44, vcc
	v_cmp_eq_u32_e64 s[2:3], 0, v14
                                        ; implicit-def: $vgpr12_vgpr13
	s_and_saveexec_b64 s[40:41], s[2:3]
; %bb.515:                              ;   in Loop: Header=BB156_511 Depth=1
	s_bcnt1_i32_b64 s2, s[42:43]
	s_mul_i32 s2, s44, s2
	v_mov_b32_e32 v4, s2
	ds_add_rtn_u64 v[12:13], v5, v[4:5] offset:5136
; %bb.516:                              ;   in Loop: Header=BB156_511 Depth=1
	s_or_b64 exec, exec, s[40:41]
	s_waitcnt lgkmcnt(0)
	v_readfirstlane_b32 s2, v13
	v_readfirstlane_b32 s3, v12
	v_mov_b32_e32 v12, s3
	v_mov_b32_e32 v13, s2
	v_mad_u64_u32 v[12:13], s[2:3], s44, v14, v[12:13]
.LBB156_517:                            ;   in Loop: Header=BB156_511 Depth=1
	s_or_b64 exec, exec, s[38:39]
	ds_bpermute_b32 v12, v40, v12
	ds_bpermute_b32 v13, v40, v13
	s_cmp_eq_u64 vcc, 0
	s_cselect_b64 s[40:41], -1, 0
	s_mov_b64 s[38:39], -1
	s_waitcnt lgkmcnt(0)
	v_cmp_gt_u64_e64 s[2:3], s[26:27], v[12:13]
	s_or_b64 s[42:43], s[40:41], s[2:3]
	s_mov_b64 s[40:41], -1
	s_and_saveexec_b64 s[2:3], s[42:43]
	s_cbranch_execz .LBB156_510
; %bb.518:                              ;   in Loop: Header=BB156_511 Depth=1
	v_and_b32_e32 v14, vcc_lo, v42
	v_and_b32_e32 v4, vcc_hi, v41
	v_bcnt_u32_b32 v14, v14, 0
	v_bcnt_u32_b32 v4, v4, v14
	v_mov_b32_e32 v15, s27
	v_sub_co_u32_e32 v14, vcc, s26, v12
	v_subb_co_u32_e32 v15, vcc, v15, v13, vcc
	v_cmp_gt_u64_e32 vcc, v[14:15], v[4:5]
	s_mov_b64 s[42:43], -1
	s_and_b64 s[44:45], s[36:37], vcc
	s_mov_b64 s[36:37], -1
	s_and_saveexec_b64 s[38:39], s[44:45]
	s_cbranch_execz .LBB156_522
; %bb.519:                              ;   in Loop: Header=BB156_511 Depth=1
	v_add_co_u32_e32 v14, vcc, v12, v4
	v_addc_co_u32_e32 v15, vcc, 0, v13, vcc
	v_cmp_gt_u64_e32 vcc, s[26:27], v[14:15]
	s_mov_b64 s[40:41], 0
	s_and_saveexec_b64 s[42:43], vcc
; %bb.520:                              ;   in Loop: Header=BB156_511 Depth=1
	v_mul_lo_u32 v4, v15, s18
	v_mul_lo_u32 v18, v14, s19
	v_mad_u64_u32 v[16:17], s[44:45], v14, s18, 0
	v_mul_lo_u32 v19, v15, s20
	v_mul_lo_u32 v20, v14, s21
	v_mad_u64_u32 v[14:15], s[44:45], v14, s20, 0
	v_add3_u32 v17, v17, v18, v4
	v_lshlrev_b64 v[16:17], 3, v[16:17]
	v_add3_u32 v15, v15, v20, v19
	v_mov_b32_e32 v4, s47
	v_add_co_u32_e32 v16, vcc, s46, v16
	v_lshlrev_b64 v[14:15], 3, v[14:15]
	v_addc_co_u32_e32 v17, vcc, v4, v17, vcc
	v_mov_b32_e32 v4, s49
	v_add_co_u32_e32 v14, vcc, s48, v14
	s_mov_b64 s[40:41], exec
	v_addc_co_u32_e32 v15, vcc, v4, v15, vcc
	global_store_dwordx2 v[16:17], v[6:7], off
	global_store_dwordx2 v[14:15], v[0:1], off
; %bb.521:                              ;   in Loop: Header=BB156_511 Depth=1
	s_or_b64 exec, exec, s[42:43]
	s_xor_b64 s[42:43], exec, -1
	s_orn2_b64 s[40:41], s[40:41], exec
.LBB156_522:                            ;   in Loop: Header=BB156_511 Depth=1
	s_or_b64 exec, exec, s[38:39]
	s_and_saveexec_b64 s[38:39], s[40:41]
	s_cbranch_execz .LBB156_509
; %bb.523:                              ;   in Loop: Header=BB156_511 Depth=1
	v_mov_b32_e32 v0, s29
	v_add_co_u32_e32 v2, vcc, s28, v2
	v_addc_co_u32_e32 v3, vcc, v3, v0, vcc
	v_cmp_le_u64_e32 vcc, s[16:17], v[8:9]
	s_or_b64 s[42:43], s[42:43], exec
	s_orn2_b64 s[36:37], vcc, exec
	s_branch .LBB156_509
.LBB156_524:
	s_or_b64 s[6:7], s[6:7], exec
	s_trap 2
	s_branch .LBB156_488
.LBB156_525:
	s_or_b64 exec, exec, s[22:23]
	s_mov_b64 s[0:1], 0
	s_and_saveexec_b64 s[2:3], s[34:35]
	s_xor_b64 s[2:3], exec, s[2:3]
	s_cbranch_execnz .LBB156_531
.LBB156_526:
	s_or_b64 exec, exec, s[2:3]
	s_and_b64 s[2:3], s[0:1], exec
.LBB156_527:
	s_or_b64 exec, exec, s[30:31]
	s_and_b64 s[2:3], s[2:3], exec
	s_andn2_b64 s[4:5], s[4:5], exec
	s_or_b64 exec, exec, s[6:7]
	s_and_saveexec_b64 s[0:1], s[4:5]
	s_xor_b64 s[0:1], exec, s[0:1]
	s_cbranch_execz .LBB156_482
.LBB156_528:
	s_trap 2
	s_or_b64 s[2:3], s[2:3], exec
	s_branch .LBB156_482
.LBB156_529:
	s_or_b64 s[6:7], s[6:7], exec
	s_trap 2
	s_branch .LBB156_486
.LBB156_530:
	s_trap 2
	s_or_b64 s[6:7], s[6:7], exec
	s_branch .LBB156_484
.LBB156_531:
	s_mov_b64 s[0:1], exec
	s_trap 2
	s_branch .LBB156_526
	.section	.rodata,"a",@progbits
	.p2align	6, 0x0
	.amdhsa_kernel _ZN2at6native6sbtopk10gatherTopKIlmLi1ELb0EEEvNS_4cuda6detail10TensorInfoIKT_T0_EES8_S8_bS8_S8_NS5_IS6_S8_EES8_NS5_IlS8_EES8_PS6_
		.amdhsa_group_segment_fixed_size 5152
		.amdhsa_private_segment_fixed_size 0
		.amdhsa_kernarg_size 1568
		.amdhsa_user_sgpr_count 6
		.amdhsa_user_sgpr_private_segment_buffer 1
		.amdhsa_user_sgpr_dispatch_ptr 0
		.amdhsa_user_sgpr_queue_ptr 0
		.amdhsa_user_sgpr_kernarg_segment_ptr 1
		.amdhsa_user_sgpr_dispatch_id 0
		.amdhsa_user_sgpr_flat_scratch_init 0
		.amdhsa_user_sgpr_private_segment_size 0
		.amdhsa_uses_dynamic_stack 0
		.amdhsa_system_sgpr_private_segment_wavefront_offset 0
		.amdhsa_system_sgpr_workgroup_id_x 1
		.amdhsa_system_sgpr_workgroup_id_y 1
		.amdhsa_system_sgpr_workgroup_id_z 1
		.amdhsa_system_sgpr_workgroup_info 0
		.amdhsa_system_vgpr_workitem_id 0
		.amdhsa_next_free_vgpr 57
		.amdhsa_next_free_sgpr 96
		.amdhsa_reserve_vcc 1
		.amdhsa_reserve_flat_scratch 0
		.amdhsa_float_round_mode_32 0
		.amdhsa_float_round_mode_16_64 0
		.amdhsa_float_denorm_mode_32 3
		.amdhsa_float_denorm_mode_16_64 3
		.amdhsa_dx10_clamp 1
		.amdhsa_ieee_mode 1
		.amdhsa_fp16_overflow 0
		.amdhsa_exception_fp_ieee_invalid_op 0
		.amdhsa_exception_fp_denorm_src 0
		.amdhsa_exception_fp_ieee_div_zero 0
		.amdhsa_exception_fp_ieee_overflow 0
		.amdhsa_exception_fp_ieee_underflow 0
		.amdhsa_exception_fp_ieee_inexact 0
		.amdhsa_exception_int_div_zero 0
	.end_amdhsa_kernel
	.section	.text._ZN2at6native6sbtopk10gatherTopKIlmLi1ELb0EEEvNS_4cuda6detail10TensorInfoIKT_T0_EES8_S8_bS8_S8_NS5_IS6_S8_EES8_NS5_IlS8_EES8_PS6_,"axG",@progbits,_ZN2at6native6sbtopk10gatherTopKIlmLi1ELb0EEEvNS_4cuda6detail10TensorInfoIKT_T0_EES8_S8_bS8_S8_NS5_IS6_S8_EES8_NS5_IlS8_EES8_PS6_,comdat
.Lfunc_end156:
	.size	_ZN2at6native6sbtopk10gatherTopKIlmLi1ELb0EEEvNS_4cuda6detail10TensorInfoIKT_T0_EES8_S8_bS8_S8_NS5_IS6_S8_EES8_NS5_IlS8_EES8_PS6_, .Lfunc_end156-_ZN2at6native6sbtopk10gatherTopKIlmLi1ELb0EEEvNS_4cuda6detail10TensorInfoIKT_T0_EES8_S8_bS8_S8_NS5_IS6_S8_EES8_NS5_IlS8_EES8_PS6_
                                        ; -- End function
	.set _ZN2at6native6sbtopk10gatherTopKIlmLi1ELb0EEEvNS_4cuda6detail10TensorInfoIKT_T0_EES8_S8_bS8_S8_NS5_IS6_S8_EES8_NS5_IlS8_EES8_PS6_.num_vgpr, 57
	.set _ZN2at6native6sbtopk10gatherTopKIlmLi1ELb0EEEvNS_4cuda6detail10TensorInfoIKT_T0_EES8_S8_bS8_S8_NS5_IS6_S8_EES8_NS5_IlS8_EES8_PS6_.num_agpr, 0
	.set _ZN2at6native6sbtopk10gatherTopKIlmLi1ELb0EEEvNS_4cuda6detail10TensorInfoIKT_T0_EES8_S8_bS8_S8_NS5_IS6_S8_EES8_NS5_IlS8_EES8_PS6_.numbered_sgpr, 96
	.set _ZN2at6native6sbtopk10gatherTopKIlmLi1ELb0EEEvNS_4cuda6detail10TensorInfoIKT_T0_EES8_S8_bS8_S8_NS5_IS6_S8_EES8_NS5_IlS8_EES8_PS6_.num_named_barrier, 0
	.set _ZN2at6native6sbtopk10gatherTopKIlmLi1ELb0EEEvNS_4cuda6detail10TensorInfoIKT_T0_EES8_S8_bS8_S8_NS5_IS6_S8_EES8_NS5_IlS8_EES8_PS6_.private_seg_size, 0
	.set _ZN2at6native6sbtopk10gatherTopKIlmLi1ELb0EEEvNS_4cuda6detail10TensorInfoIKT_T0_EES8_S8_bS8_S8_NS5_IS6_S8_EES8_NS5_IlS8_EES8_PS6_.uses_vcc, 1
	.set _ZN2at6native6sbtopk10gatherTopKIlmLi1ELb0EEEvNS_4cuda6detail10TensorInfoIKT_T0_EES8_S8_bS8_S8_NS5_IS6_S8_EES8_NS5_IlS8_EES8_PS6_.uses_flat_scratch, 0
	.set _ZN2at6native6sbtopk10gatherTopKIlmLi1ELb0EEEvNS_4cuda6detail10TensorInfoIKT_T0_EES8_S8_bS8_S8_NS5_IS6_S8_EES8_NS5_IlS8_EES8_PS6_.has_dyn_sized_stack, 0
	.set _ZN2at6native6sbtopk10gatherTopKIlmLi1ELb0EEEvNS_4cuda6detail10TensorInfoIKT_T0_EES8_S8_bS8_S8_NS5_IS6_S8_EES8_NS5_IlS8_EES8_PS6_.has_recursion, 0
	.set _ZN2at6native6sbtopk10gatherTopKIlmLi1ELb0EEEvNS_4cuda6detail10TensorInfoIKT_T0_EES8_S8_bS8_S8_NS5_IS6_S8_EES8_NS5_IlS8_EES8_PS6_.has_indirect_call, 0
	.section	.AMDGPU.csdata,"",@progbits
; Kernel info:
; codeLenInByte = 25868
; TotalNumSgprs: 100
; NumVgprs: 57
; ScratchSize: 0
; MemoryBound: 0
; FloatMode: 240
; IeeeMode: 1
; LDSByteSize: 5152 bytes/workgroup (compile time only)
; SGPRBlocks: 12
; VGPRBlocks: 14
; NumSGPRsForWavesPerEU: 100
; NumVGPRsForWavesPerEU: 57
; Occupancy: 4
; WaveLimiterHint : 1
; COMPUTE_PGM_RSRC2:SCRATCH_EN: 0
; COMPUTE_PGM_RSRC2:USER_SGPR: 6
; COMPUTE_PGM_RSRC2:TRAP_HANDLER: 0
; COMPUTE_PGM_RSRC2:TGID_X_EN: 1
; COMPUTE_PGM_RSRC2:TGID_Y_EN: 1
; COMPUTE_PGM_RSRC2:TGID_Z_EN: 1
; COMPUTE_PGM_RSRC2:TIDIG_COMP_CNT: 0
	.section	.text._ZN2at6native6mbtopk23computeBlockDigitCountsIlmmLi2EEEvNS_4cuda6detail10TensorInfoIKT_T0_EEjPjjS8_iijT1_PSB_Ps,"axG",@progbits,_ZN2at6native6mbtopk23computeBlockDigitCountsIlmmLi2EEEvNS_4cuda6detail10TensorInfoIKT_T0_EEjPjjS8_iijT1_PSB_Ps,comdat
	.protected	_ZN2at6native6mbtopk23computeBlockDigitCountsIlmmLi2EEEvNS_4cuda6detail10TensorInfoIKT_T0_EEjPjjS8_iijT1_PSB_Ps ; -- Begin function _ZN2at6native6mbtopk23computeBlockDigitCountsIlmmLi2EEEvNS_4cuda6detail10TensorInfoIKT_T0_EEjPjjS8_iijT1_PSB_Ps
	.globl	_ZN2at6native6mbtopk23computeBlockDigitCountsIlmmLi2EEEvNS_4cuda6detail10TensorInfoIKT_T0_EEjPjjS8_iijT1_PSB_Ps
	.p2align	8
	.type	_ZN2at6native6mbtopk23computeBlockDigitCountsIlmmLi2EEEvNS_4cuda6detail10TensorInfoIKT_T0_EEjPjjS8_iijT1_PSB_Ps,@function
_ZN2at6native6mbtopk23computeBlockDigitCountsIlmmLi2EEEvNS_4cuda6detail10TensorInfoIKT_T0_EEjPjjS8_iijT1_PSB_Ps: ; @_ZN2at6native6mbtopk23computeBlockDigitCountsIlmmLi2EEEvNS_4cuda6detail10TensorInfoIKT_T0_EEjPjjS8_iijT1_PSB_Ps
; %bb.0:
	s_load_dwordx4 s[0:3], s[4:5], 0x1c0
	s_load_dwordx2 s[10:11], s[4:5], 0x1e8
	s_waitcnt lgkmcnt(0)
	s_load_dword s3, s[4:5], 0x1b0
	s_mov_b32 s13, 0
	v_cvt_f32_u32_e32 v1, s2
	s_mul_i32 s8, s11, s8
	s_add_i32 s7, s8, s7
	s_mul_i32 s20, s7, s10
	v_rcp_iflag_f32_e32 v1, v1
	s_sub_i32 s9, 0, s2
	s_add_i32 s20, s20, s6
	v_mul_f32_e32 v1, 0x4f7ffffe, v1
	v_cvt_u32_f32_e32 v1, v1
	v_readfirstlane_b32 s6, v1
	s_mul_i32 s9, s9, s6
	s_mul_hi_u32 s7, s6, s9
	s_add_i32 s6, s6, s7
	s_mul_hi_u32 s6, s20, s6
	s_mul_i32 s7, s6, s2
	s_sub_i32 s7, s20, s7
	s_add_i32 s8, s6, 1
	s_sub_i32 s9, s7, s2
	s_cmp_ge_u32 s7, s2
	s_cselect_b32 s6, s8, s6
	s_cselect_b32 s7, s9, s7
	s_add_i32 s8, s6, 1
	s_cmp_ge_u32 s7, s2
	s_cselect_b32 s12, s8, s6
	s_waitcnt lgkmcnt(0)
	s_cmp_ge_u32 s12, s3
	s_cbranch_scc1 .LBB157_23
; %bb.1:
	s_load_dwordx4 s[8:11], s[4:5], 0x1d0
	s_load_dwordx2 s[14:15], s[4:5], 0x10
	s_load_dwordx2 s[6:7], s[4:5], 0x1e0
	s_lshl_b64 s[16:17], s[12:13], 3
	s_waitcnt lgkmcnt(0)
	s_add_u32 s10, s10, s16
	v_mov_b32_e32 v1, s14
	v_mov_b32_e32 v2, s15
	v_cmp_lt_u64_e32 vcc, s[12:13], v[1:2]
	s_addc_u32 s11, s11, s17
	s_mov_b64 s[16:17], 0
	s_cbranch_vccnz .LBB157_3
; %bb.2:
	v_cvt_f32_u32_e32 v1, s14
	s_sub_i32 s3, 0, s14
	v_rcp_iflag_f32_e32 v1, v1
	v_mul_f32_e32 v1, 0x4f7ffffe, v1
	v_cvt_u32_f32_e32 v1, v1
	v_readfirstlane_b32 s13, v1
	s_mul_i32 s3, s3, s13
	s_mul_hi_u32 s3, s13, s3
	s_add_i32 s13, s13, s3
	s_mul_hi_u32 s3, s12, s13
	s_mul_i32 s16, s3, s14
	s_sub_i32 s16, s12, s16
	s_add_i32 s13, s3, 1
	s_sub_i32 s17, s16, s14
	s_cmp_ge_u32 s16, s14
	s_cselect_b32 s3, s13, s3
	s_cselect_b32 s16, s17, s16
	s_add_i32 s13, s3, 1
	s_cmp_ge_u32 s16, s14
	s_cselect_b32 s16, s13, s3
.LBB157_3:
	s_movk_i32 s3, 0x100
	v_cmp_gt_u32_e32 vcc, s3, v0
	v_lshlrev_b32_e32 v3, 2, v0
	s_and_saveexec_b64 s[18:19], vcc
; %bb.4:
	v_mov_b32_e32 v1, 0
	ds_write_b32 v3, v1
; %bb.5:
	s_or_b64 exec, exec, s[18:19]
	s_load_dword s13, s[4:5], 0x1a0
	s_mul_i32 s3, s12, s2
	s_sub_i32 s3, s20, s3
	s_add_i32 s17, s3, 1
	s_mul_i32 s3, s1, s3
	s_lshl_b32 s18, s3, 8
	s_waitcnt lgkmcnt(0)
	s_sub_i32 s3, s13, s18
	s_add_u32 s22, s3, 0xff
	s_addc_u32 s23, 0, 0
	s_lshr_b64 s[22:23], s[22:23], 8
	s_cmp_lt_u32 s17, s2
	s_cselect_b32 s17, s1, s22
	s_cmp_lt_i32 s17, 1
	s_mov_b32 s1, 0
	s_barrier
	s_cbranch_scc1 .LBB157_21
; %bb.6:
	s_load_dwordx2 s[2:3], s[10:11], 0x0
	s_load_dwordx2 s[22:23], s[4:5], 0x0
	s_load_dwordx4 s[24:27], s[4:5], 0xd0
	s_mul_i32 s10, s16, s15
	s_mul_hi_u32 s11, s16, s14
	s_add_i32 s11, s11, s10
	s_mul_i32 s10, s16, s14
	s_sub_u32 s10, s12, s10
	s_subb_u32 s11, 0, s11
	s_waitcnt lgkmcnt(0)
	s_mul_i32 s12, s10, s27
	s_mul_hi_u32 s14, s10, s26
	s_add_i32 s12, s14, s12
	s_mul_i32 s11, s11, s26
	s_add_i32 s11, s12, s11
	s_mul_i32 s12, s16, s25
	s_mul_hi_u32 s14, s16, s24
	s_add_i32 s15, s14, s12
	s_mul_i32 s14, s16, s24
	s_lshl_b64 s[14:15], s[14:15], 3
	s_mul_i32 s10, s10, s26
	s_add_u32 s12, s22, s14
	s_load_dwordx2 s[4:5], s[4:5], 0x1b8
	s_addc_u32 s15, s23, s15
	s_lshl_b64 s[10:11], s[10:11], 3
	s_add_u32 s14, s12, s10
	s_addc_u32 s15, s15, s11
	s_and_b32 s12, s0, 0xff
	s_cmp_eq_u32 s17, 1
	v_add_u32_e32 v4, s18, v0
	s_cbranch_scc1 .LBB157_16
; %bb.7:
	s_and_b32 s16, s17, 0x7ffffffe
	s_mov_b32 s18, 0
	v_mov_b32_e32 v5, 1
	v_mov_b32_e32 v6, 2
	;; [unrolled: 1-line block ×3, first 2 shown]
	s_branch .LBB157_9
.LBB157_8:                              ;   in Loop: Header=BB157_9 Depth=1
	s_or_b64 exec, exec, s[10:11]
	s_add_i32 s18, s18, 2
	s_cmp_eq_u32 s16, s18
	v_add_u32_e32 v7, 0x200, v7
	s_cbranch_scc1 .LBB157_15
.LBB157_9:                              ; =>This Inner Loop Header: Depth=1
	v_cmp_gt_u32_e64 s[0:1], s13, v7
	s_and_saveexec_b64 s[10:11], s[0:1]
	s_cbranch_execz .LBB157_12
; %bb.10:                               ;   in Loop: Header=BB157_9 Depth=1
	s_waitcnt lgkmcnt(0)
	v_mad_u64_u32 v[1:2], s[0:1], s4, v7, 0
	v_mad_u64_u32 v[8:9], s[0:1], s5, v7, v[2:3]
	v_mov_b32_e32 v9, s15
	v_mov_b32_e32 v2, v8
	v_lshlrev_b64 v[1:2], 3, v[1:2]
	v_add_co_u32_e64 v1, s[0:1], s14, v1
	v_addc_co_u32_e64 v2, s[0:1], v9, v2, s[0:1]
	global_load_dwordx2 v[1:2], v[1:2], off
	s_waitcnt vmcnt(0)
	v_xor_b32_e32 v2, 0x80000000, v2
	v_xor_b32_e32 v8, s2, v1
	;; [unrolled: 1-line block ×3, first 2 shown]
	v_and_b32_e32 v9, s9, v9
	v_and_b32_e32 v8, s8, v8
	v_cmp_eq_u64_e64 s[0:1], 0, v[8:9]
	s_and_b64 exec, exec, s[0:1]
; %bb.11:                               ;   in Loop: Header=BB157_9 Depth=1
	v_lshrrev_b64 v[1:2], s12, v[1:2]
	v_lshlrev_b32_sdwa v1, v6, v1 dst_sel:DWORD dst_unused:UNUSED_PAD src0_sel:DWORD src1_sel:BYTE_0
	ds_add_u32 v1, v5
.LBB157_12:                             ;   in Loop: Header=BB157_9 Depth=1
	s_or_b64 exec, exec, s[10:11]
	v_add_u32_e32 v1, 0x100, v7
	v_cmp_gt_u32_e64 s[0:1], s13, v1
	s_and_saveexec_b64 s[10:11], s[0:1]
	s_cbranch_execz .LBB157_8
; %bb.13:                               ;   in Loop: Header=BB157_9 Depth=1
	s_waitcnt lgkmcnt(0)
	v_mad_u64_u32 v[8:9], s[0:1], s4, v1, 0
	v_mov_b32_e32 v10, s15
	v_mov_b32_e32 v2, v9
	v_mad_u64_u32 v[1:2], s[0:1], s5, v1, v[2:3]
	v_mov_b32_e32 v9, v1
	v_lshlrev_b64 v[1:2], 3, v[8:9]
	v_add_co_u32_e64 v1, s[0:1], s14, v1
	v_addc_co_u32_e64 v2, s[0:1], v10, v2, s[0:1]
	global_load_dwordx2 v[1:2], v[1:2], off
	s_waitcnt vmcnt(0)
	v_xor_b32_e32 v2, 0x80000000, v2
	v_xor_b32_e32 v8, s2, v1
	;; [unrolled: 1-line block ×3, first 2 shown]
	v_and_b32_e32 v9, s9, v9
	v_and_b32_e32 v8, s8, v8
	v_cmp_eq_u64_e64 s[0:1], 0, v[8:9]
	s_and_b64 exec, exec, s[0:1]
	s_cbranch_execz .LBB157_8
; %bb.14:                               ;   in Loop: Header=BB157_9 Depth=1
	v_lshrrev_b64 v[1:2], s12, v[1:2]
	v_lshlrev_b32_sdwa v1, v6, v1 dst_sel:DWORD dst_unused:UNUSED_PAD src0_sel:DWORD src1_sel:BYTE_0
	ds_add_u32 v1, v5
	s_branch .LBB157_8
.LBB157_15:
	s_lshl_b32 s1, s16, 8
.LBB157_16:
	s_bitcmp0_b32 s17, 0
	s_cbranch_scc1 .LBB157_21
; %bb.17:
	v_add_u32_e32 v1, s1, v4
	v_cmp_gt_u32_e64 s[0:1], s13, v1
	s_and_saveexec_b64 s[10:11], s[0:1]
	s_cbranch_execz .LBB157_20
; %bb.18:
	s_waitcnt lgkmcnt(0)
	v_mad_u64_u32 v[4:5], s[0:1], s4, v1, 0
	v_mov_b32_e32 v6, s15
	v_mov_b32_e32 v2, v5
	v_mad_u64_u32 v[1:2], s[0:1], s5, v1, v[2:3]
	v_mov_b32_e32 v5, v1
	v_lshlrev_b64 v[1:2], 3, v[4:5]
	v_add_co_u32_e64 v1, s[0:1], s14, v1
	v_addc_co_u32_e64 v2, s[0:1], v6, v2, s[0:1]
	global_load_dwordx2 v[1:2], v[1:2], off
	s_waitcnt vmcnt(0)
	v_xor_b32_e32 v2, 0x80000000, v2
	v_xor_b32_e32 v4, s2, v1
	;; [unrolled: 1-line block ×3, first 2 shown]
	v_and_b32_e32 v5, s9, v5
	v_and_b32_e32 v4, s8, v4
	v_cmp_eq_u64_e64 s[0:1], 0, v[4:5]
	s_and_b64 exec, exec, s[0:1]
	s_cbranch_execz .LBB157_20
; %bb.19:
	v_lshrrev_b64 v[1:2], s12, v[1:2]
	v_mov_b32_e32 v2, 2
	v_lshlrev_b32_sdwa v1, v2, v1 dst_sel:DWORD dst_unused:UNUSED_PAD src0_sel:DWORD src1_sel:BYTE_0
	v_mov_b32_e32 v2, 1
	ds_add_u32 v1, v2
.LBB157_20:
	s_or_b64 exec, exec, s[10:11]
.LBB157_21:
	s_waitcnt lgkmcnt(0)
	s_barrier
	s_and_saveexec_b64 s[0:1], vcc
	s_cbranch_execz .LBB157_23
; %bb.22:
	v_lshl_or_b32 v0, s20, 8, v0
	v_mov_b32_e32 v1, 0
	ds_read_b32 v3, v3
	v_lshlrev_b64 v[0:1], 1, v[0:1]
	v_mov_b32_e32 v2, s7
	v_add_co_u32_e32 v0, vcc, s6, v0
	v_addc_co_u32_e32 v1, vcc, v2, v1, vcc
	s_waitcnt lgkmcnt(0)
	global_store_short v[0:1], v3, off
.LBB157_23:
	s_endpgm
	.section	.rodata,"a",@progbits
	.p2align	6, 0x0
	.amdhsa_kernel _ZN2at6native6mbtopk23computeBlockDigitCountsIlmmLi2EEEvNS_4cuda6detail10TensorInfoIKT_T0_EEjPjjS8_iijT1_PSB_Ps
		.amdhsa_group_segment_fixed_size 1024
		.amdhsa_private_segment_fixed_size 0
		.amdhsa_kernarg_size 744
		.amdhsa_user_sgpr_count 6
		.amdhsa_user_sgpr_private_segment_buffer 1
		.amdhsa_user_sgpr_dispatch_ptr 0
		.amdhsa_user_sgpr_queue_ptr 0
		.amdhsa_user_sgpr_kernarg_segment_ptr 1
		.amdhsa_user_sgpr_dispatch_id 0
		.amdhsa_user_sgpr_flat_scratch_init 0
		.amdhsa_user_sgpr_private_segment_size 0
		.amdhsa_uses_dynamic_stack 0
		.amdhsa_system_sgpr_private_segment_wavefront_offset 0
		.amdhsa_system_sgpr_workgroup_id_x 1
		.amdhsa_system_sgpr_workgroup_id_y 1
		.amdhsa_system_sgpr_workgroup_id_z 1
		.amdhsa_system_sgpr_workgroup_info 0
		.amdhsa_system_vgpr_workitem_id 0
		.amdhsa_next_free_vgpr 11
		.amdhsa_next_free_sgpr 28
		.amdhsa_reserve_vcc 1
		.amdhsa_reserve_flat_scratch 0
		.amdhsa_float_round_mode_32 0
		.amdhsa_float_round_mode_16_64 0
		.amdhsa_float_denorm_mode_32 3
		.amdhsa_float_denorm_mode_16_64 3
		.amdhsa_dx10_clamp 1
		.amdhsa_ieee_mode 1
		.amdhsa_fp16_overflow 0
		.amdhsa_exception_fp_ieee_invalid_op 0
		.amdhsa_exception_fp_denorm_src 0
		.amdhsa_exception_fp_ieee_div_zero 0
		.amdhsa_exception_fp_ieee_overflow 0
		.amdhsa_exception_fp_ieee_underflow 0
		.amdhsa_exception_fp_ieee_inexact 0
		.amdhsa_exception_int_div_zero 0
	.end_amdhsa_kernel
	.section	.text._ZN2at6native6mbtopk23computeBlockDigitCountsIlmmLi2EEEvNS_4cuda6detail10TensorInfoIKT_T0_EEjPjjS8_iijT1_PSB_Ps,"axG",@progbits,_ZN2at6native6mbtopk23computeBlockDigitCountsIlmmLi2EEEvNS_4cuda6detail10TensorInfoIKT_T0_EEjPjjS8_iijT1_PSB_Ps,comdat
.Lfunc_end157:
	.size	_ZN2at6native6mbtopk23computeBlockDigitCountsIlmmLi2EEEvNS_4cuda6detail10TensorInfoIKT_T0_EEjPjjS8_iijT1_PSB_Ps, .Lfunc_end157-_ZN2at6native6mbtopk23computeBlockDigitCountsIlmmLi2EEEvNS_4cuda6detail10TensorInfoIKT_T0_EEjPjjS8_iijT1_PSB_Ps
                                        ; -- End function
	.set _ZN2at6native6mbtopk23computeBlockDigitCountsIlmmLi2EEEvNS_4cuda6detail10TensorInfoIKT_T0_EEjPjjS8_iijT1_PSB_Ps.num_vgpr, 11
	.set _ZN2at6native6mbtopk23computeBlockDigitCountsIlmmLi2EEEvNS_4cuda6detail10TensorInfoIKT_T0_EEjPjjS8_iijT1_PSB_Ps.num_agpr, 0
	.set _ZN2at6native6mbtopk23computeBlockDigitCountsIlmmLi2EEEvNS_4cuda6detail10TensorInfoIKT_T0_EEjPjjS8_iijT1_PSB_Ps.numbered_sgpr, 28
	.set _ZN2at6native6mbtopk23computeBlockDigitCountsIlmmLi2EEEvNS_4cuda6detail10TensorInfoIKT_T0_EEjPjjS8_iijT1_PSB_Ps.num_named_barrier, 0
	.set _ZN2at6native6mbtopk23computeBlockDigitCountsIlmmLi2EEEvNS_4cuda6detail10TensorInfoIKT_T0_EEjPjjS8_iijT1_PSB_Ps.private_seg_size, 0
	.set _ZN2at6native6mbtopk23computeBlockDigitCountsIlmmLi2EEEvNS_4cuda6detail10TensorInfoIKT_T0_EEjPjjS8_iijT1_PSB_Ps.uses_vcc, 1
	.set _ZN2at6native6mbtopk23computeBlockDigitCountsIlmmLi2EEEvNS_4cuda6detail10TensorInfoIKT_T0_EEjPjjS8_iijT1_PSB_Ps.uses_flat_scratch, 0
	.set _ZN2at6native6mbtopk23computeBlockDigitCountsIlmmLi2EEEvNS_4cuda6detail10TensorInfoIKT_T0_EEjPjjS8_iijT1_PSB_Ps.has_dyn_sized_stack, 0
	.set _ZN2at6native6mbtopk23computeBlockDigitCountsIlmmLi2EEEvNS_4cuda6detail10TensorInfoIKT_T0_EEjPjjS8_iijT1_PSB_Ps.has_recursion, 0
	.set _ZN2at6native6mbtopk23computeBlockDigitCountsIlmmLi2EEEvNS_4cuda6detail10TensorInfoIKT_T0_EEjPjjS8_iijT1_PSB_Ps.has_indirect_call, 0
	.section	.AMDGPU.csdata,"",@progbits
; Kernel info:
; codeLenInByte = 1144
; TotalNumSgprs: 32
; NumVgprs: 11
; ScratchSize: 0
; MemoryBound: 0
; FloatMode: 240
; IeeeMode: 1
; LDSByteSize: 1024 bytes/workgroup (compile time only)
; SGPRBlocks: 3
; VGPRBlocks: 2
; NumSGPRsForWavesPerEU: 32
; NumVGPRsForWavesPerEU: 11
; Occupancy: 10
; WaveLimiterHint : 1
; COMPUTE_PGM_RSRC2:SCRATCH_EN: 0
; COMPUTE_PGM_RSRC2:USER_SGPR: 6
; COMPUTE_PGM_RSRC2:TRAP_HANDLER: 0
; COMPUTE_PGM_RSRC2:TGID_X_EN: 1
; COMPUTE_PGM_RSRC2:TGID_Y_EN: 1
; COMPUTE_PGM_RSRC2:TGID_Z_EN: 1
; COMPUTE_PGM_RSRC2:TIDIG_COMP_CNT: 0
	.section	.text._ZN2at6native6mbtopk10gatherTopKIlmLi2EEEvNS_4cuda6detail10TensorInfoIKT_T0_EES8_S8_bjS8_NS5_IS6_S8_EES8_NS5_IlS8_EES8_jjPS6_PjSD_j,"axG",@progbits,_ZN2at6native6mbtopk10gatherTopKIlmLi2EEEvNS_4cuda6detail10TensorInfoIKT_T0_EES8_S8_bjS8_NS5_IS6_S8_EES8_NS5_IlS8_EES8_jjPS6_PjSD_j,comdat
	.protected	_ZN2at6native6mbtopk10gatherTopKIlmLi2EEEvNS_4cuda6detail10TensorInfoIKT_T0_EES8_S8_bjS8_NS5_IS6_S8_EES8_NS5_IlS8_EES8_jjPS6_PjSD_j ; -- Begin function _ZN2at6native6mbtopk10gatherTopKIlmLi2EEEvNS_4cuda6detail10TensorInfoIKT_T0_EES8_S8_bjS8_NS5_IS6_S8_EES8_NS5_IlS8_EES8_jjPS6_PjSD_j
	.globl	_ZN2at6native6mbtopk10gatherTopKIlmLi2EEEvNS_4cuda6detail10TensorInfoIKT_T0_EES8_S8_bjS8_NS5_IS6_S8_EES8_NS5_IlS8_EES8_jjPS6_PjSD_j
	.p2align	8
	.type	_ZN2at6native6mbtopk10gatherTopKIlmLi2EEEvNS_4cuda6detail10TensorInfoIKT_T0_EES8_S8_bjS8_NS5_IS6_S8_EES8_NS5_IlS8_EES8_jjPS6_PjSD_j,@function
_ZN2at6native6mbtopk10gatherTopKIlmLi2EEEvNS_4cuda6detail10TensorInfoIKT_T0_EES8_S8_bjS8_NS5_IS6_S8_EES8_NS5_IlS8_EES8_jjPS6_PjSD_j: ; @_ZN2at6native6mbtopk10gatherTopKIlmLi2EEEvNS_4cuda6detail10TensorInfoIKT_T0_EES8_S8_bjS8_NS5_IS6_S8_EES8_NS5_IlS8_EES8_jjPS6_PjSD_j
; %bb.0:
	s_load_dwordx2 s[0:1], s[4:5], 0x538
	s_load_dword s2, s[4:5], 0x530
	s_waitcnt lgkmcnt(0)
	s_mul_i32 s1, s1, s8
	s_add_i32 s1, s1, s7
	s_mul_i32 s0, s1, s0
	s_add_i32 s0, s0, s6
	s_cmp_ge_u32 s0, s2
	s_cbranch_scc1 .LBB158_48
; %bb.1:
	s_load_dwordx2 s[34:35], s[4:5], 0x510
	s_load_dwordx2 s[40:41], s[4:5], 0x1d0
	s_load_dwordx4 s[8:11], s[4:5], 0x1a0
	s_load_dwordx2 s[38:39], s[4:5], 0x10
	s_mov_b32 s7, 0
	s_waitcnt lgkmcnt(0)
	v_cvt_f32_u32_e32 v1, s35
	s_sub_i32 s2, 0, s35
	s_lshl_b32 s1, s34, 8
	v_rcp_iflag_f32_e32 v1, v1
	v_mul_f32_e32 v1, 0x4f7ffffe, v1
	v_cvt_u32_f32_e32 v1, v1
	v_readfirstlane_b32 s3, v1
	s_mul_i32 s2, s2, s3
	s_mul_hi_u32 s2, s3, s2
	s_add_i32 s3, s3, s2
	s_mul_hi_u32 s2, s0, s3
	s_mul_i32 s3, s2, s35
	s_sub_i32 s3, s0, s3
	s_add_i32 s6, s2, 1
	s_sub_i32 s12, s3, s35
	s_cmp_ge_u32 s3, s35
	s_cselect_b32 s2, s6, s2
	s_cselect_b32 s3, s12, s3
	s_add_i32 s6, s2, 1
	s_cmp_ge_u32 s3, s35
	s_cselect_b32 s6, s6, s2
	s_mul_i32 s20, s6, s35
	s_sub_i32 s28, s0, s20
	s_add_i32 s0, s28, 1
	s_cmp_lt_u32 s0, s35
	s_mul_i32 s33, s28, s1
	s_cbranch_scc1 .LBB158_3
; %bb.2:
	s_sub_u32 s0, s8, s33
	s_subb_u32 s1, s9, 0
	s_add_u32 s0, s0, 0xff
	s_addc_u32 s1, s1, 0
	s_ashr_i32 s2, s1, 31
	s_lshr_b32 s2, s2, 24
	s_add_u32 s0, s0, s2
	s_addc_u32 s1, s1, 0
	s_lshr_b64 s[0:1], s[0:1], 8
	s_mov_b32 s34, s0
.LBB158_3:
	s_load_dwordx2 s[42:43], s[4:5], 0x378
	v_mov_b32_e32 v1, s38
	v_mov_b32_e32 v2, s39
	v_cmp_lt_u64_e32 vcc, s[6:7], v[1:2]
	s_mov_b64 s[46:47], 0
	s_mov_b64 s[44:45], 0
	s_cbranch_vccnz .LBB158_5
; %bb.4:
	v_cvt_f32_u32_e32 v1, s38
	s_sub_i32 s0, 0, s38
	v_rcp_iflag_f32_e32 v1, v1
	v_mul_f32_e32 v1, 0x4f7ffffe, v1
	v_cvt_u32_f32_e32 v1, v1
	v_readfirstlane_b32 s1, v1
	s_mul_i32 s0, s0, s1
	s_mul_hi_u32 s0, s1, s0
	s_add_i32 s1, s1, s0
	s_mul_hi_u32 s0, s6, s1
	s_mul_i32 s2, s0, s38
	s_sub_i32 s2, s6, s2
	s_add_i32 s1, s0, 1
	s_sub_i32 s3, s2, s38
	s_cmp_ge_u32 s2, s38
	s_cselect_b32 s0, s1, s0
	s_cselect_b32 s2, s3, s2
	s_add_i32 s1, s0, 1
	s_cmp_ge_u32 s2, s38
	s_cselect_b32 s44, s1, s0
.LBB158_5:
	v_mov_b32_e32 v1, s40
	v_mov_b32_e32 v2, s41
	v_cmp_lt_u64_e32 vcc, s[6:7], v[1:2]
	s_cbranch_vccnz .LBB158_7
; %bb.6:
	v_cvt_f32_u32_e32 v1, s40
	s_sub_i32 s0, 0, s40
	v_rcp_iflag_f32_e32 v1, v1
	v_mul_f32_e32 v1, 0x4f7ffffe, v1
	v_cvt_u32_f32_e32 v1, v1
	v_readfirstlane_b32 s1, v1
	s_mul_i32 s0, s0, s1
	s_mul_hi_u32 s0, s1, s0
	s_add_i32 s1, s1, s0
	s_mul_hi_u32 s0, s6, s1
	s_mul_i32 s2, s0, s40
	s_sub_i32 s2, s6, s2
	s_add_i32 s1, s0, 1
	s_sub_i32 s3, s2, s40
	s_cmp_ge_u32 s2, s40
	s_cselect_b32 s0, s1, s0
	s_cselect_b32 s2, s3, s2
	s_add_i32 s1, s0, 1
	s_cmp_ge_u32 s2, s40
	s_cselect_b32 s46, s1, s0
.LBB158_7:
	s_waitcnt lgkmcnt(0)
	v_mov_b32_e32 v1, s42
	v_mov_b32_e32 v2, s43
	v_cmp_lt_u64_e32 vcc, s[6:7], v[1:2]
	s_mov_b64 s[48:49], 0
	s_cbranch_vccnz .LBB158_9
; %bb.8:
	v_cvt_f32_u32_e32 v1, s42
	s_sub_i32 s0, 0, s42
	v_rcp_iflag_f32_e32 v1, v1
	v_mul_f32_e32 v1, 0x4f7ffffe, v1
	v_cvt_u32_f32_e32 v1, v1
	v_readfirstlane_b32 s1, v1
	s_mul_i32 s0, s0, s1
	s_mul_hi_u32 s0, s1, s0
	s_add_i32 s1, s1, s0
	s_mul_hi_u32 s0, s6, s1
	s_mul_i32 s2, s0, s42
	s_sub_i32 s2, s6, s2
	s_add_i32 s1, s0, 1
	s_sub_i32 s3, s2, s42
	s_cmp_ge_u32 s2, s42
	s_cselect_b32 s0, s1, s0
	s_cselect_b32 s2, s3, s2
	s_add_i32 s1, s0, 1
	s_cmp_ge_u32 s2, s42
	s_cselect_b32 s48, s1, s0
.LBB158_9:
	s_load_dwordx4 s[12:15], s[4:5], 0x518
	s_load_dwordx2 s[50:51], s[4:5], 0x0
	s_lshl_b64 s[0:1], s[6:7], 3
	s_mov_b32 s21, 0
	v_cmp_eq_u32_e64 s[2:3], 0, v0
	s_waitcnt lgkmcnt(0)
	s_add_u32 s0, s12, s0
	s_addc_u32 s1, s13, s1
	s_load_dwordx2 s[36:37], s[0:1], 0x0
	v_cmp_ne_u32_e64 s[0:1], 0, v0
	s_and_saveexec_b64 s[12:13], s[2:3]
	s_cbranch_execz .LBB158_25
; %bb.10:
	s_load_dwordx2 s[22:23], s[4:5], 0x528
	s_lshl_b64 s[24:25], s[20:21], 2
	s_add_u32 s16, s14, s24
	s_addc_u32 s17, s15, s25
	s_mov_b32 s20, 0
	s_waitcnt lgkmcnt(0)
	s_add_u32 s18, s22, s24
	s_addc_u32 s19, s23, s25
	s_cmp_lt_u32 s35, 4
	s_cbranch_scc1 .LBB158_22
; %bb.11:
	s_mov_b32 s29, 0
.LBB158_12:                             ; =>This Inner Loop Header: Depth=1
	s_add_u32 s26, s14, s24
	s_addc_u32 s27, s15, s25
	s_load_dwordx4 s[16:19], s[26:27], 0x0
	s_add_u32 s26, s22, s24
	s_addc_u32 s27, s23, s25
	s_cmp_ge_u32 s29, s28
	s_cbranch_scc0 .LBB158_19
; %bb.13:                               ;   in Loop: Header=BB158_12 Depth=1
	s_add_i32 s30, s29, 1
	s_cmp_ge_u32 s30, s28
	s_cbranch_scc0 .LBB158_20
.LBB158_14:                             ;   in Loop: Header=BB158_12 Depth=1
	s_add_i32 s30, s30, 1
	s_cmp_ge_u32 s30, s28
	s_cbranch_scc0 .LBB158_21
.LBB158_15:                             ;   in Loop: Header=BB158_12 Depth=1
	s_add_i32 s30, s30, 1
	s_cmp_ge_u32 s30, s28
	s_cbranch_scc1 .LBB158_17
.LBB158_16:                             ;   in Loop: Header=BB158_12 Depth=1
	s_load_dword s26, s[26:27], 0xc
	s_waitcnt lgkmcnt(0)
	s_add_i32 s21, s21, s19
	s_add_i32 s7, s26, s7
.LBB158_17:                             ;   in Loop: Header=BB158_12 Depth=1
	s_waitcnt lgkmcnt(0)
	s_add_i32 s16, s16, s20
	s_add_i32 s16, s16, s17
	;; [unrolled: 1-line block ×4, first 2 shown]
	s_add_u32 s14, s14, 16
	s_addc_u32 s15, s15, 0
	s_add_u32 s22, s22, 16
	s_addc_u32 s23, s23, 0
	s_add_i32 s27, s30, 4
	s_add_u32 s18, s22, s24
	s_addc_u32 s19, s23, s25
	s_add_u32 s16, s14, s24
	s_addc_u32 s17, s15, s25
	s_add_i32 s26, s30, 1
	s_cmp_ge_u32 s27, s35
	s_cbranch_scc1 .LBB158_23
; %bb.18:                               ;   in Loop: Header=BB158_12 Depth=1
	s_mov_b32 s29, s26
	s_branch .LBB158_12
.LBB158_19:                             ;   in Loop: Header=BB158_12 Depth=1
	s_load_dword s30, s[26:27], 0x0
	s_waitcnt lgkmcnt(0)
	s_add_i32 s21, s16, s21
	s_add_i32 s7, s30, s7
	;; [unrolled: 1-line block ×3, first 2 shown]
	s_cmp_ge_u32 s30, s28
	s_cbranch_scc1 .LBB158_14
.LBB158_20:                             ;   in Loop: Header=BB158_12 Depth=1
	s_load_dword s31, s[26:27], 0x4
	s_waitcnt lgkmcnt(0)
	s_add_i32 s21, s21, s17
	s_add_i32 s7, s31, s7
	;; [unrolled: 1-line block ×3, first 2 shown]
	s_cmp_ge_u32 s30, s28
	s_cbranch_scc1 .LBB158_15
.LBB158_21:                             ;   in Loop: Header=BB158_12 Depth=1
	s_load_dword s31, s[26:27], 0x8
	s_waitcnt lgkmcnt(0)
	s_add_i32 s21, s21, s18
	s_add_i32 s7, s31, s7
	;; [unrolled: 1-line block ×3, first 2 shown]
	s_cmp_ge_u32 s30, s28
	s_cbranch_scc0 .LBB158_16
	s_branch .LBB158_17
.LBB158_22:
	s_mov_b32 s14, 0
	s_cmp_ge_u32 s14, s35
	s_cbranch_scc0 .LBB158_46
	s_branch .LBB158_24
.LBB158_23:
	s_add_i32 s14, s29, 4
	s_cmp_ge_u32 s14, s35
	s_cbranch_scc0 .LBB158_46
.LBB158_24:
	v_mov_b32_e32 v1, s7
	v_mov_b32_e32 v2, s20
	;; [unrolled: 1-line block ×4, first 2 shown]
	ds_write_b96 v4, v[1:3] offset:1056
.LBB158_25:
	s_or_b64 exec, exec, s[12:13]
	s_load_dwordx4 s[12:15], s[4:5], 0x1b8
	s_load_dwordx4 s[24:27], s[4:5], 0xd0
	;; [unrolled: 1-line block ×5, first 2 shown]
	s_cmp_eq_u32 s34, 0
	s_waitcnt lgkmcnt(0)
	s_barrier
	s_cbranch_scc1 .LBB158_48
; %bb.26:
	s_mul_i32 s7, s46, s41
	s_mul_hi_u32 s35, s46, s40
	s_add_i32 s35, s35, s7
	s_mul_i32 s7, s46, s40
	s_sub_u32 s7, s6, s7
	s_subb_u32 s35, 0, s35
	s_mul_i32 s31, s7, s31
	s_mul_hi_u32 s40, s7, s30
	s_add_i32 s31, s40, s31
	s_mul_i32 s35, s35, s30
	s_mul_i32 s30, s7, s30
	;; [unrolled: 1-line block ×3, first 2 shown]
	s_mul_hi_u32 s29, s46, s28
	s_add_i32 s31, s31, s35
	s_add_i32 s29, s29, s7
	s_mul_i32 s7, s44, s39
	s_mul_hi_u32 s35, s44, s38
	s_add_i32 s35, s35, s7
	s_mul_i32 s7, s44, s38
	s_sub_u32 s7, s6, s7
	s_subb_u32 s35, 0, s35
	s_mul_i32 s27, s7, s27
	s_mul_hi_u32 s38, s7, s26
	s_add_i32 s27, s38, s27
	s_mul_i32 s35, s35, s26
	s_mul_i32 s26, s7, s26
	s_mul_i32 s7, s44, s25
	s_mul_hi_u32 s25, s44, s24
	s_add_i32 s27, s27, s35
	s_add_i32 s25, s25, s7
	s_mul_i32 s7, s48, s43
	s_mul_hi_u32 s35, s48, s42
	s_add_i32 s35, s35, s7
	s_mul_i32 s7, s48, s42
	s_sub_u32 s6, s6, s7
	s_subb_u32 s7, 0, s35
	s_mul_i32 s23, s6, s23
	s_mul_hi_u32 s35, s6, s22
	s_mul_i32 s24, s44, s24
	s_add_i32 s23, s35, s23
	s_mul_i32 s7, s7, s22
	s_mul_i32 s6, s6, s22
	;; [unrolled: 1-line block ×3, first 2 shown]
	s_mul_hi_u32 s22, s48, s20
	s_add_i32 s7, s23, s7
	s_add_i32 s21, s22, s21
	s_lshl_b64 s[22:23], s[24:25], 3
	s_add_u32 s24, s50, s22
	s_addc_u32 s25, s51, s23
	s_lshl_b64 s[22:23], s[26:27], 3
	s_mul_i32 s28, s46, s28
	s_add_u32 s22, s24, s22
	s_addc_u32 s23, s25, s23
	s_lshl_b64 s[24:25], s[28:29], 3
	v_mov_b32_e32 v5, 0
	s_add_u32 s24, s14, s24
	ds_read_b96 v[1:3], v5 offset:1056
	s_addc_u32 s25, s15, s25
	s_lshl_b64 s[14:15], s[30:31], 3
	s_mul_i32 s20, s48, s20
	s_add_u32 s24, s24, s14
	s_addc_u32 s25, s25, s15
	s_lshl_b64 s[14:15], s[20:21], 3
	s_add_u32 s14, s18, s14
	s_addc_u32 s15, s19, s15
	s_lshl_b64 s[6:7], s[6:7], 3
	s_waitcnt lgkmcnt(0)
	v_add_u32_e32 v1, v1, v2
	v_lshrrev_b32_e32 v2, 3, v0
	s_add_u32 s26, s14, s6
	s_load_dword s6, s[4:5], 0x1b0
	s_load_dwordx2 s[18:19], s[4:5], 0x508
	v_and_b32_e32 v2, 28, v2
	v_lshl_add_u32 v10, v0, 2, v2
	v_lshrrev_b32_e32 v2, 1, v0
	v_and_b32_e32 v11, 0x7c, v2
	v_add_u32_e32 v2, -1, v0
	v_lshrrev_b32_e32 v4, 3, v2
	s_addc_u32 s27, s15, s7
	s_xor_b32 s15, s37, 0x80000000
	v_and_b32_e32 v4, 0x1ffffffc, v4
	s_waitcnt lgkmcnt(0)
	s_bitcmp1_b32 s6, 0
	v_cmp_gt_u32_e64 s[6:7], 64, v0
	v_lshlrev_b32_e32 v12, 4, v0
	v_lshl_add_u32 v13, v2, 2, v4
	v_add_u32_e32 v4, s33, v0
	v_mbcnt_lo_u32_b32 v0, -1, 0
	s_mov_b32 s14, s36
	s_cselect_b64 s[4:5], -1, 0
	v_mbcnt_hi_u32_b32 v0, -1, v0
                                        ; implicit-def: $vgpr6_vgpr7
	s_branch .LBB158_29
.LBB158_27:                             ;   in Loop: Header=BB158_29 Depth=1
	s_or_b64 exec, exec, s[20:21]
	v_add_u32_e32 v1, v2, v1
.LBB158_28:                             ;   in Loop: Header=BB158_29 Depth=1
	s_add_i32 s34, s34, -1
	v_add_u32_e32 v3, v14, v3
	s_cmp_lg_u32 s34, 0
	v_add_u32_e32 v4, 0x100, v4
	s_cbranch_scc0 .LBB158_48
.LBB158_29:                             ; =>This Inner Loop Header: Depth=1
	v_cmp_gt_u64_e32 vcc, s[8:9], v[4:5]
	v_mov_b32_e32 v2, v5
	v_mov_b32_e32 v8, v5
	s_and_saveexec_b64 s[20:21], vcc
	s_cbranch_execz .LBB158_31
; %bb.30:                               ;   in Loop: Header=BB158_29 Depth=1
	v_mad_u64_u32 v[6:7], s[28:29], s12, v4, 0
	v_mov_b32_e32 v2, v7
	v_mad_u64_u32 v[7:8], s[28:29], s13, v4, v[2:3]
	v_mov_b32_e32 v2, s23
	v_lshlrev_b64 v[6:7], 3, v[6:7]
	v_add_co_u32_e32 v6, vcc, s22, v6
	v_addc_co_u32_e32 v7, vcc, v2, v7, vcc
	global_load_dwordx2 v[6:7], v[6:7], off
	s_waitcnt vmcnt(0)
	v_xor_b32_e32 v9, 0x80000000, v7
	v_mov_b32_e32 v8, v6
	v_cmp_lt_u64_e32 vcc, s[14:15], v[8:9]
	v_cndmask_b32_e64 v2, 0, 1, vcc
	v_cmp_gt_u64_e32 vcc, s[14:15], v[8:9]
	v_cndmask_b32_e64 v8, 0, 1, vcc
	v_cmp_eq_u64_e32 vcc, s[36:37], v[6:7]
	v_cndmask_b32_e64 v2, v8, v2, s[4:5]
	v_and_b32_e32 v2, 1, v2
	v_cndmask_b32_e64 v8, 0, 1, vcc
.LBB158_31:                             ;   in Loop: Header=BB158_29 Depth=1
	s_or_b64 exec, exec, s[20:21]
	ds_write_b32 v10, v2
	s_waitcnt vmcnt(0) lgkmcnt(0)
	s_barrier
	s_and_saveexec_b64 s[20:21], s[6:7]
	s_cbranch_execz .LBB158_33
; %bb.32:                               ;   in Loop: Header=BB158_29 Depth=1
	v_add_u32_e32 v9, v11, v12
	ds_read2_b32 v[14:15], v9 offset1:1
	ds_read2_b32 v[16:17], v9 offset0:2 offset1:3
	v_and_b32_e32 v18, 15, v0
	v_cmp_ne_u32_e32 vcc, 0, v18
	s_waitcnt lgkmcnt(1)
	v_add_u32_e32 v15, v15, v14
	s_waitcnt lgkmcnt(0)
	v_add3_u32 v15, v15, v16, v17
	v_bfe_i32 v17, v0, 4, 1
	; wave barrier
	s_nop 0
	v_mov_b32_dpp v16, v15 row_shr:1 row_mask:0xf bank_mask:0xf
	v_cndmask_b32_e32 v16, 0, v16, vcc
	v_add_u32_e32 v15, v16, v15
	v_cmp_lt_u32_e32 vcc, 1, v18
	s_nop 0
	v_mov_b32_dpp v16, v15 row_shr:2 row_mask:0xf bank_mask:0xf
	v_cndmask_b32_e32 v16, 0, v16, vcc
	v_add_u32_e32 v15, v15, v16
	v_cmp_lt_u32_e32 vcc, 3, v18
	;; [unrolled: 5-line block ×4, first 2 shown]
	s_nop 0
	v_mov_b32_dpp v16, v15 row_bcast:15 row_mask:0xf bank_mask:0xf
	v_and_b32_e32 v16, v17, v16
	v_add_u32_e32 v15, v15, v16
	v_and_b32_e32 v17, 64, v0
	s_nop 0
	v_mov_b32_dpp v16, v15 row_bcast:31 row_mask:0xf bank_mask:0xf
	v_cndmask_b32_e32 v16, 0, v16, vcc
	v_add_u32_e32 v15, v15, v16
	v_add_u32_e32 v16, -1, v0
	v_cmp_lt_i32_e32 vcc, v16, v17
	v_cndmask_b32_e32 v16, v16, v0, vcc
	v_lshlrev_b32_e32 v16, 2, v16
	ds_bpermute_b32 v15, v16, v15
	s_waitcnt lgkmcnt(0)
	v_add_u32_e32 v14, v15, v14
	v_cndmask_b32_e64 v16, v14, v2, s[2:3]
	ds_write_b32 v9, v16
	; wave barrier
	ds_read2_b32 v[14:15], v9 offset0:1 offset1:2
	ds_read_b32 v17, v9 offset:12
	s_waitcnt lgkmcnt(1)
	v_add_u32_e32 v14, v14, v16
	v_add_u32_e32 v15, v15, v14
	ds_write2_b32 v9, v14, v15 offset0:1 offset1:2
	s_waitcnt lgkmcnt(1)
	v_add_u32_e32 v14, v17, v15
	ds_write_b32 v9, v14 offset:12
.LBB158_33:                             ;   in Loop: Header=BB158_29 Depth=1
	s_or_b64 exec, exec, s[20:21]
	v_mov_b32_e32 v9, 0
	s_waitcnt lgkmcnt(0)
	s_barrier
	s_and_saveexec_b64 s[20:21], s[0:1]
; %bb.34:                               ;   in Loop: Header=BB158_29 Depth=1
	ds_read_b32 v9, v13
; %bb.35:                               ;   in Loop: Header=BB158_29 Depth=1
	s_or_b64 exec, exec, s[20:21]
	ds_read_b32 v14, v5 offset:1048
	v_cmp_ne_u32_e32 vcc, 0, v2
	s_waitcnt lgkmcnt(0)
	s_barrier
	s_and_saveexec_b64 s[20:21], vcc
	s_cbranch_execz .LBB158_37
; %bb.36:                               ;   in Loop: Header=BB158_29 Depth=1
	v_add_u32_e32 v9, v9, v3
	v_mad_u64_u32 v[15:16], s[28:29], s16, v9, 0
	v_mad_u64_u32 v[17:18], s[28:29], s18, v9, 0
	v_mov_b32_e32 v2, v16
	v_mad_u64_u32 v[19:20], s[28:29], s17, v9, v[2:3]
	v_mov_b32_e32 v2, v18
	v_mov_b32_e32 v20, s25
	;; [unrolled: 1-line block ×3, first 2 shown]
	v_lshlrev_b64 v[15:16], 3, v[15:16]
	v_mad_u64_u32 v[18:19], s[28:29], s19, v9, v[2:3]
	v_add_co_u32_e32 v15, vcc, s24, v15
	v_addc_co_u32_e32 v16, vcc, v20, v16, vcc
	global_store_dwordx2 v[15:16], v[6:7], off
	v_lshlrev_b64 v[15:16], 3, v[17:18]
	v_mov_b32_e32 v2, s27
	v_add_co_u32_e32 v15, vcc, s26, v15
	v_addc_co_u32_e32 v16, vcc, v2, v16, vcc
	global_store_dwordx2 v[15:16], v[4:5], off
.LBB158_37:                             ;   in Loop: Header=BB158_29 Depth=1
	s_or_b64 exec, exec, s[20:21]
	v_mov_b32_e32 v2, v5
	v_cmp_le_u64_e32 vcc, s[10:11], v[1:2]
	s_cbranch_vccnz .LBB158_28
; %bb.38:                               ;   in Loop: Header=BB158_29 Depth=1
	ds_write_b32 v10, v8
	s_waitcnt vmcnt(0) lgkmcnt(0)
	s_barrier
	s_and_saveexec_b64 s[20:21], s[6:7]
	s_cbranch_execz .LBB158_40
; %bb.39:                               ;   in Loop: Header=BB158_29 Depth=1
	v_add_u32_e32 v2, v11, v12
	ds_read2_b32 v[15:16], v2 offset1:1
	ds_read2_b32 v[17:18], v2 offset0:2 offset1:3
	v_and_b32_e32 v9, 15, v0
	v_cmp_ne_u32_e32 vcc, 0, v9
	s_waitcnt lgkmcnt(1)
	v_add_u32_e32 v16, v16, v15
	s_waitcnt lgkmcnt(0)
	v_add3_u32 v16, v16, v17, v18
	; wave barrier
	s_nop 1
	v_mov_b32_dpp v17, v16 row_shr:1 row_mask:0xf bank_mask:0xf
	v_cndmask_b32_e32 v17, 0, v17, vcc
	v_add_u32_e32 v16, v17, v16
	v_cmp_lt_u32_e32 vcc, 1, v9
	s_nop 0
	v_mov_b32_dpp v17, v16 row_shr:2 row_mask:0xf bank_mask:0xf
	v_cndmask_b32_e32 v17, 0, v17, vcc
	v_add_u32_e32 v16, v16, v17
	v_cmp_lt_u32_e32 vcc, 3, v9
	;; [unrolled: 5-line block ×3, first 2 shown]
	s_nop 0
	v_mov_b32_dpp v17, v16 row_shr:8 row_mask:0xf bank_mask:0xf
	v_cndmask_b32_e32 v9, 0, v17, vcc
	v_add_u32_e32 v9, v16, v9
	v_bfe_i32 v17, v0, 4, 1
	v_cmp_lt_u32_e32 vcc, 31, v0
	v_mov_b32_dpp v16, v9 row_bcast:15 row_mask:0xf bank_mask:0xf
	v_and_b32_e32 v16, v17, v16
	v_add_u32_e32 v9, v9, v16
	v_and_b32_e32 v17, 64, v0
	s_nop 0
	v_mov_b32_dpp v16, v9 row_bcast:31 row_mask:0xf bank_mask:0xf
	v_cndmask_b32_e32 v16, 0, v16, vcc
	v_add_u32_e32 v9, v9, v16
	v_add_u32_e32 v16, -1, v0
	v_cmp_lt_i32_e32 vcc, v16, v17
	v_cndmask_b32_e32 v16, v16, v0, vcc
	v_lshlrev_b32_e32 v16, 2, v16
	ds_bpermute_b32 v9, v16, v9
	s_waitcnt lgkmcnt(0)
	v_add_u32_e32 v9, v9, v15
	v_cndmask_b32_e64 v9, v9, v8, s[2:3]
	ds_write_b32 v2, v9
	; wave barrier
	ds_read2_b32 v[15:16], v2 offset0:1 offset1:2
	ds_read_b32 v17, v2 offset:12
	s_waitcnt lgkmcnt(1)
	v_add_u32_e32 v9, v15, v9
	v_add_u32_e32 v15, v16, v9
	ds_write2_b32 v2, v9, v15 offset0:1 offset1:2
	s_waitcnt lgkmcnt(1)
	v_add_u32_e32 v9, v17, v15
	ds_write_b32 v2, v9 offset:12
.LBB158_40:                             ;   in Loop: Header=BB158_29 Depth=1
	s_or_b64 exec, exec, s[20:21]
	v_mov_b32_e32 v9, 0
	s_waitcnt lgkmcnt(0)
	s_barrier
	s_and_saveexec_b64 s[20:21], s[0:1]
; %bb.41:                               ;   in Loop: Header=BB158_29 Depth=1
	ds_read_b32 v9, v13
; %bb.42:                               ;   in Loop: Header=BB158_29 Depth=1
	s_or_b64 exec, exec, s[20:21]
	ds_read_b32 v2, v5 offset:1048
	v_cmp_ne_u32_e32 vcc, 0, v8
	s_waitcnt lgkmcnt(0)
	s_barrier
	s_and_saveexec_b64 s[20:21], vcc
	s_cbranch_execz .LBB158_27
; %bb.43:                               ;   in Loop: Header=BB158_29 Depth=1
	v_add_u32_e32 v8, v9, v1
	v_mov_b32_e32 v9, v5
	v_cmp_gt_u64_e32 vcc, s[10:11], v[8:9]
	s_and_b64 exec, exec, vcc
	s_cbranch_execz .LBB158_27
; %bb.44:                               ;   in Loop: Header=BB158_29 Depth=1
	v_mad_u64_u32 v[15:16], s[28:29], s16, v8, 0
	v_mad_u64_u32 v[17:18], s[28:29], s18, v8, 0
	v_mov_b32_e32 v9, v16
	v_mad_u64_u32 v[19:20], s[28:29], s17, v8, v[9:10]
	v_mov_b32_e32 v9, v18
	;; [unrolled: 2-line block ×3, first 2 shown]
	v_lshlrev_b64 v[15:16], 3, v[15:16]
	v_mov_b32_e32 v18, v8
	v_mov_b32_e32 v20, s25
	v_add_co_u32_e32 v15, vcc, s24, v15
	v_lshlrev_b64 v[8:9], 3, v[17:18]
	v_addc_co_u32_e32 v16, vcc, v20, v16, vcc
	global_store_dwordx2 v[15:16], v[6:7], off
	v_mov_b32_e32 v15, s27
	v_add_co_u32_e32 v8, vcc, s26, v8
	v_addc_co_u32_e32 v9, vcc, v15, v9, vcc
	global_store_dwordx2 v[8:9], v[4:5], off
	s_branch .LBB158_27
.LBB158_45:                             ;   in Loop: Header=BB158_46 Depth=1
	s_add_u32 s16, s16, 4
	s_addc_u32 s17, s17, 0
	s_waitcnt lgkmcnt(0)
	s_add_i32 s20, s15, s20
	s_add_u32 s18, s18, 4
	s_addc_u32 s19, s19, 0
	s_add_i32 s14, s14, 1
	s_cmp_lt_u32 s14, s35
	s_cbranch_scc0 .LBB158_24
.LBB158_46:                             ; =>This Inner Loop Header: Depth=1
	s_load_dword s15, s[16:17], 0x0
	s_cmp_ge_u32 s14, s28
	s_cbranch_scc1 .LBB158_45
; %bb.47:                               ;   in Loop: Header=BB158_46 Depth=1
	s_load_dword s22, s[18:19], 0x0
	s_waitcnt lgkmcnt(0)
	s_add_i32 s21, s15, s21
	s_add_i32 s7, s22, s7
	s_branch .LBB158_45
.LBB158_48:
	s_endpgm
	.section	.rodata,"a",@progbits
	.p2align	6, 0x0
	.amdhsa_kernel _ZN2at6native6mbtopk10gatherTopKIlmLi2EEEvNS_4cuda6detail10TensorInfoIKT_T0_EES8_S8_bjS8_NS5_IS6_S8_EES8_NS5_IlS8_EES8_jjPS6_PjSD_j
		.amdhsa_group_segment_fixed_size 1068
		.amdhsa_private_segment_fixed_size 0
		.amdhsa_kernarg_size 1592
		.amdhsa_user_sgpr_count 6
		.amdhsa_user_sgpr_private_segment_buffer 1
		.amdhsa_user_sgpr_dispatch_ptr 0
		.amdhsa_user_sgpr_queue_ptr 0
		.amdhsa_user_sgpr_kernarg_segment_ptr 1
		.amdhsa_user_sgpr_dispatch_id 0
		.amdhsa_user_sgpr_flat_scratch_init 0
		.amdhsa_user_sgpr_private_segment_size 0
		.amdhsa_uses_dynamic_stack 0
		.amdhsa_system_sgpr_private_segment_wavefront_offset 0
		.amdhsa_system_sgpr_workgroup_id_x 1
		.amdhsa_system_sgpr_workgroup_id_y 1
		.amdhsa_system_sgpr_workgroup_id_z 1
		.amdhsa_system_sgpr_workgroup_info 0
		.amdhsa_system_vgpr_workitem_id 0
		.amdhsa_next_free_vgpr 21
		.amdhsa_next_free_sgpr 52
		.amdhsa_reserve_vcc 1
		.amdhsa_reserve_flat_scratch 0
		.amdhsa_float_round_mode_32 0
		.amdhsa_float_round_mode_16_64 0
		.amdhsa_float_denorm_mode_32 3
		.amdhsa_float_denorm_mode_16_64 3
		.amdhsa_dx10_clamp 1
		.amdhsa_ieee_mode 1
		.amdhsa_fp16_overflow 0
		.amdhsa_exception_fp_ieee_invalid_op 0
		.amdhsa_exception_fp_denorm_src 0
		.amdhsa_exception_fp_ieee_div_zero 0
		.amdhsa_exception_fp_ieee_overflow 0
		.amdhsa_exception_fp_ieee_underflow 0
		.amdhsa_exception_fp_ieee_inexact 0
		.amdhsa_exception_int_div_zero 0
	.end_amdhsa_kernel
	.section	.text._ZN2at6native6mbtopk10gatherTopKIlmLi2EEEvNS_4cuda6detail10TensorInfoIKT_T0_EES8_S8_bjS8_NS5_IS6_S8_EES8_NS5_IlS8_EES8_jjPS6_PjSD_j,"axG",@progbits,_ZN2at6native6mbtopk10gatherTopKIlmLi2EEEvNS_4cuda6detail10TensorInfoIKT_T0_EES8_S8_bjS8_NS5_IS6_S8_EES8_NS5_IlS8_EES8_jjPS6_PjSD_j,comdat
.Lfunc_end158:
	.size	_ZN2at6native6mbtopk10gatherTopKIlmLi2EEEvNS_4cuda6detail10TensorInfoIKT_T0_EES8_S8_bjS8_NS5_IS6_S8_EES8_NS5_IlS8_EES8_jjPS6_PjSD_j, .Lfunc_end158-_ZN2at6native6mbtopk10gatherTopKIlmLi2EEEvNS_4cuda6detail10TensorInfoIKT_T0_EES8_S8_bjS8_NS5_IS6_S8_EES8_NS5_IlS8_EES8_jjPS6_PjSD_j
                                        ; -- End function
	.set _ZN2at6native6mbtopk10gatherTopKIlmLi2EEEvNS_4cuda6detail10TensorInfoIKT_T0_EES8_S8_bjS8_NS5_IS6_S8_EES8_NS5_IlS8_EES8_jjPS6_PjSD_j.num_vgpr, 21
	.set _ZN2at6native6mbtopk10gatherTopKIlmLi2EEEvNS_4cuda6detail10TensorInfoIKT_T0_EES8_S8_bjS8_NS5_IS6_S8_EES8_NS5_IlS8_EES8_jjPS6_PjSD_j.num_agpr, 0
	.set _ZN2at6native6mbtopk10gatherTopKIlmLi2EEEvNS_4cuda6detail10TensorInfoIKT_T0_EES8_S8_bjS8_NS5_IS6_S8_EES8_NS5_IlS8_EES8_jjPS6_PjSD_j.numbered_sgpr, 52
	.set _ZN2at6native6mbtopk10gatherTopKIlmLi2EEEvNS_4cuda6detail10TensorInfoIKT_T0_EES8_S8_bjS8_NS5_IS6_S8_EES8_NS5_IlS8_EES8_jjPS6_PjSD_j.num_named_barrier, 0
	.set _ZN2at6native6mbtopk10gatherTopKIlmLi2EEEvNS_4cuda6detail10TensorInfoIKT_T0_EES8_S8_bjS8_NS5_IS6_S8_EES8_NS5_IlS8_EES8_jjPS6_PjSD_j.private_seg_size, 0
	.set _ZN2at6native6mbtopk10gatherTopKIlmLi2EEEvNS_4cuda6detail10TensorInfoIKT_T0_EES8_S8_bjS8_NS5_IS6_S8_EES8_NS5_IlS8_EES8_jjPS6_PjSD_j.uses_vcc, 1
	.set _ZN2at6native6mbtopk10gatherTopKIlmLi2EEEvNS_4cuda6detail10TensorInfoIKT_T0_EES8_S8_bjS8_NS5_IS6_S8_EES8_NS5_IlS8_EES8_jjPS6_PjSD_j.uses_flat_scratch, 0
	.set _ZN2at6native6mbtopk10gatherTopKIlmLi2EEEvNS_4cuda6detail10TensorInfoIKT_T0_EES8_S8_bjS8_NS5_IS6_S8_EES8_NS5_IlS8_EES8_jjPS6_PjSD_j.has_dyn_sized_stack, 0
	.set _ZN2at6native6mbtopk10gatherTopKIlmLi2EEEvNS_4cuda6detail10TensorInfoIKT_T0_EES8_S8_bjS8_NS5_IS6_S8_EES8_NS5_IlS8_EES8_jjPS6_PjSD_j.has_recursion, 0
	.set _ZN2at6native6mbtopk10gatherTopKIlmLi2EEEvNS_4cuda6detail10TensorInfoIKT_T0_EES8_S8_bjS8_NS5_IS6_S8_EES8_NS5_IlS8_EES8_jjPS6_PjSD_j.has_indirect_call, 0
	.section	.AMDGPU.csdata,"",@progbits
; Kernel info:
; codeLenInByte = 2720
; TotalNumSgprs: 56
; NumVgprs: 21
; ScratchSize: 0
; MemoryBound: 0
; FloatMode: 240
; IeeeMode: 1
; LDSByteSize: 1068 bytes/workgroup (compile time only)
; SGPRBlocks: 6
; VGPRBlocks: 5
; NumSGPRsForWavesPerEU: 56
; NumVGPRsForWavesPerEU: 21
; Occupancy: 10
; WaveLimiterHint : 1
; COMPUTE_PGM_RSRC2:SCRATCH_EN: 0
; COMPUTE_PGM_RSRC2:USER_SGPR: 6
; COMPUTE_PGM_RSRC2:TRAP_HANDLER: 0
; COMPUTE_PGM_RSRC2:TGID_X_EN: 1
; COMPUTE_PGM_RSRC2:TGID_Y_EN: 1
; COMPUTE_PGM_RSRC2:TGID_Z_EN: 1
; COMPUTE_PGM_RSRC2:TIDIG_COMP_CNT: 0
	.section	.text._ZN2at6native6sbtopk10gatherTopKIlmLi2ELb0EEEvNS_4cuda6detail10TensorInfoIKT_T0_EES8_S8_bS8_S8_NS5_IS6_S8_EES8_NS5_IlS8_EES8_PS6_,"axG",@progbits,_ZN2at6native6sbtopk10gatherTopKIlmLi2ELb0EEEvNS_4cuda6detail10TensorInfoIKT_T0_EES8_S8_bS8_S8_NS5_IS6_S8_EES8_NS5_IlS8_EES8_PS6_,comdat
	.protected	_ZN2at6native6sbtopk10gatherTopKIlmLi2ELb0EEEvNS_4cuda6detail10TensorInfoIKT_T0_EES8_S8_bS8_S8_NS5_IS6_S8_EES8_NS5_IlS8_EES8_PS6_ ; -- Begin function _ZN2at6native6sbtopk10gatherTopKIlmLi2ELb0EEEvNS_4cuda6detail10TensorInfoIKT_T0_EES8_S8_bS8_S8_NS5_IS6_S8_EES8_NS5_IlS8_EES8_PS6_
	.globl	_ZN2at6native6sbtopk10gatherTopKIlmLi2ELb0EEEvNS_4cuda6detail10TensorInfoIKT_T0_EES8_S8_bS8_S8_NS5_IS6_S8_EES8_NS5_IlS8_EES8_PS6_
	.p2align	8
	.type	_ZN2at6native6sbtopk10gatherTopKIlmLi2ELb0EEEvNS_4cuda6detail10TensorInfoIKT_T0_EES8_S8_bS8_S8_NS5_IS6_S8_EES8_NS5_IlS8_EES8_PS6_,@function
_ZN2at6native6sbtopk10gatherTopKIlmLi2ELb0EEEvNS_4cuda6detail10TensorInfoIKT_T0_EES8_S8_bS8_S8_NS5_IS6_S8_EES8_NS5_IlS8_EES8_PS6_: ; @_ZN2at6native6sbtopk10gatherTopKIlmLi2ELb0EEEvNS_4cuda6detail10TensorInfoIKT_T0_EES8_S8_bS8_S8_NS5_IS6_S8_EES8_NS5_IlS8_EES8_PS6_
; %bb.0:
	s_load_dwordx2 s[16:17], s[4:5], 0x520
	s_load_dwordx4 s[20:23], s[4:5], 0x1b8
	s_add_u32 s14, s4, 0x520
	s_addc_u32 s15, s5, 0
	s_mov_b32 s29, 0
	s_waitcnt lgkmcnt(0)
	s_mul_i32 s0, s17, s8
	s_add_i32 s0, s0, s7
	s_mul_i32 s0, s0, s16
	s_add_i32 s28, s0, s6
	v_mov_b32_e32 v1, s28
	v_mov_b32_e32 v2, s29
	v_cmp_le_u64_e32 vcc, s[20:21], v[1:2]
	s_cbranch_vccnz .LBB159_475
; %bb.1:
	s_load_dwordx2 s[8:9], s[4:5], 0x10
	s_load_dwordx2 s[12:13], s[4:5], 0x380
	;; [unrolled: 1-line block ×3, first 2 shown]
                                        ; implicit-def: $vgpr46 : SGPR spill to VGPR lane
	s_mov_b64 s[10:11], 0
	s_waitcnt lgkmcnt(0)
	v_mov_b32_e32 v1, s8
	v_mov_b32_e32 v2, s9
	v_writelane_b32 v46, s0, 0
	v_cmp_lt_u64_e32 vcc, s[28:29], v[1:2]
	v_writelane_b32 v46, s1, 1
	s_mov_b64 s[0:1], 0
	v_writelane_b32 v46, s0, 2
	v_writelane_b32 v46, s1, 3
	s_cbranch_vccnz .LBB159_3
; %bb.2:
	v_cvt_f32_u32_e32 v1, s8
	s_sub_i32 s0, 0, s8
	v_rcp_iflag_f32_e32 v1, v1
	v_mul_f32_e32 v1, 0x4f7ffffe, v1
	v_cvt_u32_f32_e32 v1, v1
	v_readfirstlane_b32 s1, v1
	s_mul_i32 s0, s0, s1
	s_mul_hi_u32 s0, s1, s0
	s_add_i32 s1, s1, s0
	s_mul_hi_u32 s0, s28, s1
	s_mul_i32 s2, s0, s8
	s_sub_i32 s2, s28, s2
	s_add_i32 s1, s0, 1
	s_sub_i32 s3, s2, s8
	s_cmp_ge_u32 s2, s8
	s_cselect_b32 s0, s1, s0
	s_cselect_b32 s2, s3, s2
	s_add_i32 s1, s0, 1
	s_cmp_ge_u32 s2, s8
	s_cselect_b32 s10, s1, s0
.LBB159_3:
	s_load_dwordx2 s[0:1], s[4:5], 0x1d8
	s_waitcnt lgkmcnt(0)
	v_mov_b32_e32 v2, s1
	v_mov_b32_e32 v1, s0
	v_cmp_lt_u64_e32 vcc, s[28:29], v[1:2]
	s_cbranch_vccnz .LBB159_5
; %bb.4:
	s_load_dwordx2 s[18:19], s[4:5], 0x1d8
	s_waitcnt lgkmcnt(0)
	v_cvt_f32_u32_e32 v1, s18
	s_sub_i32 s0, 0, s18
	v_rcp_iflag_f32_e32 v1, v1
	v_mul_f32_e32 v1, 0x4f7ffffe, v1
	v_cvt_u32_f32_e32 v1, v1
	v_readfirstlane_b32 s1, v1
	s_mul_i32 s0, s0, s1
	s_mul_hi_u32 s0, s1, s0
	s_add_i32 s1, s1, s0
	s_mul_hi_u32 s0, s28, s1
	s_mul_i32 s2, s0, s18
	s_sub_i32 s2, s28, s2
	s_add_i32 s1, s0, 1
	s_sub_i32 s3, s2, s18
	s_cmp_ge_u32 s2, s18
	s_cselect_b32 s0, s1, s0
	s_cselect_b32 s2, s3, s2
	s_add_i32 s1, s0, 1
	s_cmp_ge_u32 s2, s18
	s_cselect_b32 s0, s1, s0
	v_writelane_b32 v46, s0, 2
	v_writelane_b32 v46, s1, 3
.LBB159_5:
	s_load_dwordx2 s[20:21], s[4:5], 0x0
	v_mov_b32_e32 v1, s12
	v_mov_b32_e32 v2, s13
	v_cmp_lt_u64_e32 vcc, s[28:29], v[1:2]
	s_mov_b64 s[0:1], 0
	v_writelane_b32 v46, s0, 4
	v_writelane_b32 v46, s1, 5
	s_cbranch_vccnz .LBB159_7
; %bb.6:
	v_cvt_f32_u32_e32 v1, s12
	s_sub_i32 s0, 0, s12
	v_rcp_iflag_f32_e32 v1, v1
	v_mul_f32_e32 v1, 0x4f7ffffe, v1
	v_cvt_u32_f32_e32 v1, v1
	v_readfirstlane_b32 s1, v1
	s_mul_i32 s0, s0, s1
	s_mul_hi_u32 s0, s1, s0
	s_add_i32 s1, s1, s0
	s_mul_hi_u32 s0, s28, s1
	s_mul_i32 s2, s0, s12
	s_sub_i32 s2, s28, s2
	s_add_i32 s1, s0, 1
	s_sub_i32 s3, s2, s12
	s_cmp_ge_u32 s2, s12
	s_cselect_b32 s0, s1, s0
	s_cselect_b32 s2, s3, s2
	s_add_i32 s1, s0, 1
	s_cmp_ge_u32 s2, s12
	s_cselect_b32 s0, s1, s0
	v_writelane_b32 v46, s0, 4
	v_writelane_b32 v46, s1, 5
.LBB159_7:
	s_load_dwordx2 s[0:1], s[4:5], 0x370
	v_writelane_b32 v46, s12, 6
	v_writelane_b32 v46, s13, 7
	s_mov_b32 s53, 0
	v_cmp_eq_u32_e64 s[18:19], 0, v0
	s_waitcnt lgkmcnt(0)
	v_writelane_b32 v46, s0, 8
	v_writelane_b32 v46, s1, 9
	s_load_dwordx2 s[0:1], s[4:5], 0x1c8
	s_waitcnt lgkmcnt(0)
	v_writelane_b32 v46, s0, 10
	v_writelane_b32 v46, s1, 11
	s_load_dwordx4 s[0:3], s[4:5], 0xd0
	s_load_dwordx4 s[24:27], s[4:5], 0x1a0
	s_mov_b64 s[12:13], exec
	v_writelane_b32 v46, s18, 12
	v_writelane_b32 v46, s19, 13
	s_and_b64 s[18:19], s[12:13], s[18:19]
	s_mov_b64 exec, s[18:19]
	s_cbranch_execz .LBB159_9
; %bb.8:
	v_mov_b32_e32 v1, 0
	s_waitcnt lgkmcnt(0)
	v_mov_b32_e32 v3, s24
	v_mov_b32_e32 v4, s25
	;; [unrolled: 1-line block ×3, first 2 shown]
	ds_write_b32 v1, v1 offset:5144
	ds_write_b128 v1, v[1:4] offset:5120
.LBB159_9:
	s_or_b64 exec, exec, s[12:13]
	s_load_dwordx4 s[36:39], s[4:5], 0x440
	s_mul_i32 s7, s10, s9
	s_mul_hi_u32 s9, s10, s8
	s_add_i32 s9, s9, s7
	s_mul_i32 s7, s10, s8
	s_mov_b32 s8, s28
	s_sub_u32 s7, s28, s7
	s_load_dwordx4 s[28:31], s[4:5], 0x298
	s_waitcnt lgkmcnt(0)
	v_writelane_b32 v46, s36, 14
	v_writelane_b32 v46, s37, 15
	;; [unrolled: 1-line block ×7, first 2 shown]
	s_subb_u32 s8, 0, s9
	v_writelane_b32 v46, s29, 21
	s_mul_i32 s3, s7, s3
	s_mul_hi_u32 s9, s7, s2
	s_mul_i32 s8, s8, s2
	s_mul_i32 s2, s7, s2
	s_mul_i32 s1, s10, s1
	s_mul_hi_u32 s7, s10, s0
	v_writelane_b32 v46, s30, 22
	s_add_i32 s3, s9, s3
	s_add_i32 s1, s7, s1
	s_mul_i32 s0, s10, s0
	v_writelane_b32 v46, s31, 23
	s_add_i32 s3, s3, s8
	s_lshl_b64 s[0:1], s[0:1], 3
	v_writelane_b32 v46, s4, 24
	s_load_dword s7, s[4:5], 0x1b0
	s_add_u32 s8, s20, s0
	v_writelane_b32 v46, s5, 25
	s_addc_u32 s5, s21, s1
	s_lshl_b64 s[0:1], s[2:3], 3
	s_add_u32 s33, s8, s0
	s_addc_u32 s54, s5, s1
	s_waitcnt lgkmcnt(0)
	s_bitcmp1_b32 s7, 0
	s_cselect_b64 s[64:65], -1, 0
	v_mbcnt_lo_u32_b32 v1, -1, 0
	s_xor_b64 s[0:1], s[64:65], -1
	v_mbcnt_hi_u32_b32 v35, -1, v1
	v_writelane_b32 v46, s0, 26
	v_cmp_gt_u32_e32 vcc, 64, v0
	v_cmp_gt_i32_e64 s[10:11], 4, v35
	v_mad_u64_u32 v[2:3], s[2:3], s22, v0, 0
	v_writelane_b32 v46, s1, 27
	v_mov_b32_e32 v4, 0x180
	s_and_b64 s[2:3], vcc, s[10:11]
	v_mov_b32_e32 v5, 0
	v_writelane_b32 v46, s2, 28
	v_writelane_b32 v46, s3, 29
	v_cmp_gt_u64_e64 s[2:3], s[24:25], v[4:5]
	v_mov_b32_e32 v1, v3
	v_writelane_b32 v46, s2, 30
	v_mov_b32_e32 v19, 0
	v_writelane_b32 v46, s3, 31
	v_mad_u64_u32 v[3:4], s[2:3], s23, v0, v[1:2]
	v_mov_b32_e32 v1, v19
	v_cmp_gt_u64_e64 s[2:3], s[24:25], v[0:1]
	v_writelane_b32 v46, s2, 32
	v_writelane_b32 v46, s3, 33
	v_cmp_gt_u32_e64 s[2:3], 2, v0
	v_writelane_b32 v46, s2, 34
	s_barrier
	v_writelane_b32 v46, s3, 35
	s_load_dword s2, s[14:15], 0xc
	v_lshlrev_b64 v[2:3], 3, v[2:3]
	v_mov_b32_e32 v4, s54
	v_add_co_u32_e32 v16, vcc, s33, v2
	s_waitcnt lgkmcnt(0)
	s_and_b32 s55, s2, 0xffff
	s_bfe_u32 s2, s2, 0xa0006
	s_cmp_gt_u32 s55, 63
	s_cselect_b64 s[4:5], -1, 0
	v_writelane_b32 v46, s4, 36
	s_add_u32 s3, s55, -1
	v_writelane_b32 v46, s5, 37
	s_addc_u32 s4, 0, -1
	v_writelane_b32 v46, s3, 38
	s_add_u32 s3, s3, s24
	s_addc_u32 s61, s4, s25
	s_cmp_lt_u32 s6, s16
	v_writelane_b32 v46, s3, 39
	s_cselect_b32 s3, 12, 18
	v_writelane_b32 v46, s4, 40
	s_add_u32 s4, s14, s3
	s_addc_u32 s5, s15, 0
	v_writelane_b32 v46, s4, 41
	s_add_i32 s3, s2, -1
	v_writelane_b32 v46, s5, 42
	s_bfe_u32 s4, s55, 0x30006
	s_and_b32 s3, s3, 0xffff
	v_addc_co_u32_e32 v17, vcc, v4, v3, vcc
	v_lshlrev_b64 v[2:3], v35, -1
	s_cmp_gt_u32 s3, 6
	s_cselect_b64 s[6:7], -1, 0
	v_not_b32_e32 v34, v2
	v_lshrrev_b32_e32 v2, 1, v0
	v_writelane_b32 v46, s6, 43
	s_and_b32 s57, s2, 0x3f8
	v_and_b32_e32 v2, 0x1e0, v2
	v_writelane_b32 v46, s7, 44
	s_cmp_lg_u32 s4, 0
	v_lshlrev_b32_e32 v36, 3, v0
	v_lshlrev_b32_e32 v4, 2, v35
	v_or_b32_e32 v38, 0xc00, v2
	v_writelane_b32 v46, s4, 45
	s_cselect_b64 s[2:3], -1, 0
	v_mov_b32_e32 v2, 0xc00
	v_mov_b32_e32 v6, 0
	;; [unrolled: 1-line block ×5, first 2 shown]
	v_cmp_eq_u32_e64 s[0:1], 0, v35
	v_lshlrev_b32_e32 v20, 2, v0
	v_mov_b32_e32 v21, v19
	v_add_u32_e32 v37, 0xc00, v36
	v_and_b32_e32 v32, 0x100, v4
	v_not_b32_e32 v33, v3
	v_writelane_b32 v46, s2, 46
	v_lshl_or_b32 v39, v35, 3, v2
	s_lshl_b32 s62, s55, 3
	s_mov_b32 s63, 62
	s_mov_b64 s[68:69], 0
	v_mov_b32_e32 v7, 0
	v_mov_b32_e32 v23, 0
	;; [unrolled: 1-line block ×4, first 2 shown]
	v_lshlrev_b32_e32 v40, 5, v0
	s_mov_b32 s56, 0
	v_mov_b32_e32 v41, 0x4f800000
	v_mov_b32_e32 v27, s27
	v_writelane_b32 v46, s3, 47
                                        ; implicit-def: $sgpr70_sgpr71
                                        ; implicit-def: $sgpr72_sgpr73
                                        ; implicit-def: $sgpr76_sgpr77
                                        ; implicit-def: $sgpr78_sgpr79
                                        ; implicit-def: $sgpr74_sgpr75
                                        ; implicit-def: $sgpr80_sgpr81
                                        ; implicit-def: $sgpr82_sgpr83
                                        ; implicit-def: $sgpr84_sgpr85
                                        ; implicit-def: $sgpr86_sgpr87
                                        ; implicit-def: $sgpr88_sgpr89
	s_branch .LBB159_12
.LBB159_10:                             ;   in Loop: Header=BB159_12 Depth=1
	s_or_b64 exec, exec, s[8:9]
	s_andn2_b64 s[8:9], s[88:89], exec
	s_and_b64 s[6:7], s[6:7], exec
	v_mov_b32_e32 v26, v28
	s_or_b64 s[88:89], s[8:9], s[6:7]
	s_andn2_b64 s[86:87], s[86:87], exec
	s_andn2_b64 s[84:85], s[84:85], exec
	;; [unrolled: 1-line block ×4, first 2 shown]
	s_orn2_b64 s[4:5], s[4:5], exec
	v_mov_b32_e32 v27, v29
.LBB159_11:                             ;   in Loop: Header=BB159_12 Depth=1
	s_or_b64 exec, exec, s[2:3]
	s_and_b64 s[2:3], exec, s[4:5]
	s_or_b64 s[68:69], s[2:3], s[68:69]
	s_andn2_b64 s[2:3], s[74:75], exec
	s_and_b64 s[4:5], s[88:89], exec
	s_or_b64 s[74:75], s[2:3], s[4:5]
	s_andn2_b64 s[2:3], s[78:79], exec
	s_and_b64 s[4:5], s[86:87], exec
	;; [unrolled: 3-line block ×5, first 2 shown]
	s_or_b64 s[70:71], s[2:3], s[4:5]
	s_andn2_b64 exec, exec, s[68:69]
	s_cbranch_execz .LBB159_471
.LBB159_12:                             ; =>This Loop Header: Depth=1
                                        ;     Child Loop BB159_18 Depth 2
                                        ;     Child Loop BB159_31 Depth 2
	;; [unrolled: 1-line block ×24, first 2 shown]
	ds_read_b128 v[8:11], v19 offset:5120
	s_waitcnt lgkmcnt(0)
	v_readfirstlane_b32 s29, v9
	v_readfirstlane_b32 s28, v8
	s_cmp_lg_u64 s[28:29], 0
	s_cbranch_scc1 .LBB159_39
; %bb.13:                               ;   in Loop: Header=BB159_12 Depth=1
	v_readlane_b32 s2, v46, 30
	v_readlane_b32 s3, v46, 31
	s_and_b64 vcc, exec, s[2:3]
	s_cbranch_vccz .LBB159_26
; %bb.14:                               ;   in Loop: Header=BB159_12 Depth=1
	s_mov_b64 s[2:3], 0x181
	v_cmp_gt_u64_e32 vcc, s[2:3], v[10:11]
	s_mov_b64 s[2:3], 0
	s_mov_b64 s[4:5], 0
	s_cbranch_vccz .LBB159_27
; %bb.15:                               ;   in Loop: Header=BB159_12 Depth=1
	s_mov_b64 s[8:9], exec
	v_readlane_b32 s4, v46, 32
	v_readlane_b32 s5, v46, 33
	s_and_b64 s[4:5], s[8:9], s[4:5]
	s_mov_b64 exec, s[4:5]
	s_cbranch_execz .LBB159_94
; %bb.16:                               ;   in Loop: Header=BB159_12 Depth=1
	v_readlane_b32 s4, v46, 41
	v_readlane_b32 s5, v46, 42
	global_load_dwordx2 v[3:4], v[16:17], off
	v_mov_b32_e32 v9, v1
	s_mov_b64 s[10:11], 0
	v_mov_b32_e32 v8, v0
	s_nop 0
	global_load_ushort v5, v19, s[4:5]
	s_branch .LBB159_18
.LBB159_17:                             ;   in Loop: Header=BB159_18 Depth=2
	s_or_b64 exec, exec, s[4:5]
	s_waitcnt vmcnt(0)
	v_mov_b32_e32 v3, v10
	v_mov_b32_e32 v4, v11
	s_andn2_b64 exec, exec, s[10:11]
	s_cbranch_execz .LBB159_94
.LBB159_18:                             ;   Parent Loop BB159_12 Depth=1
                                        ; =>  This Inner Loop Header: Depth=2
	s_waitcnt vmcnt(0)
	v_add_co_u32_sdwa v8, vcc, v8, v5 dst_sel:DWORD dst_unused:UNUSED_PAD src0_sel:DWORD src1_sel:WORD_0
	v_addc_co_u32_e32 v9, vcc, 0, v9, vcc
	v_cmp_gt_u64_e64 s[6:7], s[24:25], v[8:9]
	v_cmp_le_u64_e32 vcc, s[24:25], v[8:9]
	v_mov_b32_e32 v10, 0
	v_mov_b32_e32 v11, 0
	s_and_saveexec_b64 s[4:5], s[6:7]
	s_cbranch_execz .LBB159_20
; %bb.19:                               ;   in Loop: Header=BB159_18 Depth=2
	s_waitcnt lgkmcnt(0)
	v_mul_lo_u32 v12, v9, s22
	v_mul_lo_u32 v13, v8, s23
	v_mad_u64_u32 v[10:11], s[6:7], v8, s22, 0
	v_add3_u32 v11, v11, v13, v12
	v_lshlrev_b64 v[10:11], 3, v[10:11]
	v_mov_b32_e32 v12, s54
	v_add_co_u32_e64 v10, s[6:7], s33, v10
	v_addc_co_u32_e64 v11, s[6:7], v12, v11, s[6:7]
	global_load_dwordx2 v[10:11], v[10:11], off
.LBB159_20:                             ;   in Loop: Header=BB159_18 Depth=2
	s_or_b64 exec, exec, s[4:5]
	s_waitcnt lgkmcnt(0)
	v_xor_b32_e32 v12, 0x80000000, v4
	v_and_b32_e32 v13, v12, v25
	v_and_b32_e32 v12, v3, v24
	v_cmp_eq_u64_e64 s[14:15], v[12:13], v[22:23]
	v_mov_b32_e32 v12, 0
	s_cmp_lg_u64 s[14:15], 0
	s_cselect_b64 s[4:5], -1, 0
	s_and_b64 s[6:7], s[0:1], s[4:5]
	s_and_saveexec_b64 s[4:5], s[6:7]
	s_cbranch_execz .LBB159_24
; %bb.21:                               ;   in Loop: Header=BB159_18 Depth=2
	s_mov_b64 s[16:17], exec
	v_mbcnt_lo_u32_b32 v12, s16, 0
	v_mbcnt_hi_u32_b32 v12, s17, v12
	s_bcnt1_i32_b64 s18, s[14:15]
	v_cmp_eq_u32_e64 s[6:7], 0, v12
                                        ; implicit-def: $vgpr13
	s_and_saveexec_b64 s[12:13], s[6:7]
; %bb.22:                               ;   in Loop: Header=BB159_18 Depth=2
	s_bcnt1_i32_b64 s6, s[16:17]
	s_mul_i32 s6, s18, s6
	v_mov_b32_e32 v13, s6
	ds_add_rtn_u32 v13, v19, v13 offset:5144
; %bb.23:                               ;   in Loop: Header=BB159_18 Depth=2
	s_or_b64 exec, exec, s[12:13]
	s_waitcnt lgkmcnt(0)
	v_readfirstlane_b32 s6, v13
	v_mov_b32_e32 v13, s6
	v_mad_u32_u24 v12, s18, v12, v13
.LBB159_24:                             ;   in Loop: Header=BB159_18 Depth=2
	s_or_b64 exec, exec, s[4:5]
	ds_bpermute_b32 v12, v32, v12
	s_and_b64 s[4:5], exec, vcc
	s_or_b64 s[10:11], s[4:5], s[10:11]
	s_and_saveexec_b64 s[4:5], s[14:15]
	s_cbranch_execz .LBB159_17
; %bb.25:                               ;   in Loop: Header=BB159_18 Depth=2
	v_and_b32_e32 v14, s14, v34
	v_and_b32_e32 v13, s15, v33
	v_bcnt_u32_b32 v14, v14, 0
	v_bcnt_u32_b32 v13, v13, v14
	v_lshlrev_b32_e32 v13, 3, v13
	s_waitcnt lgkmcnt(0)
	v_lshl_add_u32 v12, v12, 3, v13
	ds_write_b64 v12, v[3:4]
	s_branch .LBB159_17
.LBB159_26:                             ;   in Loop: Header=BB159_12 Depth=1
	s_mov_b64 s[2:3], -1
	s_mov_b64 s[4:5], 0
.LBB159_27:                             ;   in Loop: Header=BB159_12 Depth=1
	s_and_b64 vcc, exec, s[2:3]
	s_cbranch_vccz .LBB159_37
.LBB159_28:                             ;   in Loop: Header=BB159_12 Depth=1
	s_mov_b64 s[2:3], exec
	v_readlane_b32 s4, v46, 32
	v_readlane_b32 s5, v46, 33
	s_and_b64 s[4:5], s[2:3], s[4:5]
	s_mov_b64 exec, s[4:5]
	s_cbranch_execz .LBB159_34
; %bb.29:                               ;   in Loop: Header=BB159_12 Depth=1
	v_readlane_b32 s4, v46, 41
	v_readlane_b32 s5, v46, 42
	s_nop 4
	global_load_ushort v5, v19, s[4:5]
	global_load_dwordx2 v[3:4], v[16:17], off
	v_mov_b32_e32 v8, v0
	s_waitcnt vmcnt(1)
	v_and_b32_e32 v5, 0xffff, v5
	v_add_u32_e32 v18, v5, v0
	v_cmp_gt_u64_e32 vcc, s[24:25], v[18:19]
	s_and_saveexec_b64 s[4:5], vcc
	s_cbranch_execz .LBB159_33
; %bb.30:                               ;   in Loop: Header=BB159_12 Depth=1
	v_mov_b32_e32 v12, v18
	v_mov_b32_e32 v9, v1
	s_mov_b64 s[6:7], 0
	v_mov_b32_e32 v13, v19
	v_mov_b32_e32 v8, v0
.LBB159_31:                             ;   Parent Loop BB159_12 Depth=1
                                        ; =>  This Inner Loop Header: Depth=2
	v_mov_b32_e32 v15, v13
	v_mov_b32_e32 v14, v12
	v_mul_lo_u32 v11, v15, s22
	v_mul_lo_u32 v12, v14, s23
	v_mad_u64_u32 v[9:10], s[8:9], v14, s22, 0
	v_mov_b32_e32 v13, s54
	v_lshlrev_b32_e32 v8, 3, v8
	v_add3_u32 v10, v10, v12, v11
	v_lshlrev_b64 v[9:10], 3, v[9:10]
	s_waitcnt vmcnt(0)
	ds_write_b64 v8, v[3:4]
	v_add_co_u32_e32 v9, vcc, s33, v9
	v_addc_co_u32_e32 v10, vcc, v13, v10, vcc
	global_load_dwordx2 v[10:11], v[9:10], off
	v_add_co_u32_e32 v12, vcc, v14, v5
	v_addc_co_u32_e32 v13, vcc, 0, v15, vcc
	v_cmp_le_u64_e32 vcc, s[24:25], v[12:13]
	v_mov_b32_e32 v8, v14
	s_or_b64 s[6:7], vcc, s[6:7]
	v_mov_b32_e32 v9, v15
	s_waitcnt vmcnt(0)
	v_mov_b32_e32 v3, v10
	v_mov_b32_e32 v4, v11
	s_andn2_b64 exec, exec, s[6:7]
	s_cbranch_execnz .LBB159_31
; %bb.32:                               ;   in Loop: Header=BB159_12 Depth=1
	s_or_b64 exec, exec, s[6:7]
	v_mov_b32_e32 v3, v10
	v_sub_u32_e32 v8, v12, v5
	v_mov_b32_e32 v4, v11
.LBB159_33:                             ;   in Loop: Header=BB159_12 Depth=1
	s_or_b64 exec, exec, s[4:5]
	v_lshlrev_b32_e32 v5, 3, v8
	s_waitcnt vmcnt(0)
	ds_write_b64 v5, v[3:4]
.LBB159_34:                             ;   in Loop: Header=BB159_12 Depth=1
	s_or_b64 exec, exec, s[2:3]
	s_waitcnt lgkmcnt(0)
	s_barrier
	s_mov_b64 s[2:3], exec
	v_readlane_b32 s4, v46, 12
	v_readlane_b32 s5, v46, 13
	s_and_b64 s[4:5], s[2:3], s[4:5]
	s_mov_b64 exec, s[4:5]
; %bb.35:                               ;   in Loop: Header=BB159_12 Depth=1
	v_mov_b32_e32 v3, s24
	v_mov_b32_e32 v4, s25
	ds_write_b64 v19, v[3:4] offset:5120
; %bb.36:                               ;   in Loop: Header=BB159_12 Depth=1
	s_or_b64 exec, exec, s[2:3]
	s_mov_b64 s[4:5], -1
	s_waitcnt lgkmcnt(0)
	s_barrier
.LBB159_37:                             ;   in Loop: Header=BB159_12 Depth=1
	s_mov_b64 s[28:29], 0
	s_and_b64 vcc, exec, s[4:5]
	s_cbranch_vccz .LBB159_39
; %bb.38:                               ;   in Loop: Header=BB159_12 Depth=1
	ds_read_b64 v[3:4], v19 offset:5120
	s_waitcnt lgkmcnt(0)
	v_readfirstlane_b32 s28, v3
.LBB159_39:                             ;   in Loop: Header=BB159_12 Depth=1
	s_cmp_lt_i32 s28, 1
	s_mov_b64 s[2:3], -1
                                        ; implicit-def: $vgpr14_vgpr15
                                        ; implicit-def: $vgpr10_vgpr11
	s_cbranch_scc1 .LBB159_49
; %bb.40:                               ;   in Loop: Header=BB159_12 Depth=1
	s_and_b64 vcc, exec, s[2:3]
	s_cbranch_vccnz .LBB159_63
.LBB159_41:                             ;   in Loop: Header=BB159_12 Depth=1
	s_lshl_b32 s4, s56, 6
	s_and_saveexec_b64 s[2:3], s[0:1]
	s_cbranch_execz .LBB159_43
.LBB159_42:                             ;   in Loop: Header=BB159_12 Depth=1
	v_lshl_add_u32 v3, s4, 3, v38
	ds_write_b128 v3, v[8:11]
	ds_write_b128 v3, v[12:15] offset:16
.LBB159_43:                             ;   in Loop: Header=BB159_12 Depth=1
	s_or_b64 exec, exec, s[2:3]
	s_waitcnt lgkmcnt(0)
	s_barrier
	s_mov_b64 s[2:3], exec
	v_readlane_b32 s6, v46, 28
	v_readlane_b32 s7, v46, 29
	s_and_b64 s[6:7], s[2:3], s[6:7]
	s_mov_b64 exec, s[6:7]
	s_cbranch_execz .LBB159_78
; %bb.44:                               ;   in Loop: Header=BB159_12 Depth=1
	v_readlane_b32 s6, v46, 36
	v_mov_b32_e32 v3, 0
	v_readlane_b32 s7, v46, 37
	v_mov_b32_e32 v4, 0
	s_andn2_b64 vcc, exec, s[6:7]
	s_cbranch_vccnz .LBB159_77
; %bb.45:                               ;   in Loop: Header=BB159_12 Depth=1
	v_readlane_b32 s6, v46, 43
	v_readlane_b32 s7, v46, 44
	s_andn2_b64 vcc, exec, s[6:7]
	s_cbranch_vccnz .LBB159_73
; %bb.46:                               ;   in Loop: Header=BB159_12 Depth=1
	v_mov_b32_e32 v3, 0
	v_lshl_add_u32 v5, s56, 9, v39
	v_mov_b32_e32 v4, 0
	s_mov_b32 s5, 0
.LBB159_47:                             ;   Parent Loop BB159_12 Depth=1
                                        ; =>  This Inner Loop Header: Depth=2
	ds_read2_b64 v[8:11], v5 offset1:4
	ds_read2_b64 v[12:15], v5 offset0:8 offset1:12
	ds_read2_b64 v[28:31], v5 offset0:16 offset1:20
	;; [unrolled: 1-line block ×3, first 2 shown]
	s_add_i32 s5, s5, 8
	s_waitcnt lgkmcnt(3)
	v_add_co_u32_e32 v3, vcc, v8, v3
	v_addc_co_u32_e32 v4, vcc, v9, v4, vcc
	v_add_co_u32_e32 v3, vcc, v10, v3
	v_addc_co_u32_e32 v4, vcc, v11, v4, vcc
	s_waitcnt lgkmcnt(2)
	v_add_co_u32_e32 v3, vcc, v12, v3
	v_addc_co_u32_e32 v4, vcc, v13, v4, vcc
	v_add_co_u32_e32 v3, vcc, v14, v3
	v_addc_co_u32_e32 v4, vcc, v15, v4, vcc
	;; [unrolled: 5-line block ×3, first 2 shown]
	s_waitcnt lgkmcnt(0)
	v_add_co_u32_e32 v3, vcc, v42, v3
	v_addc_co_u32_e32 v4, vcc, v43, v4, vcc
	v_add_co_u32_e32 v3, vcc, v44, v3
	v_add_u32_e32 v5, 0x100, v5
	s_cmp_eq_u32 s57, s5
	v_addc_co_u32_e32 v4, vcc, v45, v4, vcc
	s_cbranch_scc0 .LBB159_47
; %bb.48:                               ;   in Loop: Header=BB159_12 Depth=1
	s_mov_b32 s5, s57
	s_branch .LBB159_74
.LBB159_49:                             ;   in Loop: Header=BB159_12 Depth=1
	v_readlane_b32 s2, v46, 41
	v_readlane_b32 s3, v46, 42
	s_nop 4
	global_load_ushort v5, v19, s[2:3]
	s_mov_b32 s2, s53
	s_waitcnt vmcnt(0)
	v_readfirstlane_b32 s3, v5
	s_and_b32 s3, 0xffff, s3
	s_lshl_b32 s8, s3, 2
	s_mov_b32 s3, s25
	s_cmp_lg_u64 s[2:3], 0
	s_cbranch_scc0 .LBB159_72
; %bb.50:                               ;   in Loop: Header=BB159_12 Depth=1
	v_cvt_f32_u32_e32 v3, s8
	s_sub_u32 s4, 0, s8
	s_subb_u32 s5, 0, 0
	v_mac_f32_e32 v3, 0, v41
	v_rcp_f32_e32 v3, v3
	v_mul_f32_e32 v3, 0x5f7ffffc, v3
	v_mul_f32_e32 v4, 0x2f800000, v3
	v_trunc_f32_e32 v4, v4
	v_mac_f32_e32 v3, 0xcf800000, v4
	v_cvt_u32_f32_e32 v4, v4
	v_cvt_u32_f32_e32 v3, v3
	v_readfirstlane_b32 s6, v4
	v_readfirstlane_b32 s2, v3
	s_mul_i32 s3, s4, s6
	s_mul_hi_u32 s9, s4, s2
	s_mul_i32 s7, s5, s2
	s_add_i32 s3, s9, s3
	s_mul_i32 s10, s4, s2
	s_add_i32 s3, s3, s7
	s_mul_hi_u32 s9, s2, s10
	s_mul_i32 s11, s2, s3
	s_mul_hi_u32 s7, s2, s3
	s_add_u32 s9, s9, s11
	s_addc_u32 s7, 0, s7
	s_mul_hi_u32 s12, s6, s10
	s_mul_i32 s10, s6, s10
	s_add_u32 s9, s9, s10
	s_mul_hi_u32 s11, s6, s3
	s_addc_u32 s7, s7, s12
	s_addc_u32 s9, s11, 0
	s_mul_i32 s3, s6, s3
	s_add_u32 s3, s7, s3
	s_addc_u32 s7, 0, s9
	s_add_u32 s9, s2, s3
	s_cselect_b64 s[2:3], -1, 0
	s_cmp_lg_u64 s[2:3], 0
	s_addc_u32 s6, s6, s7
	s_mul_i32 s2, s4, s6
	s_mul_hi_u32 s3, s4, s9
	s_add_i32 s2, s3, s2
	s_mul_i32 s5, s5, s9
	s_add_i32 s2, s2, s5
	s_mul_i32 s4, s4, s9
	s_mul_hi_u32 s5, s6, s4
	s_mul_i32 s7, s6, s4
	s_mul_i32 s11, s9, s2
	s_mul_hi_u32 s4, s9, s4
	s_mul_hi_u32 s10, s9, s2
	s_add_u32 s4, s4, s11
	s_addc_u32 s10, 0, s10
	s_add_u32 s4, s4, s7
	s_mul_hi_u32 s3, s6, s2
	s_addc_u32 s4, s10, s5
	s_addc_u32 s3, s3, 0
	s_mul_i32 s2, s6, s2
	s_add_u32 s2, s4, s2
	s_addc_u32 s4, 0, s3
	s_add_u32 s5, s9, s2
	s_cselect_b64 s[2:3], -1, 0
	s_cmp_lg_u64 s[2:3], 0
	s_addc_u32 s2, s6, s4
	s_mul_i32 s4, s24, s2
	s_mul_hi_u32 s6, s24, s5
	s_mul_hi_u32 s3, s24, s2
	s_add_u32 s4, s6, s4
	s_addc_u32 s3, 0, s3
	s_mul_hi_u32 s7, s25, s5
	s_mul_i32 s5, s25, s5
	s_add_u32 s4, s4, s5
	s_mul_hi_u32 s6, s25, s2
	s_addc_u32 s3, s3, s7
	s_addc_u32 s4, s6, 0
	s_mul_i32 s2, s25, s2
	s_add_u32 s2, s3, s2
	s_addc_u32 s3, 0, s4
	s_mul_i32 s3, s8, s3
	s_mul_hi_u32 s4, s8, s2
	s_add_i32 s4, s4, s3
	s_mul_i32 s2, s8, s2
	s_sub_u32 s5, s24, s2
	s_cselect_b64 s[2:3], -1, 0
	s_cmp_lg_u64 s[2:3], 0
	s_subb_u32 s4, s25, s4
	s_sub_u32 s6, s5, s8
	s_cselect_b64 s[2:3], -1, 0
	s_cmp_lg_u64 s[2:3], 0
	s_subb_u32 s7, s4, 0
	;; [unrolled: 4-line block ×3, first 2 shown]
	s_cmp_ge_u32 s6, s8
	s_cselect_b32 s3, -1, 0
	s_cmp_eq_u32 s7, 0
	s_cselect_b32 s3, s3, -1
	s_cmp_lg_u32 s3, 0
	s_cselect_b32 s2, s2, s7
	s_cselect_b32 s6, s9, s6
	s_cmp_ge_u32 s5, s8
	s_cselect_b32 s3, -1, 0
	s_cmp_eq_u32 s4, 0
	s_cselect_b32 s3, s3, -1
	s_cmp_lg_u32 s3, 0
	s_cselect_b32 s3, s2, s4
	s_cselect_b32 s2, s6, s5
	s_cbranch_execnz .LBB159_52
.LBB159_51:                             ;   in Loop: Header=BB159_12 Depth=1
	v_cvt_f32_u32_e32 v3, s8
	s_sub_i32 s2, 0, s8
	v_rcp_iflag_f32_e32 v3, v3
	v_mul_f32_e32 v3, 0x4f7ffffe, v3
	v_cvt_u32_f32_e32 v3, v3
	v_readfirstlane_b32 s3, v3
	s_mul_i32 s2, s2, s3
	s_mul_hi_u32 s2, s3, s2
	s_add_i32 s3, s3, s2
	s_mul_hi_u32 s2, s24, s3
	s_mul_i32 s2, s2, s8
	s_sub_i32 s2, s24, s2
	s_sub_i32 s3, s2, s8
	s_cmp_ge_u32 s2, s8
	s_cselect_b32 s2, s3, s2
	s_sub_i32 s3, s2, s8
	s_cmp_ge_u32 s2, s8
	s_cselect_b32 s52, s3, s2
	s_mov_b64 s[2:3], s[52:53]
.LBB159_52:                             ;   in Loop: Header=BB159_12 Depth=1
	s_sub_u32 s30, s24, s2
	s_subb_u32 s31, s25, s3
	v_cmp_gt_u64_e32 vcc, s[30:31], v[20:21]
	v_mov_b32_e32 v8, 0
	v_mov_b32_e32 v10, 0
	;; [unrolled: 1-line block ×8, first 2 shown]
	s_and_saveexec_b64 s[2:3], vcc
	s_cbranch_execz .LBB159_56
; %bb.53:                               ;   in Loop: Header=BB159_12 Depth=1
	v_mov_b32_e32 v3, v20
	s_mov_b64 s[36:37], 0
	s_mov_b64 s[38:39], 0
	;; [unrolled: 1-line block ×5, first 2 shown]
	v_mov_b32_e32 v4, v21
.LBB159_54:                             ;   Parent Loop BB159_12 Depth=1
                                        ; =>  This Inner Loop Header: Depth=2
	v_mul_lo_u32 v10, v4, s22
	v_mul_lo_u32 v11, v3, s23
	v_mad_u64_u32 v[8:9], s[4:5], v3, s22, 0
	s_lshl_b64 s[4:5], s[22:23], 3
	v_add3_u32 v9, v9, v11, v10
	v_lshlrev_b64 v[8:9], 3, v[8:9]
	v_mov_b32_e32 v10, s54
	v_add_co_u32_e32 v8, vcc, s33, v8
	v_addc_co_u32_e32 v9, vcc, v10, v9, vcc
	global_load_dwordx2 v[14:15], v[8:9], off
	v_add_co_u32_e32 v8, vcc, s4, v8
	v_mov_b32_e32 v10, s5
	v_addc_co_u32_e32 v9, vcc, v9, v10, vcc
	global_load_dwordx2 v[28:29], v[8:9], off
	v_add_co_u32_e32 v8, vcc, s4, v8
	v_addc_co_u32_e32 v9, vcc, v9, v10, vcc
	global_load_dwordx2 v[12:13], v[8:9], off
	v_add_co_u32_e32 v8, vcc, s4, v8
	v_addc_co_u32_e32 v9, vcc, v9, v10, vcc
	global_load_dwordx2 v[10:11], v[8:9], off
	s_waitcnt vmcnt(3)
	v_xor_b32_e32 v15, 0x80000000, v15
	v_and_b32_e32 v9, v15, v25
	v_and_b32_e32 v8, v14, v24
	v_cmp_eq_u64_e32 vcc, v[8:9], v[22:23]
	s_waitcnt vmcnt(2)
	v_xor_b32_e32 v29, 0x80000000, v29
	v_and_b32_e32 v9, v29, v25
	v_and_b32_e32 v8, v28, v24
	v_cmp_eq_u64_e64 s[14:15], v[8:9], v[22:23]
	s_waitcnt vmcnt(1)
	v_xor_b32_e32 v13, 0x80000000, v13
	v_and_b32_e32 v9, v13, v25
	v_and_b32_e32 v8, v12, v24
	v_cmp_eq_u64_e64 s[16:17], v[8:9], v[22:23]
	v_lshrrev_b64 v[12:13], s63, v[12:13]
	s_waitcnt vmcnt(0)
	v_xor_b32_e32 v11, 0x80000000, v11
	v_and_b32_e32 v9, v11, v25
	v_and_b32_e32 v8, v10, v24
	v_cmp_eq_u64_e64 s[18:19], v[8:9], v[22:23]
	v_lshrrev_b64 v[8:9], s63, v[14:15]
	v_and_b32_e32 v12, 3, v12
	v_and_b32_e32 v18, 3, v8
	v_lshrrev_b64 v[8:9], s63, v[28:29]
	v_cmp_eq_u64_e64 s[6:7], 0, v[18:19]
	v_and_b32_e32 v8, 3, v8
	v_mov_b32_e32 v9, v19
	s_and_b64 s[4:5], vcc, s[6:7]
	v_cmp_eq_u64_e64 s[6:7], 0, v[8:9]
	v_mov_b32_e32 v13, v19
	v_lshrrev_b64 v[10:11], s63, v[10:11]
	s_and_b64 s[10:11], s[14:15], s[6:7]
	v_cmp_eq_u64_e64 s[6:7], 0, v[12:13]
	v_and_b32_e32 v10, 3, v10
	v_mov_b32_e32 v11, v19
	s_and_b64 s[12:13], s[16:17], s[6:7]
	v_cmp_eq_u64_e64 s[6:7], 0, v[10:11]
	v_cndmask_b32_e64 v14, 0, 1, s[4:5]
	s_and_b64 s[20:21], s[18:19], s[6:7]
	v_cmp_ne_u32_e64 s[6:7], 0, v14
	v_cndmask_b32_e64 v14, 0, 1, s[10:11]
	s_bcnt1_i32_b64 s4, s[6:7]
	v_cmp_ne_u32_e64 s[6:7], 0, v14
	v_cndmask_b32_e64 v14, 0, 1, s[12:13]
	s_bcnt1_i32_b64 s5, s[6:7]
	;; [unrolled: 3-line block ×3, first 2 shown]
	v_cmp_ne_u32_e64 s[6:7], 0, v14
	s_bcnt1_i32_b64 s6, s[6:7]
	s_add_u32 s4, s4, s44
	s_addc_u32 s7, 0, s45
	s_add_u32 s4, s4, s5
	s_addc_u32 s5, s7, 0
	s_add_u32 s4, s4, s9
	s_addc_u32 s5, s5, 0
	s_add_u32 s44, s4, s6
	v_cmp_eq_u64_e64 s[6:7], 1, v[18:19]
	s_addc_u32 s45, s5, 0
	s_and_b64 s[4:5], vcc, s[6:7]
	v_cmp_eq_u64_e64 s[6:7], 1, v[8:9]
	v_cndmask_b32_e64 v14, 0, 1, s[4:5]
	s_and_b64 s[10:11], s[14:15], s[6:7]
	v_cmp_eq_u64_e64 s[6:7], 1, v[12:13]
	s_and_b64 s[12:13], s[16:17], s[6:7]
	v_cmp_eq_u64_e64 s[6:7], 1, v[10:11]
	s_and_b64 s[20:21], s[18:19], s[6:7]
	v_cmp_ne_u32_e64 s[6:7], 0, v14
	v_cndmask_b32_e64 v14, 0, 1, s[10:11]
	s_bcnt1_i32_b64 s4, s[6:7]
	v_cmp_ne_u32_e64 s[6:7], 0, v14
	v_cndmask_b32_e64 v14, 0, 1, s[12:13]
	s_bcnt1_i32_b64 s5, s[6:7]
	;; [unrolled: 3-line block ×3, first 2 shown]
	v_cmp_ne_u32_e64 s[6:7], 0, v14
	s_bcnt1_i32_b64 s6, s[6:7]
	s_add_u32 s4, s4, s42
	s_addc_u32 s7, 0, s43
	s_add_u32 s4, s4, s5
	s_addc_u32 s5, s7, 0
	;; [unrolled: 2-line block ×3, first 2 shown]
	s_add_u32 s42, s4, s6
	v_cmp_eq_u64_e64 s[6:7], 2, v[18:19]
	s_addc_u32 s43, s5, 0
	s_and_b64 s[4:5], vcc, s[6:7]
	v_cmp_eq_u64_e64 s[6:7], 2, v[8:9]
	v_cndmask_b32_e64 v14, 0, 1, s[4:5]
	s_and_b64 s[10:11], s[14:15], s[6:7]
	v_cmp_eq_u64_e64 s[6:7], 2, v[12:13]
	s_and_b64 s[12:13], s[16:17], s[6:7]
	v_cmp_eq_u64_e64 s[6:7], 2, v[10:11]
	s_and_b64 s[20:21], s[18:19], s[6:7]
	v_cmp_ne_u32_e64 s[6:7], 0, v14
	v_cndmask_b32_e64 v14, 0, 1, s[10:11]
	s_bcnt1_i32_b64 s4, s[6:7]
	v_cmp_ne_u32_e64 s[6:7], 0, v14
	v_cndmask_b32_e64 v14, 0, 1, s[12:13]
	s_bcnt1_i32_b64 s5, s[6:7]
	;; [unrolled: 3-line block ×3, first 2 shown]
	v_cmp_ne_u32_e64 s[6:7], 0, v14
	s_bcnt1_i32_b64 s6, s[6:7]
	s_add_u32 s4, s4, s40
	s_addc_u32 s7, 0, s41
	s_add_u32 s4, s4, s5
	s_addc_u32 s5, s7, 0
	;; [unrolled: 2-line block ×3, first 2 shown]
	s_add_u32 s40, s4, s6
	v_cmp_eq_u64_e64 s[6:7], 3, v[18:19]
	s_addc_u32 s41, s5, 0
	s_and_b64 s[4:5], vcc, s[6:7]
	v_cmp_eq_u64_e32 vcc, 3, v[8:9]
	v_cndmask_b32_e64 v8, 0, 1, s[4:5]
	s_and_b64 s[6:7], s[14:15], vcc
	v_cmp_eq_u64_e32 vcc, 3, v[12:13]
	v_mov_b32_e32 v12, s40
	s_and_b64 s[10:11], s[16:17], vcc
	v_cmp_eq_u64_e32 vcc, 3, v[10:11]
	v_mov_b32_e32 v10, s42
	s_and_b64 s[12:13], s[18:19], vcc
	v_cmp_ne_u32_e32 vcc, 0, v8
	v_cndmask_b32_e64 v8, 0, 1, s[6:7]
	s_bcnt1_i32_b64 s4, vcc
	v_cmp_ne_u32_e32 vcc, 0, v8
	v_cndmask_b32_e64 v8, 0, 1, s[10:11]
	s_bcnt1_i32_b64 s5, vcc
	;; [unrolled: 3-line block ×3, first 2 shown]
	v_cmp_ne_u32_e32 vcc, 0, v8
	s_bcnt1_i32_b64 s7, vcc
	s_add_u32 s4, s4, s38
	s_addc_u32 s9, 0, s39
	s_add_u32 s4, s4, s5
	s_addc_u32 s5, s9, 0
	s_add_u32 s4, s4, s6
	v_add_co_u32_e32 v3, vcc, s8, v3
	s_addc_u32 s5, s5, 0
	v_addc_co_u32_e32 v4, vcc, 0, v4, vcc
	s_add_u32 s38, s4, s7
	v_cmp_le_u64_e32 vcc, s[30:31], v[3:4]
	s_addc_u32 s39, s5, 0
	v_mov_b32_e32 v8, s44
	v_mov_b32_e32 v14, s38
	s_or_b64 s[36:37], vcc, s[36:37]
	v_mov_b32_e32 v9, s45
	v_mov_b32_e32 v11, s43
	;; [unrolled: 1-line block ×4, first 2 shown]
	s_andn2_b64 exec, exec, s[36:37]
	s_cbranch_execnz .LBB159_54
; %bb.55:                               ;   in Loop: Header=BB159_12 Depth=1
	s_or_b64 exec, exec, s[36:37]
.LBB159_56:                             ;   in Loop: Header=BB159_12 Depth=1
	s_or_b64 exec, exec, s[2:3]
	v_mov_b32_e32 v4, s31
	v_add_co_u32_e32 v3, vcc, s30, v0
	v_addc_co_u32_e32 v4, vcc, 0, v4, vcc
	v_cmp_gt_u64_e32 vcc, s[24:25], v[3:4]
	s_and_saveexec_b64 s[2:3], vcc
	s_cbranch_execz .LBB159_62
; %bb.57:                               ;   in Loop: Header=BB159_12 Depth=1
	v_mul_lo_u32 v18, v4, s22
	v_mul_lo_u32 v30, v3, s23
	v_mad_u64_u32 v[28:29], s[4:5], v3, s22, 0
	s_mov_b64 s[8:9], 0
	v_add3_u32 v29, v29, v30, v18
	v_lshlrev_b64 v[28:29], 3, v[28:29]
	v_mov_b32_e32 v18, s54
	v_add_co_u32_e32 v28, vcc, s33, v28
	v_addc_co_u32_e32 v29, vcc, v18, v29, vcc
	global_load_dwordx2 v[30:31], v[28:29], off
	s_branch .LBB159_59
.LBB159_58:                             ;   in Loop: Header=BB159_59 Depth=2
	s_or_b64 exec, exec, s[4:5]
	s_waitcnt vmcnt(0)
	v_xor_b32_e32 v31, 0x80000000, v31
	v_and_b32_e32 v43, v31, v25
	v_and_b32_e32 v42, v30, v24
	v_lshrrev_b64 v[30:31], s63, v[30:31]
	s_and_b64 s[4:5], exec, vcc
	v_and_b32_e32 v18, 3, v30
	v_cmp_eq_u64_e32 vcc, v[42:43], v[22:23]
	v_cmp_eq_u64_e64 s[6:7], 0, v[18:19]
	s_or_b64 s[8:9], s[4:5], s[8:9]
	s_and_b64 s[4:5], vcc, s[6:7]
	v_cndmask_b32_e64 v30, 0, 1, s[4:5]
	v_cmp_ne_u32_e64 s[6:7], 0, v30
	s_bcnt1_i32_b64 s4, s[6:7]
	v_cmp_eq_u64_e64 s[6:7], 1, v[18:19]
	v_add_co_u32_e64 v8, s[14:15], s4, v8
	s_and_b64 s[4:5], vcc, s[6:7]
	v_cndmask_b32_e64 v30, 0, 1, s[4:5]
	v_cmp_ne_u32_e64 s[6:7], 0, v30
	s_bcnt1_i32_b64 s4, s[6:7]
	v_cmp_eq_u64_e64 s[6:7], 2, v[18:19]
	v_addc_co_u32_e64 v9, s[14:15], 0, v9, s[14:15]
	v_add_co_u32_e64 v10, s[14:15], s4, v10
	s_and_b64 s[4:5], vcc, s[6:7]
	v_cndmask_b32_e64 v30, 0, 1, s[4:5]
	v_cmp_ne_u32_e64 s[6:7], 0, v30
	s_bcnt1_i32_b64 s4, s[6:7]
	v_cmp_eq_u64_e64 s[6:7], 3, v[18:19]
	v_addc_co_u32_e64 v11, s[14:15], 0, v11, s[14:15]
	v_add_co_u32_e64 v12, s[14:15], s4, v12
	s_and_b64 s[4:5], vcc, s[6:7]
	v_cndmask_b32_e64 v18, 0, 1, s[4:5]
	v_cmp_ne_u32_e32 vcc, 0, v18
	s_bcnt1_i32_b64 s4, vcc
	v_add_co_u32_e32 v14, vcc, s4, v14
	v_mov_b32_e32 v31, v29
	v_addc_co_u32_e64 v13, s[14:15], 0, v13, s[14:15]
	v_addc_co_u32_e32 v15, vcc, 0, v15, vcc
	v_mov_b32_e32 v30, v28
	s_andn2_b64 exec, exec, s[8:9]
	s_cbranch_execz .LBB159_61
.LBB159_59:                             ;   Parent Loop BB159_12 Depth=1
                                        ; =>  This Inner Loop Header: Depth=2
	v_add_co_u32_sdwa v3, vcc, v3, v5 dst_sel:DWORD dst_unused:UNUSED_PAD src0_sel:DWORD src1_sel:WORD_0
	v_addc_co_u32_e32 v4, vcc, 0, v4, vcc
	v_cmp_gt_u64_e64 s[6:7], s[24:25], v[3:4]
	v_cmp_le_u64_e32 vcc, s[24:25], v[3:4]
	v_mov_b32_e32 v28, 0
	v_mov_b32_e32 v29, 0
	s_and_saveexec_b64 s[4:5], s[6:7]
	s_cbranch_execz .LBB159_58
; %bb.60:                               ;   in Loop: Header=BB159_59 Depth=2
	v_mul_lo_u32 v18, v4, s22
	v_mul_lo_u32 v42, v3, s23
	v_mad_u64_u32 v[28:29], s[6:7], v3, s22, 0
	v_add3_u32 v29, v29, v42, v18
	v_lshlrev_b64 v[28:29], 3, v[28:29]
	v_mov_b32_e32 v18, s54
	v_add_co_u32_e64 v28, s[6:7], s33, v28
	v_addc_co_u32_e64 v29, s[6:7], v18, v29, s[6:7]
	global_load_dwordx2 v[28:29], v[28:29], off
	s_branch .LBB159_58
.LBB159_61:                             ;   in Loop: Header=BB159_12 Depth=1
	s_or_b64 exec, exec, s[8:9]
.LBB159_62:                             ;   in Loop: Header=BB159_12 Depth=1
	s_or_b64 exec, exec, s[2:3]
	s_branch .LBB159_41
.LBB159_63:                             ;   in Loop: Header=BB159_12 Depth=1
	v_readlane_b32 s2, v46, 41
	v_readlane_b32 s3, v46, 42
	v_mov_b32_e32 v8, 0
	v_mov_b32_e32 v10, 0
	;; [unrolled: 1-line block ×5, first 2 shown]
	global_load_ushort v5, v19, s[2:3]
	v_mov_b32_e32 v11, 0
	v_mov_b32_e32 v13, 0
	;; [unrolled: 1-line block ×3, first 2 shown]
	s_waitcnt vmcnt(0)
	v_readfirstlane_b32 s2, v5
	s_and_b32 s4, 0xffff, s2
	s_lshl_b32 s5, s4, 2
	v_cvt_f32_u32_e32 v3, s5
	s_sub_i32 s2, 0, s5
	v_rcp_iflag_f32_e32 v3, v3
	v_mul_f32_e32 v3, 0x4f7ffffe, v3
	v_cvt_u32_f32_e32 v3, v3
	v_readfirstlane_b32 s3, v3
	s_mul_i32 s2, s2, s3
	s_mul_hi_u32 s2, s3, s2
	s_add_i32 s3, s3, s2
	s_mul_hi_u32 s2, s28, s3
	s_mul_i32 s3, s2, s5
	s_sub_i32 s3, s28, s3
	s_add_i32 s6, s2, 1
	s_sub_i32 s7, s3, s5
	s_cmp_ge_u32 s3, s5
	s_cselect_b32 s2, s6, s2
	s_cselect_b32 s3, s7, s3
	s_add_i32 s6, s2, 1
	s_cmp_ge_u32 s3, s5
	s_cselect_b32 s2, s6, s2
	s_mul_hi_u32 s3, s4, s2
	s_mul_i32 s2, s4, s2
	s_lshl_b64 s[30:31], s[2:3], 2
	v_cmp_gt_u64_e32 vcc, s[30:31], v[20:21]
	s_and_saveexec_b64 s[36:37], vcc
	s_cbranch_execz .LBB159_67
; %bb.64:                               ;   in Loop: Header=BB159_12 Depth=1
	v_mov_b32_e32 v3, v20
	s_lshl_b32 s3, s4, 5
	s_mov_b64 s[38:39], 0
	v_mov_b32_e32 v28, v40
	s_mov_b64 s[40:41], 0
	s_mov_b64 s[42:43], 0
	;; [unrolled: 1-line block ×4, first 2 shown]
	v_mov_b32_e32 v4, v21
.LBB159_65:                             ;   Parent Loop BB159_12 Depth=1
                                        ; =>  This Inner Loop Header: Depth=2
	ds_read_b128 v[12:15], v28
	ds_read_b128 v[8:11], v28 offset:16
	v_add_u32_e32 v28, s3, v28
	s_waitcnt lgkmcnt(1)
	v_xor_b32_e32 v13, 0x80000000, v13
	v_and_b32_e32 v30, v13, v25
	v_and_b32_e32 v29, v12, v24
	v_lshrrev_b64 v[12:13], s63, v[12:13]
	v_xor_b32_e32 v15, 0x80000000, v15
	v_and_b32_e32 v18, 3, v12
	v_lshrrev_b64 v[12:13], s63, v[14:15]
	s_waitcnt lgkmcnt(0)
	v_xor_b32_e32 v9, 0x80000000, v9
	v_cmp_eq_u64_e32 vcc, v[29:30], v[22:23]
	v_and_b32_e32 v30, v15, v25
	v_and_b32_e32 v29, v14, v24
	v_cmp_eq_u64_e64 s[6:7], 0, v[18:19]
	v_cmp_eq_u64_e64 s[14:15], v[29:30], v[22:23]
	v_and_b32_e32 v30, v9, v25
	v_and_b32_e32 v29, v8, v24
	;; [unrolled: 1-line block ×3, first 2 shown]
	v_mov_b32_e32 v13, v19
	v_lshrrev_b64 v[8:9], s63, v[8:9]
	v_xor_b32_e32 v11, 0x80000000, v11
	s_and_b64 s[8:9], vcc, s[6:7]
	v_cmp_eq_u64_e64 s[6:7], 0, v[12:13]
	v_cmp_eq_u64_e64 s[16:17], v[29:30], v[22:23]
	v_and_b32_e32 v30, v11, v25
	v_and_b32_e32 v29, v10, v24
	;; [unrolled: 1-line block ×3, first 2 shown]
	v_mov_b32_e32 v9, v19
	v_lshrrev_b64 v[10:11], s63, v[10:11]
	s_and_b64 s[10:11], s[14:15], s[6:7]
	v_cmp_eq_u64_e64 s[6:7], 0, v[8:9]
	v_and_b32_e32 v10, 3, v10
	v_mov_b32_e32 v11, v19
	v_cmp_eq_u64_e64 s[18:19], v[29:30], v[22:23]
	s_and_b64 s[12:13], s[16:17], s[6:7]
	v_cmp_eq_u64_e64 s[6:7], 0, v[10:11]
	v_cndmask_b32_e64 v14, 0, 1, s[8:9]
	s_and_b64 s[20:21], s[18:19], s[6:7]
	v_cmp_ne_u32_e64 s[6:7], 0, v14
	v_cndmask_b32_e64 v14, 0, 1, s[10:11]
	s_bcnt1_i32_b64 s8, s[6:7]
	v_cmp_ne_u32_e64 s[6:7], 0, v14
	v_cndmask_b32_e64 v14, 0, 1, s[12:13]
	s_bcnt1_i32_b64 s9, s[6:7]
	;; [unrolled: 3-line block ×3, first 2 shown]
	v_cmp_ne_u32_e64 s[6:7], 0, v14
	s_bcnt1_i32_b64 s6, s[6:7]
	s_add_u32 s7, s8, s46
	s_addc_u32 s8, 0, s47
	s_add_u32 s7, s7, s9
	s_addc_u32 s8, s8, 0
	s_add_u32 s7, s7, s10
	s_addc_u32 s8, s8, 0
	s_add_u32 s46, s7, s6
	v_cmp_eq_u64_e64 s[6:7], 1, v[18:19]
	s_addc_u32 s47, s8, 0
	s_and_b64 s[8:9], vcc, s[6:7]
	v_cmp_eq_u64_e64 s[6:7], 1, v[12:13]
	v_cndmask_b32_e64 v14, 0, 1, s[8:9]
	s_and_b64 s[10:11], s[14:15], s[6:7]
	v_cmp_eq_u64_e64 s[6:7], 1, v[8:9]
	s_and_b64 s[12:13], s[16:17], s[6:7]
	v_cmp_eq_u64_e64 s[6:7], 1, v[10:11]
	s_and_b64 s[20:21], s[18:19], s[6:7]
	v_cmp_ne_u32_e64 s[6:7], 0, v14
	v_cndmask_b32_e64 v14, 0, 1, s[10:11]
	s_bcnt1_i32_b64 s8, s[6:7]
	v_cmp_ne_u32_e64 s[6:7], 0, v14
	v_cndmask_b32_e64 v14, 0, 1, s[12:13]
	s_bcnt1_i32_b64 s9, s[6:7]
	;; [unrolled: 3-line block ×3, first 2 shown]
	v_cmp_ne_u32_e64 s[6:7], 0, v14
	s_bcnt1_i32_b64 s6, s[6:7]
	s_add_u32 s7, s8, s44
	s_addc_u32 s8, 0, s45
	s_add_u32 s7, s7, s9
	s_addc_u32 s8, s8, 0
	s_add_u32 s7, s7, s10
	s_addc_u32 s8, s8, 0
	s_add_u32 s44, s7, s6
	v_cmp_eq_u64_e64 s[6:7], 2, v[18:19]
	s_addc_u32 s45, s8, 0
	s_and_b64 s[8:9], vcc, s[6:7]
	v_cmp_eq_u64_e64 s[6:7], 2, v[12:13]
	v_cndmask_b32_e64 v14, 0, 1, s[8:9]
	s_and_b64 s[10:11], s[14:15], s[6:7]
	v_cmp_eq_u64_e64 s[6:7], 2, v[8:9]
	s_and_b64 s[12:13], s[16:17], s[6:7]
	v_cmp_eq_u64_e64 s[6:7], 2, v[10:11]
	s_and_b64 s[20:21], s[18:19], s[6:7]
	v_cmp_ne_u32_e64 s[6:7], 0, v14
	v_cndmask_b32_e64 v14, 0, 1, s[10:11]
	s_bcnt1_i32_b64 s8, s[6:7]
	v_cmp_ne_u32_e64 s[6:7], 0, v14
	v_cndmask_b32_e64 v14, 0, 1, s[12:13]
	s_bcnt1_i32_b64 s9, s[6:7]
	;; [unrolled: 3-line block ×3, first 2 shown]
	v_cmp_ne_u32_e64 s[6:7], 0, v14
	s_bcnt1_i32_b64 s6, s[6:7]
	s_add_u32 s7, s8, s42
	s_addc_u32 s8, 0, s43
	s_add_u32 s7, s7, s9
	s_addc_u32 s8, s8, 0
	;; [unrolled: 2-line block ×3, first 2 shown]
	s_add_u32 s42, s7, s6
	v_cmp_eq_u64_e64 s[6:7], 3, v[18:19]
	s_addc_u32 s43, s8, 0
	s_and_b64 s[6:7], vcc, s[6:7]
	v_cmp_eq_u64_e32 vcc, 3, v[12:13]
	v_mov_b32_e32 v12, s42
	s_and_b64 s[8:9], s[14:15], vcc
	v_cmp_eq_u64_e32 vcc, 3, v[8:9]
	v_cndmask_b32_e64 v8, 0, 1, s[6:7]
	s_and_b64 s[10:11], s[16:17], vcc
	v_cmp_eq_u64_e32 vcc, 3, v[10:11]
	v_mov_b32_e32 v10, s44
	s_and_b64 s[12:13], s[18:19], vcc
	v_cmp_ne_u32_e32 vcc, 0, v8
	v_cndmask_b32_e64 v8, 0, 1, s[8:9]
	s_bcnt1_i32_b64 s6, vcc
	v_cmp_ne_u32_e32 vcc, 0, v8
	v_cndmask_b32_e64 v8, 0, 1, s[10:11]
	s_bcnt1_i32_b64 s7, vcc
	;; [unrolled: 3-line block ×3, first 2 shown]
	v_cmp_ne_u32_e32 vcc, 0, v8
	s_bcnt1_i32_b64 s9, vcc
	s_add_u32 s6, s6, s40
	s_addc_u32 s10, 0, s41
	s_add_u32 s6, s6, s7
	s_addc_u32 s7, s10, 0
	s_add_u32 s6, s6, s8
	v_add_co_u32_e32 v3, vcc, s5, v3
	s_addc_u32 s7, s7, 0
	v_addc_co_u32_e32 v4, vcc, 0, v4, vcc
	s_add_u32 s40, s6, s9
	v_cmp_le_u64_e32 vcc, s[30:31], v[3:4]
	s_addc_u32 s41, s7, 0
	v_mov_b32_e32 v8, s46
	v_mov_b32_e32 v14, s40
	s_or_b64 s[38:39], vcc, s[38:39]
	v_mov_b32_e32 v9, s47
	v_mov_b32_e32 v11, s45
	;; [unrolled: 1-line block ×4, first 2 shown]
	s_andn2_b64 exec, exec, s[38:39]
	s_cbranch_execnz .LBB159_65
; %bb.66:                               ;   in Loop: Header=BB159_12 Depth=1
	s_or_b64 exec, exec, s[38:39]
.LBB159_67:                             ;   in Loop: Header=BB159_12 Depth=1
	s_or_b64 exec, exec, s[36:37]
	v_mov_b32_e32 v4, s31
	v_add_co_u32_e32 v3, vcc, s30, v0
	s_and_b32 s52, s28, 0x7fffffff
	v_addc_co_u32_e32 v4, vcc, 0, v4, vcc
	v_cmp_gt_u64_e32 vcc, s[52:53], v[3:4]
	s_and_saveexec_b64 s[8:9], vcc
	s_cbranch_execz .LBB159_71
; %bb.68:                               ;   in Loop: Header=BB159_12 Depth=1
	v_lshl_add_u32 v28, s2, 5, v36
	s_lshl_b32 s4, s4, 3
	s_mov_b64 s[2:3], 0
.LBB159_69:                             ;   Parent Loop BB159_12 Depth=1
                                        ; =>  This Inner Loop Header: Depth=2
	ds_read_b64 v[29:30], v28
	v_add_u32_e32 v28, s4, v28
	s_waitcnt lgkmcnt(0)
	v_xor_b32_e32 v30, 0x80000000, v30
	v_and_b32_e32 v43, v30, v25
	v_and_b32_e32 v42, v29, v24
	v_lshrrev_b64 v[29:30], s63, v[29:30]
	v_cmp_eq_u64_e32 vcc, v[42:43], v[22:23]
	v_and_b32_e32 v18, 3, v29
	v_cmp_eq_u64_e64 s[6:7], 0, v[18:19]
	s_and_b64 s[6:7], vcc, s[6:7]
	v_cndmask_b32_e64 v29, 0, 1, s[6:7]
	v_cmp_ne_u32_e64 s[6:7], 0, v29
	s_bcnt1_i32_b64 s5, s[6:7]
	v_add_co_u32_e64 v8, s[6:7], s5, v8
	v_addc_co_u32_e64 v9, s[6:7], 0, v9, s[6:7]
	v_cmp_eq_u64_e64 s[6:7], 1, v[18:19]
	s_and_b64 s[6:7], vcc, s[6:7]
	v_cndmask_b32_e64 v29, 0, 1, s[6:7]
	v_cmp_ne_u32_e64 s[6:7], 0, v29
	s_bcnt1_i32_b64 s5, s[6:7]
	v_add_co_u32_e64 v10, s[6:7], s5, v10
	v_addc_co_u32_e64 v11, s[6:7], 0, v11, s[6:7]
	;; [unrolled: 7-line block ×3, first 2 shown]
	v_cmp_eq_u64_e64 s[6:7], 3, v[18:19]
	s_and_b64 s[6:7], vcc, s[6:7]
	v_cndmask_b32_e64 v18, 0, 1, s[6:7]
	v_cmp_ne_u32_e32 vcc, 0, v18
	s_bcnt1_i32_b64 s5, vcc
	v_add_co_u32_e32 v14, vcc, s5, v14
	v_addc_co_u32_e32 v15, vcc, 0, v15, vcc
	v_add_co_u32_sdwa v3, vcc, v3, v5 dst_sel:DWORD dst_unused:UNUSED_PAD src0_sel:DWORD src1_sel:WORD_0
	v_addc_co_u32_e32 v4, vcc, 0, v4, vcc
	v_cmp_le_u64_e32 vcc, s[52:53], v[3:4]
	s_or_b64 s[2:3], vcc, s[2:3]
	s_andn2_b64 exec, exec, s[2:3]
	s_cbranch_execnz .LBB159_69
; %bb.70:                               ;   in Loop: Header=BB159_12 Depth=1
	s_or_b64 exec, exec, s[2:3]
.LBB159_71:                             ;   in Loop: Header=BB159_12 Depth=1
	s_or_b64 exec, exec, s[8:9]
	s_lshl_b32 s4, s56, 6
	s_and_saveexec_b64 s[2:3], s[0:1]
	s_cbranch_execnz .LBB159_42
	s_branch .LBB159_43
.LBB159_72:                             ;   in Loop: Header=BB159_12 Depth=1
                                        ; implicit-def: $sgpr2_sgpr3
	s_branch .LBB159_51
.LBB159_73:                             ;   in Loop: Header=BB159_12 Depth=1
	v_mov_b32_e32 v3, 0
	v_mov_b32_e32 v4, 0
	s_mov_b32 s5, 0
.LBB159_74:                             ;   in Loop: Header=BB159_12 Depth=1
	v_readlane_b32 s6, v46, 46
	v_readlane_b32 s7, v46, 47
	s_andn2_b64 vcc, exec, s[6:7]
	s_cbranch_vccnz .LBB159_77
; %bb.75:                               ;   in Loop: Header=BB159_12 Depth=1
	s_lshl_b32 s6, s56, 9
	s_lshl_b32 s5, s5, 5
	s_add_i32 s6, s6, s5
	v_add_u32_e32 v5, s6, v39
	v_readlane_b32 s5, v46, 45
.LBB159_76:                             ;   Parent Loop BB159_12 Depth=1
                                        ; =>  This Inner Loop Header: Depth=2
	ds_read_b64 v[8:9], v5
	s_add_i32 s5, s5, -1
	v_add_u32_e32 v5, 32, v5
	s_cmp_lg_u32 s5, 0
	s_waitcnt lgkmcnt(0)
	v_add_co_u32_e32 v3, vcc, v8, v3
	v_addc_co_u32_e32 v4, vcc, v9, v4, vcc
	s_cbranch_scc1 .LBB159_76
.LBB159_77:                             ;   in Loop: Header=BB159_12 Depth=1
	v_add_lshl_u32 v5, s4, v35, 3
	ds_write_b64 v5, v[3:4] offset:3072
.LBB159_78:                             ;   in Loop: Header=BB159_12 Depth=1
	s_or_b64 exec, exec, s[2:3]
	s_lshl_b32 s2, s4, 3
	v_mov_b32_e32 v3, s2
	s_waitcnt lgkmcnt(0)
	s_barrier
	ds_read_b128 v[8:11], v3 offset:3072
	ds_read_b128 v[12:15], v3 offset:3088
	v_readlane_b32 s2, v46, 26
	s_lshl_b64 s[18:19], 3, s63
	v_cmp_eq_u64_e64 s[14:15], 1, v[26:27]
	v_readlane_b32 s3, v46, 27
	s_waitcnt lgkmcnt(1)
	v_readfirstlane_b32 s17, v9
	v_readfirstlane_b32 s16, v8
	;; [unrolled: 1-line block ×4, first 2 shown]
	s_waitcnt lgkmcnt(0)
	v_readfirstlane_b32 s49, v13
	v_readfirstlane_b32 s48, v12
	;; [unrolled: 1-line block ×4, first 2 shown]
	s_not_b64 s[90:91], s[18:19]
	s_mov_b64 s[44:45], -1
	s_mov_b64 s[92:93], 0
	s_andn2_b64 vcc, exec, s[2:3]
	s_mov_b64 s[30:31], 0
	s_mov_b64 s[28:29], 0
                                        ; implicit-def: $sgpr36_sgpr37
                                        ; implicit-def: $sgpr38_sgpr39
                                        ; implicit-def: $vgpr28_vgpr29
                                        ; implicit-def: $vgpr42
                                        ; implicit-def: $vgpr12_vgpr13
                                        ; implicit-def: $vgpr14_vgpr15
                                        ; implicit-def: $vgpr10_vgpr11
	s_cbranch_vccnz .LBB159_274
; %bb.79:                               ;   in Loop: Header=BB159_12 Depth=1
	s_cmp_eq_u64 s[16:17], 1
	s_cselect_b64 s[2:3], -1, 0
	v_mov_b32_e32 v12, v22
	v_mov_b32_e32 v14, v24
	;; [unrolled: 1-line block ×3, first 2 shown]
	s_and_b64 s[2:3], s[2:3], s[14:15]
	s_mov_b64 s[4:5], -1
	v_mov_b32_e32 v13, v23
	v_mov_b32_e32 v15, v25
	;; [unrolled: 1-line block ×3, first 2 shown]
                                        ; implicit-def: $sgpr38_sgpr39
                                        ; implicit-def: $sgpr36_sgpr37
	s_and_saveexec_b64 s[6:7], s[2:3]
	s_cbranch_execz .LBB159_114
; %bb.80:                               ;   in Loop: Header=BB159_12 Depth=1
	ds_read_b64 v[3:4], v19 offset:5120
	s_waitcnt lgkmcnt(0)
	s_barrier
	v_readfirstlane_b32 s10, v3
	v_readfirstlane_b32 s11, v4
	s_mov_b64 s[4:5], exec
	v_readlane_b32 s8, v46, 34
	v_readlane_b32 s9, v46, 35
	s_and_b64 s[8:9], s[4:5], s[8:9]
	s_mov_b64 exec, s[8:9]
; %bb.81:                               ;   in Loop: Header=BB159_12 Depth=1
	v_mov_b32_e32 v18, v19
	ds_write_b64 v37, v[18:19]
; %bb.82:                               ;   in Loop: Header=BB159_12 Depth=1
	s_or_b64 exec, exec, s[4:5]
	v_and_b32_e32 v13, s91, v23
	v_and_b32_e32 v12, s90, v22
	v_or_b32_e32 v15, s19, v25
	v_or_b32_e32 v14, s18, v24
	s_mov_b64 s[36:37], -1
	s_mov_b64 s[38:39], 0
	s_cmp_eq_u64 s[10:11], 0
	s_mov_b64 s[8:9], 0
	s_mov_b64 s[20:21], -1
	s_waitcnt lgkmcnt(0)
	s_barrier
                                        ; implicit-def: $vgpr10_vgpr11
	s_cbranch_scc1 .LBB159_99
; %bb.83:                               ;   in Loop: Header=BB159_12 Depth=1
	v_readlane_b32 s4, v46, 38
	s_add_u32 s20, s10, s4
	v_readlane_b32 s4, v46, 40
	s_addc_u32 s9, s11, s4
	s_mov_b32 s8, s53
	s_cmp_lg_u64 s[8:9], 0
	s_cbranch_scc0 .LBB159_140
; %bb.84:                               ;   in Loop: Header=BB159_12 Depth=1
	v_cvt_f32_u32_e32 v3, s55
	s_sub_u32 s8, 0, s55
	s_subb_u32 s12, 0, 0
	v_mac_f32_e32 v3, 0, v41
	v_rcp_f32_e32 v3, v3
	v_mul_f32_e32 v3, 0x5f7ffffc, v3
	v_mul_f32_e32 v4, 0x2f800000, v3
	v_trunc_f32_e32 v4, v4
	v_mac_f32_e32 v3, 0xcf800000, v4
	v_cvt_u32_f32_e32 v4, v4
	v_cvt_u32_f32_e32 v3, v3
	v_readfirstlane_b32 s13, v4
	v_readfirstlane_b32 s4, v3
	s_mul_i32 s5, s8, s13
	s_mul_hi_u32 s28, s8, s4
	s_mul_i32 s21, s12, s4
	s_add_i32 s5, s28, s5
	s_mul_i32 s29, s8, s4
	s_add_i32 s5, s5, s21
	s_mul_hi_u32 s28, s4, s29
	s_mul_i32 s30, s4, s5
	s_mul_hi_u32 s21, s4, s5
	s_add_u32 s28, s28, s30
	s_addc_u32 s21, 0, s21
	s_mul_hi_u32 s31, s13, s29
	s_mul_i32 s29, s13, s29
	s_add_u32 s28, s28, s29
	s_mul_hi_u32 s30, s13, s5
	s_addc_u32 s21, s21, s31
	s_addc_u32 s28, s30, 0
	s_mul_i32 s5, s13, s5
	s_add_u32 s5, s21, s5
	s_addc_u32 s21, 0, s28
	s_add_u32 s28, s4, s5
	s_cselect_b64 s[4:5], -1, 0
	s_cmp_lg_u64 s[4:5], 0
	s_addc_u32 s13, s13, s21
	s_mul_i32 s4, s8, s13
	s_mul_hi_u32 s5, s8, s28
	s_add_i32 s4, s5, s4
	s_mul_i32 s12, s12, s28
	s_add_i32 s4, s4, s12
	s_mul_i32 s8, s8, s28
	s_mul_hi_u32 s12, s13, s8
	s_mul_i32 s21, s13, s8
	s_mul_i32 s30, s28, s4
	s_mul_hi_u32 s8, s28, s8
	s_mul_hi_u32 s29, s28, s4
	s_add_u32 s8, s8, s30
	s_addc_u32 s29, 0, s29
	s_add_u32 s8, s8, s21
	s_mul_hi_u32 s5, s13, s4
	s_addc_u32 s8, s29, s12
	s_addc_u32 s5, s5, 0
	s_mul_i32 s4, s13, s4
	s_add_u32 s4, s8, s4
	s_addc_u32 s8, 0, s5
	s_add_u32 s12, s28, s4
	s_cselect_b64 s[4:5], -1, 0
	s_cmp_lg_u64 s[4:5], 0
	s_addc_u32 s4, s13, s8
	s_mul_i32 s8, s20, s4
	s_mul_hi_u32 s13, s20, s12
	s_mul_hi_u32 s5, s20, s4
	s_add_u32 s8, s13, s8
	s_addc_u32 s5, 0, s5
	s_mul_hi_u32 s21, s9, s12
	s_mul_i32 s12, s9, s12
	s_add_u32 s8, s8, s12
	s_mul_hi_u32 s13, s9, s4
	s_addc_u32 s5, s5, s21
	s_addc_u32 s8, s13, 0
	s_mul_i32 s4, s9, s4
	s_add_u32 s4, s5, s4
	s_addc_u32 s5, 0, s8
	s_mul_i32 s5, s55, s5
	s_mul_hi_u32 s8, s55, s4
	s_add_i32 s8, s8, s5
	s_mul_i32 s4, s55, s4
	s_sub_u32 s12, s20, s4
	s_cselect_b64 s[4:5], -1, 0
	s_cmp_lg_u64 s[4:5], 0
	s_subb_u32 s8, s9, s8
	s_sub_u32 s13, s12, s55
	s_cselect_b64 s[4:5], -1, 0
	s_cmp_lg_u64 s[4:5], 0
	s_subb_u32 s21, s8, 0
	;; [unrolled: 4-line block ×3, first 2 shown]
	s_cmp_ge_u32 s13, s55
	s_cselect_b32 s5, -1, 0
	s_cmp_eq_u32 s21, 0
	s_cselect_b32 s5, s5, -1
	s_cmp_lg_u32 s5, 0
	s_cselect_b32 s4, s4, s21
	s_cselect_b32 s13, s28, s13
	s_cmp_ge_u32 s12, s55
	s_cselect_b32 s5, -1, 0
	s_cmp_eq_u32 s8, 0
	s_cselect_b32 s5, s5, -1
	s_cmp_lg_u32 s5, 0
	s_cselect_b32 s5, s4, s8
	s_cselect_b32 s4, s13, s12
	s_cbranch_execnz .LBB159_86
.LBB159_85:                             ;   in Loop: Header=BB159_12 Depth=1
	v_cvt_f32_u32_e32 v3, s55
	s_sub_i32 s4, 0, s55
	v_rcp_iflag_f32_e32 v3, v3
	v_mul_f32_e32 v3, 0x4f7ffffe, v3
	v_cvt_u32_f32_e32 v3, v3
	v_readfirstlane_b32 s5, v3
	s_mul_i32 s4, s4, s5
	s_mul_hi_u32 s4, s5, s4
	s_add_i32 s5, s5, s4
	s_mul_hi_u32 s4, s20, s5
	s_mul_i32 s4, s4, s55
	s_sub_i32 s4, s20, s4
	s_sub_i32 s5, s4, s55
	s_cmp_ge_u32 s4, s55
	s_cselect_b32 s4, s5, s4
	s_sub_i32 s5, s4, s55
	s_cmp_ge_u32 s4, s55
	s_cselect_b32 s52, s5, s4
	s_mov_b64 s[4:5], s[52:53]
.LBB159_86:                             ;   in Loop: Header=BB159_12 Depth=1
	s_sub_u32 s12, s20, s4
	s_subb_u32 s13, s9, s5
	v_cmp_gt_u64_e32 vcc, s[12:13], v[0:1]
	s_mov_b64 s[20:21], 0
	s_mov_b64 s[8:9], 0
                                        ; implicit-def: $vgpr10_vgpr11
	s_and_saveexec_b64 s[28:29], vcc
	s_cbranch_execz .LBB159_98
; %bb.87:                               ;   in Loop: Header=BB159_12 Depth=1
	v_mov_b32_e32 v29, v1
	v_mov_b32_e32 v18, v36
	;; [unrolled: 1-line block ×3, first 2 shown]
                                        ; implicit-def: $sgpr4_sgpr5
	s_branch .LBB159_90
.LBB159_88:                             ;   in Loop: Header=BB159_90 Depth=2
	s_or_b64 exec, exec, s[30:31]
	s_waitcnt lgkmcnt(0)
	s_barrier
	ds_read_b128 v[8:11], v19 offset:3072
	s_mov_b64 s[30:31], -1
	s_mov_b64 s[34:35], -1
	s_waitcnt lgkmcnt(0)
	s_barrier
	v_cmp_ne_u64_e32 vcc, 0, v[8:9]
	s_cbranch_vccz .LBB159_93
.LBB159_89:                             ;   in Loop: Header=BB159_90 Depth=2
	s_and_b64 s[30:31], exec, s[30:31]
	s_or_b64 s[8:9], s[30:31], s[8:9]
	s_andn2_b64 s[4:5], s[4:5], exec
	s_and_b64 s[30:31], s[34:35], exec
	s_or_b64 s[4:5], s[4:5], s[30:31]
	s_andn2_b64 exec, exec, s[8:9]
	s_cbranch_execz .LBB159_97
.LBB159_90:                             ;   Parent Loop BB159_12 Depth=1
                                        ; =>  This Inner Loop Header: Depth=2
	v_cmp_gt_u64_e32 vcc, s[10:11], v[28:29]
	s_and_saveexec_b64 s[30:31], vcc
	s_cbranch_execz .LBB159_88
; %bb.91:                               ;   in Loop: Header=BB159_90 Depth=2
	ds_read_b64 v[4:5], v18
	s_waitcnt lgkmcnt(0)
	v_xor_b32_e32 v3, 0x80000000, v5
	v_and_b32_e32 v9, v3, v15
	v_and_b32_e32 v8, v4, v14
	v_cmp_eq_u64_e32 vcc, v[8:9], v[12:13]
	s_and_b64 exec, exec, vcc
	s_cbranch_execz .LBB159_88
; %bb.92:                               ;   in Loop: Header=BB159_90 Depth=2
	v_mov_b32_e32 v3, v19
	ds_write_b128 v19, v[2:5] offset:3072
	s_branch .LBB159_88
.LBB159_93:                             ;   in Loop: Header=BB159_90 Depth=2
	v_add_co_u32_e32 v28, vcc, s55, v28
	v_addc_co_u32_e32 v29, vcc, 0, v29, vcc
	v_cmp_le_u64_e32 vcc, s[12:13], v[28:29]
	v_add_u32_e32 v18, s62, v18
	s_mov_b64 s[34:35], 0
	s_orn2_b64 s[30:31], vcc, exec
	s_branch .LBB159_89
.LBB159_94:                             ;   in Loop: Header=BB159_12 Depth=1
	s_or_b64 exec, exec, s[8:9]
	s_waitcnt lgkmcnt(0)
	s_barrier
	s_mov_b64 s[4:5], exec
	v_readlane_b32 s6, v46, 12
	v_readlane_b32 s7, v46, 13
	s_and_b64 s[6:7], s[4:5], s[6:7]
	s_mov_b64 exec, s[6:7]
	s_cbranch_execz .LBB159_96
; %bb.95:                               ;   in Loop: Header=BB159_12 Depth=1
	ds_read_b32 v3, v19 offset:5144
	s_waitcnt lgkmcnt(0)
	v_ashrrev_i32_e32 v4, 31, v3
	ds_write_b64 v19, v[3:4] offset:5120
.LBB159_96:                             ;   in Loop: Header=BB159_12 Depth=1
	s_or_b64 exec, exec, s[4:5]
	s_waitcnt lgkmcnt(0)
	s_barrier
	s_mov_b64 s[4:5], -1
	s_and_b64 vcc, exec, s[2:3]
	s_cbranch_vccnz .LBB159_28
	s_branch .LBB159_37
.LBB159_97:                             ;   in Loop: Header=BB159_12 Depth=1
	s_or_b64 exec, exec, s[8:9]
	s_and_b64 s[8:9], s[4:5], exec
.LBB159_98:                             ;   in Loop: Header=BB159_12 Depth=1
	s_or_b64 exec, exec, s[28:29]
.LBB159_99:                             ;   in Loop: Header=BB159_12 Depth=1
	s_and_b64 vcc, exec, s[20:21]
	s_cbranch_vccz .LBB159_113
; %bb.100:                              ;   in Loop: Header=BB159_12 Depth=1
	s_mov_b32 s60, s53
	s_cmp_lg_u64 s[60:61], 0
	s_cbranch_scc0 .LBB159_141
; %bb.101:                              ;   in Loop: Header=BB159_12 Depth=1
	v_cvt_f32_u32_e32 v3, s55
	s_sub_u32 s10, 0, s55
	s_subb_u32 s11, 0, 0
	v_mac_f32_e32 v3, 0, v41
	v_rcp_f32_e32 v3, v3
	v_mul_f32_e32 v3, 0x5f7ffffc, v3
	v_mul_f32_e32 v4, 0x2f800000, v3
	v_trunc_f32_e32 v4, v4
	v_mac_f32_e32 v3, 0xcf800000, v4
	v_cvt_u32_f32_e32 v4, v4
	v_cvt_u32_f32_e32 v3, v3
	v_readfirstlane_b32 s12, v4
	v_readfirstlane_b32 s4, v3
	s_mul_i32 s5, s10, s12
	s_mul_hi_u32 s20, s10, s4
	s_mul_i32 s13, s11, s4
	s_add_i32 s5, s20, s5
	s_mul_i32 s21, s10, s4
	s_add_i32 s5, s5, s13
	s_mul_hi_u32 s20, s4, s21
	s_mul_i32 s28, s4, s5
	s_mul_hi_u32 s13, s4, s5
	s_add_u32 s20, s20, s28
	s_addc_u32 s13, 0, s13
	s_mul_hi_u32 s29, s12, s21
	s_mul_i32 s21, s12, s21
	s_add_u32 s20, s20, s21
	s_mul_hi_u32 s28, s12, s5
	s_addc_u32 s13, s13, s29
	s_addc_u32 s20, s28, 0
	s_mul_i32 s5, s12, s5
	s_add_u32 s5, s13, s5
	s_addc_u32 s13, 0, s20
	s_add_u32 s20, s4, s5
	s_cselect_b64 s[4:5], -1, 0
	s_cmp_lg_u64 s[4:5], 0
	s_addc_u32 s12, s12, s13
	s_mul_i32 s4, s10, s12
	s_mul_hi_u32 s5, s10, s20
	s_add_i32 s4, s5, s4
	s_mul_i32 s11, s11, s20
	s_add_i32 s4, s4, s11
	s_mul_i32 s10, s10, s20
	s_mul_hi_u32 s11, s12, s10
	s_mul_i32 s13, s12, s10
	s_mul_i32 s28, s20, s4
	s_mul_hi_u32 s10, s20, s10
	s_mul_hi_u32 s21, s20, s4
	s_add_u32 s10, s10, s28
	s_addc_u32 s21, 0, s21
	s_add_u32 s10, s10, s13
	s_mul_hi_u32 s5, s12, s4
	s_addc_u32 s10, s21, s11
	s_addc_u32 s5, s5, 0
	s_mul_i32 s4, s12, s4
	s_add_u32 s4, s10, s4
	s_addc_u32 s10, 0, s5
	s_add_u32 s11, s20, s4
	s_cselect_b64 s[4:5], -1, 0
	s_cmp_lg_u64 s[4:5], 0
	s_addc_u32 s4, s12, s10
	v_readlane_b32 s21, v46, 39
	s_mul_i32 s10, s21, s4
	s_mul_hi_u32 s12, s21, s11
	s_mul_hi_u32 s5, s21, s4
	s_add_u32 s10, s12, s10
	s_addc_u32 s5, 0, s5
	s_mul_hi_u32 s13, s61, s11
	s_mul_i32 s11, s61, s11
	s_add_u32 s10, s10, s11
	s_mul_hi_u32 s12, s61, s4
	s_addc_u32 s5, s5, s13
	s_addc_u32 s10, s12, 0
	s_mul_i32 s4, s61, s4
	s_add_u32 s4, s5, s4
	s_addc_u32 s5, 0, s10
	s_mul_i32 s5, s55, s5
	s_mul_hi_u32 s10, s55, s4
	s_add_i32 s10, s10, s5
	s_mul_i32 s4, s55, s4
	s_sub_u32 s11, s21, s4
	s_cselect_b64 s[4:5], -1, 0
	s_cmp_lg_u64 s[4:5], 0
	s_subb_u32 s10, s61, s10
	s_sub_u32 s12, s11, s55
	s_cselect_b64 s[4:5], -1, 0
	s_cmp_lg_u64 s[4:5], 0
	s_subb_u32 s13, s10, 0
	;; [unrolled: 4-line block ×3, first 2 shown]
	s_cmp_ge_u32 s12, s55
	s_cselect_b32 s5, -1, 0
	s_cmp_eq_u32 s13, 0
	s_cselect_b32 s5, s5, -1
	s_cmp_lg_u32 s5, 0
	s_cselect_b32 s4, s4, s13
	s_cselect_b32 s12, s20, s12
	s_cmp_ge_u32 s11, s55
	s_cselect_b32 s5, -1, 0
	s_cmp_eq_u32 s10, 0
	s_cselect_b32 s5, s5, -1
	s_cmp_lg_u32 s5, 0
	s_cselect_b32 s5, s4, s10
	s_cselect_b32 s4, s12, s11
	s_cbranch_execnz .LBB159_103
.LBB159_102:                            ;   in Loop: Header=BB159_12 Depth=1
	v_cvt_f32_u32_e32 v3, s55
	s_sub_i32 s4, 0, s55
	v_rcp_iflag_f32_e32 v3, v3
	v_mul_f32_e32 v3, 0x4f7ffffe, v3
	v_cvt_u32_f32_e32 v3, v3
	v_readfirstlane_b32 s5, v3
	s_mul_i32 s4, s4, s5
	s_mul_hi_u32 s4, s5, s4
	s_add_i32 s5, s5, s4
	s_mul_hi_u32 s4, s21, s5
	s_mul_i32 s4, s4, s55
	s_sub_i32 s4, s21, s4
	s_sub_i32 s5, s4, s55
	s_cmp_ge_u32 s4, s55
	s_cselect_b32 s4, s5, s4
	s_sub_i32 s5, s4, s55
	s_cmp_ge_u32 s4, s55
	s_cselect_b32 s52, s5, s4
	s_mov_b64 s[4:5], s[52:53]
.LBB159_103:                            ;   in Loop: Header=BB159_12 Depth=1
	s_sub_u32 s20, s21, s4
	s_subb_u32 s21, s61, s5
	v_cmp_gt_u64_e32 vcc, s[20:21], v[0:1]
                                        ; implicit-def: $vgpr10_vgpr11
	s_and_saveexec_b64 s[10:11], vcc
	s_cbranch_execz .LBB159_112
; %bb.104:                              ;   in Loop: Header=BB159_12 Depth=1
	v_mov_b32_e32 v29, v1
	s_mov_b64 s[28:29], 0
	v_mov_b32_e32 v28, v0
                                        ; implicit-def: $sgpr12_sgpr13
	s_branch .LBB159_107
.LBB159_105:                            ;   in Loop: Header=BB159_107 Depth=2
	s_or_b64 exec, exec, s[4:5]
	s_waitcnt lgkmcnt(0)
	s_barrier
	ds_read_b128 v[8:11], v19 offset:3072
	s_mov_b64 s[30:31], -1
	s_mov_b64 s[4:5], -1
	s_waitcnt lgkmcnt(0)
	s_barrier
	v_cmp_ne_u64_e32 vcc, 0, v[8:9]
	s_cbranch_vccz .LBB159_110
.LBB159_106:                            ;   in Loop: Header=BB159_107 Depth=2
	s_and_b64 s[30:31], exec, s[30:31]
	s_or_b64 s[28:29], s[30:31], s[28:29]
	s_andn2_b64 s[12:13], s[12:13], exec
	s_and_b64 s[4:5], s[4:5], exec
	s_or_b64 s[12:13], s[12:13], s[4:5]
	s_andn2_b64 exec, exec, s[28:29]
	s_cbranch_execz .LBB159_111
.LBB159_107:                            ;   Parent Loop BB159_12 Depth=1
                                        ; =>  This Inner Loop Header: Depth=2
	v_cmp_gt_u64_e32 vcc, s[24:25], v[28:29]
	s_and_saveexec_b64 s[4:5], vcc
	s_cbranch_execz .LBB159_105
; %bb.108:                              ;   in Loop: Header=BB159_107 Depth=2
	v_mul_lo_u32 v5, v29, s22
	v_mul_lo_u32 v8, v28, s23
	v_mad_u64_u32 v[3:4], s[30:31], v28, s22, 0
	v_add3_u32 v4, v4, v8, v5
	v_lshlrev_b64 v[3:4], 3, v[3:4]
	v_mov_b32_e32 v5, s54
	v_add_co_u32_e32 v3, vcc, s33, v3
	v_addc_co_u32_e32 v4, vcc, v5, v4, vcc
	global_load_dwordx2 v[4:5], v[3:4], off
	s_waitcnt vmcnt(0)
	v_xor_b32_e32 v3, 0x80000000, v5
	v_and_b32_e32 v9, v3, v15
	v_and_b32_e32 v8, v4, v14
	v_cmp_eq_u64_e32 vcc, v[8:9], v[12:13]
	s_and_b64 exec, exec, vcc
	s_cbranch_execz .LBB159_105
; %bb.109:                              ;   in Loop: Header=BB159_107 Depth=2
	v_mov_b32_e32 v3, v19
	ds_write_b128 v19, v[2:5] offset:3072
	s_branch .LBB159_105
.LBB159_110:                            ;   in Loop: Header=BB159_107 Depth=2
	v_add_co_u32_e32 v28, vcc, s55, v28
	v_addc_co_u32_e32 v29, vcc, 0, v29, vcc
	v_cmp_le_u64_e32 vcc, s[20:21], v[28:29]
	s_mov_b64 s[4:5], 0
	s_orn2_b64 s[30:31], vcc, exec
	s_branch .LBB159_106
.LBB159_111:                            ;   in Loop: Header=BB159_12 Depth=1
	s_or_b64 exec, exec, s[28:29]
	s_andn2_b64 s[4:5], s[8:9], exec
	s_and_b64 s[8:9], s[12:13], exec
	s_or_b64 s[8:9], s[4:5], s[8:9]
.LBB159_112:                            ;   in Loop: Header=BB159_12 Depth=1
	s_or_b64 exec, exec, s[10:11]
	s_mov_b64 s[36:37], 0
	s_mov_b64 s[38:39], -1
.LBB159_113:                            ;   in Loop: Header=BB159_12 Depth=1
	s_orn2_b64 s[4:5], s[8:9], exec
.LBB159_114:                            ;   in Loop: Header=BB159_12 Depth=1
	s_or_b64 exec, exec, s[6:7]
	s_mov_b64 s[44:45], 0
	s_mov_b64 s[30:31], 0
	;; [unrolled: 1-line block ×3, first 2 shown]
                                        ; implicit-def: $vgpr28_vgpr29
                                        ; implicit-def: $vgpr42
	s_and_saveexec_b64 s[46:47], s[4:5]
	s_cbranch_execz .LBB159_273
; %bb.115:                              ;   in Loop: Header=BB159_12 Depth=1
	v_mov_b32_e32 v28, 1
	s_xor_b64 s[6:7], s[2:3], -1
	v_mov_b32_e32 v42, 1
	v_mov_b32_e32 v29, 0
	s_mov_b64 s[4:5], 0
	s_and_saveexec_b64 s[2:3], s[6:7]
	s_cbranch_execz .LBB159_124
; %bb.116:                              ;   in Loop: Header=BB159_12 Depth=1
	v_cmp_ge_u64_e32 vcc, s[16:17], v[26:27]
	s_and_saveexec_b64 s[4:5], vcc
	s_xor_b64 s[4:5], exec, s[4:5]
	s_cbranch_execz .LBB159_121
; %bb.117:                              ;   in Loop: Header=BB159_12 Depth=1
	ds_read_b64 v[3:4], v19 offset:5120
	v_and_b32_e32 v13, s91, v13
	v_and_b32_e32 v12, s90, v12
	v_or_b32_e32 v15, s19, v15
	v_or_b32_e32 v14, s18, v14
	s_waitcnt lgkmcnt(0)
	v_cmp_ne_u64_e32 vcc, 0, v[3:4]
	s_cbranch_vccnz .LBB159_121
; %bb.118:                              ;   in Loop: Header=BB159_12 Depth=1
	s_mov_b64 s[6:7], exec
	v_readlane_b32 s8, v46, 12
	v_readlane_b32 s9, v46, 13
	s_and_b64 s[8:9], s[6:7], s[8:9]
	s_mov_b64 exec, s[8:9]
; %bb.119:                              ;   in Loop: Header=BB159_12 Depth=1
	v_mov_b32_e32 v3, s16
	v_mov_b32_e32 v4, s17
	ds_write_b64 v19, v[3:4] offset:5128
; %bb.120:                              ;   in Loop: Header=BB159_12 Depth=1
	s_or_b64 exec, exec, s[6:7]
	s_waitcnt lgkmcnt(0)
	s_barrier
.LBB159_121:                            ;   in Loop: Header=BB159_12 Depth=1
	s_or_saveexec_b64 s[4:5], s[4:5]
	v_mov_b32_e32 v29, v27
	s_mov_b64 s[6:7], 0
	v_mov_b32_e32 v42, 8
	v_mov_b32_e32 v28, v26
	s_xor_b64 exec, exec, s[4:5]
; %bb.122:                              ;   in Loop: Header=BB159_12 Depth=1
	v_subrev_co_u32_e32 v28, vcc, s16, v26
	v_mov_b32_e32 v3, s17
	v_subb_co_u32_e32 v29, vcc, v27, v3, vcc
	v_mov_b32_e32 v42, 0
	s_mov_b64 s[6:7], exec
; %bb.123:                              ;   in Loop: Header=BB159_12 Depth=1
	s_or_b64 exec, exec, s[4:5]
	s_and_b64 s[4:5], s[6:7], exec
.LBB159_124:                            ;   in Loop: Header=BB159_12 Depth=1
	s_or_b64 exec, exec, s[2:3]
	s_mov_b64 s[2:3], -1
                                        ; implicit-def: $sgpr28_sgpr29
                                        ; implicit-def: $sgpr30_sgpr31
	s_and_saveexec_b64 s[6:7], s[4:5]
	s_xor_b64 s[6:7], exec, s[6:7]
	s_cbranch_execz .LBB159_270
; %bb.125:                              ;   in Loop: Header=BB159_12 Depth=1
	s_cmp_eq_u64 s[94:95], 1
	v_cmp_eq_u64_e32 vcc, 1, v[28:29]
	s_cselect_b64 s[2:3], -1, 0
	s_and_b64 s[2:3], s[2:3], vcc
	s_mov_b64 s[4:5], -1
                                        ; implicit-def: $sgpr30_sgpr31
                                        ; implicit-def: $sgpr28_sgpr29
	s_and_saveexec_b64 s[20:21], s[2:3]
	s_cbranch_execz .LBB159_159
; %bb.126:                              ;   in Loop: Header=BB159_12 Depth=1
	ds_read_b64 v[3:4], v19 offset:5120
	s_waitcnt lgkmcnt(0)
	s_barrier
	v_readfirstlane_b32 s10, v3
	v_readfirstlane_b32 s11, v4
	s_mov_b64 s[4:5], exec
	v_readlane_b32 s8, v46, 34
	v_readlane_b32 s9, v46, 35
	s_and_b64 s[8:9], s[4:5], s[8:9]
	s_mov_b64 exec, s[8:9]
; %bb.127:                              ;   in Loop: Header=BB159_12 Depth=1
	v_mov_b32_e32 v18, v19
	ds_write_b64 v37, v[18:19]
; %bb.128:                              ;   in Loop: Header=BB159_12 Depth=1
	s_or_b64 exec, exec, s[4:5]
	s_lshl_b64 s[4:5], 1, s63
	v_and_b32_e32 v3, s91, v13
	v_and_b32_e32 v4, s90, v12
	v_or_b32_e32 v13, s5, v3
	v_or_b32_e32 v12, s4, v4
	;; [unrolled: 1-line block ×4, first 2 shown]
	s_mov_b64 s[28:29], -1
	s_mov_b64 s[30:31], 0
	s_cmp_eq_u64 s[10:11], 0
	s_mov_b64 s[8:9], 0
	s_mov_b64 s[34:35], -1
	s_waitcnt lgkmcnt(0)
	s_barrier
                                        ; implicit-def: $vgpr10_vgpr11
	s_cbranch_scc1 .LBB159_144
; %bb.129:                              ;   in Loop: Header=BB159_12 Depth=1
	v_readlane_b32 s4, v46, 38
	s_add_u32 s34, s10, s4
	v_readlane_b32 s4, v46, 40
	s_addc_u32 s9, s11, s4
	s_mov_b32 s8, s53
	s_cmp_lg_u64 s[8:9], 0
	s_cbranch_scc0 .LBB159_185
; %bb.130:                              ;   in Loop: Header=BB159_12 Depth=1
	v_cvt_f32_u32_e32 v3, s55
	s_sub_u32 s8, 0, s55
	s_subb_u32 s12, 0, 0
	v_mac_f32_e32 v3, 0, v41
	v_rcp_f32_e32 v3, v3
	v_mul_f32_e32 v3, 0x5f7ffffc, v3
	v_mul_f32_e32 v4, 0x2f800000, v3
	v_trunc_f32_e32 v4, v4
	v_mac_f32_e32 v3, 0xcf800000, v4
	v_cvt_u32_f32_e32 v4, v4
	v_cvt_u32_f32_e32 v3, v3
	v_readfirstlane_b32 s13, v4
	v_readfirstlane_b32 s4, v3
	s_mul_i32 s5, s8, s13
	s_mul_hi_u32 s40, s8, s4
	s_mul_i32 s35, s12, s4
	s_add_i32 s5, s40, s5
	s_mul_i32 s41, s8, s4
	s_add_i32 s5, s5, s35
	s_mul_hi_u32 s40, s4, s41
	s_mul_i32 s42, s4, s5
	s_mul_hi_u32 s35, s4, s5
	s_add_u32 s40, s40, s42
	s_addc_u32 s35, 0, s35
	s_mul_hi_u32 s43, s13, s41
	s_mul_i32 s41, s13, s41
	s_add_u32 s40, s40, s41
	s_mul_hi_u32 s42, s13, s5
	s_addc_u32 s35, s35, s43
	s_addc_u32 s40, s42, 0
	s_mul_i32 s5, s13, s5
	s_add_u32 s5, s35, s5
	s_addc_u32 s35, 0, s40
	s_add_u32 s40, s4, s5
	s_cselect_b64 s[4:5], -1, 0
	s_cmp_lg_u64 s[4:5], 0
	s_addc_u32 s13, s13, s35
	s_mul_i32 s4, s8, s13
	s_mul_hi_u32 s5, s8, s40
	s_add_i32 s4, s5, s4
	s_mul_i32 s12, s12, s40
	s_add_i32 s4, s4, s12
	s_mul_i32 s8, s8, s40
	s_mul_hi_u32 s12, s13, s8
	s_mul_i32 s35, s13, s8
	s_mul_i32 s42, s40, s4
	s_mul_hi_u32 s8, s40, s8
	s_mul_hi_u32 s41, s40, s4
	s_add_u32 s8, s8, s42
	s_addc_u32 s41, 0, s41
	s_add_u32 s8, s8, s35
	s_mul_hi_u32 s5, s13, s4
	s_addc_u32 s8, s41, s12
	s_addc_u32 s5, s5, 0
	s_mul_i32 s4, s13, s4
	s_add_u32 s4, s8, s4
	s_addc_u32 s8, 0, s5
	s_add_u32 s12, s40, s4
	s_cselect_b64 s[4:5], -1, 0
	s_cmp_lg_u64 s[4:5], 0
	s_addc_u32 s4, s13, s8
	s_mul_i32 s8, s34, s4
	s_mul_hi_u32 s13, s34, s12
	s_mul_hi_u32 s5, s34, s4
	s_add_u32 s8, s13, s8
	s_addc_u32 s5, 0, s5
	s_mul_hi_u32 s35, s9, s12
	s_mul_i32 s12, s9, s12
	s_add_u32 s8, s8, s12
	s_mul_hi_u32 s13, s9, s4
	s_addc_u32 s5, s5, s35
	s_addc_u32 s8, s13, 0
	s_mul_i32 s4, s9, s4
	s_add_u32 s4, s5, s4
	s_addc_u32 s5, 0, s8
	s_mul_i32 s5, s55, s5
	s_mul_hi_u32 s8, s55, s4
	s_add_i32 s8, s8, s5
	s_mul_i32 s4, s55, s4
	s_sub_u32 s12, s34, s4
	s_cselect_b64 s[4:5], -1, 0
	s_cmp_lg_u64 s[4:5], 0
	s_subb_u32 s8, s9, s8
	s_sub_u32 s13, s12, s55
	s_cselect_b64 s[4:5], -1, 0
	s_cmp_lg_u64 s[4:5], 0
	s_subb_u32 s35, s8, 0
	;; [unrolled: 4-line block ×3, first 2 shown]
	s_cmp_ge_u32 s13, s55
	s_cselect_b32 s5, -1, 0
	s_cmp_eq_u32 s35, 0
	s_cselect_b32 s5, s5, -1
	s_cmp_lg_u32 s5, 0
	s_cselect_b32 s4, s4, s35
	s_cselect_b32 s13, s40, s13
	s_cmp_ge_u32 s12, s55
	s_cselect_b32 s5, -1, 0
	s_cmp_eq_u32 s8, 0
	s_cselect_b32 s5, s5, -1
	s_cmp_lg_u32 s5, 0
	s_cselect_b32 s5, s4, s8
	s_cselect_b32 s4, s13, s12
	s_cbranch_execnz .LBB159_132
.LBB159_131:                            ;   in Loop: Header=BB159_12 Depth=1
	v_cvt_f32_u32_e32 v3, s55
	s_sub_i32 s4, 0, s55
	v_rcp_iflag_f32_e32 v3, v3
	v_mul_f32_e32 v3, 0x4f7ffffe, v3
	v_cvt_u32_f32_e32 v3, v3
	v_readfirstlane_b32 s5, v3
	s_mul_i32 s4, s4, s5
	s_mul_hi_u32 s4, s5, s4
	s_add_i32 s5, s5, s4
	s_mul_hi_u32 s4, s34, s5
	s_mul_i32 s4, s4, s55
	s_sub_i32 s4, s34, s4
	s_sub_i32 s5, s4, s55
	s_cmp_ge_u32 s4, s55
	s_cselect_b32 s4, s5, s4
	s_sub_i32 s5, s4, s55
	s_cmp_ge_u32 s4, s55
	s_cselect_b32 s52, s5, s4
	s_mov_b64 s[4:5], s[52:53]
.LBB159_132:                            ;   in Loop: Header=BB159_12 Depth=1
	s_sub_u32 s42, s34, s4
	s_subb_u32 s43, s9, s5
	v_cmp_gt_u64_e32 vcc, s[42:43], v[0:1]
	s_mov_b64 s[34:35], 0
	s_mov_b64 s[8:9], 0
                                        ; implicit-def: $vgpr10_vgpr11
	s_and_saveexec_b64 s[40:41], vcc
	s_cbranch_execz .LBB159_143
; %bb.133:                              ;   in Loop: Header=BB159_12 Depth=1
	v_mov_b32_e32 v31, v1
	v_mov_b32_e32 v18, v36
	v_mov_b32_e32 v30, v0
                                        ; implicit-def: $sgpr12_sgpr13
	s_branch .LBB159_136
.LBB159_134:                            ;   in Loop: Header=BB159_136 Depth=2
	s_or_b64 exec, exec, s[4:5]
	s_waitcnt lgkmcnt(0)
	s_barrier
	ds_read_b128 v[8:11], v19 offset:3072
	s_mov_b64 s[4:5], -1
	s_mov_b64 s[58:59], -1
	s_waitcnt lgkmcnt(0)
	s_barrier
	v_cmp_ne_u64_e32 vcc, 0, v[8:9]
	s_cbranch_vccz .LBB159_139
.LBB159_135:                            ;   in Loop: Header=BB159_136 Depth=2
	s_and_b64 s[4:5], exec, s[4:5]
	s_or_b64 s[8:9], s[4:5], s[8:9]
	s_andn2_b64 s[4:5], s[12:13], exec
	s_and_b64 s[12:13], s[58:59], exec
	s_or_b64 s[12:13], s[4:5], s[12:13]
	s_andn2_b64 exec, exec, s[8:9]
	s_cbranch_execz .LBB159_142
.LBB159_136:                            ;   Parent Loop BB159_12 Depth=1
                                        ; =>  This Inner Loop Header: Depth=2
	v_cmp_gt_u64_e32 vcc, s[10:11], v[30:31]
	s_and_saveexec_b64 s[4:5], vcc
	s_cbranch_execz .LBB159_134
; %bb.137:                              ;   in Loop: Header=BB159_136 Depth=2
	ds_read_b64 v[4:5], v18
	s_waitcnt lgkmcnt(0)
	v_xor_b32_e32 v3, 0x80000000, v5
	v_and_b32_e32 v9, v3, v15
	v_and_b32_e32 v8, v4, v14
	v_cmp_eq_u64_e32 vcc, v[8:9], v[12:13]
	s_and_b64 exec, exec, vcc
	s_cbranch_execz .LBB159_134
; %bb.138:                              ;   in Loop: Header=BB159_136 Depth=2
	v_mov_b32_e32 v3, v19
	ds_write_b128 v19, v[2:5] offset:3072
	s_branch .LBB159_134
.LBB159_139:                            ;   in Loop: Header=BB159_136 Depth=2
	v_add_co_u32_e32 v30, vcc, s55, v30
	v_addc_co_u32_e32 v31, vcc, 0, v31, vcc
	v_cmp_le_u64_e32 vcc, s[42:43], v[30:31]
	v_add_u32_e32 v18, s62, v18
	s_mov_b64 s[58:59], 0
	s_orn2_b64 s[4:5], vcc, exec
	s_branch .LBB159_135
.LBB159_140:                            ;   in Loop: Header=BB159_12 Depth=1
                                        ; implicit-def: $sgpr4_sgpr5
	s_branch .LBB159_85
.LBB159_141:                            ;   in Loop: Header=BB159_12 Depth=1
	v_readlane_b32 s21, v46, 39
                                        ; implicit-def: $sgpr4_sgpr5
	s_branch .LBB159_102
.LBB159_142:                            ;   in Loop: Header=BB159_12 Depth=1
	s_or_b64 exec, exec, s[8:9]
	s_and_b64 s[8:9], s[12:13], exec
.LBB159_143:                            ;   in Loop: Header=BB159_12 Depth=1
	s_or_b64 exec, exec, s[40:41]
.LBB159_144:                            ;   in Loop: Header=BB159_12 Depth=1
	s_and_b64 vcc, exec, s[34:35]
	s_cbranch_vccz .LBB159_158
; %bb.145:                              ;   in Loop: Header=BB159_12 Depth=1
	s_mov_b32 s60, s53
	s_cmp_lg_u64 s[60:61], 0
	s_cbranch_scc0 .LBB159_186
; %bb.146:                              ;   in Loop: Header=BB159_12 Depth=1
	v_cvt_f32_u32_e32 v3, s55
	s_sub_u32 s10, 0, s55
	s_subb_u32 s11, 0, 0
	v_mac_f32_e32 v3, 0, v41
	v_rcp_f32_e32 v3, v3
	v_mul_f32_e32 v3, 0x5f7ffffc, v3
	v_mul_f32_e32 v4, 0x2f800000, v3
	v_trunc_f32_e32 v4, v4
	v_mac_f32_e32 v3, 0xcf800000, v4
	v_cvt_u32_f32_e32 v4, v4
	v_cvt_u32_f32_e32 v3, v3
	v_readfirstlane_b32 s12, v4
	v_readfirstlane_b32 s4, v3
	s_mul_i32 s5, s10, s12
	s_mul_hi_u32 s28, s10, s4
	s_mul_i32 s13, s11, s4
	s_add_i32 s5, s28, s5
	s_mul_i32 s29, s10, s4
	s_add_i32 s5, s5, s13
	s_mul_hi_u32 s28, s4, s29
	s_mul_i32 s30, s4, s5
	s_mul_hi_u32 s13, s4, s5
	s_add_u32 s28, s28, s30
	s_addc_u32 s13, 0, s13
	s_mul_hi_u32 s31, s12, s29
	s_mul_i32 s29, s12, s29
	s_add_u32 s28, s28, s29
	s_mul_hi_u32 s30, s12, s5
	s_addc_u32 s13, s13, s31
	s_addc_u32 s28, s30, 0
	s_mul_i32 s5, s12, s5
	s_add_u32 s5, s13, s5
	s_addc_u32 s13, 0, s28
	s_add_u32 s28, s4, s5
	s_cselect_b64 s[4:5], -1, 0
	s_cmp_lg_u64 s[4:5], 0
	s_addc_u32 s12, s12, s13
	s_mul_i32 s4, s10, s12
	s_mul_hi_u32 s5, s10, s28
	s_add_i32 s4, s5, s4
	s_mul_i32 s11, s11, s28
	s_add_i32 s4, s4, s11
	s_mul_i32 s10, s10, s28
	s_mul_hi_u32 s11, s12, s10
	s_mul_i32 s13, s12, s10
	s_mul_i32 s30, s28, s4
	s_mul_hi_u32 s10, s28, s10
	s_mul_hi_u32 s29, s28, s4
	s_add_u32 s10, s10, s30
	s_addc_u32 s29, 0, s29
	s_add_u32 s10, s10, s13
	s_mul_hi_u32 s5, s12, s4
	s_addc_u32 s10, s29, s11
	s_addc_u32 s5, s5, 0
	s_mul_i32 s4, s12, s4
	s_add_u32 s4, s10, s4
	s_addc_u32 s10, 0, s5
	s_add_u32 s11, s28, s4
	s_cselect_b64 s[4:5], -1, 0
	s_cmp_lg_u64 s[4:5], 0
	s_addc_u32 s4, s12, s10
	v_readlane_b32 s29, v46, 39
	s_mul_i32 s10, s29, s4
	s_mul_hi_u32 s12, s29, s11
	s_mul_hi_u32 s5, s29, s4
	s_add_u32 s10, s12, s10
	s_addc_u32 s5, 0, s5
	s_mul_hi_u32 s13, s61, s11
	s_mul_i32 s11, s61, s11
	s_add_u32 s10, s10, s11
	s_mul_hi_u32 s12, s61, s4
	s_addc_u32 s5, s5, s13
	s_addc_u32 s10, s12, 0
	s_mul_i32 s4, s61, s4
	s_add_u32 s4, s5, s4
	s_addc_u32 s5, 0, s10
	s_mul_i32 s5, s55, s5
	s_mul_hi_u32 s10, s55, s4
	s_add_i32 s10, s10, s5
	s_mul_i32 s4, s55, s4
	s_sub_u32 s11, s29, s4
	s_cselect_b64 s[4:5], -1, 0
	s_cmp_lg_u64 s[4:5], 0
	s_subb_u32 s10, s61, s10
	s_sub_u32 s12, s11, s55
	s_cselect_b64 s[4:5], -1, 0
	s_cmp_lg_u64 s[4:5], 0
	s_subb_u32 s13, s10, 0
	;; [unrolled: 4-line block ×3, first 2 shown]
	s_cmp_ge_u32 s12, s55
	s_cselect_b32 s5, -1, 0
	s_cmp_eq_u32 s13, 0
	s_cselect_b32 s5, s5, -1
	s_cmp_lg_u32 s5, 0
	s_cselect_b32 s4, s4, s13
	s_cselect_b32 s12, s28, s12
	s_cmp_ge_u32 s11, s55
	s_cselect_b32 s5, -1, 0
	s_cmp_eq_u32 s10, 0
	s_cselect_b32 s5, s5, -1
	s_cmp_lg_u32 s5, 0
	s_cselect_b32 s5, s4, s10
	s_cselect_b32 s4, s12, s11
	s_cbranch_execnz .LBB159_148
.LBB159_147:                            ;   in Loop: Header=BB159_12 Depth=1
	v_cvt_f32_u32_e32 v3, s55
	s_sub_i32 s4, 0, s55
	v_rcp_iflag_f32_e32 v3, v3
	v_mul_f32_e32 v3, 0x4f7ffffe, v3
	v_cvt_u32_f32_e32 v3, v3
	v_readfirstlane_b32 s5, v3
	s_mul_i32 s4, s4, s5
	s_mul_hi_u32 s4, s5, s4
	s_add_i32 s5, s5, s4
	s_mul_hi_u32 s4, s29, s5
	s_mul_i32 s4, s4, s55
	s_sub_i32 s4, s29, s4
	s_sub_i32 s5, s4, s55
	s_cmp_ge_u32 s4, s55
	s_cselect_b32 s4, s5, s4
	s_sub_i32 s5, s4, s55
	s_cmp_ge_u32 s4, s55
	s_cselect_b32 s52, s5, s4
	s_mov_b64 s[4:5], s[52:53]
.LBB159_148:                            ;   in Loop: Header=BB159_12 Depth=1
	s_sub_u32 s28, s29, s4
	s_subb_u32 s29, s61, s5
	v_cmp_gt_u64_e32 vcc, s[28:29], v[0:1]
                                        ; implicit-def: $vgpr10_vgpr11
	s_and_saveexec_b64 s[10:11], vcc
	s_cbranch_execz .LBB159_157
; %bb.149:                              ;   in Loop: Header=BB159_12 Depth=1
	v_mov_b32_e32 v31, v1
	s_mov_b64 s[12:13], 0
	v_mov_b32_e32 v30, v0
                                        ; implicit-def: $sgpr30_sgpr31
	s_branch .LBB159_152
.LBB159_150:                            ;   in Loop: Header=BB159_152 Depth=2
	s_or_b64 exec, exec, s[4:5]
	s_waitcnt lgkmcnt(0)
	s_barrier
	ds_read_b128 v[8:11], v19 offset:3072
	s_mov_b64 s[34:35], -1
	s_mov_b64 s[4:5], -1
	s_waitcnt lgkmcnt(0)
	s_barrier
	v_cmp_eq_u64_e32 vcc, 0, v[8:9]
	s_cbranch_vccnz .LBB159_155
.LBB159_151:                            ;   in Loop: Header=BB159_152 Depth=2
	s_and_b64 s[34:35], exec, s[34:35]
	s_or_b64 s[12:13], s[34:35], s[12:13]
	s_andn2_b64 s[30:31], s[30:31], exec
	s_and_b64 s[4:5], s[4:5], exec
	s_or_b64 s[30:31], s[30:31], s[4:5]
	s_andn2_b64 exec, exec, s[12:13]
	s_cbranch_execz .LBB159_156
.LBB159_152:                            ;   Parent Loop BB159_12 Depth=1
                                        ; =>  This Inner Loop Header: Depth=2
	v_cmp_gt_u64_e32 vcc, s[24:25], v[30:31]
	s_and_saveexec_b64 s[4:5], vcc
	s_cbranch_execz .LBB159_150
; %bb.153:                              ;   in Loop: Header=BB159_152 Depth=2
	v_mul_lo_u32 v5, v31, s22
	v_mul_lo_u32 v8, v30, s23
	v_mad_u64_u32 v[3:4], s[34:35], v30, s22, 0
	v_add3_u32 v4, v4, v8, v5
	v_lshlrev_b64 v[3:4], 3, v[3:4]
	v_mov_b32_e32 v5, s54
	v_add_co_u32_e32 v3, vcc, s33, v3
	v_addc_co_u32_e32 v4, vcc, v5, v4, vcc
	global_load_dwordx2 v[4:5], v[3:4], off
	s_waitcnt vmcnt(0)
	v_xor_b32_e32 v3, 0x80000000, v5
	v_and_b32_e32 v9, v3, v15
	v_and_b32_e32 v8, v4, v14
	v_cmp_eq_u64_e32 vcc, v[8:9], v[12:13]
	s_and_b64 exec, exec, vcc
	s_cbranch_execz .LBB159_150
; %bb.154:                              ;   in Loop: Header=BB159_152 Depth=2
	v_mov_b32_e32 v3, v19
	ds_write_b128 v19, v[2:5] offset:3072
	s_branch .LBB159_150
.LBB159_155:                            ;   in Loop: Header=BB159_152 Depth=2
	v_add_co_u32_e32 v30, vcc, s55, v30
	v_addc_co_u32_e32 v31, vcc, 0, v31, vcc
	v_cmp_le_u64_e32 vcc, s[28:29], v[30:31]
	s_mov_b64 s[4:5], 0
	s_orn2_b64 s[34:35], vcc, exec
	s_branch .LBB159_151
.LBB159_156:                            ;   in Loop: Header=BB159_12 Depth=1
	s_or_b64 exec, exec, s[12:13]
	s_andn2_b64 s[4:5], s[8:9], exec
	s_and_b64 s[8:9], s[30:31], exec
	s_or_b64 s[8:9], s[4:5], s[8:9]
.LBB159_157:                            ;   in Loop: Header=BB159_12 Depth=1
	s_or_b64 exec, exec, s[10:11]
	s_mov_b64 s[28:29], 0
	s_mov_b64 s[30:31], -1
.LBB159_158:                            ;   in Loop: Header=BB159_12 Depth=1
	s_orn2_b64 s[4:5], s[8:9], exec
.LBB159_159:                            ;   in Loop: Header=BB159_12 Depth=1
	s_or_b64 exec, exec, s[20:21]
	s_mov_b64 s[8:9], 0
	s_and_saveexec_b64 s[40:41], s[4:5]
	s_cbranch_execz .LBB159_269
; %bb.160:                              ;   in Loop: Header=BB159_12 Depth=1
	v_mov_b32_e32 v30, 1
	s_xor_b64 s[4:5], s[2:3], -1
	v_mov_b32_e32 v42, 1
	v_mov_b32_e32 v31, 0
	s_and_saveexec_b64 s[2:3], s[4:5]
	s_cbranch_execz .LBB159_169
; %bb.161:                              ;   in Loop: Header=BB159_12 Depth=1
	v_cmp_ge_u64_e32 vcc, s[94:95], v[28:29]
	s_and_saveexec_b64 s[4:5], vcc
	s_xor_b64 s[8:9], exec, s[4:5]
	s_cbranch_execz .LBB159_166
; %bb.162:                              ;   in Loop: Header=BB159_12 Depth=1
	s_lshl_b64 s[4:5], 1, s63
	v_and_b32_e32 v3, s91, v13
	v_and_b32_e32 v4, s90, v12
	v_or_b32_e32 v13, s5, v3
	v_or_b32_e32 v12, s4, v4
	ds_read_b64 v[3:4], v19 offset:5120
	v_or_b32_e32 v15, s19, v15
	v_or_b32_e32 v14, s18, v14
	s_waitcnt lgkmcnt(0)
	v_cmp_ne_u64_e32 vcc, 0, v[3:4]
	s_cbranch_vccnz .LBB159_166
; %bb.163:                              ;   in Loop: Header=BB159_12 Depth=1
	s_mov_b64 s[4:5], exec
	v_readlane_b32 s10, v46, 12
	v_readlane_b32 s11, v46, 13
	s_and_b64 s[10:11], s[4:5], s[10:11]
	s_mov_b64 exec, s[10:11]
; %bb.164:                              ;   in Loop: Header=BB159_12 Depth=1
	v_mov_b32_e32 v3, s94
	v_mov_b32_e32 v4, s95
	ds_write_b64 v19, v[3:4] offset:5128
; %bb.165:                              ;   in Loop: Header=BB159_12 Depth=1
	s_or_b64 exec, exec, s[4:5]
	s_waitcnt lgkmcnt(0)
	s_barrier
.LBB159_166:                            ;   in Loop: Header=BB159_12 Depth=1
	s_or_saveexec_b64 s[4:5], s[8:9]
	s_mov_b64 s[8:9], 0
	v_mov_b32_e32 v42, 8
	s_xor_b64 exec, exec, s[4:5]
; %bb.167:                              ;   in Loop: Header=BB159_12 Depth=1
	v_subrev_co_u32_e32 v28, vcc, s94, v28
	v_mov_b32_e32 v3, s95
	v_subb_co_u32_e32 v29, vcc, v29, v3, vcc
	v_mov_b32_e32 v42, 0
	s_mov_b64 s[8:9], exec
; %bb.168:                              ;   in Loop: Header=BB159_12 Depth=1
	s_or_b64 exec, exec, s[4:5]
	v_mov_b32_e32 v31, v29
	s_and_b64 s[8:9], s[8:9], exec
	v_mov_b32_e32 v30, v28
.LBB159_169:                            ;   in Loop: Header=BB159_12 Depth=1
	s_or_b64 exec, exec, s[2:3]
	s_mov_b64 s[4:5], -1
                                        ; implicit-def: $sgpr2_sgpr3
                                        ; kill: killed $sgpr2_sgpr3
                                        ; implicit-def: $sgpr2_sgpr3
                                        ; kill: killed $sgpr2_sgpr3
	s_and_saveexec_b64 s[42:43], s[8:9]
	s_cbranch_execz .LBB159_268
; %bb.170:                              ;   in Loop: Header=BB159_12 Depth=1
	s_cmp_eq_u64 s[48:49], 1
	v_cmp_eq_u64_e32 vcc, 1, v[30:31]
	s_cselect_b64 s[2:3], -1, 0
	s_and_b64 s[20:21], s[2:3], vcc
                                        ; implicit-def: $sgpr2_sgpr3
                                        ; kill: killed $sgpr2_sgpr3
                                        ; implicit-def: $sgpr2_sgpr3
                                        ; kill: killed $sgpr2_sgpr3
	s_and_saveexec_b64 s[66:67], s[20:21]
	s_cbranch_execz .LBB159_204
; %bb.171:                              ;   in Loop: Header=BB159_12 Depth=1
	ds_read_b64 v[3:4], v19 offset:5120
	s_waitcnt lgkmcnt(0)
	s_barrier
	v_readfirstlane_b32 s10, v3
	v_readfirstlane_b32 s11, v4
	s_mov_b64 s[2:3], exec
	v_readlane_b32 s4, v46, 34
	v_readlane_b32 s5, v46, 35
	s_and_b64 s[4:5], s[2:3], s[4:5]
	s_mov_b64 exec, s[4:5]
; %bb.172:                              ;   in Loop: Header=BB159_12 Depth=1
	v_mov_b32_e32 v18, v19
	ds_write_b64 v37, v[18:19]
; %bb.173:                              ;   in Loop: Header=BB159_12 Depth=1
	s_or_b64 exec, exec, s[2:3]
	s_lshl_b64 s[2:3], 2, s63
	v_and_b32_e32 v3, s91, v13
	v_and_b32_e32 v4, s90, v12
	v_or_b32_e32 v13, s3, v3
	v_or_b32_e32 v12, s2, v4
	s_mov_b64 s[2:3], -1
	v_writelane_b32 v46, s2, 50
	v_writelane_b32 v46, s3, 51
	s_mov_b64 s[2:3], 0
	v_or_b32_e32 v15, s19, v15
	v_or_b32_e32 v14, s18, v14
	v_writelane_b32 v46, s2, 48
	s_cmp_eq_u64 s[10:11], 0
	s_mov_b64 s[8:9], 0
	s_mov_b64 s[34:35], -1
	s_waitcnt lgkmcnt(0)
	s_barrier
	v_writelane_b32 v46, s3, 49
                                        ; implicit-def: $vgpr10_vgpr11
	s_cbranch_scc1 .LBB159_189
; %bb.174:                              ;   in Loop: Header=BB159_12 Depth=1
	v_readlane_b32 s2, v46, 38
	s_add_u32 s12, s10, s2
	v_readlane_b32 s2, v46, 40
	s_addc_u32 s9, s11, s2
	s_mov_b32 s8, s53
	s_cmp_lg_u64 s[8:9], 0
	s_cbranch_scc0 .LBB159_221
; %bb.175:                              ;   in Loop: Header=BB159_12 Depth=1
	v_cvt_f32_u32_e32 v3, s55
	s_sub_u32 s4, 0, s55
	s_subb_u32 s5, 0, 0
	v_mac_f32_e32 v3, 0, v41
	v_rcp_f32_e32 v3, v3
	v_mul_f32_e32 v3, 0x5f7ffffc, v3
	v_mul_f32_e32 v4, 0x2f800000, v3
	v_trunc_f32_e32 v4, v4
	v_mac_f32_e32 v3, 0xcf800000, v4
	v_cvt_u32_f32_e32 v4, v4
	v_cvt_u32_f32_e32 v3, v3
	v_readfirstlane_b32 s8, v4
	v_readfirstlane_b32 s2, v3
	s_mul_i32 s3, s4, s8
	s_mul_hi_u32 s34, s4, s2
	s_mul_i32 s13, s5, s2
	s_add_i32 s3, s34, s3
	s_mul_i32 s35, s4, s2
	s_add_i32 s3, s3, s13
	s_mul_hi_u32 s34, s2, s35
	s_mul_i32 s52, s2, s3
	s_mul_hi_u32 s13, s2, s3
	s_add_u32 s34, s34, s52
	s_addc_u32 s13, 0, s13
	s_mul_hi_u32 s58, s8, s35
	s_mul_i32 s35, s8, s35
	s_add_u32 s34, s34, s35
	s_mul_hi_u32 s52, s8, s3
	s_addc_u32 s13, s13, s58
	s_addc_u32 s34, s52, 0
	s_mul_i32 s3, s8, s3
	s_add_u32 s3, s13, s3
	s_addc_u32 s13, 0, s34
	s_add_u32 s34, s2, s3
	s_cselect_b64 s[2:3], -1, 0
	s_cmp_lg_u64 s[2:3], 0
	s_addc_u32 s8, s8, s13
	s_mul_i32 s2, s4, s8
	s_mul_hi_u32 s3, s4, s34
	s_add_i32 s2, s3, s2
	s_mul_i32 s5, s5, s34
	s_add_i32 s2, s2, s5
	s_mul_i32 s4, s4, s34
	s_mul_hi_u32 s5, s8, s4
	s_mul_i32 s13, s8, s4
	s_mul_i32 s52, s34, s2
	s_mul_hi_u32 s4, s34, s4
	s_mul_hi_u32 s35, s34, s2
	s_add_u32 s4, s4, s52
	s_addc_u32 s35, 0, s35
	s_add_u32 s4, s4, s13
	s_mul_hi_u32 s3, s8, s2
	s_addc_u32 s4, s35, s5
	s_addc_u32 s3, s3, 0
	s_mul_i32 s2, s8, s2
	s_add_u32 s2, s4, s2
	s_addc_u32 s4, 0, s3
	s_add_u32 s5, s34, s2
	s_cselect_b64 s[2:3], -1, 0
	s_cmp_lg_u64 s[2:3], 0
	s_addc_u32 s2, s8, s4
	s_mul_i32 s4, s12, s2
	s_mul_hi_u32 s8, s12, s5
	s_mul_hi_u32 s3, s12, s2
	s_add_u32 s4, s8, s4
	s_addc_u32 s3, 0, s3
	s_mul_hi_u32 s13, s9, s5
	s_mul_i32 s5, s9, s5
	s_add_u32 s4, s4, s5
	s_mul_hi_u32 s8, s9, s2
	s_addc_u32 s3, s3, s13
	s_addc_u32 s4, s8, 0
	s_mul_i32 s2, s9, s2
	s_add_u32 s2, s3, s2
	s_addc_u32 s3, 0, s4
	s_mul_i32 s3, s55, s3
	s_mul_hi_u32 s4, s55, s2
	s_add_i32 s4, s4, s3
	s_mul_i32 s2, s55, s2
	s_sub_u32 s5, s12, s2
	s_cselect_b64 s[2:3], -1, 0
	s_cmp_lg_u64 s[2:3], 0
	s_subb_u32 s4, s9, s4
	s_sub_u32 s8, s5, s55
	s_cselect_b64 s[2:3], -1, 0
	s_cmp_lg_u64 s[2:3], 0
	s_subb_u32 s13, s4, 0
	;; [unrolled: 4-line block ×3, first 2 shown]
	s_cmp_ge_u32 s8, s55
	s_cselect_b32 s3, -1, 0
	s_cmp_eq_u32 s13, 0
	s_cselect_b32 s3, s3, -1
	s_cmp_lg_u32 s3, 0
	s_cselect_b32 s2, s2, s13
	s_cselect_b32 s8, s34, s8
	s_cmp_ge_u32 s5, s55
	s_cselect_b32 s3, -1, 0
	s_cmp_eq_u32 s4, 0
	s_cselect_b32 s3, s3, -1
	s_cmp_lg_u32 s3, 0
	s_cselect_b32 s3, s2, s4
	s_cselect_b32 s2, s8, s5
	s_cbranch_execnz .LBB159_177
.LBB159_176:                            ;   in Loop: Header=BB159_12 Depth=1
	v_cvt_f32_u32_e32 v3, s55
	s_sub_i32 s2, 0, s55
	v_rcp_iflag_f32_e32 v3, v3
	v_mul_f32_e32 v3, 0x4f7ffffe, v3
	v_cvt_u32_f32_e32 v3, v3
	v_readfirstlane_b32 s3, v3
	s_mul_i32 s2, s2, s3
	s_mul_hi_u32 s2, s3, s2
	s_add_i32 s3, s3, s2
	s_mul_hi_u32 s2, s12, s3
	s_mul_i32 s2, s2, s55
	s_sub_i32 s2, s12, s2
	s_sub_i32 s3, s2, s55
	s_cmp_ge_u32 s2, s55
	s_cselect_b32 s2, s3, s2
	s_sub_i32 s3, s2, s55
	s_cmp_ge_u32 s2, s55
	s_cselect_b32 s52, s3, s2
	s_mov_b64 s[2:3], s[52:53]
.LBB159_177:                            ;   in Loop: Header=BB159_12 Depth=1
	s_sub_u32 s12, s12, s2
	s_subb_u32 s13, s9, s3
	v_cmp_gt_u64_e32 vcc, s[12:13], v[0:1]
	s_mov_b64 s[34:35], 0
	s_mov_b64 s[8:9], 0
                                        ; implicit-def: $vgpr10_vgpr11
	s_and_saveexec_b64 s[58:59], vcc
	s_cbranch_execz .LBB159_188
; %bb.178:                              ;   in Loop: Header=BB159_12 Depth=1
	v_mov_b32_e32 v29, v1
	v_writelane_b32 v46, s64, 52
	v_mov_b32_e32 v18, v36
	v_mov_b32_e32 v28, v0
	v_writelane_b32 v46, s65, 53
                                        ; implicit-def: $sgpr4_sgpr5
	s_branch .LBB159_181
.LBB159_179:                            ;   in Loop: Header=BB159_181 Depth=2
	s_or_b64 exec, exec, s[2:3]
	s_waitcnt lgkmcnt(0)
	s_barrier
	ds_read_b128 v[8:11], v19 offset:3072
	s_mov_b64 s[2:3], -1
	s_mov_b64 s[64:65], -1
	s_waitcnt lgkmcnt(0)
	s_barrier
	v_cmp_ne_u64_e32 vcc, 0, v[8:9]
	s_cbranch_vccz .LBB159_184
.LBB159_180:                            ;   in Loop: Header=BB159_181 Depth=2
	s_and_b64 s[2:3], exec, s[2:3]
	s_or_b64 s[8:9], s[2:3], s[8:9]
	s_andn2_b64 s[2:3], s[4:5], exec
	s_and_b64 s[4:5], s[64:65], exec
	s_or_b64 s[4:5], s[2:3], s[4:5]
	s_andn2_b64 exec, exec, s[8:9]
	s_cbranch_execz .LBB159_187
.LBB159_181:                            ;   Parent Loop BB159_12 Depth=1
                                        ; =>  This Inner Loop Header: Depth=2
	v_cmp_gt_u64_e32 vcc, s[10:11], v[28:29]
	s_and_saveexec_b64 s[2:3], vcc
	s_cbranch_execz .LBB159_179
; %bb.182:                              ;   in Loop: Header=BB159_181 Depth=2
	ds_read_b64 v[4:5], v18
	s_waitcnt lgkmcnt(0)
	v_xor_b32_e32 v3, 0x80000000, v5
	v_and_b32_e32 v9, v3, v15
	v_and_b32_e32 v8, v4, v14
	v_cmp_eq_u64_e32 vcc, v[8:9], v[12:13]
	s_and_b64 exec, exec, vcc
	s_cbranch_execz .LBB159_179
; %bb.183:                              ;   in Loop: Header=BB159_181 Depth=2
	v_mov_b32_e32 v3, v19
	ds_write_b128 v19, v[2:5] offset:3072
	s_branch .LBB159_179
.LBB159_184:                            ;   in Loop: Header=BB159_181 Depth=2
	v_add_co_u32_e32 v28, vcc, s55, v28
	v_addc_co_u32_e32 v29, vcc, 0, v29, vcc
	v_cmp_le_u64_e32 vcc, s[12:13], v[28:29]
	v_add_u32_e32 v18, s62, v18
	s_mov_b64 s[64:65], 0
	s_orn2_b64 s[2:3], vcc, exec
	s_branch .LBB159_180
.LBB159_185:                            ;   in Loop: Header=BB159_12 Depth=1
                                        ; implicit-def: $sgpr4_sgpr5
	s_branch .LBB159_131
.LBB159_186:                            ;   in Loop: Header=BB159_12 Depth=1
	v_readlane_b32 s29, v46, 39
                                        ; implicit-def: $sgpr4_sgpr5
	s_branch .LBB159_147
.LBB159_187:                            ;   in Loop: Header=BB159_12 Depth=1
	s_or_b64 exec, exec, s[8:9]
	v_readlane_b32 s64, v46, 52
	s_and_b64 s[8:9], s[4:5], exec
	v_readlane_b32 s65, v46, 53
.LBB159_188:                            ;   in Loop: Header=BB159_12 Depth=1
	s_or_b64 exec, exec, s[58:59]
.LBB159_189:                            ;   in Loop: Header=BB159_12 Depth=1
	s_and_b64 vcc, exec, s[34:35]
	s_cbranch_vccz .LBB159_203
; %bb.190:                              ;   in Loop: Header=BB159_12 Depth=1
	s_mov_b32 s60, s53
	s_cmp_lg_u64 s[60:61], 0
	s_cbranch_scc0 .LBB159_222
; %bb.191:                              ;   in Loop: Header=BB159_12 Depth=1
	v_cvt_f32_u32_e32 v3, s55
	s_sub_u32 s4, 0, s55
	s_subb_u32 s5, 0, 0
	v_mac_f32_e32 v3, 0, v41
	v_rcp_f32_e32 v3, v3
	v_mul_f32_e32 v3, 0x5f7ffffc, v3
	v_mul_f32_e32 v4, 0x2f800000, v3
	v_trunc_f32_e32 v4, v4
	v_mac_f32_e32 v3, 0xcf800000, v4
	v_cvt_u32_f32_e32 v4, v4
	v_cvt_u32_f32_e32 v3, v3
	v_readfirstlane_b32 s10, v4
	v_readfirstlane_b32 s2, v3
	s_mul_i32 s3, s4, s10
	s_mul_hi_u32 s12, s4, s2
	s_mul_i32 s11, s5, s2
	s_add_i32 s3, s12, s3
	s_mul_i32 s13, s4, s2
	s_add_i32 s3, s3, s11
	s_mul_hi_u32 s12, s2, s13
	s_mul_i32 s34, s2, s3
	s_mul_hi_u32 s11, s2, s3
	s_add_u32 s12, s12, s34
	s_addc_u32 s11, 0, s11
	s_mul_hi_u32 s35, s10, s13
	s_mul_i32 s13, s10, s13
	s_add_u32 s12, s12, s13
	s_mul_hi_u32 s34, s10, s3
	s_addc_u32 s11, s11, s35
	s_addc_u32 s12, s34, 0
	s_mul_i32 s3, s10, s3
	s_add_u32 s3, s11, s3
	s_addc_u32 s11, 0, s12
	s_add_u32 s12, s2, s3
	s_cselect_b64 s[2:3], -1, 0
	s_cmp_lg_u64 s[2:3], 0
	s_addc_u32 s10, s10, s11
	s_mul_i32 s2, s4, s10
	s_mul_hi_u32 s3, s4, s12
	s_add_i32 s2, s3, s2
	s_mul_i32 s5, s5, s12
	s_add_i32 s2, s2, s5
	s_mul_i32 s4, s4, s12
	s_mul_hi_u32 s5, s10, s4
	s_mul_i32 s11, s10, s4
	s_mul_i32 s34, s12, s2
	s_mul_hi_u32 s4, s12, s4
	s_mul_hi_u32 s13, s12, s2
	s_add_u32 s4, s4, s34
	s_addc_u32 s13, 0, s13
	s_add_u32 s4, s4, s11
	s_mul_hi_u32 s3, s10, s2
	s_addc_u32 s4, s13, s5
	s_addc_u32 s3, s3, 0
	s_mul_i32 s2, s10, s2
	s_add_u32 s2, s4, s2
	s_addc_u32 s4, 0, s3
	s_add_u32 s5, s12, s2
	s_cselect_b64 s[2:3], -1, 0
	s_cmp_lg_u64 s[2:3], 0
	s_addc_u32 s2, s10, s4
	v_readlane_b32 s13, v46, 39
	s_mul_i32 s4, s13, s2
	s_mul_hi_u32 s10, s13, s5
	s_mul_hi_u32 s3, s13, s2
	s_add_u32 s4, s10, s4
	s_addc_u32 s3, 0, s3
	s_mul_hi_u32 s11, s61, s5
	s_mul_i32 s5, s61, s5
	s_add_u32 s4, s4, s5
	s_mul_hi_u32 s10, s61, s2
	s_addc_u32 s3, s3, s11
	s_addc_u32 s4, s10, 0
	s_mul_i32 s2, s61, s2
	s_add_u32 s2, s3, s2
	s_addc_u32 s3, 0, s4
	s_mul_i32 s3, s55, s3
	s_mul_hi_u32 s4, s55, s2
	s_add_i32 s4, s4, s3
	s_mul_i32 s2, s55, s2
	s_sub_u32 s5, s13, s2
	s_cselect_b64 s[2:3], -1, 0
	s_cmp_lg_u64 s[2:3], 0
	s_subb_u32 s4, s61, s4
	s_sub_u32 s10, s5, s55
	s_cselect_b64 s[2:3], -1, 0
	s_cmp_lg_u64 s[2:3], 0
	s_subb_u32 s11, s4, 0
	;; [unrolled: 4-line block ×3, first 2 shown]
	s_cmp_ge_u32 s10, s55
	s_cselect_b32 s3, -1, 0
	s_cmp_eq_u32 s11, 0
	s_cselect_b32 s3, s3, -1
	s_cmp_lg_u32 s3, 0
	s_cselect_b32 s2, s2, s11
	s_cselect_b32 s10, s12, s10
	s_cmp_ge_u32 s5, s55
	s_cselect_b32 s3, -1, 0
	s_cmp_eq_u32 s4, 0
	s_cselect_b32 s3, s3, -1
	s_cmp_lg_u32 s3, 0
	s_cselect_b32 s3, s2, s4
	s_cselect_b32 s2, s10, s5
	s_cbranch_execnz .LBB159_193
.LBB159_192:                            ;   in Loop: Header=BB159_12 Depth=1
	v_cvt_f32_u32_e32 v3, s55
	s_sub_i32 s2, 0, s55
	v_rcp_iflag_f32_e32 v3, v3
	v_mul_f32_e32 v3, 0x4f7ffffe, v3
	v_cvt_u32_f32_e32 v3, v3
	v_readfirstlane_b32 s3, v3
	s_mul_i32 s2, s2, s3
	s_mul_hi_u32 s2, s3, s2
	s_add_i32 s3, s3, s2
	s_mul_hi_u32 s2, s13, s3
	s_mul_i32 s2, s2, s55
	s_sub_i32 s2, s13, s2
	s_sub_i32 s3, s2, s55
	s_cmp_ge_u32 s2, s55
	s_cselect_b32 s2, s3, s2
	s_sub_i32 s3, s2, s55
	s_cmp_ge_u32 s2, s55
	s_cselect_b32 s52, s3, s2
	s_mov_b64 s[2:3], s[52:53]
.LBB159_193:                            ;   in Loop: Header=BB159_12 Depth=1
	s_sub_u32 s10, s13, s2
	s_subb_u32 s11, s61, s3
	v_cmp_gt_u64_e32 vcc, s[10:11], v[0:1]
                                        ; implicit-def: $vgpr10_vgpr11
	s_and_saveexec_b64 s[2:3], vcc
	s_cbranch_execz .LBB159_202
; %bb.194:                              ;   in Loop: Header=BB159_12 Depth=1
	v_mov_b32_e32 v29, v1
	s_mov_b64 s[12:13], 0
	v_mov_b32_e32 v28, v0
                                        ; implicit-def: $sgpr34_sgpr35
	s_branch .LBB159_197
.LBB159_195:                            ;   in Loop: Header=BB159_197 Depth=2
	s_or_b64 exec, exec, s[4:5]
	s_waitcnt lgkmcnt(0)
	s_barrier
	ds_read_b128 v[8:11], v19 offset:3072
	s_mov_b64 s[58:59], -1
	s_mov_b64 s[4:5], -1
	s_waitcnt lgkmcnt(0)
	s_barrier
	v_cmp_eq_u64_e32 vcc, 0, v[8:9]
	s_cbranch_vccnz .LBB159_200
.LBB159_196:                            ;   in Loop: Header=BB159_197 Depth=2
	s_and_b64 s[58:59], exec, s[58:59]
	s_or_b64 s[12:13], s[58:59], s[12:13]
	s_andn2_b64 s[34:35], s[34:35], exec
	s_and_b64 s[4:5], s[4:5], exec
	s_or_b64 s[34:35], s[34:35], s[4:5]
	s_andn2_b64 exec, exec, s[12:13]
	s_cbranch_execz .LBB159_201
.LBB159_197:                            ;   Parent Loop BB159_12 Depth=1
                                        ; =>  This Inner Loop Header: Depth=2
	v_cmp_gt_u64_e32 vcc, s[24:25], v[28:29]
	s_and_saveexec_b64 s[4:5], vcc
	s_cbranch_execz .LBB159_195
; %bb.198:                              ;   in Loop: Header=BB159_197 Depth=2
	v_mul_lo_u32 v5, v29, s22
	v_mul_lo_u32 v8, v28, s23
	v_mad_u64_u32 v[3:4], s[58:59], v28, s22, 0
	v_add3_u32 v4, v4, v8, v5
	v_lshlrev_b64 v[3:4], 3, v[3:4]
	v_mov_b32_e32 v5, s54
	v_add_co_u32_e32 v3, vcc, s33, v3
	v_addc_co_u32_e32 v4, vcc, v5, v4, vcc
	global_load_dwordx2 v[4:5], v[3:4], off
	s_waitcnt vmcnt(0)
	v_xor_b32_e32 v3, 0x80000000, v5
	v_and_b32_e32 v9, v3, v15
	v_and_b32_e32 v8, v4, v14
	v_cmp_eq_u64_e32 vcc, v[8:9], v[12:13]
	s_and_b64 exec, exec, vcc
	s_cbranch_execz .LBB159_195
; %bb.199:                              ;   in Loop: Header=BB159_197 Depth=2
	v_mov_b32_e32 v3, v19
	ds_write_b128 v19, v[2:5] offset:3072
	s_branch .LBB159_195
.LBB159_200:                            ;   in Loop: Header=BB159_197 Depth=2
	v_add_co_u32_e32 v28, vcc, s55, v28
	v_addc_co_u32_e32 v29, vcc, 0, v29, vcc
	v_cmp_le_u64_e32 vcc, s[10:11], v[28:29]
	s_mov_b64 s[4:5], 0
	s_orn2_b64 s[58:59], vcc, exec
	s_branch .LBB159_196
.LBB159_201:                            ;   in Loop: Header=BB159_12 Depth=1
	s_or_b64 exec, exec, s[12:13]
	s_andn2_b64 s[4:5], s[8:9], exec
	s_and_b64 s[8:9], s[34:35], exec
	s_or_b64 s[8:9], s[4:5], s[8:9]
.LBB159_202:                            ;   in Loop: Header=BB159_12 Depth=1
	s_or_b64 exec, exec, s[2:3]
	s_mov_b64 s[2:3], 0
	v_writelane_b32 v46, s2, 50
	v_writelane_b32 v46, s3, 51
	s_mov_b64 s[2:3], -1
	v_writelane_b32 v46, s2, 48
	v_writelane_b32 v46, s3, 49
.LBB159_203:                            ;   in Loop: Header=BB159_12 Depth=1
	s_orn2_b64 s[4:5], s[8:9], exec
.LBB159_204:                            ;   in Loop: Header=BB159_12 Depth=1
	s_or_b64 exec, exec, s[66:67]
	s_mov_b64 s[8:9], 0
	s_and_saveexec_b64 s[66:67], s[4:5]
	s_cbranch_execz .LBB159_267
; %bb.205:                              ;   in Loop: Header=BB159_12 Depth=1
	v_mov_b32_e32 v28, 1
	s_xor_b64 s[2:3], s[20:21], -1
	v_mov_b32_e32 v42, 1
	v_mov_b32_e32 v29, 0
	s_mov_b64 s[10:11], 0
	s_and_saveexec_b64 s[8:9], s[2:3]
	s_cbranch_execz .LBB159_214
; %bb.206:                              ;   in Loop: Header=BB159_12 Depth=1
	v_cmp_ge_u64_e32 vcc, s[48:49], v[30:31]
	s_and_saveexec_b64 s[2:3], vcc
	s_xor_b64 s[10:11], exec, s[2:3]
	s_cbranch_execz .LBB159_211
; %bb.207:                              ;   in Loop: Header=BB159_12 Depth=1
	s_lshl_b64 s[2:3], 2, s63
	v_and_b32_e32 v3, s91, v13
	v_and_b32_e32 v4, s90, v12
	v_or_b32_e32 v13, s3, v3
	v_or_b32_e32 v12, s2, v4
	ds_read_b64 v[3:4], v19 offset:5120
	v_or_b32_e32 v15, s19, v15
	v_or_b32_e32 v14, s18, v14
	s_waitcnt lgkmcnt(0)
	v_cmp_ne_u64_e32 vcc, 0, v[3:4]
	s_cbranch_vccnz .LBB159_211
; %bb.208:                              ;   in Loop: Header=BB159_12 Depth=1
	s_mov_b64 s[2:3], exec
	v_readlane_b32 s4, v46, 12
	v_readlane_b32 s5, v46, 13
	s_and_b64 s[4:5], s[2:3], s[4:5]
	s_mov_b64 exec, s[4:5]
; %bb.209:                              ;   in Loop: Header=BB159_12 Depth=1
	v_mov_b32_e32 v3, s48
	v_mov_b32_e32 v4, s49
	ds_write_b64 v19, v[3:4] offset:5128
; %bb.210:                              ;   in Loop: Header=BB159_12 Depth=1
	s_or_b64 exec, exec, s[2:3]
	s_waitcnt lgkmcnt(0)
	s_barrier
.LBB159_211:                            ;   in Loop: Header=BB159_12 Depth=1
	s_or_saveexec_b64 s[4:5], s[10:11]
	s_mov_b64 s[10:11], 0
	v_mov_b32_e32 v42, 8
	s_xor_b64 exec, exec, s[4:5]
; %bb.212:                              ;   in Loop: Header=BB159_12 Depth=1
	v_subrev_co_u32_e32 v30, vcc, s48, v30
	v_mov_b32_e32 v3, s49
	v_subb_co_u32_e32 v31, vcc, v31, v3, vcc
	v_mov_b32_e32 v42, 0
	s_mov_b64 s[10:11], exec
; %bb.213:                              ;   in Loop: Header=BB159_12 Depth=1
	s_or_b64 exec, exec, s[4:5]
	v_mov_b32_e32 v28, v30
	s_and_b64 s[10:11], s[10:11], exec
	v_mov_b32_e32 v29, v31
.LBB159_214:                            ;   in Loop: Header=BB159_12 Depth=1
	s_or_b64 exec, exec, s[8:9]
	s_mov_b64 s[4:5], -1
                                        ; implicit-def: $sgpr2_sgpr3
                                        ; kill: killed $sgpr2_sgpr3
                                        ; implicit-def: $sgpr34_sgpr35
	s_and_saveexec_b64 s[20:21], s[10:11]
	s_cbranch_execz .LBB159_266
; %bb.215:                              ;   in Loop: Header=BB159_12 Depth=1
	s_cmp_eq_u64 s[50:51], 1
	v_cmp_eq_u64_e32 vcc, 1, v[28:29]
	s_cselect_b64 s[2:3], -1, 0
	s_and_b64 s[2:3], s[2:3], vcc
                                        ; implicit-def: $sgpr8_sgpr9
                                        ; kill: killed $sgpr8_sgpr9
                                        ; implicit-def: $sgpr34_sgpr35
	s_mov_b64 s[8:9], exec
	v_writelane_b32 v46, s2, 54
	v_writelane_b32 v46, s3, 55
	;; [unrolled: 1-line block ×3, first 2 shown]
	s_and_b64 s[2:3], s[8:9], s[2:3]
	v_writelane_b32 v46, s9, 57
	s_mov_b64 exec, s[2:3]
	s_cbranch_execz .LBB159_254
; %bb.216:                              ;   in Loop: Header=BB159_12 Depth=1
	ds_read_b64 v[3:4], v19 offset:5120
	s_waitcnt lgkmcnt(0)
	s_barrier
	v_readfirstlane_b32 s34, v3
	v_readfirstlane_b32 s35, v4
	s_mov_b64 s[2:3], exec
	v_readlane_b32 s4, v46, 34
	v_readlane_b32 s5, v46, 35
	s_and_b64 s[4:5], s[2:3], s[4:5]
	s_mov_b64 exec, s[4:5]
; %bb.217:                              ;   in Loop: Header=BB159_12 Depth=1
	v_mov_b32_e32 v18, v19
	ds_write_b64 v37, v[18:19]
; %bb.218:                              ;   in Loop: Header=BB159_12 Depth=1
	s_or_b64 exec, exec, s[2:3]
	s_mov_b64 s[2:3], 0
	v_or_b32_e32 v13, s19, v13
	v_or_b32_e32 v12, s18, v12
	;; [unrolled: 1-line block ×4, first 2 shown]
	v_writelane_b32 v46, s2, 58
	s_cmp_eq_u64 s[34:35], 0
	s_mov_b64 s[4:5], 0
	s_mov_b64 s[8:9], -1
	s_waitcnt lgkmcnt(0)
	s_barrier
	v_writelane_b32 v46, s3, 59
                                        ; implicit-def: $vgpr10_vgpr11
	s_cbranch_scc1 .LBB159_236
; %bb.219:                              ;   in Loop: Header=BB159_12 Depth=1
	v_readlane_b32 s2, v46, 38
	s_add_u32 s10, s34, s2
	v_readlane_b32 s2, v46, 40
	s_addc_u32 s9, s35, s2
	s_mov_b32 s8, s53
	s_cmp_lg_u64 s[8:9], 0
	s_cbranch_scc0 .LBB159_223
; %bb.220:                              ;   in Loop: Header=BB159_12 Depth=1
	v_cvt_f32_u32_e32 v3, s55
	s_sub_u32 s4, 0, s55
	s_subb_u32 s5, 0, 0
	v_mac_f32_e32 v3, 0, v41
	v_rcp_f32_e32 v3, v3
	v_mul_f32_e32 v3, 0x5f7ffffc, v3
	v_mul_f32_e32 v4, 0x2f800000, v3
	v_trunc_f32_e32 v4, v4
	v_mac_f32_e32 v3, 0xcf800000, v4
	v_cvt_u32_f32_e32 v4, v4
	v_cvt_u32_f32_e32 v3, v3
	v_readfirstlane_b32 s8, v4
	v_readfirstlane_b32 s2, v3
	s_mul_i32 s3, s4, s8
	s_mul_hi_u32 s12, s4, s2
	s_mul_i32 s11, s5, s2
	s_add_i32 s3, s12, s3
	s_mul_i32 s13, s4, s2
	s_add_i32 s3, s3, s11
	s_mul_hi_u32 s12, s2, s13
	s_mul_i32 s52, s2, s3
	s_mul_hi_u32 s11, s2, s3
	s_add_u32 s12, s12, s52
	s_addc_u32 s11, 0, s11
	s_mul_hi_u32 s58, s8, s13
	s_mul_i32 s13, s8, s13
	s_add_u32 s12, s12, s13
	s_mul_hi_u32 s52, s8, s3
	s_addc_u32 s11, s11, s58
	s_addc_u32 s12, s52, 0
	s_mul_i32 s3, s8, s3
	s_add_u32 s3, s11, s3
	s_addc_u32 s11, 0, s12
	s_add_u32 s12, s2, s3
	s_cselect_b64 s[2:3], -1, 0
	s_cmp_lg_u64 s[2:3], 0
	s_addc_u32 s8, s8, s11
	s_mul_i32 s2, s4, s8
	s_mul_hi_u32 s3, s4, s12
	s_add_i32 s2, s3, s2
	s_mul_i32 s5, s5, s12
	s_add_i32 s2, s2, s5
	s_mul_i32 s4, s4, s12
	s_mul_hi_u32 s5, s8, s4
	s_mul_i32 s11, s8, s4
	s_mul_i32 s52, s12, s2
	s_mul_hi_u32 s4, s12, s4
	s_mul_hi_u32 s13, s12, s2
	s_add_u32 s4, s4, s52
	s_addc_u32 s13, 0, s13
	s_add_u32 s4, s4, s11
	s_mul_hi_u32 s3, s8, s2
	s_addc_u32 s4, s13, s5
	s_addc_u32 s3, s3, 0
	s_mul_i32 s2, s8, s2
	s_add_u32 s2, s4, s2
	s_addc_u32 s4, 0, s3
	s_add_u32 s5, s12, s2
	s_cselect_b64 s[2:3], -1, 0
	s_cmp_lg_u64 s[2:3], 0
	s_addc_u32 s2, s8, s4
	s_mul_i32 s4, s10, s2
	s_mul_hi_u32 s8, s10, s5
	s_mul_hi_u32 s3, s10, s2
	s_add_u32 s4, s8, s4
	s_addc_u32 s3, 0, s3
	s_mul_hi_u32 s11, s9, s5
	s_mul_i32 s5, s9, s5
	s_add_u32 s4, s4, s5
	s_mul_hi_u32 s8, s9, s2
	s_addc_u32 s3, s3, s11
	s_addc_u32 s4, s8, 0
	s_mul_i32 s2, s9, s2
	s_add_u32 s2, s3, s2
	s_addc_u32 s3, 0, s4
	s_mul_i32 s3, s55, s3
	s_mul_hi_u32 s4, s55, s2
	s_add_i32 s4, s4, s3
	s_mul_i32 s2, s55, s2
	s_sub_u32 s5, s10, s2
	s_cselect_b64 s[2:3], -1, 0
	s_cmp_lg_u64 s[2:3], 0
	s_subb_u32 s4, s9, s4
	s_sub_u32 s8, s5, s55
	s_cselect_b64 s[2:3], -1, 0
	s_cmp_lg_u64 s[2:3], 0
	s_subb_u32 s11, s4, 0
	;; [unrolled: 4-line block ×3, first 2 shown]
	s_cmp_ge_u32 s8, s55
	s_cselect_b32 s3, -1, 0
	s_cmp_eq_u32 s11, 0
	s_cselect_b32 s3, s3, -1
	s_cmp_lg_u32 s3, 0
	s_cselect_b32 s2, s2, s11
	s_cselect_b32 s8, s12, s8
	s_cmp_ge_u32 s5, s55
	s_cselect_b32 s3, -1, 0
	s_cmp_eq_u32 s4, 0
	s_cselect_b32 s3, s3, -1
	s_cmp_lg_u32 s3, 0
	s_cselect_b32 s3, s2, s4
	s_cselect_b32 s2, s8, s5
	s_mov_b64 s[4:5], 0
	s_branch .LBB159_224
.LBB159_221:                            ;   in Loop: Header=BB159_12 Depth=1
                                        ; implicit-def: $sgpr2_sgpr3
	s_branch .LBB159_176
.LBB159_222:                            ;   in Loop: Header=BB159_12 Depth=1
	v_readlane_b32 s13, v46, 39
                                        ; implicit-def: $sgpr2_sgpr3
	s_branch .LBB159_192
.LBB159_223:                            ;   in Loop: Header=BB159_12 Depth=1
	s_mov_b64 s[4:5], -1
                                        ; implicit-def: $sgpr2_sgpr3
.LBB159_224:                            ;   in Loop: Header=BB159_12 Depth=1
	s_andn2_b64 vcc, exec, s[4:5]
	s_cbranch_vccnz .LBB159_226
; %bb.225:                              ;   in Loop: Header=BB159_12 Depth=1
	v_cvt_f32_u32_e32 v3, s55
	s_sub_i32 s2, 0, s55
	v_rcp_iflag_f32_e32 v3, v3
	v_mul_f32_e32 v3, 0x4f7ffffe, v3
	v_cvt_u32_f32_e32 v3, v3
	v_readfirstlane_b32 s3, v3
	s_mul_i32 s2, s2, s3
	s_mul_hi_u32 s2, s3, s2
	s_add_i32 s3, s3, s2
	s_mul_hi_u32 s2, s10, s3
	s_mul_i32 s2, s2, s55
	s_sub_i32 s2, s10, s2
	s_sub_i32 s3, s2, s55
	s_cmp_ge_u32 s2, s55
	s_cselect_b32 s2, s3, s2
	s_sub_i32 s3, s2, s55
	s_cmp_ge_u32 s2, s55
	s_cselect_b32 s52, s3, s2
	s_mov_b64 s[2:3], s[52:53]
.LBB159_226:                            ;   in Loop: Header=BB159_12 Depth=1
	s_sub_u32 s12, s10, s2
	s_subb_u32 s13, s9, s3
	v_cmp_gt_u64_e32 vcc, s[12:13], v[0:1]
	s_mov_b64 s[8:9], 0
	s_mov_b64 s[4:5], 0
                                        ; implicit-def: $vgpr10_vgpr11
	s_and_saveexec_b64 s[58:59], vcc
	s_cbranch_execz .LBB159_235
; %bb.227:                              ;   in Loop: Header=BB159_12 Depth=1
	v_mov_b32_e32 v31, v1
	v_writelane_b32 v46, s64, 52
	s_mov_b64 s[10:11], 0
	v_mov_b32_e32 v18, v36
	v_mov_b32_e32 v30, v0
	v_writelane_b32 v46, s65, 53
                                        ; implicit-def: $sgpr4_sgpr5
	s_branch .LBB159_230
.LBB159_228:                            ;   in Loop: Header=BB159_230 Depth=2
	s_or_b64 exec, exec, s[2:3]
	s_waitcnt lgkmcnt(0)
	s_barrier
	ds_read_b128 v[8:11], v19 offset:3072
	s_mov_b64 s[2:3], -1
	s_mov_b64 s[64:65], -1
	s_waitcnt lgkmcnt(0)
	s_barrier
	v_cmp_ne_u64_e32 vcc, 0, v[8:9]
	s_cbranch_vccz .LBB159_233
.LBB159_229:                            ;   in Loop: Header=BB159_230 Depth=2
	s_and_b64 s[2:3], exec, s[2:3]
	s_or_b64 s[10:11], s[2:3], s[10:11]
	s_andn2_b64 s[2:3], s[4:5], exec
	s_and_b64 s[4:5], s[64:65], exec
	s_or_b64 s[4:5], s[2:3], s[4:5]
	s_andn2_b64 exec, exec, s[10:11]
	s_cbranch_execz .LBB159_234
.LBB159_230:                            ;   Parent Loop BB159_12 Depth=1
                                        ; =>  This Inner Loop Header: Depth=2
	v_cmp_gt_u64_e32 vcc, s[34:35], v[30:31]
	s_and_saveexec_b64 s[2:3], vcc
	s_cbranch_execz .LBB159_228
; %bb.231:                              ;   in Loop: Header=BB159_230 Depth=2
	ds_read_b64 v[4:5], v18
	s_waitcnt lgkmcnt(0)
	v_xor_b32_e32 v3, 0x80000000, v5
	v_and_b32_e32 v9, v3, v15
	v_and_b32_e32 v8, v4, v14
	v_cmp_eq_u64_e32 vcc, v[8:9], v[12:13]
	s_and_b64 exec, exec, vcc
	s_cbranch_execz .LBB159_228
; %bb.232:                              ;   in Loop: Header=BB159_230 Depth=2
	v_mov_b32_e32 v3, v19
	ds_write_b128 v19, v[2:5] offset:3072
	s_branch .LBB159_228
.LBB159_233:                            ;   in Loop: Header=BB159_230 Depth=2
	v_add_co_u32_e32 v30, vcc, s55, v30
	v_addc_co_u32_e32 v31, vcc, 0, v31, vcc
	v_cmp_le_u64_e32 vcc, s[12:13], v[30:31]
	v_add_u32_e32 v18, s62, v18
	s_mov_b64 s[64:65], 0
	s_orn2_b64 s[2:3], vcc, exec
	s_branch .LBB159_229
.LBB159_234:                            ;   in Loop: Header=BB159_12 Depth=1
	s_or_b64 exec, exec, s[10:11]
	v_readlane_b32 s64, v46, 52
	s_and_b64 s[4:5], s[4:5], exec
	v_readlane_b32 s65, v46, 53
.LBB159_235:                            ;   in Loop: Header=BB159_12 Depth=1
	s_or_b64 exec, exec, s[58:59]
.LBB159_236:                            ;   in Loop: Header=BB159_12 Depth=1
	s_and_b64 vcc, exec, s[8:9]
	s_cbranch_vccz .LBB159_239
; %bb.237:                              ;   in Loop: Header=BB159_12 Depth=1
	s_mov_b32 s60, s53
	s_mov_b64 s[58:59], s[4:5]
	s_cmp_lg_u64 s[60:61], 0
	s_cbranch_scc0 .LBB159_240
; %bb.238:                              ;   in Loop: Header=BB159_12 Depth=1
	v_cvt_f32_u32_e32 v3, s55
	s_sub_u32 s4, 0, s55
	s_subb_u32 s5, 0, 0
	v_mac_f32_e32 v3, 0, v41
	v_rcp_f32_e32 v3, v3
	v_mul_f32_e32 v3, 0x5f7ffffc, v3
	v_mul_f32_e32 v4, 0x2f800000, v3
	v_trunc_f32_e32 v4, v4
	v_mac_f32_e32 v3, 0xcf800000, v4
	v_cvt_u32_f32_e32 v4, v4
	v_cvt_u32_f32_e32 v3, v3
	v_readfirstlane_b32 s8, v4
	v_readfirstlane_b32 s2, v3
	s_mul_i32 s3, s4, s8
	s_mul_hi_u32 s10, s4, s2
	s_mul_i32 s9, s5, s2
	s_add_i32 s3, s10, s3
	s_mul_i32 s11, s4, s2
	s_add_i32 s3, s3, s9
	s_mul_hi_u32 s10, s2, s11
	s_mul_i32 s12, s2, s3
	s_mul_hi_u32 s9, s2, s3
	s_add_u32 s10, s10, s12
	s_addc_u32 s9, 0, s9
	s_mul_hi_u32 s13, s8, s11
	s_mul_i32 s11, s8, s11
	s_add_u32 s10, s10, s11
	s_mul_hi_u32 s12, s8, s3
	s_addc_u32 s9, s9, s13
	s_addc_u32 s10, s12, 0
	s_mul_i32 s3, s8, s3
	s_add_u32 s3, s9, s3
	s_addc_u32 s9, 0, s10
	s_add_u32 s10, s2, s3
	s_cselect_b64 s[2:3], -1, 0
	s_cmp_lg_u64 s[2:3], 0
	s_addc_u32 s8, s8, s9
	s_mul_i32 s2, s4, s8
	s_mul_hi_u32 s3, s4, s10
	s_add_i32 s2, s3, s2
	s_mul_i32 s5, s5, s10
	s_add_i32 s2, s2, s5
	s_mul_i32 s4, s4, s10
	s_mul_hi_u32 s5, s8, s4
	s_mul_i32 s9, s8, s4
	s_mul_i32 s12, s10, s2
	s_mul_hi_u32 s4, s10, s4
	s_mul_hi_u32 s11, s10, s2
	s_add_u32 s4, s4, s12
	s_addc_u32 s11, 0, s11
	s_add_u32 s4, s4, s9
	s_mul_hi_u32 s3, s8, s2
	s_addc_u32 s4, s11, s5
	s_addc_u32 s3, s3, 0
	s_mul_i32 s2, s8, s2
	s_add_u32 s2, s4, s2
	s_addc_u32 s4, 0, s3
	s_add_u32 s5, s10, s2
	s_cselect_b64 s[2:3], -1, 0
	s_cmp_lg_u64 s[2:3], 0
	s_addc_u32 s2, s8, s4
	v_readlane_b32 s11, v46, 39
	s_mul_i32 s4, s11, s2
	s_mul_hi_u32 s8, s11, s5
	s_mul_hi_u32 s3, s11, s2
	s_add_u32 s4, s8, s4
	s_addc_u32 s3, 0, s3
	s_mul_hi_u32 s9, s61, s5
	s_mul_i32 s5, s61, s5
	s_add_u32 s4, s4, s5
	s_mul_hi_u32 s8, s61, s2
	s_addc_u32 s3, s3, s9
	s_addc_u32 s4, s8, 0
	s_mul_i32 s2, s61, s2
	s_add_u32 s2, s3, s2
	s_addc_u32 s3, 0, s4
	s_mul_i32 s3, s55, s3
	s_mul_hi_u32 s4, s55, s2
	s_add_i32 s4, s4, s3
	s_mul_i32 s2, s55, s2
	s_sub_u32 s5, s11, s2
	s_cselect_b64 s[2:3], -1, 0
	s_cmp_lg_u64 s[2:3], 0
	s_subb_u32 s4, s61, s4
	s_sub_u32 s8, s5, s55
	s_cselect_b64 s[2:3], -1, 0
	s_cmp_lg_u64 s[2:3], 0
	s_subb_u32 s9, s4, 0
	;; [unrolled: 4-line block ×3, first 2 shown]
	s_cmp_ge_u32 s8, s55
	s_cselect_b32 s3, -1, 0
	s_cmp_eq_u32 s9, 0
	s_cselect_b32 s3, s3, -1
	s_cmp_lg_u32 s3, 0
	s_cselect_b32 s2, s2, s9
	s_cselect_b32 s8, s10, s8
	s_cmp_ge_u32 s5, s55
	s_cselect_b32 s3, -1, 0
	s_cmp_eq_u32 s4, 0
	s_cselect_b32 s3, s3, -1
	s_cmp_lg_u32 s3, 0
	s_cselect_b32 s3, s2, s4
	s_cselect_b32 s2, s8, s5
	s_mov_b64 s[4:5], 0
	s_branch .LBB159_241
.LBB159_239:                            ;   in Loop: Header=BB159_12 Depth=1
	s_mov_b64 s[34:35], -1
	s_branch .LBB159_253
.LBB159_240:                            ;   in Loop: Header=BB159_12 Depth=1
	s_mov_b64 s[4:5], -1
	v_readlane_b32 s11, v46, 39
                                        ; implicit-def: $sgpr2_sgpr3
.LBB159_241:                            ;   in Loop: Header=BB159_12 Depth=1
	s_andn2_b64 vcc, exec, s[4:5]
	s_cbranch_vccnz .LBB159_243
; %bb.242:                              ;   in Loop: Header=BB159_12 Depth=1
	v_cvt_f32_u32_e32 v3, s55
	s_sub_i32 s2, 0, s55
	v_rcp_iflag_f32_e32 v3, v3
	v_mul_f32_e32 v3, 0x4f7ffffe, v3
	v_cvt_u32_f32_e32 v3, v3
	v_readfirstlane_b32 s3, v3
	s_mul_i32 s2, s2, s3
	s_mul_hi_u32 s2, s3, s2
	s_add_i32 s3, s3, s2
	s_mul_hi_u32 s2, s11, s3
	s_mul_i32 s2, s2, s55
	s_sub_i32 s2, s11, s2
	s_sub_i32 s3, s2, s55
	s_cmp_ge_u32 s2, s55
	s_cselect_b32 s2, s3, s2
	s_sub_i32 s3, s2, s55
	s_cmp_ge_u32 s2, s55
	s_cselect_b32 s52, s3, s2
	s_mov_b64 s[2:3], s[52:53]
.LBB159_243:                            ;   in Loop: Header=BB159_12 Depth=1
	s_sub_u32 s10, s11, s2
	s_subb_u32 s11, s61, s3
	v_cmp_gt_u64_e32 vcc, s[10:11], v[0:1]
                                        ; implicit-def: $vgpr10_vgpr11
	s_and_saveexec_b64 s[8:9], vcc
	s_mov_b64 s[4:5], s[58:59]
	s_cbranch_execz .LBB159_252
; %bb.244:                              ;   in Loop: Header=BB159_12 Depth=1
	v_mov_b32_e32 v31, v1
	s_mov_b64 s[12:13], 0
	v_mov_b32_e32 v30, v0
                                        ; implicit-def: $sgpr34_sgpr35
	s_branch .LBB159_247
.LBB159_245:                            ;   in Loop: Header=BB159_247 Depth=2
	s_or_b64 exec, exec, s[4:5]
	s_waitcnt lgkmcnt(0)
	s_barrier
	ds_read_b128 v[8:11], v19 offset:3072
	s_mov_b64 s[4:5], -1
	s_mov_b64 s[2:3], -1
	s_waitcnt lgkmcnt(0)
	s_barrier
	v_cmp_eq_u64_e32 vcc, 0, v[8:9]
	s_cbranch_vccnz .LBB159_250
.LBB159_246:                            ;   in Loop: Header=BB159_247 Depth=2
	s_and_b64 s[4:5], exec, s[4:5]
	s_or_b64 s[12:13], s[4:5], s[12:13]
	s_andn2_b64 s[4:5], s[34:35], exec
	s_and_b64 s[2:3], s[2:3], exec
	s_or_b64 s[34:35], s[4:5], s[2:3]
	s_andn2_b64 exec, exec, s[12:13]
	s_cbranch_execz .LBB159_251
.LBB159_247:                            ;   Parent Loop BB159_12 Depth=1
                                        ; =>  This Inner Loop Header: Depth=2
	v_cmp_gt_u64_e32 vcc, s[24:25], v[30:31]
	s_and_saveexec_b64 s[4:5], vcc
	s_cbranch_execz .LBB159_245
; %bb.248:                              ;   in Loop: Header=BB159_247 Depth=2
	v_mul_lo_u32 v5, v31, s22
	v_mul_lo_u32 v8, v30, s23
	v_mad_u64_u32 v[3:4], s[2:3], v30, s22, 0
	v_add3_u32 v4, v4, v8, v5
	v_lshlrev_b64 v[3:4], 3, v[3:4]
	v_mov_b32_e32 v5, s54
	v_add_co_u32_e32 v3, vcc, s33, v3
	v_addc_co_u32_e32 v4, vcc, v5, v4, vcc
	global_load_dwordx2 v[4:5], v[3:4], off
	s_waitcnt vmcnt(0)
	v_xor_b32_e32 v3, 0x80000000, v5
	v_and_b32_e32 v9, v3, v15
	v_and_b32_e32 v8, v4, v14
	v_cmp_eq_u64_e32 vcc, v[8:9], v[12:13]
	s_and_b64 exec, exec, vcc
	s_cbranch_execz .LBB159_245
; %bb.249:                              ;   in Loop: Header=BB159_247 Depth=2
	v_mov_b32_e32 v3, v19
	ds_write_b128 v19, v[2:5] offset:3072
	s_branch .LBB159_245
.LBB159_250:                            ;   in Loop: Header=BB159_247 Depth=2
	v_add_co_u32_e32 v30, vcc, s55, v30
	v_addc_co_u32_e32 v31, vcc, 0, v31, vcc
	v_cmp_le_u64_e32 vcc, s[10:11], v[30:31]
	s_mov_b64 s[2:3], 0
	s_orn2_b64 s[4:5], vcc, exec
	s_branch .LBB159_246
.LBB159_251:                            ;   in Loop: Header=BB159_12 Depth=1
	s_or_b64 exec, exec, s[12:13]
	s_andn2_b64 s[2:3], s[58:59], exec
	s_and_b64 s[4:5], s[34:35], exec
	s_or_b64 s[4:5], s[2:3], s[4:5]
.LBB159_252:                            ;   in Loop: Header=BB159_12 Depth=1
	s_or_b64 exec, exec, s[8:9]
	s_mov_b64 s[2:3], -1
	v_writelane_b32 v46, s2, 58
	s_mov_b64 s[34:35], 0
	v_writelane_b32 v46, s3, 59
.LBB159_253:                            ;   in Loop: Header=BB159_12 Depth=1
	s_orn2_b64 s[4:5], s[4:5], exec
.LBB159_254:                            ;   in Loop: Header=BB159_12 Depth=1
	v_readlane_b32 s2, v46, 56
	v_readlane_b32 s3, v46, 57
	s_or_b64 exec, exec, s[2:3]
	s_mov_b64 s[2:3], 0
	s_and_saveexec_b64 s[8:9], s[4:5]
	s_cbranch_execz .LBB159_265
; %bb.255:                              ;   in Loop: Header=BB159_12 Depth=1
	v_readlane_b32 s2, v46, 54
	v_readlane_b32 s3, v46, 55
	v_mov_b32_e32 v3, 1
	s_xor_b64 s[2:3], s[2:3], -1
	v_mov_b32_e32 v4, 0
	v_mov_b32_e32 v42, 1
	s_and_saveexec_b64 s[12:13], s[2:3]
	s_cbranch_execz .LBB159_264
; %bb.256:                              ;   in Loop: Header=BB159_12 Depth=1
	v_cmp_ge_u64_e32 vcc, s[50:51], v[28:29]
	s_and_saveexec_b64 s[2:3], vcc
	s_xor_b64 s[4:5], exec, s[2:3]
	s_cbranch_execz .LBB159_261
; %bb.257:                              ;   in Loop: Header=BB159_12 Depth=1
	ds_read_b64 v[3:4], v19 offset:5120
	v_or_b32_e32 v13, s19, v13
	v_or_b32_e32 v12, s18, v12
	;; [unrolled: 1-line block ×4, first 2 shown]
	s_waitcnt lgkmcnt(0)
	v_cmp_ne_u64_e32 vcc, 0, v[3:4]
	s_cbranch_vccnz .LBB159_261
; %bb.258:                              ;   in Loop: Header=BB159_12 Depth=1
	s_mov_b64 s[2:3], exec
	v_readlane_b32 s10, v46, 12
	v_readlane_b32 s11, v46, 13
	s_and_b64 s[10:11], s[2:3], s[10:11]
	s_mov_b64 exec, s[10:11]
; %bb.259:                              ;   in Loop: Header=BB159_12 Depth=1
	v_mov_b32_e32 v3, s50
	v_mov_b32_e32 v4, s51
	ds_write_b64 v19, v[3:4] offset:5128
; %bb.260:                              ;   in Loop: Header=BB159_12 Depth=1
	s_or_b64 exec, exec, s[2:3]
	s_waitcnt lgkmcnt(0)
	s_barrier
.LBB159_261:                            ;   in Loop: Header=BB159_12 Depth=1
	s_andn2_saveexec_b64 s[2:3], s[4:5]
; %bb.262:                              ;   in Loop: Header=BB159_12 Depth=1
	v_mov_b32_e32 v3, s51
	v_subrev_co_u32_e32 v28, vcc, s50, v28
	v_subb_co_u32_e32 v29, vcc, v29, v3, vcc
; %bb.263:                              ;   in Loop: Header=BB159_12 Depth=1
	s_or_b64 exec, exec, s[2:3]
	v_mov_b32_e32 v3, v28
	v_mov_b32_e32 v42, 8
	;; [unrolled: 1-line block ×3, first 2 shown]
.LBB159_264:                            ;   in Loop: Header=BB159_12 Depth=1
	s_or_b64 exec, exec, s[12:13]
	v_mov_b32_e32 v29, v4
	s_mov_b64 s[2:3], exec
	v_mov_b32_e32 v28, v3
.LBB159_265:                            ;   in Loop: Header=BB159_12 Depth=1
	s_or_b64 exec, exec, s[8:9]
	s_orn2_b64 s[4:5], s[2:3], exec
.LBB159_266:                            ;   in Loop: Header=BB159_12 Depth=1
	s_or_b64 exec, exec, s[20:21]
	v_readlane_b32 s2, v46, 48
	v_readlane_b32 s8, v46, 58
	;; [unrolled: 1-line block ×4, first 2 shown]
	s_andn2_b64 s[2:3], s[2:3], exec
	s_and_b64 s[8:9], s[8:9], exec
	s_or_b64 s[2:3], s[2:3], s[8:9]
	v_writelane_b32 v46, s2, 48
	v_writelane_b32 v46, s3, 49
	v_readlane_b32 s2, v46, 50
	v_readlane_b32 s3, v46, 51
	s_andn2_b64 s[2:3], s[2:3], exec
	s_and_b64 s[8:9], s[34:35], exec
	s_or_b64 s[2:3], s[2:3], s[8:9]
	v_mov_b32_e32 v31, v29
	v_writelane_b32 v46, s2, 50
	s_and_b64 s[8:9], s[4:5], exec
	v_mov_b32_e32 v30, v28
	v_writelane_b32 v46, s3, 51
.LBB159_267:                            ;   in Loop: Header=BB159_12 Depth=1
	s_or_b64 exec, exec, s[66:67]
	s_orn2_b64 s[4:5], s[8:9], exec
.LBB159_268:                            ;   in Loop: Header=BB159_12 Depth=1
	s_or_b64 exec, exec, s[42:43]
	v_readlane_b32 s8, v46, 48
	v_readlane_b32 s9, v46, 49
	s_andn2_b64 s[2:3], s[30:31], exec
	s_and_b64 s[8:9], s[8:9], exec
	s_or_b64 s[30:31], s[2:3], s[8:9]
	v_readlane_b32 s8, v46, 50
	v_readlane_b32 s9, v46, 51
	s_andn2_b64 s[2:3], s[28:29], exec
	s_and_b64 s[8:9], s[8:9], exec
	v_mov_b32_e32 v28, v30
	s_or_b64 s[28:29], s[2:3], s[8:9]
	s_and_b64 s[8:9], s[4:5], exec
	v_mov_b32_e32 v29, v31
.LBB159_269:                            ;   in Loop: Header=BB159_12 Depth=1
	s_or_b64 exec, exec, s[40:41]
	s_orn2_b64 s[2:3], s[8:9], exec
.LBB159_270:                            ;   in Loop: Header=BB159_12 Depth=1
	s_or_b64 exec, exec, s[6:7]
	s_mov_b64 s[4:5], 0
	s_mov_b64 s[6:7], 0
	s_and_saveexec_b64 s[8:9], s[2:3]
	s_xor_b64 s[2:3], exec, s[8:9]
; %bb.271:                              ;   in Loop: Header=BB159_12 Depth=1
	v_cmp_eq_u32_e32 vcc, 8, v42
	v_cmp_ne_u32_e64 s[6:7], 8, v42
	s_and_b64 s[6:7], s[6:7], exec
	s_and_b64 s[4:5], vcc, exec
; %bb.272:                              ;   in Loop: Header=BB159_12 Depth=1
	s_or_b64 exec, exec, s[2:3]
	s_andn2_b64 s[2:3], s[38:39], exec
	s_and_b64 s[8:9], s[30:31], exec
	s_or_b64 s[38:39], s[2:3], s[8:9]
	s_andn2_b64 s[2:3], s[36:37], exec
	s_and_b64 s[8:9], s[28:29], exec
	s_or_b64 s[36:37], s[2:3], s[8:9]
	s_and_b64 s[28:29], s[6:7], exec
	s_and_b64 s[30:31], s[4:5], exec
.LBB159_273:                            ;   in Loop: Header=BB159_12 Depth=1
	s_or_b64 exec, exec, s[46:47]
.LBB159_274:                            ;   in Loop: Header=BB159_12 Depth=1
	s_and_b64 vcc, exec, s[44:45]
	s_cbranch_vccz .LBB159_290
; %bb.275:                              ;   in Loop: Header=BB159_12 Depth=1
	s_cmp_eq_u64 s[50:51], 1
	s_cselect_b64 s[2:3], -1, 0
	s_and_b64 s[2:3], s[2:3], s[14:15]
	s_mov_b64 s[4:5], -1
                                        ; implicit-def: $sgpr14_sgpr15
                                        ; implicit-def: $sgpr92_sgpr93
	s_and_saveexec_b64 s[6:7], s[2:3]
	s_cbranch_execz .LBB159_308
; %bb.276:                              ;   in Loop: Header=BB159_12 Depth=1
	ds_read_b64 v[3:4], v19 offset:5120
	s_waitcnt lgkmcnt(0)
	s_barrier
	v_readfirstlane_b32 s10, v3
	v_readfirstlane_b32 s11, v4
	s_mov_b64 s[4:5], exec
	v_readlane_b32 s8, v46, 34
	v_readlane_b32 s9, v46, 35
	s_and_b64 s[8:9], s[4:5], s[8:9]
	s_mov_b64 exec, s[8:9]
; %bb.277:                              ;   in Loop: Header=BB159_12 Depth=1
	v_mov_b32_e32 v18, v19
	ds_write_b64 v37, v[18:19]
; %bb.278:                              ;   in Loop: Header=BB159_12 Depth=1
	s_or_b64 exec, exec, s[4:5]
	v_or_b32_e32 v23, s19, v23
	v_or_b32_e32 v22, s18, v22
	;; [unrolled: 1-line block ×4, first 2 shown]
	s_mov_b64 s[92:93], -1
	s_mov_b64 s[14:15], 0
	s_cmp_eq_u64 s[10:11], 0
	s_mov_b64 s[8:9], 0
	s_mov_b64 s[20:21], -1
	s_waitcnt lgkmcnt(0)
	s_barrier
                                        ; implicit-def: $vgpr6_vgpr7
	s_cbranch_scc1 .LBB159_293
; %bb.279:                              ;   in Loop: Header=BB159_12 Depth=1
	v_readlane_b32 s4, v46, 38
	s_add_u32 s20, s10, s4
	v_readlane_b32 s4, v46, 40
	s_addc_u32 s9, s11, s4
	s_mov_b32 s8, s53
	s_cmp_lg_u64 s[8:9], 0
	s_cbranch_scc0 .LBB159_334
; %bb.280:                              ;   in Loop: Header=BB159_12 Depth=1
	v_cvt_f32_u32_e32 v3, s55
	s_sub_u32 s8, 0, s55
	s_subb_u32 s12, 0, 0
	v_mac_f32_e32 v3, 0, v41
	v_rcp_f32_e32 v3, v3
	v_mul_f32_e32 v3, 0x5f7ffffc, v3
	v_mul_f32_e32 v4, 0x2f800000, v3
	v_trunc_f32_e32 v4, v4
	v_mac_f32_e32 v3, 0xcf800000, v4
	v_cvt_u32_f32_e32 v4, v4
	v_cvt_u32_f32_e32 v3, v3
	v_readfirstlane_b32 s13, v4
	v_readfirstlane_b32 s4, v3
	s_mul_i32 s5, s8, s13
	s_mul_hi_u32 s34, s8, s4
	s_mul_i32 s21, s12, s4
	s_add_i32 s5, s34, s5
	s_mul_i32 s35, s8, s4
	s_add_i32 s5, s5, s21
	s_mul_hi_u32 s34, s4, s35
	s_mul_i32 s36, s4, s5
	s_mul_hi_u32 s21, s4, s5
	s_add_u32 s34, s34, s36
	s_addc_u32 s21, 0, s21
	s_mul_hi_u32 s37, s13, s35
	s_mul_i32 s35, s13, s35
	s_add_u32 s34, s34, s35
	s_mul_hi_u32 s36, s13, s5
	s_addc_u32 s21, s21, s37
	s_addc_u32 s34, s36, 0
	s_mul_i32 s5, s13, s5
	s_add_u32 s5, s21, s5
	s_addc_u32 s21, 0, s34
	s_add_u32 s34, s4, s5
	s_cselect_b64 s[4:5], -1, 0
	s_cmp_lg_u64 s[4:5], 0
	s_addc_u32 s13, s13, s21
	s_mul_i32 s4, s8, s13
	s_mul_hi_u32 s5, s8, s34
	s_add_i32 s4, s5, s4
	s_mul_i32 s12, s12, s34
	s_add_i32 s4, s4, s12
	s_mul_i32 s8, s8, s34
	s_mul_hi_u32 s12, s13, s8
	s_mul_i32 s21, s13, s8
	s_mul_i32 s36, s34, s4
	s_mul_hi_u32 s8, s34, s8
	s_mul_hi_u32 s35, s34, s4
	s_add_u32 s8, s8, s36
	s_addc_u32 s35, 0, s35
	s_add_u32 s8, s8, s21
	s_mul_hi_u32 s5, s13, s4
	s_addc_u32 s8, s35, s12
	s_addc_u32 s5, s5, 0
	s_mul_i32 s4, s13, s4
	s_add_u32 s4, s8, s4
	s_addc_u32 s8, 0, s5
	s_add_u32 s12, s34, s4
	s_cselect_b64 s[4:5], -1, 0
	s_cmp_lg_u64 s[4:5], 0
	s_addc_u32 s4, s13, s8
	s_mul_i32 s8, s20, s4
	s_mul_hi_u32 s13, s20, s12
	s_mul_hi_u32 s5, s20, s4
	s_add_u32 s8, s13, s8
	s_addc_u32 s5, 0, s5
	s_mul_hi_u32 s21, s9, s12
	s_mul_i32 s12, s9, s12
	s_add_u32 s8, s8, s12
	s_mul_hi_u32 s13, s9, s4
	s_addc_u32 s5, s5, s21
	s_addc_u32 s8, s13, 0
	s_mul_i32 s4, s9, s4
	s_add_u32 s4, s5, s4
	s_addc_u32 s5, 0, s8
	s_mul_i32 s5, s55, s5
	s_mul_hi_u32 s8, s55, s4
	s_add_i32 s8, s8, s5
	s_mul_i32 s4, s55, s4
	s_sub_u32 s12, s20, s4
	s_cselect_b64 s[4:5], -1, 0
	s_cmp_lg_u64 s[4:5], 0
	s_subb_u32 s8, s9, s8
	s_sub_u32 s13, s12, s55
	s_cselect_b64 s[4:5], -1, 0
	s_cmp_lg_u64 s[4:5], 0
	s_subb_u32 s21, s8, 0
	;; [unrolled: 4-line block ×3, first 2 shown]
	s_cmp_ge_u32 s13, s55
	s_cselect_b32 s5, -1, 0
	s_cmp_eq_u32 s21, 0
	s_cselect_b32 s5, s5, -1
	s_cmp_lg_u32 s5, 0
	s_cselect_b32 s4, s4, s21
	s_cselect_b32 s13, s34, s13
	s_cmp_ge_u32 s12, s55
	s_cselect_b32 s5, -1, 0
	s_cmp_eq_u32 s8, 0
	s_cselect_b32 s5, s5, -1
	s_cmp_lg_u32 s5, 0
	s_cselect_b32 s5, s4, s8
	s_cselect_b32 s4, s13, s12
	s_cbranch_execnz .LBB159_282
.LBB159_281:                            ;   in Loop: Header=BB159_12 Depth=1
	v_cvt_f32_u32_e32 v3, s55
	s_sub_i32 s4, 0, s55
	v_rcp_iflag_f32_e32 v3, v3
	v_mul_f32_e32 v3, 0x4f7ffffe, v3
	v_cvt_u32_f32_e32 v3, v3
	v_readfirstlane_b32 s5, v3
	s_mul_i32 s4, s4, s5
	s_mul_hi_u32 s4, s5, s4
	s_add_i32 s5, s5, s4
	s_mul_hi_u32 s4, s20, s5
	s_mul_i32 s4, s4, s55
	s_sub_i32 s4, s20, s4
	s_sub_i32 s5, s4, s55
	s_cmp_ge_u32 s4, s55
	s_cselect_b32 s4, s5, s4
	s_sub_i32 s5, s4, s55
	s_cmp_ge_u32 s4, s55
	s_cselect_b32 s52, s5, s4
	s_mov_b64 s[4:5], s[52:53]
.LBB159_282:                            ;   in Loop: Header=BB159_12 Depth=1
	s_sub_u32 s36, s20, s4
	s_subb_u32 s37, s9, s5
	v_cmp_gt_u64_e32 vcc, s[36:37], v[0:1]
	s_mov_b64 s[20:21], 0
	s_mov_b64 s[8:9], 0
                                        ; implicit-def: $vgpr6_vgpr7
	s_and_saveexec_b64 s[34:35], vcc
	s_cbranch_execz .LBB159_292
; %bb.283:                              ;   in Loop: Header=BB159_12 Depth=1
	v_mov_b32_e32 v9, v1
	v_mov_b32_e32 v10, v36
	v_mov_b32_e32 v8, v0
                                        ; implicit-def: $sgpr12_sgpr13
	s_branch .LBB159_286
.LBB159_284:                            ;   in Loop: Header=BB159_286 Depth=2
	s_or_b64 exec, exec, s[4:5]
	s_waitcnt lgkmcnt(0)
	s_barrier
	ds_read_b128 v[4:7], v19 offset:3072
	s_mov_b64 s[4:5], -1
	s_mov_b64 s[38:39], -1
	s_waitcnt lgkmcnt(0)
	s_barrier
	v_cmp_ne_u64_e32 vcc, 0, v[4:5]
	s_cbranch_vccz .LBB159_289
.LBB159_285:                            ;   in Loop: Header=BB159_286 Depth=2
	s_and_b64 s[4:5], exec, s[4:5]
	s_or_b64 s[8:9], s[4:5], s[8:9]
	s_andn2_b64 s[4:5], s[12:13], exec
	s_and_b64 s[12:13], s[38:39], exec
	s_or_b64 s[12:13], s[4:5], s[12:13]
	s_andn2_b64 exec, exec, s[8:9]
	s_cbranch_execz .LBB159_291
.LBB159_286:                            ;   Parent Loop BB159_12 Depth=1
                                        ; =>  This Inner Loop Header: Depth=2
	v_cmp_gt_u64_e32 vcc, s[10:11], v[8:9]
	s_and_saveexec_b64 s[4:5], vcc
	s_cbranch_execz .LBB159_284
; %bb.287:                              ;   in Loop: Header=BB159_286 Depth=2
	ds_read_b64 v[4:5], v10
	s_waitcnt lgkmcnt(0)
	v_xor_b32_e32 v3, 0x80000000, v5
	v_and_b32_e32 v7, v3, v25
	v_and_b32_e32 v6, v4, v24
	v_cmp_eq_u64_e32 vcc, v[6:7], v[22:23]
	s_and_b64 exec, exec, vcc
	s_cbranch_execz .LBB159_284
; %bb.288:                              ;   in Loop: Header=BB159_286 Depth=2
	v_mov_b32_e32 v3, v19
	ds_write_b128 v19, v[2:5] offset:3072
	s_branch .LBB159_284
.LBB159_289:                            ;   in Loop: Header=BB159_286 Depth=2
	v_add_co_u32_e32 v8, vcc, s55, v8
	v_addc_co_u32_e32 v9, vcc, 0, v9, vcc
	v_cmp_le_u64_e32 vcc, s[36:37], v[8:9]
	v_add_u32_e32 v10, s62, v10
	s_mov_b64 s[38:39], 0
	s_orn2_b64 s[4:5], vcc, exec
	s_branch .LBB159_285
.LBB159_290:                            ;   in Loop: Header=BB159_12 Depth=1
	v_mov_b32_e32 v23, v13
	v_mov_b32_e32 v25, v15
	v_mov_b32_e32 v6, v10
	s_mov_b64 s[14:15], 0
	v_mov_b32_e32 v22, v12
	v_mov_b32_e32 v24, v14
	;; [unrolled: 1-line block ×3, first 2 shown]
	s_and_saveexec_b64 s[2:3], s[30:31]
	s_cbranch_execnz .LBB159_467
	s_branch .LBB159_468
.LBB159_291:                            ;   in Loop: Header=BB159_12 Depth=1
	s_or_b64 exec, exec, s[8:9]
	s_and_b64 s[8:9], s[12:13], exec
.LBB159_292:                            ;   in Loop: Header=BB159_12 Depth=1
	s_or_b64 exec, exec, s[34:35]
.LBB159_293:                            ;   in Loop: Header=BB159_12 Depth=1
	s_and_b64 vcc, exec, s[20:21]
	s_cbranch_vccz .LBB159_307
; %bb.294:                              ;   in Loop: Header=BB159_12 Depth=1
	s_mov_b32 s60, s53
	s_cmp_lg_u64 s[60:61], 0
	s_cbranch_scc0 .LBB159_335
; %bb.295:                              ;   in Loop: Header=BB159_12 Depth=1
	v_cvt_f32_u32_e32 v3, s55
	s_sub_u32 s10, 0, s55
	s_subb_u32 s11, 0, 0
	v_mac_f32_e32 v3, 0, v41
	v_rcp_f32_e32 v3, v3
	v_mul_f32_e32 v3, 0x5f7ffffc, v3
	v_mul_f32_e32 v4, 0x2f800000, v3
	v_trunc_f32_e32 v4, v4
	v_mac_f32_e32 v3, 0xcf800000, v4
	v_cvt_u32_f32_e32 v4, v4
	v_cvt_u32_f32_e32 v3, v3
	v_readfirstlane_b32 s12, v4
	v_readfirstlane_b32 s4, v3
	s_mul_i32 s5, s10, s12
	s_mul_hi_u32 s14, s10, s4
	s_mul_i32 s13, s11, s4
	s_add_i32 s5, s14, s5
	s_mul_i32 s15, s10, s4
	s_add_i32 s5, s5, s13
	s_mul_hi_u32 s14, s4, s15
	s_mul_i32 s20, s4, s5
	s_mul_hi_u32 s13, s4, s5
	s_add_u32 s14, s14, s20
	s_addc_u32 s13, 0, s13
	s_mul_hi_u32 s21, s12, s15
	s_mul_i32 s15, s12, s15
	s_add_u32 s14, s14, s15
	s_mul_hi_u32 s20, s12, s5
	s_addc_u32 s13, s13, s21
	s_addc_u32 s14, s20, 0
	s_mul_i32 s5, s12, s5
	s_add_u32 s5, s13, s5
	s_addc_u32 s13, 0, s14
	s_add_u32 s14, s4, s5
	s_cselect_b64 s[4:5], -1, 0
	s_cmp_lg_u64 s[4:5], 0
	s_addc_u32 s12, s12, s13
	s_mul_i32 s4, s10, s12
	s_mul_hi_u32 s5, s10, s14
	s_add_i32 s4, s5, s4
	s_mul_i32 s11, s11, s14
	s_add_i32 s4, s4, s11
	s_mul_i32 s10, s10, s14
	s_mul_hi_u32 s11, s12, s10
	s_mul_i32 s13, s12, s10
	s_mul_i32 s20, s14, s4
	s_mul_hi_u32 s10, s14, s10
	s_mul_hi_u32 s15, s14, s4
	s_add_u32 s10, s10, s20
	s_addc_u32 s15, 0, s15
	s_add_u32 s10, s10, s13
	s_mul_hi_u32 s5, s12, s4
	s_addc_u32 s10, s15, s11
	s_addc_u32 s5, s5, 0
	s_mul_i32 s4, s12, s4
	s_add_u32 s4, s10, s4
	s_addc_u32 s10, 0, s5
	s_add_u32 s11, s14, s4
	s_cselect_b64 s[4:5], -1, 0
	s_cmp_lg_u64 s[4:5], 0
	s_addc_u32 s4, s12, s10
	v_readlane_b32 s15, v46, 39
	s_mul_i32 s10, s15, s4
	s_mul_hi_u32 s12, s15, s11
	s_mul_hi_u32 s5, s15, s4
	s_add_u32 s10, s12, s10
	s_addc_u32 s5, 0, s5
	s_mul_hi_u32 s13, s61, s11
	s_mul_i32 s11, s61, s11
	s_add_u32 s10, s10, s11
	s_mul_hi_u32 s12, s61, s4
	s_addc_u32 s5, s5, s13
	s_addc_u32 s10, s12, 0
	s_mul_i32 s4, s61, s4
	s_add_u32 s4, s5, s4
	s_addc_u32 s5, 0, s10
	s_mul_i32 s5, s55, s5
	s_mul_hi_u32 s10, s55, s4
	s_add_i32 s10, s10, s5
	s_mul_i32 s4, s55, s4
	s_sub_u32 s11, s15, s4
	s_cselect_b64 s[4:5], -1, 0
	s_cmp_lg_u64 s[4:5], 0
	s_subb_u32 s10, s61, s10
	s_sub_u32 s12, s11, s55
	s_cselect_b64 s[4:5], -1, 0
	s_cmp_lg_u64 s[4:5], 0
	s_subb_u32 s13, s10, 0
	;; [unrolled: 4-line block ×3, first 2 shown]
	s_cmp_ge_u32 s12, s55
	s_cselect_b32 s5, -1, 0
	s_cmp_eq_u32 s13, 0
	s_cselect_b32 s5, s5, -1
	s_cmp_lg_u32 s5, 0
	s_cselect_b32 s4, s4, s13
	s_cselect_b32 s12, s14, s12
	s_cmp_ge_u32 s11, s55
	s_cselect_b32 s5, -1, 0
	s_cmp_eq_u32 s10, 0
	s_cselect_b32 s5, s5, -1
	s_cmp_lg_u32 s5, 0
	s_cselect_b32 s5, s4, s10
	s_cselect_b32 s4, s12, s11
	s_cbranch_execnz .LBB159_297
.LBB159_296:                            ;   in Loop: Header=BB159_12 Depth=1
	v_cvt_f32_u32_e32 v3, s55
	s_sub_i32 s4, 0, s55
	v_rcp_iflag_f32_e32 v3, v3
	v_mul_f32_e32 v3, 0x4f7ffffe, v3
	v_cvt_u32_f32_e32 v3, v3
	v_readfirstlane_b32 s5, v3
	s_mul_i32 s4, s4, s5
	s_mul_hi_u32 s4, s5, s4
	s_add_i32 s5, s5, s4
	s_mul_hi_u32 s4, s15, s5
	s_mul_i32 s4, s4, s55
	s_sub_i32 s4, s15, s4
	s_sub_i32 s5, s4, s55
	s_cmp_ge_u32 s4, s55
	s_cselect_b32 s4, s5, s4
	s_sub_i32 s5, s4, s55
	s_cmp_ge_u32 s4, s55
	s_cselect_b32 s52, s5, s4
	s_mov_b64 s[4:5], s[52:53]
.LBB159_297:                            ;   in Loop: Header=BB159_12 Depth=1
	s_sub_u32 s14, s15, s4
	s_subb_u32 s15, s61, s5
	v_cmp_gt_u64_e32 vcc, s[14:15], v[0:1]
                                        ; implicit-def: $vgpr6_vgpr7
	s_and_saveexec_b64 s[10:11], vcc
	s_cbranch_execz .LBB159_306
; %bb.298:                              ;   in Loop: Header=BB159_12 Depth=1
	v_mov_b32_e32 v9, v1
	s_mov_b64 s[20:21], 0
	v_mov_b32_e32 v8, v0
                                        ; implicit-def: $sgpr12_sgpr13
	s_branch .LBB159_301
.LBB159_299:                            ;   in Loop: Header=BB159_301 Depth=2
	s_or_b64 exec, exec, s[4:5]
	s_waitcnt lgkmcnt(0)
	s_barrier
	ds_read_b128 v[4:7], v19 offset:3072
	s_mov_b64 s[34:35], -1
	s_mov_b64 s[4:5], -1
	s_waitcnt lgkmcnt(0)
	s_barrier
	v_cmp_ne_u64_e32 vcc, 0, v[4:5]
	s_cbranch_vccz .LBB159_304
.LBB159_300:                            ;   in Loop: Header=BB159_301 Depth=2
	s_and_b64 s[34:35], exec, s[34:35]
	s_or_b64 s[20:21], s[34:35], s[20:21]
	s_andn2_b64 s[12:13], s[12:13], exec
	s_and_b64 s[4:5], s[4:5], exec
	s_or_b64 s[12:13], s[12:13], s[4:5]
	s_andn2_b64 exec, exec, s[20:21]
	s_cbranch_execz .LBB159_305
.LBB159_301:                            ;   Parent Loop BB159_12 Depth=1
                                        ; =>  This Inner Loop Header: Depth=2
	v_cmp_gt_u64_e32 vcc, s[24:25], v[8:9]
	s_and_saveexec_b64 s[4:5], vcc
	s_cbranch_execz .LBB159_299
; %bb.302:                              ;   in Loop: Header=BB159_301 Depth=2
	v_mul_lo_u32 v5, v9, s22
	v_mul_lo_u32 v6, v8, s23
	v_mad_u64_u32 v[3:4], s[34:35], v8, s22, 0
	v_add3_u32 v4, v4, v6, v5
	v_lshlrev_b64 v[3:4], 3, v[3:4]
	v_mov_b32_e32 v5, s54
	v_add_co_u32_e32 v3, vcc, s33, v3
	v_addc_co_u32_e32 v4, vcc, v5, v4, vcc
	global_load_dwordx2 v[4:5], v[3:4], off
	s_waitcnt vmcnt(0)
	v_xor_b32_e32 v3, 0x80000000, v5
	v_and_b32_e32 v7, v3, v25
	v_and_b32_e32 v6, v4, v24
	v_cmp_eq_u64_e32 vcc, v[6:7], v[22:23]
	s_and_b64 exec, exec, vcc
	s_cbranch_execz .LBB159_299
; %bb.303:                              ;   in Loop: Header=BB159_301 Depth=2
	v_mov_b32_e32 v3, v19
	ds_write_b128 v19, v[2:5] offset:3072
	s_branch .LBB159_299
.LBB159_304:                            ;   in Loop: Header=BB159_301 Depth=2
	v_add_co_u32_e32 v8, vcc, s55, v8
	v_addc_co_u32_e32 v9, vcc, 0, v9, vcc
	v_cmp_le_u64_e32 vcc, s[14:15], v[8:9]
	s_mov_b64 s[4:5], 0
	s_orn2_b64 s[34:35], vcc, exec
	s_branch .LBB159_300
.LBB159_305:                            ;   in Loop: Header=BB159_12 Depth=1
	s_or_b64 exec, exec, s[20:21]
	s_andn2_b64 s[4:5], s[8:9], exec
	s_and_b64 s[8:9], s[12:13], exec
	s_or_b64 s[8:9], s[4:5], s[8:9]
.LBB159_306:                            ;   in Loop: Header=BB159_12 Depth=1
	s_or_b64 exec, exec, s[10:11]
	s_mov_b64 s[92:93], 0
	s_mov_b64 s[14:15], -1
.LBB159_307:                            ;   in Loop: Header=BB159_12 Depth=1
	s_orn2_b64 s[4:5], s[8:9], exec
.LBB159_308:                            ;   in Loop: Header=BB159_12 Depth=1
	s_or_b64 exec, exec, s[6:7]
                                        ; implicit-def: $vgpr28_vgpr29
                                        ; implicit-def: $vgpr42
	s_and_saveexec_b64 s[36:37], s[4:5]
	s_cbranch_execz .LBB159_466
; %bb.309:                              ;   in Loop: Header=BB159_12 Depth=1
	v_mov_b32_e32 v28, 1
	s_xor_b64 s[6:7], s[2:3], -1
	v_mov_b32_e32 v42, 1
	v_mov_b32_e32 v29, 0
	s_mov_b64 s[4:5], 0
	s_and_saveexec_b64 s[2:3], s[6:7]
	s_cbranch_execz .LBB159_318
; %bb.310:                              ;   in Loop: Header=BB159_12 Depth=1
	v_cmp_ge_u64_e32 vcc, s[50:51], v[26:27]
	s_and_saveexec_b64 s[4:5], vcc
	s_xor_b64 s[4:5], exec, s[4:5]
	s_cbranch_execz .LBB159_315
; %bb.311:                              ;   in Loop: Header=BB159_12 Depth=1
	ds_read_b64 v[3:4], v19 offset:5120
	v_or_b32_e32 v23, s19, v23
	v_or_b32_e32 v22, s18, v22
	;; [unrolled: 1-line block ×4, first 2 shown]
	s_waitcnt lgkmcnt(0)
	v_cmp_ne_u64_e32 vcc, 0, v[3:4]
	s_cbranch_vccnz .LBB159_315
; %bb.312:                              ;   in Loop: Header=BB159_12 Depth=1
	s_mov_b64 s[6:7], exec
	v_readlane_b32 s8, v46, 12
	v_readlane_b32 s9, v46, 13
	s_and_b64 s[8:9], s[6:7], s[8:9]
	s_mov_b64 exec, s[8:9]
; %bb.313:                              ;   in Loop: Header=BB159_12 Depth=1
	v_mov_b32_e32 v3, s50
	v_mov_b32_e32 v4, s51
	ds_write_b64 v19, v[3:4] offset:5128
; %bb.314:                              ;   in Loop: Header=BB159_12 Depth=1
	s_or_b64 exec, exec, s[6:7]
	s_waitcnt lgkmcnt(0)
	s_barrier
.LBB159_315:                            ;   in Loop: Header=BB159_12 Depth=1
	s_or_saveexec_b64 s[4:5], s[4:5]
	s_mov_b64 s[6:7], 0
	v_mov_b32_e32 v42, 5
	s_xor_b64 exec, exec, s[4:5]
; %bb.316:                              ;   in Loop: Header=BB159_12 Depth=1
	v_subrev_co_u32_e32 v26, vcc, s50, v26
	v_mov_b32_e32 v3, s51
	v_subb_co_u32_e32 v27, vcc, v27, v3, vcc
	v_mov_b32_e32 v42, 0
	s_mov_b64 s[6:7], exec
; %bb.317:                              ;   in Loop: Header=BB159_12 Depth=1
	s_or_b64 exec, exec, s[4:5]
	v_mov_b32_e32 v29, v27
	s_and_b64 s[4:5], s[6:7], exec
	v_mov_b32_e32 v28, v26
.LBB159_318:                            ;   in Loop: Header=BB159_12 Depth=1
	s_or_b64 exec, exec, s[2:3]
	s_mov_b64 s[2:3], -1
                                        ; implicit-def: $sgpr38_sgpr39
                                        ; implicit-def: $sgpr44_sgpr45
	s_and_saveexec_b64 s[6:7], s[4:5]
	s_xor_b64 s[6:7], exec, s[6:7]
	s_cbranch_execz .LBB159_463
; %bb.319:                              ;   in Loop: Header=BB159_12 Depth=1
	s_cmp_eq_u64 s[48:49], 1
	v_cmp_eq_u64_e32 vcc, 1, v[28:29]
	s_cselect_b64 s[2:3], -1, 0
	s_and_b64 s[2:3], s[2:3], vcc
	s_mov_b64 s[4:5], -1
                                        ; implicit-def: $sgpr44_sgpr45
                                        ; implicit-def: $sgpr38_sgpr39
	s_and_saveexec_b64 s[20:21], s[2:3]
	s_cbranch_execz .LBB159_353
; %bb.320:                              ;   in Loop: Header=BB159_12 Depth=1
	ds_read_b64 v[3:4], v19 offset:5120
	s_waitcnt lgkmcnt(0)
	s_barrier
	v_readfirstlane_b32 s10, v3
	v_readfirstlane_b32 s11, v4
	s_mov_b64 s[4:5], exec
	v_readlane_b32 s8, v46, 34
	v_readlane_b32 s9, v46, 35
	s_and_b64 s[8:9], s[4:5], s[8:9]
	s_mov_b64 exec, s[8:9]
; %bb.321:                              ;   in Loop: Header=BB159_12 Depth=1
	v_mov_b32_e32 v18, v19
	ds_write_b64 v37, v[18:19]
; %bb.322:                              ;   in Loop: Header=BB159_12 Depth=1
	s_or_b64 exec, exec, s[4:5]
	s_lshl_b64 s[4:5], 2, s63
	v_and_b32_e32 v3, s91, v23
	v_and_b32_e32 v4, s90, v22
	v_or_b32_e32 v23, s5, v3
	v_or_b32_e32 v22, s4, v4
	;; [unrolled: 1-line block ×4, first 2 shown]
	s_mov_b64 s[38:39], -1
	s_mov_b64 s[44:45], 0
	s_cmp_eq_u64 s[10:11], 0
	s_mov_b64 s[8:9], 0
	s_mov_b64 s[34:35], -1
	s_waitcnt lgkmcnt(0)
	s_barrier
                                        ; implicit-def: $vgpr6_vgpr7
	s_cbranch_scc1 .LBB159_338
; %bb.323:                              ;   in Loop: Header=BB159_12 Depth=1
	v_readlane_b32 s4, v46, 38
	s_add_u32 s34, s10, s4
	v_readlane_b32 s4, v46, 40
	s_addc_u32 s9, s11, s4
	s_mov_b32 s8, s53
	s_cmp_lg_u64 s[8:9], 0
	s_cbranch_scc0 .LBB159_379
; %bb.324:                              ;   in Loop: Header=BB159_12 Depth=1
	v_cvt_f32_u32_e32 v3, s55
	s_sub_u32 s8, 0, s55
	s_subb_u32 s12, 0, 0
	v_mac_f32_e32 v3, 0, v41
	v_rcp_f32_e32 v3, v3
	v_mul_f32_e32 v3, 0x5f7ffffc, v3
	v_mul_f32_e32 v4, 0x2f800000, v3
	v_trunc_f32_e32 v4, v4
	v_mac_f32_e32 v3, 0xcf800000, v4
	v_cvt_u32_f32_e32 v4, v4
	v_cvt_u32_f32_e32 v3, v3
	v_readfirstlane_b32 s13, v4
	v_readfirstlane_b32 s4, v3
	s_mul_i32 s5, s8, s13
	s_mul_hi_u32 s40, s8, s4
	s_mul_i32 s35, s12, s4
	s_add_i32 s5, s40, s5
	s_mul_i32 s41, s8, s4
	s_add_i32 s5, s5, s35
	s_mul_hi_u32 s40, s4, s41
	s_mul_i32 s42, s4, s5
	s_mul_hi_u32 s35, s4, s5
	s_add_u32 s40, s40, s42
	s_addc_u32 s35, 0, s35
	s_mul_hi_u32 s43, s13, s41
	s_mul_i32 s41, s13, s41
	s_add_u32 s40, s40, s41
	s_mul_hi_u32 s42, s13, s5
	s_addc_u32 s35, s35, s43
	s_addc_u32 s40, s42, 0
	s_mul_i32 s5, s13, s5
	s_add_u32 s5, s35, s5
	s_addc_u32 s35, 0, s40
	s_add_u32 s40, s4, s5
	s_cselect_b64 s[4:5], -1, 0
	s_cmp_lg_u64 s[4:5], 0
	s_addc_u32 s13, s13, s35
	s_mul_i32 s4, s8, s13
	s_mul_hi_u32 s5, s8, s40
	s_add_i32 s4, s5, s4
	s_mul_i32 s12, s12, s40
	s_add_i32 s4, s4, s12
	s_mul_i32 s8, s8, s40
	s_mul_hi_u32 s12, s13, s8
	s_mul_i32 s35, s13, s8
	s_mul_i32 s42, s40, s4
	s_mul_hi_u32 s8, s40, s8
	s_mul_hi_u32 s41, s40, s4
	s_add_u32 s8, s8, s42
	s_addc_u32 s41, 0, s41
	s_add_u32 s8, s8, s35
	s_mul_hi_u32 s5, s13, s4
	s_addc_u32 s8, s41, s12
	s_addc_u32 s5, s5, 0
	s_mul_i32 s4, s13, s4
	s_add_u32 s4, s8, s4
	s_addc_u32 s8, 0, s5
	s_add_u32 s12, s40, s4
	s_cselect_b64 s[4:5], -1, 0
	s_cmp_lg_u64 s[4:5], 0
	s_addc_u32 s4, s13, s8
	s_mul_i32 s8, s34, s4
	s_mul_hi_u32 s13, s34, s12
	s_mul_hi_u32 s5, s34, s4
	s_add_u32 s8, s13, s8
	s_addc_u32 s5, 0, s5
	s_mul_hi_u32 s35, s9, s12
	s_mul_i32 s12, s9, s12
	s_add_u32 s8, s8, s12
	s_mul_hi_u32 s13, s9, s4
	s_addc_u32 s5, s5, s35
	s_addc_u32 s8, s13, 0
	s_mul_i32 s4, s9, s4
	s_add_u32 s4, s5, s4
	s_addc_u32 s5, 0, s8
	s_mul_i32 s5, s55, s5
	s_mul_hi_u32 s8, s55, s4
	s_add_i32 s8, s8, s5
	s_mul_i32 s4, s55, s4
	s_sub_u32 s12, s34, s4
	s_cselect_b64 s[4:5], -1, 0
	s_cmp_lg_u64 s[4:5], 0
	s_subb_u32 s8, s9, s8
	s_sub_u32 s13, s12, s55
	s_cselect_b64 s[4:5], -1, 0
	s_cmp_lg_u64 s[4:5], 0
	s_subb_u32 s35, s8, 0
	;; [unrolled: 4-line block ×3, first 2 shown]
	s_cmp_ge_u32 s13, s55
	s_cselect_b32 s5, -1, 0
	s_cmp_eq_u32 s35, 0
	s_cselect_b32 s5, s5, -1
	s_cmp_lg_u32 s5, 0
	s_cselect_b32 s4, s4, s35
	s_cselect_b32 s13, s40, s13
	s_cmp_ge_u32 s12, s55
	s_cselect_b32 s5, -1, 0
	s_cmp_eq_u32 s8, 0
	s_cselect_b32 s5, s5, -1
	s_cmp_lg_u32 s5, 0
	s_cselect_b32 s5, s4, s8
	s_cselect_b32 s4, s13, s12
	s_cbranch_execnz .LBB159_326
.LBB159_325:                            ;   in Loop: Header=BB159_12 Depth=1
	v_cvt_f32_u32_e32 v3, s55
	s_sub_i32 s4, 0, s55
	v_rcp_iflag_f32_e32 v3, v3
	v_mul_f32_e32 v3, 0x4f7ffffe, v3
	v_cvt_u32_f32_e32 v3, v3
	v_readfirstlane_b32 s5, v3
	s_mul_i32 s4, s4, s5
	s_mul_hi_u32 s4, s5, s4
	s_add_i32 s5, s5, s4
	s_mul_hi_u32 s4, s34, s5
	s_mul_i32 s4, s4, s55
	s_sub_i32 s4, s34, s4
	s_sub_i32 s5, s4, s55
	s_cmp_ge_u32 s4, s55
	s_cselect_b32 s4, s5, s4
	s_sub_i32 s5, s4, s55
	s_cmp_ge_u32 s4, s55
	s_cselect_b32 s52, s5, s4
	s_mov_b64 s[4:5], s[52:53]
.LBB159_326:                            ;   in Loop: Header=BB159_12 Depth=1
	s_sub_u32 s42, s34, s4
	s_subb_u32 s43, s9, s5
	v_cmp_gt_u64_e32 vcc, s[42:43], v[0:1]
	s_mov_b64 s[34:35], 0
	s_mov_b64 s[8:9], 0
                                        ; implicit-def: $vgpr6_vgpr7
	s_and_saveexec_b64 s[40:41], vcc
	s_cbranch_execz .LBB159_337
; %bb.327:                              ;   in Loop: Header=BB159_12 Depth=1
	v_mov_b32_e32 v9, v1
	v_mov_b32_e32 v10, v36
	;; [unrolled: 1-line block ×3, first 2 shown]
                                        ; implicit-def: $sgpr12_sgpr13
	s_branch .LBB159_330
.LBB159_328:                            ;   in Loop: Header=BB159_330 Depth=2
	s_or_b64 exec, exec, s[4:5]
	s_waitcnt lgkmcnt(0)
	s_barrier
	ds_read_b128 v[4:7], v19 offset:3072
	s_mov_b64 s[4:5], -1
	s_mov_b64 s[46:47], -1
	s_waitcnt lgkmcnt(0)
	s_barrier
	v_cmp_ne_u64_e32 vcc, 0, v[4:5]
	s_cbranch_vccz .LBB159_333
.LBB159_329:                            ;   in Loop: Header=BB159_330 Depth=2
	s_and_b64 s[4:5], exec, s[4:5]
	s_or_b64 s[8:9], s[4:5], s[8:9]
	s_andn2_b64 s[4:5], s[12:13], exec
	s_and_b64 s[12:13], s[46:47], exec
	s_or_b64 s[12:13], s[4:5], s[12:13]
	s_andn2_b64 exec, exec, s[8:9]
	s_cbranch_execz .LBB159_336
.LBB159_330:                            ;   Parent Loop BB159_12 Depth=1
                                        ; =>  This Inner Loop Header: Depth=2
	v_cmp_gt_u64_e32 vcc, s[10:11], v[8:9]
	s_and_saveexec_b64 s[4:5], vcc
	s_cbranch_execz .LBB159_328
; %bb.331:                              ;   in Loop: Header=BB159_330 Depth=2
	ds_read_b64 v[4:5], v10
	s_waitcnt lgkmcnt(0)
	v_xor_b32_e32 v3, 0x80000000, v5
	v_and_b32_e32 v7, v3, v25
	v_and_b32_e32 v6, v4, v24
	v_cmp_eq_u64_e32 vcc, v[6:7], v[22:23]
	s_and_b64 exec, exec, vcc
	s_cbranch_execz .LBB159_328
; %bb.332:                              ;   in Loop: Header=BB159_330 Depth=2
	v_mov_b32_e32 v3, v19
	ds_write_b128 v19, v[2:5] offset:3072
	s_branch .LBB159_328
.LBB159_333:                            ;   in Loop: Header=BB159_330 Depth=2
	v_add_co_u32_e32 v8, vcc, s55, v8
	v_addc_co_u32_e32 v9, vcc, 0, v9, vcc
	v_cmp_le_u64_e32 vcc, s[42:43], v[8:9]
	v_add_u32_e32 v10, s62, v10
	s_mov_b64 s[46:47], 0
	s_orn2_b64 s[4:5], vcc, exec
	s_branch .LBB159_329
.LBB159_334:                            ;   in Loop: Header=BB159_12 Depth=1
                                        ; implicit-def: $sgpr4_sgpr5
	s_branch .LBB159_281
.LBB159_335:                            ;   in Loop: Header=BB159_12 Depth=1
	v_readlane_b32 s15, v46, 39
                                        ; implicit-def: $sgpr4_sgpr5
	s_branch .LBB159_296
.LBB159_336:                            ;   in Loop: Header=BB159_12 Depth=1
	s_or_b64 exec, exec, s[8:9]
	s_and_b64 s[8:9], s[12:13], exec
.LBB159_337:                            ;   in Loop: Header=BB159_12 Depth=1
	s_or_b64 exec, exec, s[40:41]
.LBB159_338:                            ;   in Loop: Header=BB159_12 Depth=1
	s_and_b64 vcc, exec, s[34:35]
	s_cbranch_vccz .LBB159_352
; %bb.339:                              ;   in Loop: Header=BB159_12 Depth=1
	s_mov_b32 s60, s53
	s_cmp_lg_u64 s[60:61], 0
	s_cbranch_scc0 .LBB159_380
; %bb.340:                              ;   in Loop: Header=BB159_12 Depth=1
	v_cvt_f32_u32_e32 v3, s55
	s_sub_u32 s10, 0, s55
	s_subb_u32 s11, 0, 0
	v_mac_f32_e32 v3, 0, v41
	v_rcp_f32_e32 v3, v3
	v_mul_f32_e32 v3, 0x5f7ffffc, v3
	v_mul_f32_e32 v4, 0x2f800000, v3
	v_trunc_f32_e32 v4, v4
	v_mac_f32_e32 v3, 0xcf800000, v4
	v_cvt_u32_f32_e32 v4, v4
	v_cvt_u32_f32_e32 v3, v3
	v_readfirstlane_b32 s12, v4
	v_readfirstlane_b32 s4, v3
	s_mul_i32 s5, s10, s12
	s_mul_hi_u32 s34, s10, s4
	s_mul_i32 s13, s11, s4
	s_add_i32 s5, s34, s5
	s_mul_i32 s35, s10, s4
	s_add_i32 s5, s5, s13
	s_mul_hi_u32 s34, s4, s35
	s_mul_i32 s38, s4, s5
	s_mul_hi_u32 s13, s4, s5
	s_add_u32 s34, s34, s38
	s_addc_u32 s13, 0, s13
	s_mul_hi_u32 s39, s12, s35
	s_mul_i32 s35, s12, s35
	s_add_u32 s34, s34, s35
	s_mul_hi_u32 s38, s12, s5
	s_addc_u32 s13, s13, s39
	s_addc_u32 s34, s38, 0
	s_mul_i32 s5, s12, s5
	s_add_u32 s5, s13, s5
	s_addc_u32 s13, 0, s34
	s_add_u32 s34, s4, s5
	s_cselect_b64 s[4:5], -1, 0
	s_cmp_lg_u64 s[4:5], 0
	s_addc_u32 s12, s12, s13
	s_mul_i32 s4, s10, s12
	s_mul_hi_u32 s5, s10, s34
	s_add_i32 s4, s5, s4
	s_mul_i32 s11, s11, s34
	s_add_i32 s4, s4, s11
	s_mul_i32 s10, s10, s34
	s_mul_hi_u32 s11, s12, s10
	s_mul_i32 s13, s12, s10
	s_mul_i32 s38, s34, s4
	s_mul_hi_u32 s10, s34, s10
	s_mul_hi_u32 s35, s34, s4
	s_add_u32 s10, s10, s38
	s_addc_u32 s35, 0, s35
	s_add_u32 s10, s10, s13
	s_mul_hi_u32 s5, s12, s4
	s_addc_u32 s10, s35, s11
	s_addc_u32 s5, s5, 0
	s_mul_i32 s4, s12, s4
	s_add_u32 s4, s10, s4
	s_addc_u32 s10, 0, s5
	s_add_u32 s11, s34, s4
	s_cselect_b64 s[4:5], -1, 0
	s_cmp_lg_u64 s[4:5], 0
	s_addc_u32 s4, s12, s10
	v_readlane_b32 s35, v46, 39
	s_mul_i32 s10, s35, s4
	s_mul_hi_u32 s12, s35, s11
	s_mul_hi_u32 s5, s35, s4
	s_add_u32 s10, s12, s10
	s_addc_u32 s5, 0, s5
	s_mul_hi_u32 s13, s61, s11
	s_mul_i32 s11, s61, s11
	s_add_u32 s10, s10, s11
	s_mul_hi_u32 s12, s61, s4
	s_addc_u32 s5, s5, s13
	s_addc_u32 s10, s12, 0
	s_mul_i32 s4, s61, s4
	s_add_u32 s4, s5, s4
	s_addc_u32 s5, 0, s10
	s_mul_i32 s5, s55, s5
	s_mul_hi_u32 s10, s55, s4
	s_add_i32 s10, s10, s5
	s_mul_i32 s4, s55, s4
	s_sub_u32 s11, s35, s4
	s_cselect_b64 s[4:5], -1, 0
	s_cmp_lg_u64 s[4:5], 0
	s_subb_u32 s10, s61, s10
	s_sub_u32 s12, s11, s55
	s_cselect_b64 s[4:5], -1, 0
	s_cmp_lg_u64 s[4:5], 0
	s_subb_u32 s13, s10, 0
	;; [unrolled: 4-line block ×3, first 2 shown]
	s_cmp_ge_u32 s12, s55
	s_cselect_b32 s5, -1, 0
	s_cmp_eq_u32 s13, 0
	s_cselect_b32 s5, s5, -1
	s_cmp_lg_u32 s5, 0
	s_cselect_b32 s4, s4, s13
	s_cselect_b32 s12, s34, s12
	s_cmp_ge_u32 s11, s55
	s_cselect_b32 s5, -1, 0
	s_cmp_eq_u32 s10, 0
	s_cselect_b32 s5, s5, -1
	s_cmp_lg_u32 s5, 0
	s_cselect_b32 s5, s4, s10
	s_cselect_b32 s4, s12, s11
	s_cbranch_execnz .LBB159_342
.LBB159_341:                            ;   in Loop: Header=BB159_12 Depth=1
	v_cvt_f32_u32_e32 v3, s55
	s_sub_i32 s4, 0, s55
	v_rcp_iflag_f32_e32 v3, v3
	v_mul_f32_e32 v3, 0x4f7ffffe, v3
	v_cvt_u32_f32_e32 v3, v3
	v_readfirstlane_b32 s5, v3
	s_mul_i32 s4, s4, s5
	s_mul_hi_u32 s4, s5, s4
	s_add_i32 s5, s5, s4
	s_mul_hi_u32 s4, s35, s5
	s_mul_i32 s4, s4, s55
	s_sub_i32 s4, s35, s4
	s_sub_i32 s5, s4, s55
	s_cmp_ge_u32 s4, s55
	s_cselect_b32 s4, s5, s4
	s_sub_i32 s5, s4, s55
	s_cmp_ge_u32 s4, s55
	s_cselect_b32 s52, s5, s4
	s_mov_b64 s[4:5], s[52:53]
.LBB159_342:                            ;   in Loop: Header=BB159_12 Depth=1
	s_sub_u32 s34, s35, s4
	s_subb_u32 s35, s61, s5
	v_cmp_gt_u64_e32 vcc, s[34:35], v[0:1]
                                        ; implicit-def: $vgpr6_vgpr7
	s_and_saveexec_b64 s[10:11], vcc
	s_cbranch_execz .LBB159_351
; %bb.343:                              ;   in Loop: Header=BB159_12 Depth=1
	v_mov_b32_e32 v9, v1
	s_mov_b64 s[12:13], 0
	v_mov_b32_e32 v8, v0
                                        ; implicit-def: $sgpr38_sgpr39
	s_branch .LBB159_346
.LBB159_344:                            ;   in Loop: Header=BB159_346 Depth=2
	s_or_b64 exec, exec, s[4:5]
	s_waitcnt lgkmcnt(0)
	s_barrier
	ds_read_b128 v[4:7], v19 offset:3072
	s_mov_b64 s[40:41], -1
	s_mov_b64 s[4:5], -1
	s_waitcnt lgkmcnt(0)
	s_barrier
	v_cmp_eq_u64_e32 vcc, 0, v[4:5]
	s_cbranch_vccnz .LBB159_349
.LBB159_345:                            ;   in Loop: Header=BB159_346 Depth=2
	s_and_b64 s[40:41], exec, s[40:41]
	s_or_b64 s[12:13], s[40:41], s[12:13]
	s_andn2_b64 s[38:39], s[38:39], exec
	s_and_b64 s[4:5], s[4:5], exec
	s_or_b64 s[38:39], s[38:39], s[4:5]
	s_andn2_b64 exec, exec, s[12:13]
	s_cbranch_execz .LBB159_350
.LBB159_346:                            ;   Parent Loop BB159_12 Depth=1
                                        ; =>  This Inner Loop Header: Depth=2
	v_cmp_gt_u64_e32 vcc, s[24:25], v[8:9]
	s_and_saveexec_b64 s[4:5], vcc
	s_cbranch_execz .LBB159_344
; %bb.347:                              ;   in Loop: Header=BB159_346 Depth=2
	v_mul_lo_u32 v5, v9, s22
	v_mul_lo_u32 v6, v8, s23
	v_mad_u64_u32 v[3:4], s[40:41], v8, s22, 0
	v_add3_u32 v4, v4, v6, v5
	v_lshlrev_b64 v[3:4], 3, v[3:4]
	v_mov_b32_e32 v5, s54
	v_add_co_u32_e32 v3, vcc, s33, v3
	v_addc_co_u32_e32 v4, vcc, v5, v4, vcc
	global_load_dwordx2 v[4:5], v[3:4], off
	s_waitcnt vmcnt(0)
	v_xor_b32_e32 v3, 0x80000000, v5
	v_and_b32_e32 v7, v3, v25
	v_and_b32_e32 v6, v4, v24
	v_cmp_eq_u64_e32 vcc, v[6:7], v[22:23]
	s_and_b64 exec, exec, vcc
	s_cbranch_execz .LBB159_344
; %bb.348:                              ;   in Loop: Header=BB159_346 Depth=2
	v_mov_b32_e32 v3, v19
	ds_write_b128 v19, v[2:5] offset:3072
	s_branch .LBB159_344
.LBB159_349:                            ;   in Loop: Header=BB159_346 Depth=2
	v_add_co_u32_e32 v8, vcc, s55, v8
	v_addc_co_u32_e32 v9, vcc, 0, v9, vcc
	v_cmp_le_u64_e32 vcc, s[34:35], v[8:9]
	s_mov_b64 s[4:5], 0
	s_orn2_b64 s[40:41], vcc, exec
	s_branch .LBB159_345
.LBB159_350:                            ;   in Loop: Header=BB159_12 Depth=1
	s_or_b64 exec, exec, s[12:13]
	s_andn2_b64 s[4:5], s[8:9], exec
	s_and_b64 s[8:9], s[38:39], exec
	s_or_b64 s[8:9], s[4:5], s[8:9]
.LBB159_351:                            ;   in Loop: Header=BB159_12 Depth=1
	s_or_b64 exec, exec, s[10:11]
	s_mov_b64 s[38:39], 0
	s_mov_b64 s[44:45], -1
.LBB159_352:                            ;   in Loop: Header=BB159_12 Depth=1
	s_orn2_b64 s[4:5], s[8:9], exec
.LBB159_353:                            ;   in Loop: Header=BB159_12 Depth=1
	s_or_b64 exec, exec, s[20:21]
	s_mov_b64 s[8:9], 0
	s_and_saveexec_b64 s[46:47], s[4:5]
	s_cbranch_execz .LBB159_462
; %bb.354:                              ;   in Loop: Header=BB159_12 Depth=1
	v_mov_b32_e32 v8, 1
	s_xor_b64 s[4:5], s[2:3], -1
	v_mov_b32_e32 v42, 1
	v_mov_b32_e32 v9, 0
	s_and_saveexec_b64 s[2:3], s[4:5]
	s_cbranch_execz .LBB159_363
; %bb.355:                              ;   in Loop: Header=BB159_12 Depth=1
	v_cmp_ge_u64_e32 vcc, s[48:49], v[28:29]
	s_and_saveexec_b64 s[4:5], vcc
	s_xor_b64 s[8:9], exec, s[4:5]
	s_cbranch_execz .LBB159_360
; %bb.356:                              ;   in Loop: Header=BB159_12 Depth=1
	s_lshl_b64 s[4:5], 2, s63
	v_and_b32_e32 v3, s91, v23
	v_and_b32_e32 v4, s90, v22
	v_or_b32_e32 v23, s5, v3
	v_or_b32_e32 v22, s4, v4
	ds_read_b64 v[3:4], v19 offset:5120
	v_or_b32_e32 v25, s19, v25
	v_or_b32_e32 v24, s18, v24
	s_waitcnt lgkmcnt(0)
	v_cmp_ne_u64_e32 vcc, 0, v[3:4]
	s_cbranch_vccnz .LBB159_360
; %bb.357:                              ;   in Loop: Header=BB159_12 Depth=1
	s_mov_b64 s[4:5], exec
	v_readlane_b32 s10, v46, 12
	v_readlane_b32 s11, v46, 13
	s_and_b64 s[10:11], s[4:5], s[10:11]
	s_mov_b64 exec, s[10:11]
; %bb.358:                              ;   in Loop: Header=BB159_12 Depth=1
	v_mov_b32_e32 v3, s48
	v_mov_b32_e32 v4, s49
	ds_write_b64 v19, v[3:4] offset:5128
; %bb.359:                              ;   in Loop: Header=BB159_12 Depth=1
	s_or_b64 exec, exec, s[4:5]
	s_waitcnt lgkmcnt(0)
	s_barrier
.LBB159_360:                            ;   in Loop: Header=BB159_12 Depth=1
	s_or_saveexec_b64 s[4:5], s[8:9]
	s_mov_b64 s[8:9], 0
	v_mov_b32_e32 v42, 5
	s_xor_b64 exec, exec, s[4:5]
; %bb.361:                              ;   in Loop: Header=BB159_12 Depth=1
	v_subrev_co_u32_e32 v28, vcc, s48, v28
	v_mov_b32_e32 v3, s49
	v_subb_co_u32_e32 v29, vcc, v29, v3, vcc
	v_mov_b32_e32 v42, 0
	s_mov_b64 s[8:9], exec
; %bb.362:                              ;   in Loop: Header=BB159_12 Depth=1
	s_or_b64 exec, exec, s[4:5]
	v_mov_b32_e32 v8, v28
	s_and_b64 s[8:9], s[8:9], exec
	v_mov_b32_e32 v9, v29
.LBB159_363:                            ;   in Loop: Header=BB159_12 Depth=1
	s_or_b64 exec, exec, s[2:3]
	s_mov_b64 s[4:5], -1
                                        ; implicit-def: $sgpr42_sgpr43
                                        ; implicit-def: $sgpr2_sgpr3
	s_and_saveexec_b64 s[40:41], s[8:9]
	s_cbranch_execz .LBB159_461
; %bb.364:                              ;   in Loop: Header=BB159_12 Depth=1
	s_cmp_eq_u64 s[94:95], 1
	v_cmp_eq_u64_e32 vcc, 1, v[8:9]
	s_cselect_b64 s[2:3], -1, 0
	s_and_b64 s[20:21], s[2:3], vcc
                                        ; implicit-def: $sgpr2_sgpr3
                                        ; implicit-def: $sgpr42_sgpr43
	s_and_saveexec_b64 s[48:49], s[20:21]
	s_cbranch_execz .LBB159_398
; %bb.365:                              ;   in Loop: Header=BB159_12 Depth=1
	ds_read_b64 v[3:4], v19 offset:5120
	s_waitcnt lgkmcnt(0)
	s_barrier
	v_readfirstlane_b32 s10, v3
	v_readfirstlane_b32 s11, v4
	s_mov_b64 s[2:3], exec
	v_readlane_b32 s4, v46, 34
	v_readlane_b32 s5, v46, 35
	s_and_b64 s[4:5], s[2:3], s[4:5]
	s_mov_b64 exec, s[4:5]
; %bb.366:                              ;   in Loop: Header=BB159_12 Depth=1
	v_mov_b32_e32 v18, v19
	ds_write_b64 v37, v[18:19]
; %bb.367:                              ;   in Loop: Header=BB159_12 Depth=1
	s_or_b64 exec, exec, s[2:3]
	s_lshl_b64 s[2:3], 1, s63
	v_and_b32_e32 v3, s91, v23
	v_and_b32_e32 v4, s90, v22
	v_or_b32_e32 v23, s3, v3
	v_or_b32_e32 v22, s2, v4
	;; [unrolled: 1-line block ×4, first 2 shown]
	s_mov_b64 s[42:43], -1
	s_mov_b64 s[2:3], 0
	s_cmp_eq_u64 s[10:11], 0
	s_mov_b64 s[8:9], 0
	s_mov_b64 s[34:35], -1
	s_waitcnt lgkmcnt(0)
	s_barrier
                                        ; implicit-def: $vgpr6_vgpr7
	s_cbranch_scc1 .LBB159_383
; %bb.368:                              ;   in Loop: Header=BB159_12 Depth=1
	v_readlane_b32 s4, v46, 38
	s_add_u32 s34, s10, s4
	v_readlane_b32 s4, v46, 40
	s_addc_u32 s9, s11, s4
	s_mov_b32 s8, s53
	s_cmp_lg_u64 s[8:9], 0
	s_cbranch_scc0 .LBB159_415
; %bb.369:                              ;   in Loop: Header=BB159_12 Depth=1
	v_cvt_f32_u32_e32 v3, s55
	s_sub_u32 s8, 0, s55
	s_subb_u32 s12, 0, 0
	v_mac_f32_e32 v3, 0, v41
	v_rcp_f32_e32 v3, v3
	v_mul_f32_e32 v3, 0x5f7ffffc, v3
	v_mul_f32_e32 v4, 0x2f800000, v3
	v_trunc_f32_e32 v4, v4
	v_mac_f32_e32 v3, 0xcf800000, v4
	v_cvt_u32_f32_e32 v4, v4
	v_cvt_u32_f32_e32 v3, v3
	v_readfirstlane_b32 s13, v4
	v_readfirstlane_b32 s4, v3
	s_mul_i32 s5, s8, s13
	s_mul_hi_u32 s50, s8, s4
	s_mul_i32 s35, s12, s4
	s_add_i32 s5, s50, s5
	s_mul_i32 s51, s8, s4
	s_add_i32 s5, s5, s35
	s_mul_hi_u32 s50, s4, s51
	s_mul_i32 s52, s4, s5
	s_mul_hi_u32 s35, s4, s5
	s_add_u32 s50, s50, s52
	s_addc_u32 s35, 0, s35
	s_mul_hi_u32 s58, s13, s51
	s_mul_i32 s51, s13, s51
	s_add_u32 s50, s50, s51
	s_mul_hi_u32 s52, s13, s5
	s_addc_u32 s35, s35, s58
	s_addc_u32 s50, s52, 0
	s_mul_i32 s5, s13, s5
	s_add_u32 s5, s35, s5
	s_addc_u32 s35, 0, s50
	s_add_u32 s50, s4, s5
	s_cselect_b64 s[4:5], -1, 0
	s_cmp_lg_u64 s[4:5], 0
	s_addc_u32 s13, s13, s35
	s_mul_i32 s4, s8, s13
	s_mul_hi_u32 s5, s8, s50
	s_add_i32 s4, s5, s4
	s_mul_i32 s12, s12, s50
	s_add_i32 s4, s4, s12
	s_mul_i32 s8, s8, s50
	s_mul_hi_u32 s12, s13, s8
	s_mul_i32 s35, s13, s8
	s_mul_i32 s52, s50, s4
	s_mul_hi_u32 s8, s50, s8
	s_mul_hi_u32 s51, s50, s4
	s_add_u32 s8, s8, s52
	s_addc_u32 s51, 0, s51
	s_add_u32 s8, s8, s35
	s_mul_hi_u32 s5, s13, s4
	s_addc_u32 s8, s51, s12
	s_addc_u32 s5, s5, 0
	s_mul_i32 s4, s13, s4
	s_add_u32 s4, s8, s4
	s_addc_u32 s8, 0, s5
	s_add_u32 s12, s50, s4
	s_cselect_b64 s[4:5], -1, 0
	s_cmp_lg_u64 s[4:5], 0
	s_addc_u32 s4, s13, s8
	s_mul_i32 s8, s34, s4
	s_mul_hi_u32 s13, s34, s12
	s_mul_hi_u32 s5, s34, s4
	s_add_u32 s8, s13, s8
	s_addc_u32 s5, 0, s5
	s_mul_hi_u32 s35, s9, s12
	s_mul_i32 s12, s9, s12
	s_add_u32 s8, s8, s12
	s_mul_hi_u32 s13, s9, s4
	s_addc_u32 s5, s5, s35
	s_addc_u32 s8, s13, 0
	s_mul_i32 s4, s9, s4
	s_add_u32 s4, s5, s4
	s_addc_u32 s5, 0, s8
	s_mul_i32 s5, s55, s5
	s_mul_hi_u32 s8, s55, s4
	s_add_i32 s8, s8, s5
	s_mul_i32 s4, s55, s4
	s_sub_u32 s12, s34, s4
	s_cselect_b64 s[4:5], -1, 0
	s_cmp_lg_u64 s[4:5], 0
	s_subb_u32 s8, s9, s8
	s_sub_u32 s13, s12, s55
	s_cselect_b64 s[4:5], -1, 0
	s_cmp_lg_u64 s[4:5], 0
	s_subb_u32 s35, s8, 0
	;; [unrolled: 4-line block ×3, first 2 shown]
	s_cmp_ge_u32 s13, s55
	s_cselect_b32 s5, -1, 0
	s_cmp_eq_u32 s35, 0
	s_cselect_b32 s5, s5, -1
	s_cmp_lg_u32 s5, 0
	s_cselect_b32 s4, s4, s35
	s_cselect_b32 s13, s50, s13
	s_cmp_ge_u32 s12, s55
	s_cselect_b32 s5, -1, 0
	s_cmp_eq_u32 s8, 0
	s_cselect_b32 s5, s5, -1
	s_cmp_lg_u32 s5, 0
	s_cselect_b32 s5, s4, s8
	s_cselect_b32 s4, s13, s12
	s_cbranch_execnz .LBB159_371
.LBB159_370:                            ;   in Loop: Header=BB159_12 Depth=1
	v_cvt_f32_u32_e32 v3, s55
	s_sub_i32 s4, 0, s55
	v_rcp_iflag_f32_e32 v3, v3
	v_mul_f32_e32 v3, 0x4f7ffffe, v3
	v_cvt_u32_f32_e32 v3, v3
	v_readfirstlane_b32 s5, v3
	s_mul_i32 s4, s4, s5
	s_mul_hi_u32 s4, s5, s4
	s_add_i32 s5, s5, s4
	s_mul_hi_u32 s4, s34, s5
	s_mul_i32 s4, s4, s55
	s_sub_i32 s4, s34, s4
	s_sub_i32 s5, s4, s55
	s_cmp_ge_u32 s4, s55
	s_cselect_b32 s4, s5, s4
	s_sub_i32 s5, s4, s55
	s_cmp_ge_u32 s4, s55
	s_cselect_b32 s52, s5, s4
	s_mov_b64 s[4:5], s[52:53]
.LBB159_371:                            ;   in Loop: Header=BB159_12 Depth=1
	s_sub_u32 s58, s34, s4
	s_subb_u32 s59, s9, s5
	v_cmp_gt_u64_e32 vcc, s[58:59], v[0:1]
	s_mov_b64 s[34:35], 0
	s_mov_b64 s[8:9], 0
                                        ; implicit-def: $vgpr6_vgpr7
	s_and_saveexec_b64 s[50:51], vcc
	s_cbranch_execz .LBB159_382
; %bb.372:                              ;   in Loop: Header=BB159_12 Depth=1
	v_mov_b32_e32 v11, v1
	s_mov_b64 s[66:67], s[64:65]
	v_mov_b32_e32 v12, v36
	v_mov_b32_e32 v10, v0
                                        ; implicit-def: $sgpr12_sgpr13
	s_branch .LBB159_375
.LBB159_373:                            ;   in Loop: Header=BB159_375 Depth=2
	s_or_b64 exec, exec, s[4:5]
	s_waitcnt lgkmcnt(0)
	s_barrier
	ds_read_b128 v[4:7], v19 offset:3072
	s_mov_b64 s[4:5], -1
	s_mov_b64 s[64:65], -1
	s_waitcnt lgkmcnt(0)
	s_barrier
	v_cmp_ne_u64_e32 vcc, 0, v[4:5]
	s_cbranch_vccz .LBB159_378
.LBB159_374:                            ;   in Loop: Header=BB159_375 Depth=2
	s_and_b64 s[4:5], exec, s[4:5]
	s_or_b64 s[8:9], s[4:5], s[8:9]
	s_andn2_b64 s[4:5], s[12:13], exec
	s_and_b64 s[12:13], s[64:65], exec
	s_or_b64 s[12:13], s[4:5], s[12:13]
	s_andn2_b64 exec, exec, s[8:9]
	s_cbranch_execz .LBB159_381
.LBB159_375:                            ;   Parent Loop BB159_12 Depth=1
                                        ; =>  This Inner Loop Header: Depth=2
	v_cmp_gt_u64_e32 vcc, s[10:11], v[10:11]
	s_and_saveexec_b64 s[4:5], vcc
	s_cbranch_execz .LBB159_373
; %bb.376:                              ;   in Loop: Header=BB159_375 Depth=2
	ds_read_b64 v[4:5], v12
	s_waitcnt lgkmcnt(0)
	v_xor_b32_e32 v3, 0x80000000, v5
	v_and_b32_e32 v7, v3, v25
	v_and_b32_e32 v6, v4, v24
	v_cmp_eq_u64_e32 vcc, v[6:7], v[22:23]
	s_and_b64 exec, exec, vcc
	s_cbranch_execz .LBB159_373
; %bb.377:                              ;   in Loop: Header=BB159_375 Depth=2
	v_mov_b32_e32 v3, v19
	ds_write_b128 v19, v[2:5] offset:3072
	s_branch .LBB159_373
.LBB159_378:                            ;   in Loop: Header=BB159_375 Depth=2
	v_add_co_u32_e32 v10, vcc, s55, v10
	v_addc_co_u32_e32 v11, vcc, 0, v11, vcc
	v_cmp_le_u64_e32 vcc, s[58:59], v[10:11]
	v_add_u32_e32 v12, s62, v12
	s_mov_b64 s[64:65], 0
	s_orn2_b64 s[4:5], vcc, exec
	s_branch .LBB159_374
.LBB159_379:                            ;   in Loop: Header=BB159_12 Depth=1
                                        ; implicit-def: $sgpr4_sgpr5
	s_branch .LBB159_325
.LBB159_380:                            ;   in Loop: Header=BB159_12 Depth=1
	v_readlane_b32 s35, v46, 39
                                        ; implicit-def: $sgpr4_sgpr5
	s_branch .LBB159_341
.LBB159_381:                            ;   in Loop: Header=BB159_12 Depth=1
	s_or_b64 exec, exec, s[8:9]
	s_and_b64 s[8:9], s[12:13], exec
	s_mov_b64 s[64:65], s[66:67]
.LBB159_382:                            ;   in Loop: Header=BB159_12 Depth=1
	s_or_b64 exec, exec, s[50:51]
.LBB159_383:                            ;   in Loop: Header=BB159_12 Depth=1
	s_and_b64 vcc, exec, s[34:35]
	s_cbranch_vccz .LBB159_397
; %bb.384:                              ;   in Loop: Header=BB159_12 Depth=1
	s_mov_b32 s60, s53
	s_cmp_lg_u64 s[60:61], 0
	s_cbranch_scc0 .LBB159_416
; %bb.385:                              ;   in Loop: Header=BB159_12 Depth=1
	v_cvt_f32_u32_e32 v3, s55
	s_sub_u32 s4, 0, s55
	s_subb_u32 s5, 0, 0
	v_mac_f32_e32 v3, 0, v41
	v_rcp_f32_e32 v3, v3
	v_mul_f32_e32 v3, 0x5f7ffffc, v3
	v_mul_f32_e32 v4, 0x2f800000, v3
	v_trunc_f32_e32 v4, v4
	v_mac_f32_e32 v3, 0xcf800000, v4
	v_cvt_u32_f32_e32 v4, v4
	v_cvt_u32_f32_e32 v3, v3
	v_readfirstlane_b32 s10, v4
	v_readfirstlane_b32 s2, v3
	s_mul_i32 s3, s4, s10
	s_mul_hi_u32 s12, s4, s2
	s_mul_i32 s11, s5, s2
	s_add_i32 s3, s12, s3
	s_mul_i32 s13, s4, s2
	s_add_i32 s3, s3, s11
	s_mul_hi_u32 s12, s2, s13
	s_mul_i32 s34, s2, s3
	s_mul_hi_u32 s11, s2, s3
	s_add_u32 s12, s12, s34
	s_addc_u32 s11, 0, s11
	s_mul_hi_u32 s35, s10, s13
	s_mul_i32 s13, s10, s13
	s_add_u32 s12, s12, s13
	s_mul_hi_u32 s34, s10, s3
	s_addc_u32 s11, s11, s35
	s_addc_u32 s12, s34, 0
	s_mul_i32 s3, s10, s3
	s_add_u32 s3, s11, s3
	s_addc_u32 s11, 0, s12
	s_add_u32 s12, s2, s3
	s_cselect_b64 s[2:3], -1, 0
	s_cmp_lg_u64 s[2:3], 0
	s_addc_u32 s10, s10, s11
	s_mul_i32 s2, s4, s10
	s_mul_hi_u32 s3, s4, s12
	s_add_i32 s2, s3, s2
	s_mul_i32 s5, s5, s12
	s_add_i32 s2, s2, s5
	s_mul_i32 s4, s4, s12
	s_mul_hi_u32 s5, s10, s4
	s_mul_i32 s11, s10, s4
	s_mul_i32 s34, s12, s2
	s_mul_hi_u32 s4, s12, s4
	s_mul_hi_u32 s13, s12, s2
	s_add_u32 s4, s4, s34
	s_addc_u32 s13, 0, s13
	s_add_u32 s4, s4, s11
	s_mul_hi_u32 s3, s10, s2
	s_addc_u32 s4, s13, s5
	s_addc_u32 s3, s3, 0
	s_mul_i32 s2, s10, s2
	s_add_u32 s2, s4, s2
	s_addc_u32 s4, 0, s3
	s_add_u32 s5, s12, s2
	s_cselect_b64 s[2:3], -1, 0
	s_cmp_lg_u64 s[2:3], 0
	s_addc_u32 s2, s10, s4
	v_readlane_b32 s13, v46, 39
	s_mul_i32 s4, s13, s2
	s_mul_hi_u32 s10, s13, s5
	s_mul_hi_u32 s3, s13, s2
	s_add_u32 s4, s10, s4
	s_addc_u32 s3, 0, s3
	s_mul_hi_u32 s11, s61, s5
	s_mul_i32 s5, s61, s5
	s_add_u32 s4, s4, s5
	s_mul_hi_u32 s10, s61, s2
	s_addc_u32 s3, s3, s11
	s_addc_u32 s4, s10, 0
	s_mul_i32 s2, s61, s2
	s_add_u32 s2, s3, s2
	s_addc_u32 s3, 0, s4
	s_mul_i32 s3, s55, s3
	s_mul_hi_u32 s4, s55, s2
	s_add_i32 s4, s4, s3
	s_mul_i32 s2, s55, s2
	s_sub_u32 s5, s13, s2
	s_cselect_b64 s[2:3], -1, 0
	s_cmp_lg_u64 s[2:3], 0
	s_subb_u32 s4, s61, s4
	s_sub_u32 s10, s5, s55
	s_cselect_b64 s[2:3], -1, 0
	s_cmp_lg_u64 s[2:3], 0
	s_subb_u32 s11, s4, 0
	;; [unrolled: 4-line block ×3, first 2 shown]
	s_cmp_ge_u32 s10, s55
	s_cselect_b32 s3, -1, 0
	s_cmp_eq_u32 s11, 0
	s_cselect_b32 s3, s3, -1
	s_cmp_lg_u32 s3, 0
	s_cselect_b32 s2, s2, s11
	s_cselect_b32 s10, s12, s10
	s_cmp_ge_u32 s5, s55
	s_cselect_b32 s3, -1, 0
	s_cmp_eq_u32 s4, 0
	s_cselect_b32 s3, s3, -1
	s_cmp_lg_u32 s3, 0
	s_cselect_b32 s3, s2, s4
	s_cselect_b32 s2, s10, s5
	s_cbranch_execnz .LBB159_387
.LBB159_386:                            ;   in Loop: Header=BB159_12 Depth=1
	v_cvt_f32_u32_e32 v3, s55
	s_sub_i32 s2, 0, s55
	v_rcp_iflag_f32_e32 v3, v3
	v_mul_f32_e32 v3, 0x4f7ffffe, v3
	v_cvt_u32_f32_e32 v3, v3
	v_readfirstlane_b32 s3, v3
	s_mul_i32 s2, s2, s3
	s_mul_hi_u32 s2, s3, s2
	s_add_i32 s3, s3, s2
	s_mul_hi_u32 s2, s13, s3
	s_mul_i32 s2, s2, s55
	s_sub_i32 s2, s13, s2
	s_sub_i32 s3, s2, s55
	s_cmp_ge_u32 s2, s55
	s_cselect_b32 s2, s3, s2
	s_sub_i32 s3, s2, s55
	s_cmp_ge_u32 s2, s55
	s_cselect_b32 s52, s3, s2
	s_mov_b64 s[2:3], s[52:53]
.LBB159_387:                            ;   in Loop: Header=BB159_12 Depth=1
	s_sub_u32 s10, s13, s2
	s_subb_u32 s11, s61, s3
	v_cmp_gt_u64_e32 vcc, s[10:11], v[0:1]
                                        ; implicit-def: $vgpr6_vgpr7
	s_and_saveexec_b64 s[2:3], vcc
	s_cbranch_execz .LBB159_396
; %bb.388:                              ;   in Loop: Header=BB159_12 Depth=1
	v_mov_b32_e32 v11, v1
	s_mov_b64 s[12:13], 0
	v_mov_b32_e32 v10, v0
                                        ; implicit-def: $sgpr34_sgpr35
	s_branch .LBB159_391
.LBB159_389:                            ;   in Loop: Header=BB159_391 Depth=2
	s_or_b64 exec, exec, s[4:5]
	s_waitcnt lgkmcnt(0)
	s_barrier
	ds_read_b128 v[4:7], v19 offset:3072
	s_mov_b64 s[42:43], -1
	s_mov_b64 s[4:5], -1
	s_waitcnt lgkmcnt(0)
	s_barrier
	v_cmp_eq_u64_e32 vcc, 0, v[4:5]
	s_cbranch_vccnz .LBB159_394
.LBB159_390:                            ;   in Loop: Header=BB159_391 Depth=2
	s_and_b64 s[42:43], exec, s[42:43]
	s_or_b64 s[12:13], s[42:43], s[12:13]
	s_andn2_b64 s[34:35], s[34:35], exec
	s_and_b64 s[4:5], s[4:5], exec
	s_or_b64 s[34:35], s[34:35], s[4:5]
	s_andn2_b64 exec, exec, s[12:13]
	s_cbranch_execz .LBB159_395
.LBB159_391:                            ;   Parent Loop BB159_12 Depth=1
                                        ; =>  This Inner Loop Header: Depth=2
	v_cmp_gt_u64_e32 vcc, s[24:25], v[10:11]
	s_and_saveexec_b64 s[4:5], vcc
	s_cbranch_execz .LBB159_389
; %bb.392:                              ;   in Loop: Header=BB159_391 Depth=2
	v_mul_lo_u32 v5, v11, s22
	v_mul_lo_u32 v6, v10, s23
	v_mad_u64_u32 v[3:4], s[42:43], v10, s22, 0
	v_add3_u32 v4, v4, v6, v5
	v_lshlrev_b64 v[3:4], 3, v[3:4]
	v_mov_b32_e32 v5, s54
	v_add_co_u32_e32 v3, vcc, s33, v3
	v_addc_co_u32_e32 v4, vcc, v5, v4, vcc
	global_load_dwordx2 v[4:5], v[3:4], off
	s_waitcnt vmcnt(0)
	v_xor_b32_e32 v3, 0x80000000, v5
	v_and_b32_e32 v7, v3, v25
	v_and_b32_e32 v6, v4, v24
	v_cmp_eq_u64_e32 vcc, v[6:7], v[22:23]
	s_and_b64 exec, exec, vcc
	s_cbranch_execz .LBB159_389
; %bb.393:                              ;   in Loop: Header=BB159_391 Depth=2
	v_mov_b32_e32 v3, v19
	ds_write_b128 v19, v[2:5] offset:3072
	s_branch .LBB159_389
.LBB159_394:                            ;   in Loop: Header=BB159_391 Depth=2
	v_add_co_u32_e32 v10, vcc, s55, v10
	v_addc_co_u32_e32 v11, vcc, 0, v11, vcc
	v_cmp_le_u64_e32 vcc, s[10:11], v[10:11]
	s_mov_b64 s[4:5], 0
	s_orn2_b64 s[42:43], vcc, exec
	s_branch .LBB159_390
.LBB159_395:                            ;   in Loop: Header=BB159_12 Depth=1
	s_or_b64 exec, exec, s[12:13]
	s_andn2_b64 s[4:5], s[8:9], exec
	s_and_b64 s[8:9], s[34:35], exec
	s_or_b64 s[8:9], s[4:5], s[8:9]
.LBB159_396:                            ;   in Loop: Header=BB159_12 Depth=1
	s_or_b64 exec, exec, s[2:3]
	s_mov_b64 s[42:43], 0
	s_mov_b64 s[2:3], -1
.LBB159_397:                            ;   in Loop: Header=BB159_12 Depth=1
	s_orn2_b64 s[4:5], s[8:9], exec
.LBB159_398:                            ;   in Loop: Header=BB159_12 Depth=1
	s_or_b64 exec, exec, s[48:49]
	s_mov_b64 s[8:9], 0
	s_and_saveexec_b64 s[48:49], s[4:5]
	s_cbranch_execz .LBB159_460
; %bb.399:                              ;   in Loop: Header=BB159_12 Depth=1
	v_mov_b32_e32 v10, 1
	s_xor_b64 s[4:5], s[20:21], -1
	v_mov_b32_e32 v42, 1
	v_mov_b32_e32 v11, 0
	s_mov_b64 s[10:11], 0
	s_and_saveexec_b64 s[8:9], s[4:5]
	s_cbranch_execz .LBB159_408
; %bb.400:                              ;   in Loop: Header=BB159_12 Depth=1
	v_cmp_ge_u64_e32 vcc, s[94:95], v[8:9]
	s_and_saveexec_b64 s[4:5], vcc
	s_xor_b64 s[10:11], exec, s[4:5]
	s_cbranch_execz .LBB159_405
; %bb.401:                              ;   in Loop: Header=BB159_12 Depth=1
	s_lshl_b64 s[4:5], 1, s63
	v_and_b32_e32 v3, s91, v23
	v_and_b32_e32 v4, s90, v22
	v_or_b32_e32 v23, s5, v3
	v_or_b32_e32 v22, s4, v4
	ds_read_b64 v[3:4], v19 offset:5120
	v_or_b32_e32 v25, s19, v25
	v_or_b32_e32 v24, s18, v24
	s_waitcnt lgkmcnt(0)
	v_cmp_ne_u64_e32 vcc, 0, v[3:4]
	s_cbranch_vccnz .LBB159_405
; %bb.402:                              ;   in Loop: Header=BB159_12 Depth=1
	s_mov_b64 s[4:5], exec
	v_readlane_b32 s12, v46, 12
	v_readlane_b32 s13, v46, 13
	s_and_b64 s[12:13], s[4:5], s[12:13]
	s_mov_b64 exec, s[12:13]
; %bb.403:                              ;   in Loop: Header=BB159_12 Depth=1
	v_mov_b32_e32 v3, s94
	v_mov_b32_e32 v4, s95
	ds_write_b64 v19, v[3:4] offset:5128
; %bb.404:                              ;   in Loop: Header=BB159_12 Depth=1
	s_or_b64 exec, exec, s[4:5]
	s_waitcnt lgkmcnt(0)
	s_barrier
.LBB159_405:                            ;   in Loop: Header=BB159_12 Depth=1
	s_or_saveexec_b64 s[4:5], s[10:11]
	s_mov_b64 s[10:11], 0
	v_mov_b32_e32 v42, 5
	s_xor_b64 exec, exec, s[4:5]
; %bb.406:                              ;   in Loop: Header=BB159_12 Depth=1
	v_subrev_co_u32_e32 v8, vcc, s94, v8
	v_mov_b32_e32 v3, s95
	v_subb_co_u32_e32 v9, vcc, v9, v3, vcc
	v_mov_b32_e32 v42, 0
	s_mov_b64 s[10:11], exec
; %bb.407:                              ;   in Loop: Header=BB159_12 Depth=1
	s_or_b64 exec, exec, s[4:5]
	v_mov_b32_e32 v11, v9
	s_and_b64 s[10:11], s[10:11], exec
	v_mov_b32_e32 v10, v8
.LBB159_408:                            ;   in Loop: Header=BB159_12 Depth=1
	s_or_b64 exec, exec, s[8:9]
	s_mov_b64 s[4:5], -1
                                        ; implicit-def: $sgpr66_sgpr67
                                        ; implicit-def: $sgpr8_sgpr9
	s_and_saveexec_b64 s[50:51], s[10:11]
	s_cbranch_execz .LBB159_459
; %bb.409:                              ;   in Loop: Header=BB159_12 Depth=1
	s_cmp_eq_u64 s[16:17], 1
	v_cmp_eq_u64_e32 vcc, 1, v[10:11]
	s_cselect_b64 s[4:5], -1, 0
	s_and_b64 s[10:11], s[4:5], vcc
	s_mov_b64 s[4:5], -1
                                        ; implicit-def: $sgpr66_sgpr67
                                        ; implicit-def: $sgpr8_sgpr9
	s_mov_b64 s[12:13], exec
	v_writelane_b32 v46, s10, 48
	v_writelane_b32 v46, s11, 49
	v_writelane_b32 v46, s12, 50
	s_and_b64 s[10:11], s[12:13], s[10:11]
	v_writelane_b32 v46, s13, 51
	s_mov_b64 exec, s[10:11]
	s_cbranch_execz .LBB159_447
; %bb.410:                              ;   in Loop: Header=BB159_12 Depth=1
	ds_read_b64 v[3:4], v19 offset:5120
	s_waitcnt lgkmcnt(0)
	s_barrier
	v_readfirstlane_b32 s94, v3
	v_readfirstlane_b32 s95, v4
	s_mov_b64 s[4:5], exec
	v_readlane_b32 s8, v46, 34
	v_readlane_b32 s9, v46, 35
	s_and_b64 s[8:9], s[4:5], s[8:9]
	s_mov_b64 exec, s[8:9]
; %bb.411:                              ;   in Loop: Header=BB159_12 Depth=1
	v_mov_b32_e32 v18, v19
	ds_write_b64 v37, v[18:19]
; %bb.412:                              ;   in Loop: Header=BB159_12 Depth=1
	s_or_b64 exec, exec, s[4:5]
	v_and_b32_e32 v23, s91, v23
	v_and_b32_e32 v22, s90, v22
	v_or_b32_e32 v25, s19, v25
	v_or_b32_e32 v24, s18, v24
	s_mov_b64 s[8:9], -1
	s_mov_b64 s[66:67], 0
	s_cmp_eq_u64 s[94:95], 0
	s_mov_b64 s[10:11], 0
	s_mov_b64 s[34:35], -1
	s_waitcnt lgkmcnt(0)
	s_barrier
                                        ; implicit-def: $vgpr6_vgpr7
	s_cbranch_scc1 .LBB159_430
; %bb.413:                              ;   in Loop: Header=BB159_12 Depth=1
	v_readlane_b32 s4, v46, 38
	s_add_u32 s20, s94, s4
	v_readlane_b32 s4, v46, 40
	s_addc_u32 s11, s95, s4
	s_mov_b32 s10, s53
	s_cmp_lg_u64 s[10:11], 0
	s_cbranch_scc0 .LBB159_417
; %bb.414:                              ;   in Loop: Header=BB159_12 Depth=1
	v_cvt_f32_u32_e32 v3, s55
	s_sub_u32 s10, 0, s55
	s_subb_u32 s12, 0, 0
	v_mac_f32_e32 v3, 0, v41
	v_rcp_f32_e32 v3, v3
	v_mul_f32_e32 v3, 0x5f7ffffc, v3
	v_mul_f32_e32 v4, 0x2f800000, v3
	v_trunc_f32_e32 v4, v4
	v_mac_f32_e32 v3, 0xcf800000, v4
	v_cvt_u32_f32_e32 v4, v4
	v_cvt_u32_f32_e32 v3, v3
	v_readfirstlane_b32 s13, v4
	v_readfirstlane_b32 s4, v3
	s_mul_i32 s5, s10, s13
	s_mul_hi_u32 s34, s10, s4
	s_mul_i32 s21, s12, s4
	s_add_i32 s5, s34, s5
	s_mul_i32 s35, s10, s4
	s_add_i32 s5, s5, s21
	s_mul_hi_u32 s34, s4, s35
	s_mul_i32 s52, s4, s5
	s_mul_hi_u32 s21, s4, s5
	s_add_u32 s34, s34, s52
	s_addc_u32 s21, 0, s21
	s_mul_hi_u32 s58, s13, s35
	s_mul_i32 s35, s13, s35
	s_add_u32 s34, s34, s35
	s_mul_hi_u32 s52, s13, s5
	s_addc_u32 s21, s21, s58
	s_addc_u32 s34, s52, 0
	s_mul_i32 s5, s13, s5
	s_add_u32 s5, s21, s5
	s_addc_u32 s21, 0, s34
	s_add_u32 s34, s4, s5
	s_cselect_b64 s[4:5], -1, 0
	s_cmp_lg_u64 s[4:5], 0
	s_addc_u32 s13, s13, s21
	s_mul_i32 s4, s10, s13
	s_mul_hi_u32 s5, s10, s34
	s_add_i32 s4, s5, s4
	s_mul_i32 s12, s12, s34
	s_add_i32 s4, s4, s12
	s_mul_i32 s10, s10, s34
	s_mul_hi_u32 s12, s13, s10
	s_mul_i32 s21, s13, s10
	s_mul_i32 s52, s34, s4
	s_mul_hi_u32 s10, s34, s10
	s_mul_hi_u32 s35, s34, s4
	s_add_u32 s10, s10, s52
	s_addc_u32 s35, 0, s35
	s_add_u32 s10, s10, s21
	s_mul_hi_u32 s5, s13, s4
	s_addc_u32 s10, s35, s12
	s_addc_u32 s5, s5, 0
	s_mul_i32 s4, s13, s4
	s_add_u32 s4, s10, s4
	s_addc_u32 s10, 0, s5
	s_add_u32 s12, s34, s4
	s_cselect_b64 s[4:5], -1, 0
	s_cmp_lg_u64 s[4:5], 0
	s_addc_u32 s4, s13, s10
	s_mul_i32 s10, s20, s4
	s_mul_hi_u32 s13, s20, s12
	s_mul_hi_u32 s5, s20, s4
	s_add_u32 s10, s13, s10
	s_addc_u32 s5, 0, s5
	s_mul_hi_u32 s21, s11, s12
	s_mul_i32 s12, s11, s12
	s_add_u32 s10, s10, s12
	s_mul_hi_u32 s13, s11, s4
	s_addc_u32 s5, s5, s21
	s_addc_u32 s10, s13, 0
	s_mul_i32 s4, s11, s4
	s_add_u32 s4, s5, s4
	s_addc_u32 s5, 0, s10
	s_mul_i32 s5, s55, s5
	s_mul_hi_u32 s10, s55, s4
	s_add_i32 s10, s10, s5
	s_mul_i32 s4, s55, s4
	s_sub_u32 s12, s20, s4
	s_cselect_b64 s[4:5], -1, 0
	s_cmp_lg_u64 s[4:5], 0
	s_subb_u32 s10, s11, s10
	s_sub_u32 s13, s12, s55
	s_cselect_b64 s[4:5], -1, 0
	s_cmp_lg_u64 s[4:5], 0
	s_subb_u32 s21, s10, 0
	;; [unrolled: 4-line block ×3, first 2 shown]
	s_cmp_ge_u32 s13, s55
	s_cselect_b32 s5, -1, 0
	s_cmp_eq_u32 s21, 0
	s_cselect_b32 s5, s5, -1
	s_cmp_lg_u32 s5, 0
	s_cselect_b32 s4, s4, s21
	s_cselect_b32 s13, s34, s13
	s_cmp_ge_u32 s12, s55
	s_cselect_b32 s5, -1, 0
	s_cmp_eq_u32 s10, 0
	s_cselect_b32 s5, s5, -1
	s_cmp_lg_u32 s5, 0
	s_cselect_b32 s5, s4, s10
	s_cselect_b32 s4, s13, s12
	s_mov_b64 s[12:13], 0
	s_branch .LBB159_418
.LBB159_415:                            ;   in Loop: Header=BB159_12 Depth=1
                                        ; implicit-def: $sgpr4_sgpr5
	s_branch .LBB159_370
.LBB159_416:                            ;   in Loop: Header=BB159_12 Depth=1
	v_readlane_b32 s13, v46, 39
                                        ; implicit-def: $sgpr2_sgpr3
	s_branch .LBB159_386
.LBB159_417:                            ;   in Loop: Header=BB159_12 Depth=1
	s_mov_b64 s[12:13], -1
                                        ; implicit-def: $sgpr4_sgpr5
.LBB159_418:                            ;   in Loop: Header=BB159_12 Depth=1
	s_andn2_b64 vcc, exec, s[12:13]
	s_cbranch_vccnz .LBB159_420
; %bb.419:                              ;   in Loop: Header=BB159_12 Depth=1
	v_cvt_f32_u32_e32 v3, s55
	s_sub_i32 s4, 0, s55
	v_rcp_iflag_f32_e32 v3, v3
	v_mul_f32_e32 v3, 0x4f7ffffe, v3
	v_cvt_u32_f32_e32 v3, v3
	v_readfirstlane_b32 s5, v3
	s_mul_i32 s4, s4, s5
	s_mul_hi_u32 s4, s5, s4
	s_add_i32 s5, s5, s4
	s_mul_hi_u32 s4, s20, s5
	s_mul_i32 s4, s4, s55
	s_sub_i32 s4, s20, s4
	s_sub_i32 s5, s4, s55
	s_cmp_ge_u32 s4, s55
	s_cselect_b32 s4, s5, s4
	s_sub_i32 s5, s4, s55
	s_cmp_ge_u32 s4, s55
	s_cselect_b32 s52, s5, s4
	s_mov_b64 s[4:5], s[52:53]
.LBB159_420:                            ;   in Loop: Header=BB159_12 Depth=1
	s_sub_u32 s58, s20, s4
	s_subb_u32 s59, s11, s5
	v_cmp_gt_u64_e32 vcc, s[58:59], v[0:1]
	s_mov_b64 s[34:35], 0
	s_mov_b64 s[10:11], 0
                                        ; implicit-def: $vgpr6_vgpr7
	s_and_saveexec_b64 s[20:21], vcc
	s_cbranch_execz .LBB159_429
; %bb.421:                              ;   in Loop: Header=BB159_12 Depth=1
	v_mov_b32_e32 v9, v1
	v_writelane_b32 v46, s64, 52
	v_mov_b32_e32 v12, v36
	v_mov_b32_e32 v8, v0
	v_writelane_b32 v46, s65, 53
                                        ; implicit-def: $sgpr12_sgpr13
	s_branch .LBB159_424
.LBB159_422:                            ;   in Loop: Header=BB159_424 Depth=2
	s_or_b64 exec, exec, s[4:5]
	s_waitcnt lgkmcnt(0)
	s_barrier
	ds_read_b128 v[4:7], v19 offset:3072
	s_mov_b64 s[4:5], -1
	s_mov_b64 s[64:65], -1
	s_waitcnt lgkmcnt(0)
	s_barrier
	v_cmp_ne_u64_e32 vcc, 0, v[4:5]
	s_cbranch_vccz .LBB159_427
.LBB159_423:                            ;   in Loop: Header=BB159_424 Depth=2
	s_and_b64 s[4:5], exec, s[4:5]
	s_or_b64 s[10:11], s[4:5], s[10:11]
	s_andn2_b64 s[4:5], s[12:13], exec
	s_and_b64 s[12:13], s[64:65], exec
	s_or_b64 s[12:13], s[4:5], s[12:13]
	s_andn2_b64 exec, exec, s[10:11]
	s_cbranch_execz .LBB159_428
.LBB159_424:                            ;   Parent Loop BB159_12 Depth=1
                                        ; =>  This Inner Loop Header: Depth=2
	v_cmp_gt_u64_e32 vcc, s[94:95], v[8:9]
	s_and_saveexec_b64 s[4:5], vcc
	s_cbranch_execz .LBB159_422
; %bb.425:                              ;   in Loop: Header=BB159_424 Depth=2
	ds_read_b64 v[4:5], v12
	s_waitcnt lgkmcnt(0)
	v_xor_b32_e32 v3, 0x80000000, v5
	v_and_b32_e32 v7, v3, v25
	v_and_b32_e32 v6, v4, v24
	v_cmp_eq_u64_e32 vcc, v[6:7], v[22:23]
	s_and_b64 exec, exec, vcc
	s_cbranch_execz .LBB159_422
; %bb.426:                              ;   in Loop: Header=BB159_424 Depth=2
	v_mov_b32_e32 v3, v19
	ds_write_b128 v19, v[2:5] offset:3072
	s_branch .LBB159_422
.LBB159_427:                            ;   in Loop: Header=BB159_424 Depth=2
	v_add_co_u32_e32 v8, vcc, s55, v8
	v_addc_co_u32_e32 v9, vcc, 0, v9, vcc
	v_cmp_le_u64_e32 vcc, s[58:59], v[8:9]
	v_add_u32_e32 v12, s62, v12
	s_mov_b64 s[64:65], 0
	s_orn2_b64 s[4:5], vcc, exec
	s_branch .LBB159_423
.LBB159_428:                            ;   in Loop: Header=BB159_12 Depth=1
	s_or_b64 exec, exec, s[10:11]
	v_readlane_b32 s64, v46, 52
	s_and_b64 s[10:11], s[12:13], exec
	v_readlane_b32 s65, v46, 53
.LBB159_429:                            ;   in Loop: Header=BB159_12 Depth=1
	s_or_b64 exec, exec, s[20:21]
.LBB159_430:                            ;   in Loop: Header=BB159_12 Depth=1
	s_and_b64 vcc, exec, s[34:35]
	s_cbranch_vccz .LBB159_446
; %bb.431:                              ;   in Loop: Header=BB159_12 Depth=1
	s_mov_b32 s60, s53
	s_cmp_lg_u64 s[60:61], 0
	s_cbranch_scc0 .LBB159_433
; %bb.432:                              ;   in Loop: Header=BB159_12 Depth=1
	v_cvt_f32_u32_e32 v3, s55
	s_sub_u32 s8, 0, s55
	s_subb_u32 s9, 0, 0
	v_mac_f32_e32 v3, 0, v41
	v_rcp_f32_e32 v3, v3
	v_mul_f32_e32 v3, 0x5f7ffffc, v3
	v_mul_f32_e32 v4, 0x2f800000, v3
	v_trunc_f32_e32 v4, v4
	v_mac_f32_e32 v3, 0xcf800000, v4
	v_cvt_u32_f32_e32 v4, v4
	v_cvt_u32_f32_e32 v3, v3
	v_readfirstlane_b32 s12, v4
	v_readfirstlane_b32 s4, v3
	s_mul_i32 s5, s8, s12
	s_mul_hi_u32 s20, s8, s4
	s_mul_i32 s13, s9, s4
	s_add_i32 s5, s20, s5
	s_mul_i32 s21, s8, s4
	s_add_i32 s5, s5, s13
	s_mul_hi_u32 s20, s4, s21
	s_mul_i32 s34, s4, s5
	s_mul_hi_u32 s13, s4, s5
	s_add_u32 s20, s20, s34
	s_addc_u32 s13, 0, s13
	s_mul_hi_u32 s35, s12, s21
	s_mul_i32 s21, s12, s21
	s_add_u32 s20, s20, s21
	s_mul_hi_u32 s34, s12, s5
	s_addc_u32 s13, s13, s35
	s_addc_u32 s20, s34, 0
	s_mul_i32 s5, s12, s5
	s_add_u32 s5, s13, s5
	s_addc_u32 s13, 0, s20
	s_add_u32 s20, s4, s5
	s_cselect_b64 s[4:5], -1, 0
	s_cmp_lg_u64 s[4:5], 0
	s_addc_u32 s12, s12, s13
	s_mul_i32 s4, s8, s12
	s_mul_hi_u32 s5, s8, s20
	s_add_i32 s4, s5, s4
	s_mul_i32 s9, s9, s20
	s_add_i32 s4, s4, s9
	s_mul_i32 s8, s8, s20
	s_mul_hi_u32 s9, s12, s8
	s_mul_i32 s13, s12, s8
	s_mul_i32 s34, s20, s4
	s_mul_hi_u32 s8, s20, s8
	s_mul_hi_u32 s21, s20, s4
	s_add_u32 s8, s8, s34
	s_addc_u32 s21, 0, s21
	s_add_u32 s8, s8, s13
	s_mul_hi_u32 s5, s12, s4
	s_addc_u32 s8, s21, s9
	s_addc_u32 s5, s5, 0
	s_mul_i32 s4, s12, s4
	s_add_u32 s4, s8, s4
	s_addc_u32 s8, 0, s5
	s_add_u32 s9, s20, s4
	s_cselect_b64 s[4:5], -1, 0
	s_cmp_lg_u64 s[4:5], 0
	s_addc_u32 s4, s12, s8
	v_readlane_b32 s21, v46, 39
	s_mul_i32 s8, s21, s4
	s_mul_hi_u32 s12, s21, s9
	s_mul_hi_u32 s5, s21, s4
	s_add_u32 s8, s12, s8
	s_addc_u32 s5, 0, s5
	s_mul_hi_u32 s13, s61, s9
	s_mul_i32 s9, s61, s9
	s_add_u32 s8, s8, s9
	s_mul_hi_u32 s12, s61, s4
	s_addc_u32 s5, s5, s13
	s_addc_u32 s8, s12, 0
	s_mul_i32 s4, s61, s4
	s_add_u32 s4, s5, s4
	s_addc_u32 s5, 0, s8
	s_mul_i32 s5, s55, s5
	s_mul_hi_u32 s8, s55, s4
	s_add_i32 s8, s8, s5
	s_mul_i32 s4, s55, s4
	s_sub_u32 s9, s21, s4
	s_cselect_b64 s[4:5], -1, 0
	s_cmp_lg_u64 s[4:5], 0
	s_subb_u32 s8, s61, s8
	s_sub_u32 s12, s9, s55
	s_cselect_b64 s[4:5], -1, 0
	s_cmp_lg_u64 s[4:5], 0
	s_subb_u32 s13, s8, 0
	;; [unrolled: 4-line block ×3, first 2 shown]
	s_cmp_ge_u32 s12, s55
	s_cselect_b32 s5, -1, 0
	s_cmp_eq_u32 s13, 0
	s_cselect_b32 s5, s5, -1
	s_cmp_lg_u32 s5, 0
	s_cselect_b32 s4, s4, s13
	s_cselect_b32 s12, s20, s12
	s_cmp_ge_u32 s9, s55
	s_cselect_b32 s5, -1, 0
	s_cmp_eq_u32 s8, 0
	s_cselect_b32 s5, s5, -1
	s_cmp_lg_u32 s5, 0
	s_cselect_b32 s5, s4, s8
	s_cselect_b32 s4, s12, s9
	s_mov_b64 s[8:9], 0
	s_branch .LBB159_434
.LBB159_433:                            ;   in Loop: Header=BB159_12 Depth=1
	s_mov_b64 s[8:9], -1
	v_readlane_b32 s21, v46, 39
                                        ; implicit-def: $sgpr4_sgpr5
.LBB159_434:                            ;   in Loop: Header=BB159_12 Depth=1
	s_andn2_b64 vcc, exec, s[8:9]
	s_cbranch_vccnz .LBB159_436
; %bb.435:                              ;   in Loop: Header=BB159_12 Depth=1
	v_cvt_f32_u32_e32 v3, s55
	s_sub_i32 s4, 0, s55
	v_rcp_iflag_f32_e32 v3, v3
	v_mul_f32_e32 v3, 0x4f7ffffe, v3
	v_cvt_u32_f32_e32 v3, v3
	v_readfirstlane_b32 s5, v3
	s_mul_i32 s4, s4, s5
	s_mul_hi_u32 s4, s5, s4
	s_add_i32 s5, s5, s4
	s_mul_hi_u32 s4, s21, s5
	s_mul_i32 s4, s4, s55
	s_sub_i32 s4, s21, s4
	s_sub_i32 s5, s4, s55
	s_cmp_ge_u32 s4, s55
	s_cselect_b32 s4, s5, s4
	s_sub_i32 s5, s4, s55
	s_cmp_ge_u32 s4, s55
	s_cselect_b32 s52, s5, s4
	s_mov_b64 s[4:5], s[52:53]
.LBB159_436:                            ;   in Loop: Header=BB159_12 Depth=1
	s_sub_u32 s34, s21, s4
	s_subb_u32 s35, s61, s5
	v_cmp_gt_u64_e32 vcc, s[34:35], v[0:1]
                                        ; implicit-def: $vgpr6_vgpr7
	s_and_saveexec_b64 s[8:9], vcc
	s_cbranch_execz .LBB159_445
; %bb.437:                              ;   in Loop: Header=BB159_12 Depth=1
	v_mov_b32_e32 v9, v1
	s_mov_b64 s[12:13], 0
	v_mov_b32_e32 v8, v0
                                        ; implicit-def: $sgpr20_sgpr21
	s_branch .LBB159_440
.LBB159_438:                            ;   in Loop: Header=BB159_440 Depth=2
	s_or_b64 exec, exec, s[4:5]
	s_waitcnt lgkmcnt(0)
	s_barrier
	ds_read_b128 v[4:7], v19 offset:3072
	s_mov_b64 s[58:59], -1
	s_mov_b64 s[4:5], -1
	s_waitcnt lgkmcnt(0)
	s_barrier
	v_cmp_eq_u64_e32 vcc, 0, v[4:5]
	s_cbranch_vccnz .LBB159_443
.LBB159_439:                            ;   in Loop: Header=BB159_440 Depth=2
	s_and_b64 s[58:59], exec, s[58:59]
	s_or_b64 s[12:13], s[58:59], s[12:13]
	s_andn2_b64 s[20:21], s[20:21], exec
	s_and_b64 s[4:5], s[4:5], exec
	s_or_b64 s[20:21], s[20:21], s[4:5]
	s_andn2_b64 exec, exec, s[12:13]
	s_cbranch_execz .LBB159_444
.LBB159_440:                            ;   Parent Loop BB159_12 Depth=1
                                        ; =>  This Inner Loop Header: Depth=2
	v_cmp_gt_u64_e32 vcc, s[24:25], v[8:9]
	s_and_saveexec_b64 s[4:5], vcc
	s_cbranch_execz .LBB159_438
; %bb.441:                              ;   in Loop: Header=BB159_440 Depth=2
	v_mul_lo_u32 v5, v9, s22
	v_mul_lo_u32 v6, v8, s23
	v_mad_u64_u32 v[3:4], s[58:59], v8, s22, 0
	v_add3_u32 v4, v4, v6, v5
	v_lshlrev_b64 v[3:4], 3, v[3:4]
	v_mov_b32_e32 v5, s54
	v_add_co_u32_e32 v3, vcc, s33, v3
	v_addc_co_u32_e32 v4, vcc, v5, v4, vcc
	global_load_dwordx2 v[4:5], v[3:4], off
	s_waitcnt vmcnt(0)
	v_xor_b32_e32 v3, 0x80000000, v5
	v_and_b32_e32 v7, v3, v25
	v_and_b32_e32 v6, v4, v24
	v_cmp_eq_u64_e32 vcc, v[6:7], v[22:23]
	s_and_b64 exec, exec, vcc
	s_cbranch_execz .LBB159_438
; %bb.442:                              ;   in Loop: Header=BB159_440 Depth=2
	v_mov_b32_e32 v3, v19
	ds_write_b128 v19, v[2:5] offset:3072
	s_branch .LBB159_438
.LBB159_443:                            ;   in Loop: Header=BB159_440 Depth=2
	v_add_co_u32_e32 v8, vcc, s55, v8
	v_addc_co_u32_e32 v9, vcc, 0, v9, vcc
	v_cmp_le_u64_e32 vcc, s[34:35], v[8:9]
	s_mov_b64 s[4:5], 0
	s_orn2_b64 s[58:59], vcc, exec
	s_branch .LBB159_439
.LBB159_444:                            ;   in Loop: Header=BB159_12 Depth=1
	s_or_b64 exec, exec, s[12:13]
	s_andn2_b64 s[4:5], s[10:11], exec
	s_and_b64 s[10:11], s[20:21], exec
	s_or_b64 s[10:11], s[4:5], s[10:11]
.LBB159_445:                            ;   in Loop: Header=BB159_12 Depth=1
	s_or_b64 exec, exec, s[8:9]
	s_mov_b64 s[8:9], 0
	s_mov_b64 s[66:67], -1
.LBB159_446:                            ;   in Loop: Header=BB159_12 Depth=1
	s_orn2_b64 s[4:5], s[10:11], exec
.LBB159_447:                            ;   in Loop: Header=BB159_12 Depth=1
	v_readlane_b32 s10, v46, 50
	v_readlane_b32 s11, v46, 51
	s_or_b64 exec, exec, s[10:11]
	s_mov_b64 s[12:13], 0
	s_and_saveexec_b64 s[10:11], s[4:5]
	s_cbranch_execz .LBB159_458
; %bb.448:                              ;   in Loop: Header=BB159_12 Depth=1
	v_readlane_b32 s4, v46, 48
	v_readlane_b32 s5, v46, 49
	v_mov_b32_e32 v3, 1
	s_xor_b64 s[4:5], s[4:5], -1
	v_mov_b32_e32 v4, 0
	v_mov_b32_e32 v42, 1
	s_and_saveexec_b64 s[12:13], s[4:5]
	s_cbranch_execz .LBB159_457
; %bb.449:                              ;   in Loop: Header=BB159_12 Depth=1
	v_cmp_ge_u64_e32 vcc, s[16:17], v[10:11]
	s_and_saveexec_b64 s[4:5], vcc
	s_xor_b64 s[4:5], exec, s[4:5]
	s_cbranch_execz .LBB159_454
; %bb.450:                              ;   in Loop: Header=BB159_12 Depth=1
	ds_read_b64 v[3:4], v19 offset:5120
	v_and_b32_e32 v23, s91, v23
	v_and_b32_e32 v22, s90, v22
	v_or_b32_e32 v25, s19, v25
	v_or_b32_e32 v24, s18, v24
	s_waitcnt lgkmcnt(0)
	v_cmp_ne_u64_e32 vcc, 0, v[3:4]
	s_cbranch_vccnz .LBB159_454
; %bb.451:                              ;   in Loop: Header=BB159_12 Depth=1
	s_mov_b64 s[18:19], exec
	v_readlane_b32 s20, v46, 12
	v_readlane_b32 s21, v46, 13
	s_and_b64 s[20:21], s[18:19], s[20:21]
	s_mov_b64 exec, s[20:21]
; %bb.452:                              ;   in Loop: Header=BB159_12 Depth=1
	v_mov_b32_e32 v3, s16
	v_mov_b32_e32 v4, s17
	ds_write_b64 v19, v[3:4] offset:5128
; %bb.453:                              ;   in Loop: Header=BB159_12 Depth=1
	s_or_b64 exec, exec, s[18:19]
	s_waitcnt lgkmcnt(0)
	s_barrier
.LBB159_454:                            ;   in Loop: Header=BB159_12 Depth=1
	s_andn2_saveexec_b64 s[4:5], s[4:5]
; %bb.455:                              ;   in Loop: Header=BB159_12 Depth=1
	v_mov_b32_e32 v3, s17
	v_subrev_co_u32_e32 v10, vcc, s16, v10
	v_subb_co_u32_e32 v11, vcc, v11, v3, vcc
; %bb.456:                              ;   in Loop: Header=BB159_12 Depth=1
	s_or_b64 exec, exec, s[4:5]
	v_mov_b32_e32 v3, v10
	v_mov_b32_e32 v42, 5
	;; [unrolled: 1-line block ×3, first 2 shown]
.LBB159_457:                            ;   in Loop: Header=BB159_12 Depth=1
	s_or_b64 exec, exec, s[12:13]
	v_mov_b32_e32 v11, v4
	s_mov_b64 s[12:13], exec
	v_mov_b32_e32 v10, v3
.LBB159_458:                            ;   in Loop: Header=BB159_12 Depth=1
	s_or_b64 exec, exec, s[10:11]
	s_orn2_b64 s[4:5], s[12:13], exec
.LBB159_459:                            ;   in Loop: Header=BB159_12 Depth=1
	s_or_b64 exec, exec, s[50:51]
	s_andn2_b64 s[2:3], s[2:3], exec
	s_and_b64 s[10:11], s[66:67], exec
	s_or_b64 s[2:3], s[2:3], s[10:11]
	s_andn2_b64 s[10:11], s[42:43], exec
	s_and_b64 s[8:9], s[8:9], exec
	v_mov_b32_e32 v8, v10
	s_or_b64 s[42:43], s[10:11], s[8:9]
	s_and_b64 s[8:9], s[4:5], exec
	v_mov_b32_e32 v9, v11
.LBB159_460:                            ;   in Loop: Header=BB159_12 Depth=1
	s_or_b64 exec, exec, s[48:49]
	s_orn2_b64 s[4:5], s[8:9], exec
.LBB159_461:                            ;   in Loop: Header=BB159_12 Depth=1
	s_or_b64 exec, exec, s[40:41]
	s_andn2_b64 s[8:9], s[44:45], exec
	s_and_b64 s[2:3], s[2:3], exec
	s_or_b64 s[44:45], s[8:9], s[2:3]
	s_andn2_b64 s[2:3], s[38:39], exec
	s_and_b64 s[8:9], s[42:43], exec
	v_mov_b32_e32 v29, v9
	s_or_b64 s[38:39], s[2:3], s[8:9]
	s_and_b64 s[8:9], s[4:5], exec
	v_mov_b32_e32 v28, v8
.LBB159_462:                            ;   in Loop: Header=BB159_12 Depth=1
	s_or_b64 exec, exec, s[46:47]
	s_orn2_b64 s[2:3], s[8:9], exec
.LBB159_463:                            ;   in Loop: Header=BB159_12 Depth=1
	s_or_b64 exec, exec, s[6:7]
	s_mov_b64 s[4:5], s[30:31]
	s_mov_b64 s[6:7], s[28:29]
	s_and_saveexec_b64 s[8:9], s[2:3]
; %bb.464:                              ;   in Loop: Header=BB159_12 Depth=1
	v_cmp_ne_u32_e64 s[6:7], 5, v42
	v_cmp_eq_u32_e32 vcc, 5, v42
	s_andn2_b64 s[2:3], s[28:29], exec
	s_and_b64 s[4:5], s[6:7], exec
	s_or_b64 s[6:7], s[2:3], s[4:5]
	s_andn2_b64 s[2:3], s[30:31], exec
	s_and_b64 s[4:5], vcc, exec
	s_or_b64 s[4:5], s[2:3], s[4:5]
; %bb.465:                              ;   in Loop: Header=BB159_12 Depth=1
	s_or_b64 exec, exec, s[8:9]
	s_andn2_b64 s[2:3], s[14:15], exec
	s_and_b64 s[8:9], s[44:45], exec
	s_or_b64 s[14:15], s[2:3], s[8:9]
	s_andn2_b64 s[2:3], s[92:93], exec
	s_and_b64 s[8:9], s[38:39], exec
	s_or_b64 s[92:93], s[2:3], s[8:9]
	;; [unrolled: 3-line block ×4, first 2 shown]
.LBB159_466:                            ;   in Loop: Header=BB159_12 Depth=1
	s_or_b64 exec, exec, s[36:37]
	s_mov_b64 s[36:37], 0
	s_mov_b64 s[38:39], 0
	s_and_saveexec_b64 s[2:3], s[30:31]
.LBB159_467:                            ;   in Loop: Header=BB159_12 Depth=1
	v_mov_b32_e32 v42, 0
	s_or_b64 s[28:29], s[28:29], exec
.LBB159_468:                            ;   in Loop: Header=BB159_12 Depth=1
	s_or_b64 exec, exec, s[2:3]
	s_andn2_b64 s[2:3], s[86:87], exec
	s_and_b64 s[6:7], s[14:15], exec
	s_or_b64 s[86:87], s[2:3], s[6:7]
	s_andn2_b64 s[2:3], s[84:85], exec
	s_and_b64 s[6:7], s[92:93], exec
	s_or_b64 s[84:85], s[2:3], s[6:7]
	;; [unrolled: 3-line block ×3, first 2 shown]
	s_andn2_b64 s[2:3], s[80:81], exec
	s_and_b64 s[6:7], s[36:37], exec
	v_mov_b32_e32 v26, v28
	s_mov_b64 s[4:5], -1
	s_andn2_b64 s[88:89], s[88:89], exec
	s_or_b64 s[80:81], s[2:3], s[6:7]
	v_mov_b32_e32 v27, v29
	s_and_saveexec_b64 s[2:3], s[28:29]
	s_xor_b64 s[2:3], exec, s[2:3]
	s_cbranch_execz .LBB159_11
; %bb.469:                              ;   in Loop: Header=BB159_12 Depth=1
	v_cmp_eq_u32_e32 vcc, 0, v42
	s_mov_b64 s[6:7], -1
	s_and_saveexec_b64 s[8:9], vcc
	s_cbranch_execz .LBB159_10
; %bb.470:                              ;   in Loop: Header=BB159_12 Depth=1
	s_xor_b32 s56, s56, 1
	s_add_i32 s10, s63, -2
	s_cmp_eq_u32 s63, 0
	s_cselect_b64 s[4:5], -1, 0
	s_xor_b64 s[6:7], exec, -1
	s_orn2_b64 s[4:5], s[4:5], exec
	s_mov_b32 s63, s10
	s_branch .LBB159_10
.LBB159_471:
	s_or_b64 exec, exec, s[68:69]
	s_xor_b64 s[4:5], s[78:79], -1
	s_xor_b64 s[8:9], s[76:77], -1
	;; [unrolled: 1-line block ×5, first 2 shown]
	s_mov_b64 s[6:7], 0
	s_and_saveexec_b64 s[14:15], s[10:11]
	s_xor_b64 s[10:11], exec, s[14:15]
	s_cbranch_execnz .LBB159_476
; %bb.472:
	s_andn2_saveexec_b64 s[0:1], s[10:11]
	s_cbranch_execnz .LBB159_495
.LBB159_473:
	s_or_b64 exec, exec, s[0:1]
	s_and_saveexec_b64 s[0:1], s[6:7]
.LBB159_474:
	; divergent unreachable
.LBB159_475:
	s_endpgm
.LBB159_476:
	s_and_saveexec_b64 s[14:15], s[12:13]
	s_xor_b64 s[12:13], exec, s[14:15]
	s_cbranch_execz .LBB159_493
; %bb.477:
	s_and_saveexec_b64 s[14:15], s[8:9]
	s_xor_b64 s[14:15], exec, s[14:15]
	s_cbranch_execz .LBB159_491
; %bb.478:
	;; [unrolled: 4-line block ×3, first 2 shown]
	s_and_saveexec_b64 s[4:5], s[2:3]
	s_xor_b64 s[2:3], exec, s[4:5]
; %bb.480:
	v_xor_b32_e32 v23, 0x80000000, v23
	v_mov_b32_e32 v6, v22
	v_mov_b32_e32 v7, v23
; %bb.481:
	s_or_b64 exec, exec, s[2:3]
	s_mov_b64 s[2:3], exec
	v_readlane_b32 s4, v46, 12
	v_readlane_b32 s5, v46, 13
	s_and_b64 s[4:5], s[2:3], s[4:5]
	s_mov_b64 exec, s[4:5]
; %bb.482:
	v_mov_b32_e32 v2, 0
	v_mov_b32_e32 v3, v2
	ds_write_b64 v2, v[2:3] offset:5136
; %bb.483:
	s_or_b64 exec, exec, s[2:3]
	v_mov_b32_e32 v2, 0
	v_mov_b32_e32 v3, 0
	s_waitcnt lgkmcnt(0)
	s_barrier
	s_mov_b64 s[2:3], exec
	v_readlane_b32 s4, v46, 32
	v_readlane_b32 s5, v46, 33
	s_and_b64 s[4:5], s[2:3], s[4:5]
	s_mov_b64 exec, s[4:5]
	s_cbranch_execz .LBB159_485
; %bb.484:
	global_load_dwordx2 v[2:3], v[16:17], off
.LBB159_485:
	s_or_b64 exec, exec, s[2:3]
	s_add_u32 s2, s24, 63
	s_addc_u32 s9, s25, 0
	s_and_b32 s8, s2, 0xffffffc0
	v_readlane_b32 s4, v46, 0
	v_readlane_b32 s2, v46, 2
	;; [unrolled: 1-line block ×4, first 2 shown]
	s_mov_b32 s6, s2
	s_mul_i32 s2, s2, s5
	s_mul_hi_u32 s3, s6, s4
	s_add_i32 s3, s3, s2
	s_mul_i32 s2, s6, s4
	v_readlane_b32 s4, v46, 18
	v_readlane_b32 s28, v46, 20
	;; [unrolled: 1-line block ×3, first 2 shown]
	s_sub_u32 s2, s4, s2
	v_readlane_b32 s30, v46, 22
	v_readlane_b32 s31, v46, 23
	s_mov_b32 s18, s4
	s_subb_u32 s3, 0, s3
	s_mul_i32 s4, s2, s31
	s_mul_hi_u32 s5, s2, s30
	v_readlane_b32 s29, v46, 21
	s_add_i32 s4, s5, s4
	s_mul_i32 s3, s3, s30
	s_add_i32 s3, s4, s3
	s_mul_i32 s4, s6, s29
	s_mul_hi_u32 s5, s6, s28
	s_add_i32 s5, s5, s4
	s_mul_i32 s4, s6, s28
	v_readlane_b32 s20, v46, 6
	v_readlane_b32 s6, v46, 4
	v_readlane_b32 s21, v46, 7
	v_readlane_b32 s7, v46, 5
	s_mov_b32 s28, s6
	s_mul_i32 s6, s6, s21
	s_mul_hi_u32 s7, s28, s20
	s_add_i32 s7, s7, s6
	s_mul_i32 s6, s28, s20
	v_readlane_b32 s36, v46, 14
	s_sub_u32 s6, s18, s6
	v_readlane_b32 s38, v46, 16
	v_readlane_b32 s39, v46, 17
	s_subb_u32 s7, 0, s7
	s_mul_i32 s18, s6, s39
	s_mul_hi_u32 s19, s6, s38
	v_readlane_b32 s37, v46, 15
	s_add_i32 s18, s19, s18
	s_mul_i32 s7, s7, s38
	s_add_i32 s7, s18, s7
	s_mul_i32 s18, s28, s37
	s_mul_hi_u32 s19, s28, s36
	s_add_i32 s19, s19, s18
	s_lshl_b64 s[4:5], s[4:5], 3
	v_readlane_b32 s20, v46, 10
	s_mul_i32 s2, s2, s30
	v_readlane_b32 s21, v46, 11
	s_add_u32 s4, s20, s4
	s_addc_u32 s5, s21, s5
	s_lshl_b64 s[2:3], s[2:3], 3
	s_mul_i32 s18, s28, s36
	s_add_u32 s44, s4, s2
	s_addc_u32 s45, s5, s3
	s_lshl_b64 s[2:3], s[18:19], 3
	v_readlane_b32 s4, v46, 8
	s_mul_i32 s6, s6, s38
	v_readlane_b32 s5, v46, 9
	s_add_u32 s4, s4, s2
	s_addc_u32 s5, s5, s3
	s_lshl_b64 s[2:3], s[6:7], 3
	s_add_u32 s46, s4, s2
	s_addc_u32 s47, s5, s3
	v_readlane_b32 s2, v46, 24
	v_readlane_b32 s3, v46, 25
	s_load_dwordx2 s[18:19], s[2:3], 0x368
	s_load_dwordx2 s[20:21], s[2:3], 0x510
	v_cmp_gt_u64_e32 vcc, s[8:9], v[0:1]
	s_mov_b64 s[30:31], -1
	s_mov_b64 s[2:3], 0
	s_mov_b64 s[4:5], 0
	s_and_saveexec_b64 s[28:29], vcc
	s_cbranch_execnz .LBB159_496
; %bb.486:
	s_or_b64 exec, exec, s[28:29]
	s_and_saveexec_b64 s[6:7], s[30:31]
	s_cbranch_execnz .LBB159_511
.LBB159_487:
	s_or_b64 exec, exec, s[6:7]
	s_and_saveexec_b64 s[0:1], s[4:5]
	s_xor_b64 s[0:1], exec, s[0:1]
	s_cbranch_execnz .LBB159_534
.LBB159_488:
	s_or_b64 exec, exec, s[0:1]
	s_and_b64 s[6:7], s[2:3], exec
.LBB159_489:
	s_andn2_saveexec_b64 s[0:1], s[16:17]
	s_cbranch_execnz .LBB159_536
.LBB159_490:
	s_or_b64 exec, exec, s[0:1]
	s_and_b64 s[6:7], s[6:7], exec
.LBB159_491:
	s_andn2_saveexec_b64 s[0:1], s[14:15]
	s_cbranch_execnz .LBB159_535
.LBB159_492:
	s_or_b64 exec, exec, s[0:1]
	s_and_b64 s[6:7], s[6:7], exec
.LBB159_493:
	s_andn2_saveexec_b64 s[0:1], s[12:13]
	s_cbranch_execnz .LBB159_530
.LBB159_494:
	s_or_b64 exec, exec, s[0:1]
	s_and_b64 s[6:7], s[6:7], exec
	s_andn2_saveexec_b64 s[0:1], s[10:11]
	s_cbranch_execz .LBB159_473
.LBB159_495:
	s_or_b64 s[6:7], s[6:7], exec
	s_trap 2
	s_or_b64 exec, exec, s[0:1]
	s_and_saveexec_b64 s[0:1], s[6:7]
	s_cbranch_execnz .LBB159_474
	s_branch .LBB159_475
.LBB159_496:
	v_mov_b32_e32 v19, v1
	v_xor_b32_e32 v5, 0x80000000, v7
	v_mov_b32_e32 v4, v6
	s_mov_b64 s[30:31], 0
	v_mov_b32_e32 v9, 0
	v_mov_b32_e32 v18, v0
                                        ; implicit-def: $sgpr34_sgpr35
                                        ; implicit-def: $vgpr12_vgpr13
	s_branch .LBB159_498
.LBB159_497:                            ;   in Loop: Header=BB159_498 Depth=1
	s_or_b64 exec, exec, s[38:39]
	s_xor_b64 s[4:5], s[36:37], -1
	s_and_b64 s[6:7], exec, s[6:7]
	s_or_b64 s[30:31], s[6:7], s[30:31]
	s_andn2_b64 s[6:7], s[34:35], exec
	s_and_b64 s[4:5], s[4:5], exec
	v_mov_b32_e32 v2, v14
	v_mov_b32_e32 v19, v11
	s_or_b64 s[34:35], s[6:7], s[4:5]
	v_mov_b32_e32 v3, v15
	v_mov_b32_e32 v18, v10
	s_andn2_b64 exec, exec, s[30:31]
	s_cbranch_execz .LBB159_510
.LBB159_498:                            ; =>This Inner Loop Header: Depth=1
	v_add_co_u32_e64 v10, s[4:5], s55, v18
	v_addc_co_u32_e64 v11, s[4:5], 0, v19, s[4:5]
	v_cmp_gt_u64_e64 s[4:5], s[24:25], v[10:11]
	v_mov_b32_e32 v14, 0
	v_mov_b32_e32 v15, 0
	s_and_saveexec_b64 s[6:7], s[4:5]
	s_cbranch_execz .LBB159_500
; %bb.499:                              ;   in Loop: Header=BB159_498 Depth=1
	v_mul_lo_u32 v8, v11, s22
	v_mul_lo_u32 v20, v10, s23
	v_mad_u64_u32 v[14:15], s[4:5], v10, s22, 0
	v_add3_u32 v15, v15, v20, v8
	v_lshlrev_b64 v[14:15], 3, v[14:15]
	v_mov_b32_e32 v8, s54
	v_add_co_u32_e64 v14, s[4:5], s33, v14
	v_addc_co_u32_e64 v15, s[4:5], v8, v15, s[4:5]
	global_load_dwordx2 v[14:15], v[14:15], off
.LBB159_500:                            ;   in Loop: Header=BB159_498 Depth=1
	s_or_b64 exec, exec, s[6:7]
	s_waitcnt vmcnt(0)
	v_xor_b32_e32 v21, 0x80000000, v3
	v_mov_b32_e32 v20, v2
	v_cmp_gt_u64_e64 s[6:7], v[20:21], v[4:5]
	v_cmp_gt_u64_e64 s[4:5], s[24:25], v[18:19]
	v_cndmask_b32_e64 v8, 0, 1, s[6:7]
	v_cmp_lt_u64_e64 s[6:7], v[20:21], v[4:5]
	v_cndmask_b32_e64 v20, 0, 1, s[6:7]
	v_cndmask_b32_e64 v8, v20, v8, s[64:65]
	v_and_b32_e32 v8, 1, v8
	v_cmp_eq_u32_e64 s[6:7], 1, v8
	s_and_b64 s[38:39], s[4:5], s[6:7]
	v_cndmask_b32_e64 v8, 0, 1, s[38:39]
	v_cmp_ne_u32_e64 s[4:5], 0, v8
	s_cmp_lg_u64 s[4:5], 0
	s_cselect_b64 s[6:7], -1, 0
	s_and_b64 s[6:7], s[0:1], s[6:7]
	s_and_saveexec_b64 s[36:37], s[6:7]
	s_cbranch_execz .LBB159_504
; %bb.501:                              ;   in Loop: Header=BB159_498 Depth=1
	s_mov_b64 s[42:43], exec
	v_mbcnt_lo_u32_b32 v8, s42, 0
	v_mbcnt_hi_u32_b32 v20, s43, v8
	s_bcnt1_i32_b64 s48, s[4:5]
	v_cmp_eq_u32_e64 s[6:7], 0, v20
                                        ; implicit-def: $vgpr12_vgpr13
	s_and_saveexec_b64 s[40:41], s[6:7]
	s_cbranch_execz .LBB159_503
; %bb.502:                              ;   in Loop: Header=BB159_498 Depth=1
	s_bcnt1_i32_b64 s6, s[42:43]
	s_mul_i32 s6, s48, s6
	v_mov_b32_e32 v8, s6
	s_waitcnt lgkmcnt(0)
	ds_add_rtn_u64 v[12:13], v9, v[8:9] offset:5136
.LBB159_503:                            ;   in Loop: Header=BB159_498 Depth=1
	s_or_b64 exec, exec, s[40:41]
	s_waitcnt lgkmcnt(0)
	v_readfirstlane_b32 s6, v13
	v_readfirstlane_b32 s7, v12
	v_mov_b32_e32 v12, s7
	v_mov_b32_e32 v13, s6
	v_mad_u64_u32 v[12:13], s[6:7], s48, v20, v[12:13]
.LBB159_504:                            ;   in Loop: Header=BB159_498 Depth=1
	s_or_b64 exec, exec, s[36:37]
	s_waitcnt lgkmcnt(0)
	ds_bpermute_b32 v12, v32, v12
	ds_bpermute_b32 v13, v32, v13
	s_mov_b64 s[6:7], -1
	s_mov_b64 s[40:41], -1
	s_and_saveexec_b64 s[36:37], s[38:39]
	s_cbranch_execz .LBB159_508
; %bb.505:                              ;   in Loop: Header=BB159_498 Depth=1
	v_and_b32_e32 v20, s4, v34
	v_and_b32_e32 v8, s5, v33
	v_bcnt_u32_b32 v20, v20, 0
	v_bcnt_u32_b32 v8, v8, v20
	s_waitcnt lgkmcnt(0)
	v_add_co_u32_e64 v20, s[4:5], v12, v8
	v_addc_co_u32_e64 v21, s[4:5], 0, v13, s[4:5]
	v_cmp_gt_u64_e64 s[4:5], s[26:27], v[20:21]
	s_mov_b64 s[38:39], 0
	s_and_saveexec_b64 s[40:41], s[4:5]
; %bb.506:                              ;   in Loop: Header=BB159_498 Depth=1
	v_mul_lo_u32 v8, v21, s18
	v_mul_lo_u32 v24, v20, s19
	v_mad_u64_u32 v[22:23], s[4:5], v20, s18, 0
	v_mul_lo_u32 v25, v21, s20
	v_mul_lo_u32 v26, v20, s21
	v_mad_u64_u32 v[20:21], s[4:5], v20, s20, 0
	v_add3_u32 v23, v23, v24, v8
	v_lshlrev_b64 v[22:23], 3, v[22:23]
	v_mov_b32_e32 v8, s45
	v_add_co_u32_e64 v22, s[4:5], s44, v22
	v_add3_u32 v21, v21, v26, v25
	v_addc_co_u32_e64 v23, s[4:5], v8, v23, s[4:5]
	global_store_dwordx2 v[22:23], v[2:3], off
	v_lshlrev_b64 v[2:3], 3, v[20:21]
	v_mov_b32_e32 v8, s47
	v_add_co_u32_e64 v2, s[4:5], s46, v2
	s_mov_b64 s[38:39], exec
	v_addc_co_u32_e64 v3, s[4:5], v8, v3, s[4:5]
	global_store_dwordx2 v[2:3], v[18:19], off
; %bb.507:                              ;   in Loop: Header=BB159_498 Depth=1
	s_or_b64 exec, exec, s[40:41]
	s_orn2_b64 s[40:41], s[38:39], exec
.LBB159_508:                            ;   in Loop: Header=BB159_498 Depth=1
	s_or_b64 exec, exec, s[36:37]
	s_mov_b64 s[36:37], -1
	s_and_saveexec_b64 s[38:39], s[40:41]
	s_cbranch_execz .LBB159_497
; %bb.509:                              ;   in Loop: Header=BB159_498 Depth=1
	v_cmp_le_u64_e64 s[4:5], s[8:9], v[10:11]
	s_xor_b64 s[36:37], exec, -1
	s_orn2_b64 s[6:7], s[4:5], exec
	s_branch .LBB159_497
.LBB159_510:
	s_or_b64 exec, exec, s[30:31]
	s_mov_b64 s[4:5], exec
	s_orn2_b64 s[30:31], s[34:35], exec
	s_or_b64 exec, exec, s[28:29]
	s_and_saveexec_b64 s[6:7], s[30:31]
	s_cbranch_execz .LBB159_487
.LBB159_511:
	s_waitcnt lgkmcnt(0)
	v_mov_b32_e32 v12, 0
	v_mov_b32_e32 v13, 0
	s_waitcnt vmcnt(0)
	s_barrier
	s_mov_b64 s[2:3], exec
	v_readlane_b32 s28, v46, 32
	v_readlane_b32 s29, v46, 33
	s_and_b64 s[28:29], s[2:3], s[28:29]
	s_mov_b64 exec, s[28:29]
	s_cbranch_execz .LBB159_513
; %bb.512:
	global_load_dwordx2 v[12:13], v[16:17], off
.LBB159_513:
	s_or_b64 exec, exec, s[2:3]
	s_mov_b64 s[2:3], 0
	s_and_saveexec_b64 s[28:29], vcc
	s_cbranch_execz .LBB159_533
; %bb.514:
	s_mov_b64 s[30:31], 0
	v_mov_b32_e32 v3, 0
                                        ; implicit-def: $sgpr34_sgpr35
                                        ; implicit-def: $vgpr8_vgpr9
	s_branch .LBB159_517
.LBB159_515:                            ;   in Loop: Header=BB159_517 Depth=1
	s_or_b64 exec, exec, s[38:39]
	s_orn2_b64 s[40:41], s[42:43], exec
	s_orn2_b64 s[38:39], s[36:37], exec
.LBB159_516:                            ;   in Loop: Header=BB159_517 Depth=1
	s_or_b64 exec, exec, s[2:3]
	s_xor_b64 s[2:3], s[40:41], -1
	s_and_b64 s[36:37], exec, s[38:39]
	s_or_b64 s[30:31], s[36:37], s[30:31]
	s_andn2_b64 s[34:35], s[34:35], exec
	s_and_b64 s[2:3], s[2:3], exec
	v_mov_b32_e32 v0, v4
	v_mov_b32_e32 v13, v11
	s_or_b64 s[34:35], s[34:35], s[2:3]
	v_mov_b32_e32 v1, v5
	v_mov_b32_e32 v12, v10
	s_andn2_b64 exec, exec, s[30:31]
	s_cbranch_execz .LBB159_531
.LBB159_517:                            ; =>This Inner Loop Header: Depth=1
	v_add_co_u32_e32 v4, vcc, s55, v0
	v_addc_co_u32_e32 v5, vcc, 0, v1, vcc
	v_cmp_gt_u64_e32 vcc, s[24:25], v[4:5]
	v_mov_b32_e32 v10, 0
	v_mov_b32_e32 v11, 0
	s_and_saveexec_b64 s[2:3], vcc
	s_cbranch_execz .LBB159_519
; %bb.518:                              ;   in Loop: Header=BB159_517 Depth=1
	v_mul_lo_u32 v2, v5, s22
	v_mul_lo_u32 v14, v4, s23
	v_mad_u64_u32 v[10:11], s[36:37], v4, s22, 0
	v_add3_u32 v11, v11, v14, v2
	v_lshlrev_b64 v[10:11], 3, v[10:11]
	v_mov_b32_e32 v2, s54
	v_add_co_u32_e32 v10, vcc, s33, v10
	v_addc_co_u32_e32 v11, vcc, v2, v11, vcc
	global_load_dwordx2 v[10:11], v[10:11], off
.LBB159_519:                            ;   in Loop: Header=BB159_517 Depth=1
	s_or_b64 exec, exec, s[2:3]
	v_cmp_gt_u64_e32 vcc, s[24:25], v[0:1]
	s_waitcnt vmcnt(0)
	v_cmp_eq_u64_e64 s[2:3], v[12:13], v[6:7]
	s_and_b64 s[36:37], vcc, s[2:3]
	v_cndmask_b32_e64 v2, 0, 1, s[36:37]
	v_cmp_ne_u32_e32 vcc, 0, v2
	s_cmp_lg_u64 vcc, 0
	s_cselect_b64 s[2:3], -1, 0
	s_and_b64 s[2:3], s[0:1], s[2:3]
	s_and_saveexec_b64 s[38:39], s[2:3]
	s_cbranch_execz .LBB159_523
; %bb.520:                              ;   in Loop: Header=BB159_517 Depth=1
	s_mov_b64 s[42:43], exec
	v_mbcnt_lo_u32_b32 v2, s42, 0
	v_mbcnt_hi_u32_b32 v12, s43, v2
	s_bcnt1_i32_b64 s48, vcc
	v_cmp_eq_u32_e64 s[2:3], 0, v12
                                        ; implicit-def: $vgpr8_vgpr9
	s_and_saveexec_b64 s[40:41], s[2:3]
; %bb.521:                              ;   in Loop: Header=BB159_517 Depth=1
	s_bcnt1_i32_b64 s2, s[42:43]
	s_mul_i32 s2, s48, s2
	v_mov_b32_e32 v2, s2
	ds_add_rtn_u64 v[8:9], v3, v[2:3] offset:5136
; %bb.522:                              ;   in Loop: Header=BB159_517 Depth=1
	s_or_b64 exec, exec, s[40:41]
	s_waitcnt lgkmcnt(0)
	v_readfirstlane_b32 s2, v9
	v_readfirstlane_b32 s3, v8
	v_mov_b32_e32 v8, s3
	v_mov_b32_e32 v9, s2
	v_mad_u64_u32 v[8:9], s[2:3], s48, v12, v[8:9]
.LBB159_523:                            ;   in Loop: Header=BB159_517 Depth=1
	s_or_b64 exec, exec, s[38:39]
	ds_bpermute_b32 v8, v32, v8
	ds_bpermute_b32 v9, v32, v9
	s_cmp_eq_u64 vcc, 0
	s_cselect_b64 s[40:41], -1, 0
	s_mov_b64 s[38:39], -1
	s_waitcnt lgkmcnt(0)
	v_cmp_gt_u64_e64 s[2:3], s[26:27], v[8:9]
	s_or_b64 s[42:43], s[40:41], s[2:3]
	s_mov_b64 s[40:41], -1
	s_and_saveexec_b64 s[2:3], s[42:43]
	s_cbranch_execz .LBB159_516
; %bb.524:                              ;   in Loop: Header=BB159_517 Depth=1
	v_and_b32_e32 v12, vcc_lo, v34
	v_and_b32_e32 v2, vcc_hi, v33
	v_bcnt_u32_b32 v12, v12, 0
	v_bcnt_u32_b32 v2, v2, v12
	v_mov_b32_e32 v13, s27
	v_sub_co_u32_e32 v12, vcc, s26, v8
	v_subb_co_u32_e32 v13, vcc, v13, v9, vcc
	v_cmp_gt_u64_e32 vcc, v[12:13], v[2:3]
	s_mov_b64 s[42:43], -1
	s_and_b64 s[48:49], s[36:37], vcc
	s_mov_b64 s[36:37], -1
	s_and_saveexec_b64 s[38:39], s[48:49]
	s_cbranch_execz .LBB159_528
; %bb.525:                              ;   in Loop: Header=BB159_517 Depth=1
	v_add_co_u32_e32 v12, vcc, v8, v2
	v_addc_co_u32_e32 v13, vcc, 0, v9, vcc
	v_cmp_gt_u64_e32 vcc, s[26:27], v[12:13]
	s_mov_b64 s[40:41], 0
	s_and_saveexec_b64 s[42:43], vcc
; %bb.526:                              ;   in Loop: Header=BB159_517 Depth=1
	v_mul_lo_u32 v2, v13, s18
	v_mul_lo_u32 v16, v12, s19
	v_mad_u64_u32 v[14:15], s[48:49], v12, s18, 0
	v_mul_lo_u32 v17, v13, s20
	v_mul_lo_u32 v18, v12, s21
	v_mad_u64_u32 v[12:13], s[48:49], v12, s20, 0
	v_add3_u32 v15, v15, v16, v2
	v_lshlrev_b64 v[14:15], 3, v[14:15]
	v_add3_u32 v13, v13, v18, v17
	v_mov_b32_e32 v2, s45
	v_add_co_u32_e32 v14, vcc, s44, v14
	v_lshlrev_b64 v[12:13], 3, v[12:13]
	v_addc_co_u32_e32 v15, vcc, v2, v15, vcc
	v_mov_b32_e32 v2, s47
	v_add_co_u32_e32 v12, vcc, s46, v12
	s_mov_b64 s[40:41], exec
	v_addc_co_u32_e32 v13, vcc, v2, v13, vcc
	global_store_dwordx2 v[14:15], v[6:7], off
	global_store_dwordx2 v[12:13], v[0:1], off
; %bb.527:                              ;   in Loop: Header=BB159_517 Depth=1
	s_or_b64 exec, exec, s[42:43]
	s_xor_b64 s[42:43], exec, -1
	s_orn2_b64 s[40:41], s[40:41], exec
.LBB159_528:                            ;   in Loop: Header=BB159_517 Depth=1
	s_or_b64 exec, exec, s[38:39]
	s_and_saveexec_b64 s[38:39], s[40:41]
	s_cbranch_execz .LBB159_515
; %bb.529:                              ;   in Loop: Header=BB159_517 Depth=1
	v_cmp_le_u64_e32 vcc, s[8:9], v[4:5]
	s_or_b64 s[42:43], s[42:43], exec
	s_orn2_b64 s[36:37], vcc, exec
	s_branch .LBB159_515
.LBB159_530:
	s_or_b64 s[6:7], s[6:7], exec
	s_trap 2
	s_branch .LBB159_494
.LBB159_531:
	s_or_b64 exec, exec, s[30:31]
	s_mov_b64 s[0:1], 0
	s_and_saveexec_b64 s[2:3], s[34:35]
	s_xor_b64 s[2:3], exec, s[2:3]
	s_cbranch_execnz .LBB159_537
.LBB159_532:
	s_or_b64 exec, exec, s[2:3]
	s_and_b64 s[2:3], s[0:1], exec
.LBB159_533:
	s_or_b64 exec, exec, s[28:29]
	s_and_b64 s[2:3], s[2:3], exec
	s_andn2_b64 s[4:5], s[4:5], exec
	s_or_b64 exec, exec, s[6:7]
	s_and_saveexec_b64 s[0:1], s[4:5]
	s_xor_b64 s[0:1], exec, s[0:1]
	s_cbranch_execz .LBB159_488
.LBB159_534:
	s_trap 2
	s_or_b64 s[2:3], s[2:3], exec
	s_branch .LBB159_488
.LBB159_535:
	s_or_b64 s[6:7], s[6:7], exec
	s_trap 2
	s_branch .LBB159_492
.LBB159_536:
	s_trap 2
	s_or_b64 s[6:7], s[6:7], exec
	s_branch .LBB159_490
.LBB159_537:
	s_mov_b64 s[0:1], exec
	s_trap 2
	s_branch .LBB159_532
	.section	.rodata,"a",@progbits
	.p2align	6, 0x0
	.amdhsa_kernel _ZN2at6native6sbtopk10gatherTopKIlmLi2ELb0EEEvNS_4cuda6detail10TensorInfoIKT_T0_EES8_S8_bS8_S8_NS5_IS6_S8_EES8_NS5_IlS8_EES8_PS6_
		.amdhsa_group_segment_fixed_size 5152
		.amdhsa_private_segment_fixed_size 0
		.amdhsa_kernarg_size 1568
		.amdhsa_user_sgpr_count 6
		.amdhsa_user_sgpr_private_segment_buffer 1
		.amdhsa_user_sgpr_dispatch_ptr 0
		.amdhsa_user_sgpr_queue_ptr 0
		.amdhsa_user_sgpr_kernarg_segment_ptr 1
		.amdhsa_user_sgpr_dispatch_id 0
		.amdhsa_user_sgpr_flat_scratch_init 0
		.amdhsa_user_sgpr_private_segment_size 0
		.amdhsa_uses_dynamic_stack 0
		.amdhsa_system_sgpr_private_segment_wavefront_offset 0
		.amdhsa_system_sgpr_workgroup_id_x 1
		.amdhsa_system_sgpr_workgroup_id_y 1
		.amdhsa_system_sgpr_workgroup_id_z 1
		.amdhsa_system_sgpr_workgroup_info 0
		.amdhsa_system_vgpr_workitem_id 0
		.amdhsa_next_free_vgpr 47
		.amdhsa_next_free_sgpr 96
		.amdhsa_reserve_vcc 1
		.amdhsa_reserve_flat_scratch 0
		.amdhsa_float_round_mode_32 0
		.amdhsa_float_round_mode_16_64 0
		.amdhsa_float_denorm_mode_32 3
		.amdhsa_float_denorm_mode_16_64 3
		.amdhsa_dx10_clamp 1
		.amdhsa_ieee_mode 1
		.amdhsa_fp16_overflow 0
		.amdhsa_exception_fp_ieee_invalid_op 0
		.amdhsa_exception_fp_denorm_src 0
		.amdhsa_exception_fp_ieee_div_zero 0
		.amdhsa_exception_fp_ieee_overflow 0
		.amdhsa_exception_fp_ieee_underflow 0
		.amdhsa_exception_fp_ieee_inexact 0
		.amdhsa_exception_int_div_zero 0
	.end_amdhsa_kernel
	.section	.text._ZN2at6native6sbtopk10gatherTopKIlmLi2ELb0EEEvNS_4cuda6detail10TensorInfoIKT_T0_EES8_S8_bS8_S8_NS5_IS6_S8_EES8_NS5_IlS8_EES8_PS6_,"axG",@progbits,_ZN2at6native6sbtopk10gatherTopKIlmLi2ELb0EEEvNS_4cuda6detail10TensorInfoIKT_T0_EES8_S8_bS8_S8_NS5_IS6_S8_EES8_NS5_IlS8_EES8_PS6_,comdat
.Lfunc_end159:
	.size	_ZN2at6native6sbtopk10gatherTopKIlmLi2ELb0EEEvNS_4cuda6detail10TensorInfoIKT_T0_EES8_S8_bS8_S8_NS5_IS6_S8_EES8_NS5_IlS8_EES8_PS6_, .Lfunc_end159-_ZN2at6native6sbtopk10gatherTopKIlmLi2ELb0EEEvNS_4cuda6detail10TensorInfoIKT_T0_EES8_S8_bS8_S8_NS5_IS6_S8_EES8_NS5_IlS8_EES8_PS6_
                                        ; -- End function
	.set _ZN2at6native6sbtopk10gatherTopKIlmLi2ELb0EEEvNS_4cuda6detail10TensorInfoIKT_T0_EES8_S8_bS8_S8_NS5_IS6_S8_EES8_NS5_IlS8_EES8_PS6_.num_vgpr, 47
	.set _ZN2at6native6sbtopk10gatherTopKIlmLi2ELb0EEEvNS_4cuda6detail10TensorInfoIKT_T0_EES8_S8_bS8_S8_NS5_IS6_S8_EES8_NS5_IlS8_EES8_PS6_.num_agpr, 0
	.set _ZN2at6native6sbtopk10gatherTopKIlmLi2ELb0EEEvNS_4cuda6detail10TensorInfoIKT_T0_EES8_S8_bS8_S8_NS5_IS6_S8_EES8_NS5_IlS8_EES8_PS6_.numbered_sgpr, 96
	.set _ZN2at6native6sbtopk10gatherTopKIlmLi2ELb0EEEvNS_4cuda6detail10TensorInfoIKT_T0_EES8_S8_bS8_S8_NS5_IS6_S8_EES8_NS5_IlS8_EES8_PS6_.num_named_barrier, 0
	.set _ZN2at6native6sbtopk10gatherTopKIlmLi2ELb0EEEvNS_4cuda6detail10TensorInfoIKT_T0_EES8_S8_bS8_S8_NS5_IS6_S8_EES8_NS5_IlS8_EES8_PS6_.private_seg_size, 0
	.set _ZN2at6native6sbtopk10gatherTopKIlmLi2ELb0EEEvNS_4cuda6detail10TensorInfoIKT_T0_EES8_S8_bS8_S8_NS5_IS6_S8_EES8_NS5_IlS8_EES8_PS6_.uses_vcc, 1
	.set _ZN2at6native6sbtopk10gatherTopKIlmLi2ELb0EEEvNS_4cuda6detail10TensorInfoIKT_T0_EES8_S8_bS8_S8_NS5_IS6_S8_EES8_NS5_IlS8_EES8_PS6_.uses_flat_scratch, 0
	.set _ZN2at6native6sbtopk10gatherTopKIlmLi2ELb0EEEvNS_4cuda6detail10TensorInfoIKT_T0_EES8_S8_bS8_S8_NS5_IS6_S8_EES8_NS5_IlS8_EES8_PS6_.has_dyn_sized_stack, 0
	.set _ZN2at6native6sbtopk10gatherTopKIlmLi2ELb0EEEvNS_4cuda6detail10TensorInfoIKT_T0_EES8_S8_bS8_S8_NS5_IS6_S8_EES8_NS5_IlS8_EES8_PS6_.has_recursion, 0
	.set _ZN2at6native6sbtopk10gatherTopKIlmLi2ELb0EEEvNS_4cuda6detail10TensorInfoIKT_T0_EES8_S8_bS8_S8_NS5_IS6_S8_EES8_NS5_IlS8_EES8_PS6_.has_indirect_call, 0
	.section	.AMDGPU.csdata,"",@progbits
; Kernel info:
; codeLenInByte = 26020
; TotalNumSgprs: 100
; NumVgprs: 47
; ScratchSize: 0
; MemoryBound: 0
; FloatMode: 240
; IeeeMode: 1
; LDSByteSize: 5152 bytes/workgroup (compile time only)
; SGPRBlocks: 12
; VGPRBlocks: 11
; NumSGPRsForWavesPerEU: 100
; NumVGPRsForWavesPerEU: 47
; Occupancy: 5
; WaveLimiterHint : 1
; COMPUTE_PGM_RSRC2:SCRATCH_EN: 0
; COMPUTE_PGM_RSRC2:USER_SGPR: 6
; COMPUTE_PGM_RSRC2:TRAP_HANDLER: 0
; COMPUTE_PGM_RSRC2:TGID_X_EN: 1
; COMPUTE_PGM_RSRC2:TGID_Y_EN: 1
; COMPUTE_PGM_RSRC2:TGID_Z_EN: 1
; COMPUTE_PGM_RSRC2:TIDIG_COMP_CNT: 0
	.section	.text._ZN2at6native6mbtopk23computeBlockDigitCountsIlmmLi3EEEvNS_4cuda6detail10TensorInfoIKT_T0_EEjPjjS8_iijT1_PSB_Ps,"axG",@progbits,_ZN2at6native6mbtopk23computeBlockDigitCountsIlmmLi3EEEvNS_4cuda6detail10TensorInfoIKT_T0_EEjPjjS8_iijT1_PSB_Ps,comdat
	.protected	_ZN2at6native6mbtopk23computeBlockDigitCountsIlmmLi3EEEvNS_4cuda6detail10TensorInfoIKT_T0_EEjPjjS8_iijT1_PSB_Ps ; -- Begin function _ZN2at6native6mbtopk23computeBlockDigitCountsIlmmLi3EEEvNS_4cuda6detail10TensorInfoIKT_T0_EEjPjjS8_iijT1_PSB_Ps
	.globl	_ZN2at6native6mbtopk23computeBlockDigitCountsIlmmLi3EEEvNS_4cuda6detail10TensorInfoIKT_T0_EEjPjjS8_iijT1_PSB_Ps
	.p2align	8
	.type	_ZN2at6native6mbtopk23computeBlockDigitCountsIlmmLi3EEEvNS_4cuda6detail10TensorInfoIKT_T0_EEjPjjS8_iijT1_PSB_Ps,@function
_ZN2at6native6mbtopk23computeBlockDigitCountsIlmmLi3EEEvNS_4cuda6detail10TensorInfoIKT_T0_EEjPjjS8_iijT1_PSB_Ps: ; @_ZN2at6native6mbtopk23computeBlockDigitCountsIlmmLi3EEEvNS_4cuda6detail10TensorInfoIKT_T0_EEjPjjS8_iijT1_PSB_Ps
; %bb.0:
	s_load_dwordx4 s[0:3], s[4:5], 0x1c0
	s_load_dwordx2 s[10:11], s[4:5], 0x1e8
	s_waitcnt lgkmcnt(0)
	s_load_dword s3, s[4:5], 0x1b0
	s_mov_b32 s23, 0
	v_cvt_f32_u32_e32 v1, s2
	s_mul_i32 s8, s11, s8
	s_add_i32 s7, s8, s7
	s_mul_i32 s26, s7, s10
	v_rcp_iflag_f32_e32 v1, v1
	s_sub_i32 s9, 0, s2
	s_add_i32 s26, s26, s6
	v_mul_f32_e32 v1, 0x4f7ffffe, v1
	v_cvt_u32_f32_e32 v1, v1
	v_readfirstlane_b32 s6, v1
	s_mul_i32 s9, s9, s6
	s_mul_hi_u32 s7, s6, s9
	s_add_i32 s6, s6, s7
	s_mul_hi_u32 s6, s26, s6
	s_mul_i32 s7, s6, s2
	s_sub_i32 s7, s26, s7
	s_add_i32 s8, s6, 1
	s_sub_i32 s9, s7, s2
	s_cmp_ge_u32 s7, s2
	s_cselect_b32 s6, s8, s6
	s_cselect_b32 s7, s9, s7
	s_add_i32 s8, s6, 1
	s_cmp_ge_u32 s7, s2
	s_cselect_b32 s22, s8, s6
	s_waitcnt lgkmcnt(0)
	s_cmp_ge_u32 s22, s3
	s_cbranch_scc1 .LBB160_25
; %bb.1:
	s_load_dwordx4 s[8:11], s[4:5], 0x1d0
	s_load_dwordx4 s[12:15], s[4:5], 0x10
	s_lshl_b64 s[6:7], s[22:23], 3
	s_mov_b64 s[20:21], 0
	s_waitcnt lgkmcnt(0)
	s_add_u32 s24, s10, s6
	v_mov_b32_e32 v1, s14
	v_mov_b32_e32 v2, s15
	v_cmp_lt_u64_e32 vcc, s[22:23], v[1:2]
	s_addc_u32 s25, s11, s7
	s_mov_b64 s[10:11], 0
	s_cbranch_vccnz .LBB160_3
; %bb.2:
	v_cvt_f32_u32_e32 v1, s14
	s_sub_i32 s3, 0, s14
	s_mov_b32 s11, 0
	v_rcp_iflag_f32_e32 v1, v1
	v_mul_f32_e32 v1, 0x4f7ffffe, v1
	v_cvt_u32_f32_e32 v1, v1
	v_readfirstlane_b32 s6, v1
	s_mul_i32 s3, s3, s6
	s_mul_hi_u32 s3, s6, s3
	s_add_i32 s6, s6, s3
	s_mul_hi_u32 s3, s22, s6
	s_mul_i32 s7, s3, s14
	s_sub_i32 s7, s22, s7
	s_add_i32 s6, s3, 1
	s_sub_i32 s10, s7, s14
	s_cmp_ge_u32 s7, s14
	s_cselect_b32 s3, s6, s3
	s_cselect_b32 s7, s10, s7
	s_add_i32 s6, s3, 1
	s_cmp_ge_u32 s7, s14
	s_cselect_b32 s10, s6, s3
.LBB160_3:
	s_load_dwordx2 s[6:7], s[4:5], 0x1e0
	v_mov_b32_e32 v1, s12
	v_mov_b32_e32 v2, s13
	v_cmp_lt_u64_e32 vcc, s[10:11], v[1:2]
	s_cbranch_vccnz .LBB160_5
; %bb.4:
	v_cvt_f32_u32_e32 v1, s12
	s_sub_i32 s3, 0, s12
	v_rcp_iflag_f32_e32 v1, v1
	v_mul_f32_e32 v1, 0x4f7ffffe, v1
	v_cvt_u32_f32_e32 v1, v1
	v_readfirstlane_b32 s16, v1
	s_mul_i32 s3, s3, s16
	s_mul_hi_u32 s3, s16, s3
	s_add_i32 s16, s16, s3
	s_mul_hi_u32 s3, s10, s16
	s_mul_i32 s17, s3, s12
	s_sub_i32 s17, s10, s17
	s_add_i32 s16, s3, 1
	s_sub_i32 s18, s17, s12
	s_cmp_ge_u32 s17, s12
	s_cselect_b32 s3, s16, s3
	s_cselect_b32 s17, s18, s17
	s_add_i32 s16, s3, 1
	s_cmp_ge_u32 s17, s12
	s_cselect_b32 s20, s16, s3
.LBB160_5:
	s_movk_i32 s3, 0x100
	v_cmp_gt_u32_e32 vcc, s3, v0
	v_lshlrev_b32_e32 v3, 2, v0
	s_and_saveexec_b64 s[16:17], vcc
; %bb.6:
	v_mov_b32_e32 v1, 0
	ds_write_b32 v3, v1
; %bb.7:
	s_or_b64 exec, exec, s[16:17]
	s_load_dword s21, s[4:5], 0x1a0
	s_mul_i32 s3, s22, s2
	s_sub_i32 s3, s26, s3
	s_add_i32 s18, s3, 1
	s_mul_i32 s3, s1, s3
	s_lshl_b32 s27, s3, 8
	s_waitcnt lgkmcnt(0)
	s_sub_i32 s3, s21, s27
	s_add_u32 s16, s3, 0xff
	s_addc_u32 s17, 0, 0
	s_lshr_b64 s[16:17], s[16:17], 8
	s_cmp_lt_u32 s18, s2
	s_cselect_b32 s23, s1, s16
	s_cmp_lt_i32 s23, 1
	s_mov_b32 s1, 0
	s_barrier
	s_cbranch_scc1 .LBB160_23
; %bb.8:
	s_load_dwordx2 s[28:29], s[4:5], 0xe0
	s_load_dwordx4 s[16:19], s[4:5], 0xd0
	s_load_dwordx2 s[30:31], s[4:5], 0x0
	s_load_dwordx2 s[2:3], s[24:25], 0x0
	s_mul_i32 s15, s10, s15
	s_mul_hi_u32 s24, s10, s14
	s_add_i32 s24, s24, s15
	s_mul_i32 s14, s10, s14
	s_sub_u32 s14, s22, s14
	s_subb_u32 s15, 0, s24
	s_waitcnt lgkmcnt(0)
	s_mul_i32 s22, s14, s29
	s_mul_hi_u32 s24, s14, s28
	s_add_i32 s22, s24, s22
	s_mul_i32 s15, s15, s28
	s_add_i32 s15, s22, s15
	s_mul_i32 s13, s20, s13
	s_mul_hi_u32 s22, s20, s12
	s_add_i32 s22, s22, s13
	s_mul_i32 s12, s20, s12
	s_sub_u32 s10, s10, s12
	s_subb_u32 s11, s11, s22
	s_mul_i32 s12, s10, s19
	s_mul_hi_u32 s13, s10, s18
	s_add_i32 s12, s13, s12
	s_mul_i32 s11, s11, s18
	s_add_i32 s11, s12, s11
	s_mul_i32 s12, s20, s17
	s_mul_hi_u32 s13, s20, s16
	s_add_i32 s13, s13, s12
	s_mul_i32 s12, s20, s16
	s_lshl_b64 s[12:13], s[12:13], 3
	s_mul_i32 s10, s10, s18
	s_add_u32 s12, s30, s12
	s_addc_u32 s13, s31, s13
	s_lshl_b64 s[10:11], s[10:11], 3
	s_load_dwordx2 s[4:5], s[4:5], 0x1b8
	s_mul_i32 s14, s14, s28
	s_add_u32 s12, s12, s10
	s_addc_u32 s16, s13, s11
	s_lshl_b64 s[10:11], s[14:15], 3
	s_add_u32 s13, s12, s10
	s_addc_u32 s14, s16, s11
	s_and_b32 s12, s0, 0xff
	s_cmp_eq_u32 s23, 1
	v_add_u32_e32 v4, s27, v0
	s_cbranch_scc1 .LBB160_18
; %bb.9:
	s_and_b32 s15, s23, 0x7ffffffe
	s_mov_b32 s16, 0
	v_mov_b32_e32 v5, 1
	v_mov_b32_e32 v6, 2
	;; [unrolled: 1-line block ×3, first 2 shown]
	s_branch .LBB160_11
.LBB160_10:                             ;   in Loop: Header=BB160_11 Depth=1
	s_or_b64 exec, exec, s[10:11]
	s_add_i32 s16, s16, 2
	s_cmp_eq_u32 s15, s16
	v_add_u32_e32 v7, 0x200, v7
	s_cbranch_scc1 .LBB160_17
.LBB160_11:                             ; =>This Inner Loop Header: Depth=1
	v_cmp_gt_u32_e64 s[0:1], s21, v7
	s_and_saveexec_b64 s[10:11], s[0:1]
	s_cbranch_execz .LBB160_14
; %bb.12:                               ;   in Loop: Header=BB160_11 Depth=1
	s_waitcnt lgkmcnt(0)
	v_mad_u64_u32 v[1:2], s[0:1], s4, v7, 0
	v_mad_u64_u32 v[8:9], s[0:1], s5, v7, v[2:3]
	v_mov_b32_e32 v9, s14
	v_mov_b32_e32 v2, v8
	v_lshlrev_b64 v[1:2], 3, v[1:2]
	v_add_co_u32_e64 v1, s[0:1], s13, v1
	v_addc_co_u32_e64 v2, s[0:1], v9, v2, s[0:1]
	global_load_dwordx2 v[1:2], v[1:2], off
	s_waitcnt vmcnt(0)
	v_xor_b32_e32 v2, 0x80000000, v2
	v_xor_b32_e32 v8, s2, v1
	;; [unrolled: 1-line block ×3, first 2 shown]
	v_and_b32_e32 v9, s9, v9
	v_and_b32_e32 v8, s8, v8
	v_cmp_eq_u64_e64 s[0:1], 0, v[8:9]
	s_and_b64 exec, exec, s[0:1]
; %bb.13:                               ;   in Loop: Header=BB160_11 Depth=1
	v_lshrrev_b64 v[1:2], s12, v[1:2]
	v_lshlrev_b32_sdwa v1, v6, v1 dst_sel:DWORD dst_unused:UNUSED_PAD src0_sel:DWORD src1_sel:BYTE_0
	ds_add_u32 v1, v5
.LBB160_14:                             ;   in Loop: Header=BB160_11 Depth=1
	s_or_b64 exec, exec, s[10:11]
	v_add_u32_e32 v1, 0x100, v7
	v_cmp_gt_u32_e64 s[0:1], s21, v1
	s_and_saveexec_b64 s[10:11], s[0:1]
	s_cbranch_execz .LBB160_10
; %bb.15:                               ;   in Loop: Header=BB160_11 Depth=1
	s_waitcnt lgkmcnt(0)
	v_mad_u64_u32 v[8:9], s[0:1], s4, v1, 0
	v_mov_b32_e32 v10, s14
	v_mov_b32_e32 v2, v9
	v_mad_u64_u32 v[1:2], s[0:1], s5, v1, v[2:3]
	v_mov_b32_e32 v9, v1
	v_lshlrev_b64 v[1:2], 3, v[8:9]
	v_add_co_u32_e64 v1, s[0:1], s13, v1
	v_addc_co_u32_e64 v2, s[0:1], v10, v2, s[0:1]
	global_load_dwordx2 v[1:2], v[1:2], off
	s_waitcnt vmcnt(0)
	v_xor_b32_e32 v2, 0x80000000, v2
	v_xor_b32_e32 v8, s2, v1
	v_xor_b32_e32 v9, s3, v2
	v_and_b32_e32 v9, s9, v9
	v_and_b32_e32 v8, s8, v8
	v_cmp_eq_u64_e64 s[0:1], 0, v[8:9]
	s_and_b64 exec, exec, s[0:1]
	s_cbranch_execz .LBB160_10
; %bb.16:                               ;   in Loop: Header=BB160_11 Depth=1
	v_lshrrev_b64 v[1:2], s12, v[1:2]
	v_lshlrev_b32_sdwa v1, v6, v1 dst_sel:DWORD dst_unused:UNUSED_PAD src0_sel:DWORD src1_sel:BYTE_0
	ds_add_u32 v1, v5
	s_branch .LBB160_10
.LBB160_17:
	s_lshl_b32 s1, s15, 8
.LBB160_18:
	s_bitcmp0_b32 s23, 0
	s_cbranch_scc1 .LBB160_23
; %bb.19:
	v_add_u32_e32 v1, s1, v4
	v_cmp_gt_u32_e64 s[0:1], s21, v1
	s_and_saveexec_b64 s[10:11], s[0:1]
	s_cbranch_execz .LBB160_22
; %bb.20:
	s_waitcnt lgkmcnt(0)
	v_mad_u64_u32 v[4:5], s[0:1], s4, v1, 0
	v_mov_b32_e32 v6, s14
	v_mov_b32_e32 v2, v5
	v_mad_u64_u32 v[1:2], s[0:1], s5, v1, v[2:3]
	v_mov_b32_e32 v5, v1
	v_lshlrev_b64 v[1:2], 3, v[4:5]
	v_add_co_u32_e64 v1, s[0:1], s13, v1
	v_addc_co_u32_e64 v2, s[0:1], v6, v2, s[0:1]
	global_load_dwordx2 v[1:2], v[1:2], off
	s_waitcnt vmcnt(0)
	v_xor_b32_e32 v2, 0x80000000, v2
	v_xor_b32_e32 v4, s2, v1
	;; [unrolled: 1-line block ×3, first 2 shown]
	v_and_b32_e32 v5, s9, v5
	v_and_b32_e32 v4, s8, v4
	v_cmp_eq_u64_e64 s[0:1], 0, v[4:5]
	s_and_b64 exec, exec, s[0:1]
	s_cbranch_execz .LBB160_22
; %bb.21:
	v_lshrrev_b64 v[1:2], s12, v[1:2]
	v_mov_b32_e32 v2, 2
	v_lshlrev_b32_sdwa v1, v2, v1 dst_sel:DWORD dst_unused:UNUSED_PAD src0_sel:DWORD src1_sel:BYTE_0
	v_mov_b32_e32 v2, 1
	ds_add_u32 v1, v2
.LBB160_22:
	s_or_b64 exec, exec, s[10:11]
.LBB160_23:
	s_waitcnt lgkmcnt(0)
	s_barrier
	s_and_saveexec_b64 s[0:1], vcc
	s_cbranch_execz .LBB160_25
; %bb.24:
	v_lshl_or_b32 v0, s26, 8, v0
	v_mov_b32_e32 v1, 0
	ds_read_b32 v3, v3
	v_lshlrev_b64 v[0:1], 1, v[0:1]
	v_mov_b32_e32 v2, s7
	v_add_co_u32_e32 v0, vcc, s6, v0
	v_addc_co_u32_e32 v1, vcc, v2, v1, vcc
	s_waitcnt lgkmcnt(0)
	global_store_short v[0:1], v3, off
.LBB160_25:
	s_endpgm
	.section	.rodata,"a",@progbits
	.p2align	6, 0x0
	.amdhsa_kernel _ZN2at6native6mbtopk23computeBlockDigitCountsIlmmLi3EEEvNS_4cuda6detail10TensorInfoIKT_T0_EEjPjjS8_iijT1_PSB_Ps
		.amdhsa_group_segment_fixed_size 1024
		.amdhsa_private_segment_fixed_size 0
		.amdhsa_kernarg_size 744
		.amdhsa_user_sgpr_count 6
		.amdhsa_user_sgpr_private_segment_buffer 1
		.amdhsa_user_sgpr_dispatch_ptr 0
		.amdhsa_user_sgpr_queue_ptr 0
		.amdhsa_user_sgpr_kernarg_segment_ptr 1
		.amdhsa_user_sgpr_dispatch_id 0
		.amdhsa_user_sgpr_flat_scratch_init 0
		.amdhsa_user_sgpr_private_segment_size 0
		.amdhsa_uses_dynamic_stack 0
		.amdhsa_system_sgpr_private_segment_wavefront_offset 0
		.amdhsa_system_sgpr_workgroup_id_x 1
		.amdhsa_system_sgpr_workgroup_id_y 1
		.amdhsa_system_sgpr_workgroup_id_z 1
		.amdhsa_system_sgpr_workgroup_info 0
		.amdhsa_system_vgpr_workitem_id 0
		.amdhsa_next_free_vgpr 11
		.amdhsa_next_free_sgpr 32
		.amdhsa_reserve_vcc 1
		.amdhsa_reserve_flat_scratch 0
		.amdhsa_float_round_mode_32 0
		.amdhsa_float_round_mode_16_64 0
		.amdhsa_float_denorm_mode_32 3
		.amdhsa_float_denorm_mode_16_64 3
		.amdhsa_dx10_clamp 1
		.amdhsa_ieee_mode 1
		.amdhsa_fp16_overflow 0
		.amdhsa_exception_fp_ieee_invalid_op 0
		.amdhsa_exception_fp_denorm_src 0
		.amdhsa_exception_fp_ieee_div_zero 0
		.amdhsa_exception_fp_ieee_overflow 0
		.amdhsa_exception_fp_ieee_underflow 0
		.amdhsa_exception_fp_ieee_inexact 0
		.amdhsa_exception_int_div_zero 0
	.end_amdhsa_kernel
	.section	.text._ZN2at6native6mbtopk23computeBlockDigitCountsIlmmLi3EEEvNS_4cuda6detail10TensorInfoIKT_T0_EEjPjjS8_iijT1_PSB_Ps,"axG",@progbits,_ZN2at6native6mbtopk23computeBlockDigitCountsIlmmLi3EEEvNS_4cuda6detail10TensorInfoIKT_T0_EEjPjjS8_iijT1_PSB_Ps,comdat
.Lfunc_end160:
	.size	_ZN2at6native6mbtopk23computeBlockDigitCountsIlmmLi3EEEvNS_4cuda6detail10TensorInfoIKT_T0_EEjPjjS8_iijT1_PSB_Ps, .Lfunc_end160-_ZN2at6native6mbtopk23computeBlockDigitCountsIlmmLi3EEEvNS_4cuda6detail10TensorInfoIKT_T0_EEjPjjS8_iijT1_PSB_Ps
                                        ; -- End function
	.set _ZN2at6native6mbtopk23computeBlockDigitCountsIlmmLi3EEEvNS_4cuda6detail10TensorInfoIKT_T0_EEjPjjS8_iijT1_PSB_Ps.num_vgpr, 11
	.set _ZN2at6native6mbtopk23computeBlockDigitCountsIlmmLi3EEEvNS_4cuda6detail10TensorInfoIKT_T0_EEjPjjS8_iijT1_PSB_Ps.num_agpr, 0
	.set _ZN2at6native6mbtopk23computeBlockDigitCountsIlmmLi3EEEvNS_4cuda6detail10TensorInfoIKT_T0_EEjPjjS8_iijT1_PSB_Ps.numbered_sgpr, 32
	.set _ZN2at6native6mbtopk23computeBlockDigitCountsIlmmLi3EEEvNS_4cuda6detail10TensorInfoIKT_T0_EEjPjjS8_iijT1_PSB_Ps.num_named_barrier, 0
	.set _ZN2at6native6mbtopk23computeBlockDigitCountsIlmmLi3EEEvNS_4cuda6detail10TensorInfoIKT_T0_EEjPjjS8_iijT1_PSB_Ps.private_seg_size, 0
	.set _ZN2at6native6mbtopk23computeBlockDigitCountsIlmmLi3EEEvNS_4cuda6detail10TensorInfoIKT_T0_EEjPjjS8_iijT1_PSB_Ps.uses_vcc, 1
	.set _ZN2at6native6mbtopk23computeBlockDigitCountsIlmmLi3EEEvNS_4cuda6detail10TensorInfoIKT_T0_EEjPjjS8_iijT1_PSB_Ps.uses_flat_scratch, 0
	.set _ZN2at6native6mbtopk23computeBlockDigitCountsIlmmLi3EEEvNS_4cuda6detail10TensorInfoIKT_T0_EEjPjjS8_iijT1_PSB_Ps.has_dyn_sized_stack, 0
	.set _ZN2at6native6mbtopk23computeBlockDigitCountsIlmmLi3EEEvNS_4cuda6detail10TensorInfoIKT_T0_EEjPjjS8_iijT1_PSB_Ps.has_recursion, 0
	.set _ZN2at6native6mbtopk23computeBlockDigitCountsIlmmLi3EEEvNS_4cuda6detail10TensorInfoIKT_T0_EEjPjjS8_iijT1_PSB_Ps.has_indirect_call, 0
	.section	.AMDGPU.csdata,"",@progbits
; Kernel info:
; codeLenInByte = 1320
; TotalNumSgprs: 36
; NumVgprs: 11
; ScratchSize: 0
; MemoryBound: 0
; FloatMode: 240
; IeeeMode: 1
; LDSByteSize: 1024 bytes/workgroup (compile time only)
; SGPRBlocks: 4
; VGPRBlocks: 2
; NumSGPRsForWavesPerEU: 36
; NumVGPRsForWavesPerEU: 11
; Occupancy: 10
; WaveLimiterHint : 1
; COMPUTE_PGM_RSRC2:SCRATCH_EN: 0
; COMPUTE_PGM_RSRC2:USER_SGPR: 6
; COMPUTE_PGM_RSRC2:TRAP_HANDLER: 0
; COMPUTE_PGM_RSRC2:TGID_X_EN: 1
; COMPUTE_PGM_RSRC2:TGID_Y_EN: 1
; COMPUTE_PGM_RSRC2:TGID_Z_EN: 1
; COMPUTE_PGM_RSRC2:TIDIG_COMP_CNT: 0
	.section	.text._ZN2at6native6mbtopk10gatherTopKIlmLi3EEEvNS_4cuda6detail10TensorInfoIKT_T0_EES8_S8_bjS8_NS5_IS6_S8_EES8_NS5_IlS8_EES8_jjPS6_PjSD_j,"axG",@progbits,_ZN2at6native6mbtopk10gatherTopKIlmLi3EEEvNS_4cuda6detail10TensorInfoIKT_T0_EES8_S8_bjS8_NS5_IS6_S8_EES8_NS5_IlS8_EES8_jjPS6_PjSD_j,comdat
	.protected	_ZN2at6native6mbtopk10gatherTopKIlmLi3EEEvNS_4cuda6detail10TensorInfoIKT_T0_EES8_S8_bjS8_NS5_IS6_S8_EES8_NS5_IlS8_EES8_jjPS6_PjSD_j ; -- Begin function _ZN2at6native6mbtopk10gatherTopKIlmLi3EEEvNS_4cuda6detail10TensorInfoIKT_T0_EES8_S8_bjS8_NS5_IS6_S8_EES8_NS5_IlS8_EES8_jjPS6_PjSD_j
	.globl	_ZN2at6native6mbtopk10gatherTopKIlmLi3EEEvNS_4cuda6detail10TensorInfoIKT_T0_EES8_S8_bjS8_NS5_IS6_S8_EES8_NS5_IlS8_EES8_jjPS6_PjSD_j
	.p2align	8
	.type	_ZN2at6native6mbtopk10gatherTopKIlmLi3EEEvNS_4cuda6detail10TensorInfoIKT_T0_EES8_S8_bjS8_NS5_IS6_S8_EES8_NS5_IlS8_EES8_jjPS6_PjSD_j,@function
_ZN2at6native6mbtopk10gatherTopKIlmLi3EEEvNS_4cuda6detail10TensorInfoIKT_T0_EES8_S8_bjS8_NS5_IS6_S8_EES8_NS5_IlS8_EES8_jjPS6_PjSD_j: ; @_ZN2at6native6mbtopk10gatherTopKIlmLi3EEEvNS_4cuda6detail10TensorInfoIKT_T0_EES8_S8_bjS8_NS5_IS6_S8_EES8_NS5_IlS8_EES8_jjPS6_PjSD_j
; %bb.0:
	s_load_dwordx2 s[0:1], s[4:5], 0x538
	s_load_dword s2, s[4:5], 0x530
	s_waitcnt lgkmcnt(0)
	s_mul_i32 s1, s1, s8
	s_add_i32 s1, s1, s7
	s_mul_i32 s0, s1, s0
	s_add_i32 s0, s0, s6
	s_cmp_ge_u32 s0, s2
	s_cbranch_scc1 .LBB161_54
; %bb.1:
	s_load_dwordx2 s[34:35], s[4:5], 0x510
	s_load_dwordx4 s[8:11], s[4:5], 0x1a0
	s_load_dwordx4 s[12:15], s[4:5], 0x10
	s_mov_b32 s7, 0
	s_waitcnt lgkmcnt(0)
	v_cvt_f32_u32_e32 v1, s35
	s_sub_i32 s2, 0, s35
	s_lshl_b32 s1, s34, 8
	v_rcp_iflag_f32_e32 v1, v1
	v_mul_f32_e32 v1, 0x4f7ffffe, v1
	v_cvt_u32_f32_e32 v1, v1
	v_readfirstlane_b32 s3, v1
	s_mul_i32 s2, s2, s3
	s_mul_hi_u32 s2, s3, s2
	s_add_i32 s3, s3, s2
	s_mul_hi_u32 s2, s0, s3
	s_mul_i32 s3, s2, s35
	s_sub_i32 s3, s0, s3
	s_add_i32 s6, s2, 1
	s_sub_i32 s16, s3, s35
	s_cmp_ge_u32 s3, s35
	s_cselect_b32 s2, s6, s2
	s_cselect_b32 s3, s16, s3
	s_add_i32 s6, s2, 1
	s_cmp_ge_u32 s3, s35
	s_cselect_b32 s6, s6, s2
	s_mul_i32 s54, s6, s35
	s_sub_i32 s78, s0, s54
	s_add_i32 s0, s78, 1
	s_cmp_lt_u32 s0, s35
	s_mul_i32 s33, s78, s1
	s_cbranch_scc1 .LBB161_3
; %bb.2:
	s_sub_u32 s0, s8, s33
	s_subb_u32 s1, s9, 0
	s_add_u32 s0, s0, 0xff
	s_addc_u32 s1, s1, 0
	s_ashr_i32 s2, s1, 31
	s_lshr_b32 s2, s2, 24
	s_add_u32 s0, s0, s2
	s_addc_u32 s1, s1, 0
	s_lshr_b64 s[0:1], s[0:1], 8
	s_mov_b32 s34, s0
.LBB161_3:
	v_mov_b32_e32 v1, s14
	v_mov_b32_e32 v2, s15
	v_cmp_lt_u64_e32 vcc, s[6:7], v[1:2]
	s_mov_b64 s[52:53], 0
	s_mov_b64 s[50:51], 0
	s_cbranch_vccnz .LBB161_5
; %bb.4:
	v_cvt_f32_u32_e32 v1, s14
	s_sub_i32 s0, 0, s14
	s_mov_b32 s51, 0
	v_rcp_iflag_f32_e32 v1, v1
	v_mul_f32_e32 v1, 0x4f7ffffe, v1
	v_cvt_u32_f32_e32 v1, v1
	v_readfirstlane_b32 s1, v1
	s_mul_i32 s0, s0, s1
	s_mul_hi_u32 s0, s1, s0
	s_add_i32 s1, s1, s0
	s_mul_hi_u32 s0, s6, s1
	s_mul_i32 s2, s0, s14
	s_sub_i32 s2, s6, s2
	s_add_i32 s1, s0, 1
	s_sub_i32 s3, s2, s14
	s_cmp_ge_u32 s2, s14
	s_cselect_b32 s0, s1, s0
	s_cselect_b32 s2, s3, s2
	s_add_i32 s1, s0, 1
	s_cmp_ge_u32 s2, s14
	s_cselect_b32 s50, s1, s0
.LBB161_5:
	s_load_dwordx4 s[24:27], s[4:5], 0x1d0
	v_mov_b32_e32 v1, s12
	v_mov_b32_e32 v2, s13
	v_cmp_lt_u64_e32 vcc, s[50:51], v[1:2]
	s_cbranch_vccnz .LBB161_7
; %bb.6:
	v_cvt_f32_u32_e32 v1, s12
	s_sub_i32 s0, 0, s12
	v_rcp_iflag_f32_e32 v1, v1
	v_mul_f32_e32 v1, 0x4f7ffffe, v1
	v_cvt_u32_f32_e32 v1, v1
	v_readfirstlane_b32 s1, v1
	s_mul_i32 s0, s0, s1
	s_mul_hi_u32 s0, s1, s0
	s_add_i32 s1, s1, s0
	s_mul_hi_u32 s0, s50, s1
	s_mul_i32 s2, s0, s12
	s_sub_i32 s2, s50, s2
	s_add_i32 s1, s0, 1
	s_sub_i32 s3, s2, s12
	s_cmp_ge_u32 s2, s12
	s_cselect_b32 s0, s1, s0
	s_cselect_b32 s2, s3, s2
	s_add_i32 s1, s0, 1
	s_cmp_ge_u32 s2, s12
	s_cselect_b32 s52, s1, s0
.LBB161_7:
	s_waitcnt lgkmcnt(0)
	v_mov_b32_e32 v1, s26
	v_mov_b32_e32 v2, s27
	v_cmp_lt_u64_e32 vcc, s[6:7], v[1:2]
	s_mov_b64 s[58:59], 0
	s_mov_b64 s[56:57], 0
	s_cbranch_vccnz .LBB161_9
; %bb.8:
	v_cvt_f32_u32_e32 v1, s26
	s_sub_i32 s0, 0, s26
	s_mov_b32 s57, 0
	v_rcp_iflag_f32_e32 v1, v1
	v_mul_f32_e32 v1, 0x4f7ffffe, v1
	v_cvt_u32_f32_e32 v1, v1
	v_readfirstlane_b32 s1, v1
	s_mul_i32 s0, s0, s1
	s_mul_hi_u32 s0, s1, s0
	s_add_i32 s1, s1, s0
	s_mul_hi_u32 s0, s6, s1
	s_mul_i32 s2, s0, s26
	s_sub_i32 s2, s6, s2
	s_add_i32 s1, s0, 1
	s_sub_i32 s3, s2, s26
	s_cmp_ge_u32 s2, s26
	s_cselect_b32 s0, s1, s0
	s_cselect_b32 s2, s3, s2
	s_add_i32 s1, s0, 1
	s_cmp_ge_u32 s2, s26
	s_cselect_b32 s56, s1, s0
.LBB161_9:
	s_load_dwordx4 s[28:31], s[4:5], 0x378
	v_mov_b32_e32 v1, s24
	v_mov_b32_e32 v2, s25
	v_cmp_lt_u64_e32 vcc, s[56:57], v[1:2]
	s_cbranch_vccnz .LBB161_11
; %bb.10:
	v_cvt_f32_u32_e32 v1, s24
	s_sub_i32 s0, 0, s24
	v_rcp_iflag_f32_e32 v1, v1
	v_mul_f32_e32 v1, 0x4f7ffffe, v1
	v_cvt_u32_f32_e32 v1, v1
	v_readfirstlane_b32 s1, v1
	s_mul_i32 s0, s0, s1
	s_mul_hi_u32 s0, s1, s0
	s_add_i32 s1, s1, s0
	s_mul_hi_u32 s0, s56, s1
	s_mul_i32 s2, s0, s24
	s_sub_i32 s2, s56, s2
	s_add_i32 s1, s0, 1
	s_sub_i32 s3, s2, s24
	s_cmp_ge_u32 s2, s24
	s_cselect_b32 s0, s1, s0
	s_cselect_b32 s2, s3, s2
	s_add_i32 s1, s0, 1
	s_cmp_ge_u32 s2, s24
	s_cselect_b32 s58, s1, s0
.LBB161_11:
	s_waitcnt lgkmcnt(0)
	v_mov_b32_e32 v1, s30
	v_mov_b32_e32 v2, s31
	v_cmp_lt_u64_e32 vcc, s[6:7], v[1:2]
	s_mov_b64 s[60:61], 0
	s_mov_b64 s[62:63], 0
	s_cbranch_vccnz .LBB161_13
; %bb.12:
	v_cvt_f32_u32_e32 v1, s30
	s_sub_i32 s0, 0, s30
	s_mov_b32 s63, 0
	v_rcp_iflag_f32_e32 v1, v1
	v_mul_f32_e32 v1, 0x4f7ffffe, v1
	v_cvt_u32_f32_e32 v1, v1
	v_readfirstlane_b32 s1, v1
	s_mul_i32 s0, s0, s1
	s_mul_hi_u32 s0, s1, s0
	s_add_i32 s1, s1, s0
	s_mul_hi_u32 s0, s6, s1
	s_mul_i32 s2, s0, s30
	s_sub_i32 s2, s6, s2
	s_add_i32 s1, s0, 1
	s_sub_i32 s3, s2, s30
	s_cmp_ge_u32 s2, s30
	s_cselect_b32 s0, s1, s0
	s_cselect_b32 s2, s3, s2
	s_add_i32 s1, s0, 1
	s_cmp_ge_u32 s2, s30
	s_cselect_b32 s62, s1, s0
.LBB161_13:
	s_load_dwordx2 s[64:65], s[4:5], 0xe0
	s_load_dwordx4 s[40:43], s[4:5], 0xd0
	s_load_dwordx2 s[68:69], s[4:5], 0x2a0
	s_load_dwordx4 s[44:47], s[4:5], 0x290
	;; [unrolled: 2-line block ×3, first 2 shown]
	v_mov_b32_e32 v1, s28
	v_mov_b32_e32 v2, s29
	v_cmp_lt_u64_e32 vcc, s[62:63], v[1:2]
	s_cbranch_vccnz .LBB161_15
; %bb.14:
	v_cvt_f32_u32_e32 v1, s28
	s_sub_i32 s0, 0, s28
	v_rcp_iflag_f32_e32 v1, v1
	v_mul_f32_e32 v1, 0x4f7ffffe, v1
	v_cvt_u32_f32_e32 v1, v1
	v_readfirstlane_b32 s1, v1
	s_mul_i32 s0, s0, s1
	s_mul_hi_u32 s0, s1, s0
	s_add_i32 s1, s1, s0
	s_mul_hi_u32 s0, s62, s1
	s_mul_i32 s2, s0, s28
	s_sub_i32 s2, s62, s2
	s_add_i32 s1, s0, 1
	s_sub_i32 s3, s2, s28
	s_cmp_ge_u32 s2, s28
	s_cselect_b32 s0, s1, s0
	s_cselect_b32 s2, s3, s2
	s_add_i32 s1, s0, 1
	s_cmp_ge_u32 s2, s28
	s_cselect_b32 s60, s1, s0
.LBB161_15:
	s_load_dwordx4 s[16:19], s[4:5], 0x518
	s_load_dwordx2 s[66:67], s[4:5], 0x0
	s_lshl_b64 s[0:1], s[6:7], 3
	s_mov_b32 s55, 0
	v_cmp_eq_u32_e64 s[2:3], 0, v0
	s_waitcnt lgkmcnt(0)
	s_add_u32 s0, s16, s0
	s_addc_u32 s1, s17, s1
	s_load_dwordx2 s[48:49], s[0:1], 0x0
	v_cmp_ne_u32_e64 s[0:1], 0, v0
	s_and_saveexec_b64 s[16:17], s[2:3]
	s_cbranch_execz .LBB161_31
; %bb.16:
	s_load_dwordx2 s[72:73], s[4:5], 0x528
	s_lshl_b64 s[74:75], s[54:55], 2
	s_add_u32 s20, s18, s74
	s_addc_u32 s21, s19, s75
	s_mov_b32 s53, 0
	s_waitcnt lgkmcnt(0)
	s_add_u32 s22, s72, s74
	s_addc_u32 s23, s73, s75
	s_cmp_lt_u32 s35, 4
	s_cbranch_scc1 .LBB161_28
; %bb.17:
	s_mov_b32 s54, 0
.LBB161_18:                             ; =>This Inner Loop Header: Depth=1
	s_add_u32 s76, s18, s74
	s_addc_u32 s77, s19, s75
	s_load_dwordx4 s[20:23], s[76:77], 0x0
	s_add_u32 s76, s72, s74
	s_addc_u32 s77, s73, s75
	s_cmp_ge_u32 s54, s78
	s_cbranch_scc0 .LBB161_25
; %bb.19:                               ;   in Loop: Header=BB161_18 Depth=1
	s_add_i32 s59, s54, 1
	s_cmp_ge_u32 s59, s78
	s_cbranch_scc0 .LBB161_26
.LBB161_20:                             ;   in Loop: Header=BB161_18 Depth=1
	s_add_i32 s59, s59, 1
	s_cmp_ge_u32 s59, s78
	s_cbranch_scc0 .LBB161_27
.LBB161_21:                             ;   in Loop: Header=BB161_18 Depth=1
	s_add_i32 s59, s59, 1
	s_cmp_ge_u32 s59, s78
	s_cbranch_scc1 .LBB161_23
.LBB161_22:                             ;   in Loop: Header=BB161_18 Depth=1
	s_load_dword s61, s[76:77], 0xc
	s_waitcnt lgkmcnt(0)
	s_add_i32 s55, s55, s23
	s_add_i32 s7, s61, s7
.LBB161_23:                             ;   in Loop: Header=BB161_18 Depth=1
	s_waitcnt lgkmcnt(0)
	s_add_i32 s20, s20, s53
	s_add_i32 s20, s20, s21
	;; [unrolled: 1-line block ×4, first 2 shown]
	s_add_u32 s18, s18, 16
	s_addc_u32 s19, s19, 0
	s_add_u32 s72, s72, 16
	s_addc_u32 s73, s73, 0
	s_add_i32 s61, s59, 4
	s_add_u32 s22, s72, s74
	s_addc_u32 s23, s73, s75
	s_add_u32 s20, s18, s74
	s_addc_u32 s21, s19, s75
	s_add_i32 s59, s59, 1
	s_cmp_ge_u32 s61, s35
	s_cbranch_scc1 .LBB161_29
; %bb.24:                               ;   in Loop: Header=BB161_18 Depth=1
	s_mov_b32 s54, s59
	s_branch .LBB161_18
.LBB161_25:                             ;   in Loop: Header=BB161_18 Depth=1
	s_load_dword s59, s[76:77], 0x0
	s_waitcnt lgkmcnt(0)
	s_add_i32 s55, s20, s55
	s_add_i32 s7, s59, s7
	;; [unrolled: 1-line block ×3, first 2 shown]
	s_cmp_ge_u32 s59, s78
	s_cbranch_scc1 .LBB161_20
.LBB161_26:                             ;   in Loop: Header=BB161_18 Depth=1
	s_load_dword s61, s[76:77], 0x4
	s_waitcnt lgkmcnt(0)
	s_add_i32 s55, s55, s21
	s_add_i32 s7, s61, s7
	;; [unrolled: 1-line block ×3, first 2 shown]
	s_cmp_ge_u32 s59, s78
	s_cbranch_scc1 .LBB161_21
.LBB161_27:                             ;   in Loop: Header=BB161_18 Depth=1
	s_load_dword s61, s[76:77], 0x8
	s_waitcnt lgkmcnt(0)
	s_add_i32 s55, s55, s22
	s_add_i32 s7, s61, s7
	;; [unrolled: 1-line block ×3, first 2 shown]
	s_cmp_ge_u32 s59, s78
	s_cbranch_scc0 .LBB161_22
	s_branch .LBB161_23
.LBB161_28:
	s_mov_b32 s18, 0
	s_cmp_ge_u32 s18, s35
	s_cbranch_scc0 .LBB161_52
	s_branch .LBB161_30
.LBB161_29:
	s_add_i32 s18, s54, 4
	s_cmp_ge_u32 s18, s35
	s_cbranch_scc0 .LBB161_52
.LBB161_30:
	v_mov_b32_e32 v1, s7
	v_mov_b32_e32 v2, s53
	;; [unrolled: 1-line block ×4, first 2 shown]
	ds_write_b96 v4, v[1:3] offset:1056
.LBB161_31:
	s_or_b64 exec, exec, s[16:17]
	s_load_dwordx4 s[16:19], s[4:5], 0x1b8
	s_load_dwordx4 s[20:23], s[4:5], 0x360
	s_cmp_eq_u32 s34, 0
	s_waitcnt lgkmcnt(0)
	s_barrier
	s_cbranch_scc1 .LBB161_54
; %bb.32:
	s_mul_i32 s7, s62, s31
	s_mul_hi_u32 s31, s62, s30
	s_add_i32 s31, s31, s7
	s_mul_i32 s7, s62, s30
	s_sub_u32 s7, s6, s7
	s_subb_u32 s30, 0, s31
	s_mul_i32 s31, s7, s71
	s_mul_hi_u32 s35, s7, s70
	s_add_i32 s31, s35, s31
	s_mul_i32 s35, s30, s70
	s_mul_i32 s30, s7, s70
	;; [unrolled: 1-line block ×3, first 2 shown]
	s_mul_hi_u32 s25, s58, s24
	s_add_i32 s31, s31, s35
	s_add_i32 s25, s25, s7
	s_mul_i32 s7, s58, s24
	s_sub_u32 s7, s56, s7
	s_subb_u32 s24, s57, s25
	s_mul_i32 s25, s58, s45
	s_mul_i32 s45, s7, s47
	s_mul_hi_u32 s47, s7, s46
	s_mul_i32 s24, s24, s46
	s_mul_i32 s46, s7, s46
	s_add_i32 s7, s47, s45
	s_mul_hi_u32 s35, s58, s44
	s_add_i32 s47, s7, s24
	s_mul_i32 s7, s56, s27
	s_mul_hi_u32 s24, s56, s26
	s_add_i32 s45, s35, s25
	s_add_i32 s24, s24, s7
	s_mul_i32 s7, s56, s26
	s_sub_u32 s7, s6, s7
	s_subb_u32 s24, 0, s24
	s_mul_i32 s25, s7, s69
	s_mul_hi_u32 s26, s7, s68
	s_add_i32 s25, s26, s25
	s_mul_i32 s24, s24, s68
	s_mul_i32 s26, s7, s68
	;; [unrolled: 1-line block ×3, first 2 shown]
	s_mul_hi_u32 s13, s52, s12
	s_add_i32 s27, s25, s24
	s_add_i32 s13, s13, s7
	s_mul_i32 s7, s52, s12
	s_sub_u32 s7, s50, s7
	s_subb_u32 s12, s51, s13
	s_mul_i32 s13, s7, s43
	s_mul_hi_u32 s24, s7, s42
	s_add_i32 s13, s24, s13
	s_mul_i32 s12, s12, s42
	s_add_i32 s13, s13, s12
	s_mul_i32 s12, s7, s42
	s_mul_i32 s7, s52, s41
	s_mul_hi_u32 s24, s52, s40
	s_add_i32 s25, s24, s7
	s_mul_i32 s7, s50, s15
	s_mul_hi_u32 s15, s50, s14
	s_add_i32 s15, s15, s7
	s_mul_i32 s7, s50, s14
	s_sub_u32 s6, s6, s7
	s_subb_u32 s7, 0, s15
	s_mul_i32 s14, s6, s65
	s_mul_hi_u32 s15, s6, s64
	s_add_i32 s14, s15, s14
	s_mul_i32 s7, s7, s64
	s_add_i32 s7, s14, s7
	s_mul_i32 s14, s60, s29
	s_mul_hi_u32 s15, s60, s28
	s_add_i32 s15, s15, s14
	s_mul_i32 s14, s60, s28
	s_sub_u32 s14, s62, s14
	s_subb_u32 s15, s63, s15
	s_mul_i32 s28, s14, s39
	s_mul_hi_u32 s29, s14, s38
	s_add_i32 s28, s29, s28
	s_mul_i32 s15, s15, s38
	s_mul_i32 s24, s52, s40
	s_add_i32 s15, s28, s15
	s_mul_i32 s28, s60, s37
	s_mul_hi_u32 s29, s60, s36
	s_add_i32 s29, s29, s28
	s_lshl_b64 s[24:25], s[24:25], 3
	s_add_u32 s24, s66, s24
	s_addc_u32 s25, s67, s25
	s_lshl_b64 s[12:13], s[12:13], 3
	s_mul_i32 s6, s6, s64
	s_add_u32 s12, s24, s12
	s_addc_u32 s13, s25, s13
	s_lshl_b64 s[6:7], s[6:7], 3
	s_mul_i32 s44, s58, s44
	s_add_u32 s24, s12, s6
	s_addc_u32 s25, s13, s7
	s_lshl_b64 s[6:7], s[44:45], 3
	s_add_u32 s12, s18, s6
	s_addc_u32 s13, s19, s7
	s_lshl_b64 s[6:7], s[46:47], 3
	;; [unrolled: 3-line block ×3, first 2 shown]
	v_mov_b32_e32 v5, 0
	s_mul_i32 s28, s60, s36
	s_add_u32 s26, s12, s6
	ds_read_b96 v[1:3], v5 offset:1056
	s_addc_u32 s27, s13, s7
	s_lshl_b64 s[6:7], s[28:29], 3
	s_mul_i32 s14, s14, s38
	s_add_u32 s12, s22, s6
	s_addc_u32 s13, s23, s7
	s_lshl_b64 s[6:7], s[14:15], 3
	s_add_u32 s12, s12, s6
	s_addc_u32 s13, s13, s7
	s_lshl_b64 s[6:7], s[30:31], 3
	s_waitcnt lgkmcnt(0)
	v_add_u32_e32 v1, v1, v2
	v_lshrrev_b32_e32 v2, 3, v0
	s_add_u32 s22, s12, s6
	s_load_dword s6, s[4:5], 0x1b0
	s_load_dwordx2 s[14:15], s[4:5], 0x508
	v_and_b32_e32 v2, 28, v2
	v_lshl_add_u32 v10, v0, 2, v2
	v_lshrrev_b32_e32 v2, 1, v0
	v_and_b32_e32 v11, 0x7c, v2
	v_add_u32_e32 v2, -1, v0
	v_lshrrev_b32_e32 v4, 3, v2
	s_addc_u32 s23, s13, s7
	s_xor_b32 s13, s49, 0x80000000
	v_and_b32_e32 v4, 0x1ffffffc, v4
	s_waitcnt lgkmcnt(0)
	s_bitcmp1_b32 s6, 0
	v_cmp_gt_u32_e64 s[6:7], 64, v0
	v_lshlrev_b32_e32 v12, 4, v0
	v_lshl_add_u32 v13, v2, 2, v4
	v_add_u32_e32 v4, s33, v0
	v_mbcnt_lo_u32_b32 v0, -1, 0
	s_mov_b32 s12, s48
	s_cselect_b64 s[4:5], -1, 0
	v_mbcnt_hi_u32_b32 v0, -1, v0
                                        ; implicit-def: $vgpr6_vgpr7
	s_branch .LBB161_35
.LBB161_33:                             ;   in Loop: Header=BB161_35 Depth=1
	s_or_b64 exec, exec, s[18:19]
	v_add_u32_e32 v1, v2, v1
.LBB161_34:                             ;   in Loop: Header=BB161_35 Depth=1
	s_add_i32 s34, s34, -1
	v_add_u32_e32 v3, v14, v3
	s_cmp_lg_u32 s34, 0
	v_add_u32_e32 v4, 0x100, v4
	s_cbranch_scc0 .LBB161_54
.LBB161_35:                             ; =>This Inner Loop Header: Depth=1
	v_cmp_gt_u64_e32 vcc, s[8:9], v[4:5]
	v_mov_b32_e32 v2, v5
	v_mov_b32_e32 v8, v5
	s_and_saveexec_b64 s[18:19], vcc
	s_cbranch_execz .LBB161_37
; %bb.36:                               ;   in Loop: Header=BB161_35 Depth=1
	v_mad_u64_u32 v[6:7], s[28:29], s16, v4, 0
	v_mov_b32_e32 v2, v7
	v_mad_u64_u32 v[7:8], s[28:29], s17, v4, v[2:3]
	v_mov_b32_e32 v2, s25
	v_lshlrev_b64 v[6:7], 3, v[6:7]
	v_add_co_u32_e32 v6, vcc, s24, v6
	v_addc_co_u32_e32 v7, vcc, v2, v7, vcc
	global_load_dwordx2 v[6:7], v[6:7], off
	s_waitcnt vmcnt(0)
	v_xor_b32_e32 v9, 0x80000000, v7
	v_mov_b32_e32 v8, v6
	v_cmp_lt_u64_e32 vcc, s[12:13], v[8:9]
	v_cndmask_b32_e64 v2, 0, 1, vcc
	v_cmp_gt_u64_e32 vcc, s[12:13], v[8:9]
	v_cndmask_b32_e64 v8, 0, 1, vcc
	v_cmp_eq_u64_e32 vcc, s[48:49], v[6:7]
	v_cndmask_b32_e64 v2, v8, v2, s[4:5]
	v_and_b32_e32 v2, 1, v2
	v_cndmask_b32_e64 v8, 0, 1, vcc
.LBB161_37:                             ;   in Loop: Header=BB161_35 Depth=1
	s_or_b64 exec, exec, s[18:19]
	ds_write_b32 v10, v2
	s_waitcnt vmcnt(0) lgkmcnt(0)
	s_barrier
	s_and_saveexec_b64 s[18:19], s[6:7]
	s_cbranch_execz .LBB161_39
; %bb.38:                               ;   in Loop: Header=BB161_35 Depth=1
	v_add_u32_e32 v9, v11, v12
	ds_read2_b32 v[14:15], v9 offset1:1
	ds_read2_b32 v[16:17], v9 offset0:2 offset1:3
	v_and_b32_e32 v18, 15, v0
	v_cmp_ne_u32_e32 vcc, 0, v18
	s_waitcnt lgkmcnt(1)
	v_add_u32_e32 v15, v15, v14
	s_waitcnt lgkmcnt(0)
	v_add3_u32 v15, v15, v16, v17
	v_bfe_i32 v17, v0, 4, 1
	; wave barrier
	s_nop 0
	v_mov_b32_dpp v16, v15 row_shr:1 row_mask:0xf bank_mask:0xf
	v_cndmask_b32_e32 v16, 0, v16, vcc
	v_add_u32_e32 v15, v16, v15
	v_cmp_lt_u32_e32 vcc, 1, v18
	s_nop 0
	v_mov_b32_dpp v16, v15 row_shr:2 row_mask:0xf bank_mask:0xf
	v_cndmask_b32_e32 v16, 0, v16, vcc
	v_add_u32_e32 v15, v15, v16
	v_cmp_lt_u32_e32 vcc, 3, v18
	;; [unrolled: 5-line block ×4, first 2 shown]
	s_nop 0
	v_mov_b32_dpp v16, v15 row_bcast:15 row_mask:0xf bank_mask:0xf
	v_and_b32_e32 v16, v17, v16
	v_add_u32_e32 v15, v15, v16
	v_and_b32_e32 v17, 64, v0
	s_nop 0
	v_mov_b32_dpp v16, v15 row_bcast:31 row_mask:0xf bank_mask:0xf
	v_cndmask_b32_e32 v16, 0, v16, vcc
	v_add_u32_e32 v15, v15, v16
	v_add_u32_e32 v16, -1, v0
	v_cmp_lt_i32_e32 vcc, v16, v17
	v_cndmask_b32_e32 v16, v16, v0, vcc
	v_lshlrev_b32_e32 v16, 2, v16
	ds_bpermute_b32 v15, v16, v15
	s_waitcnt lgkmcnt(0)
	v_add_u32_e32 v14, v15, v14
	v_cndmask_b32_e64 v16, v14, v2, s[2:3]
	ds_write_b32 v9, v16
	; wave barrier
	ds_read2_b32 v[14:15], v9 offset0:1 offset1:2
	ds_read_b32 v17, v9 offset:12
	s_waitcnt lgkmcnt(1)
	v_add_u32_e32 v14, v14, v16
	v_add_u32_e32 v15, v15, v14
	ds_write2_b32 v9, v14, v15 offset0:1 offset1:2
	s_waitcnt lgkmcnt(1)
	v_add_u32_e32 v14, v17, v15
	ds_write_b32 v9, v14 offset:12
.LBB161_39:                             ;   in Loop: Header=BB161_35 Depth=1
	s_or_b64 exec, exec, s[18:19]
	v_mov_b32_e32 v9, 0
	s_waitcnt lgkmcnt(0)
	s_barrier
	s_and_saveexec_b64 s[18:19], s[0:1]
; %bb.40:                               ;   in Loop: Header=BB161_35 Depth=1
	ds_read_b32 v9, v13
; %bb.41:                               ;   in Loop: Header=BB161_35 Depth=1
	s_or_b64 exec, exec, s[18:19]
	ds_read_b32 v14, v5 offset:1048
	v_cmp_ne_u32_e32 vcc, 0, v2
	s_waitcnt lgkmcnt(0)
	s_barrier
	s_and_saveexec_b64 s[18:19], vcc
	s_cbranch_execz .LBB161_43
; %bb.42:                               ;   in Loop: Header=BB161_35 Depth=1
	v_add_u32_e32 v9, v9, v3
	v_mad_u64_u32 v[15:16], s[28:29], s20, v9, 0
	v_mad_u64_u32 v[17:18], s[28:29], s14, v9, 0
	v_mov_b32_e32 v2, v16
	v_mad_u64_u32 v[19:20], s[28:29], s21, v9, v[2:3]
	v_mov_b32_e32 v2, v18
	v_mov_b32_e32 v20, s27
	;; [unrolled: 1-line block ×3, first 2 shown]
	v_lshlrev_b64 v[15:16], 3, v[15:16]
	v_mad_u64_u32 v[18:19], s[28:29], s15, v9, v[2:3]
	v_add_co_u32_e32 v15, vcc, s26, v15
	v_addc_co_u32_e32 v16, vcc, v20, v16, vcc
	global_store_dwordx2 v[15:16], v[6:7], off
	v_lshlrev_b64 v[15:16], 3, v[17:18]
	v_mov_b32_e32 v2, s23
	v_add_co_u32_e32 v15, vcc, s22, v15
	v_addc_co_u32_e32 v16, vcc, v2, v16, vcc
	global_store_dwordx2 v[15:16], v[4:5], off
.LBB161_43:                             ;   in Loop: Header=BB161_35 Depth=1
	s_or_b64 exec, exec, s[18:19]
	v_mov_b32_e32 v2, v5
	v_cmp_le_u64_e32 vcc, s[10:11], v[1:2]
	s_cbranch_vccnz .LBB161_34
; %bb.44:                               ;   in Loop: Header=BB161_35 Depth=1
	ds_write_b32 v10, v8
	s_waitcnt vmcnt(0) lgkmcnt(0)
	s_barrier
	s_and_saveexec_b64 s[18:19], s[6:7]
	s_cbranch_execz .LBB161_46
; %bb.45:                               ;   in Loop: Header=BB161_35 Depth=1
	v_add_u32_e32 v2, v11, v12
	ds_read2_b32 v[15:16], v2 offset1:1
	ds_read2_b32 v[17:18], v2 offset0:2 offset1:3
	v_and_b32_e32 v9, 15, v0
	v_cmp_ne_u32_e32 vcc, 0, v9
	s_waitcnt lgkmcnt(1)
	v_add_u32_e32 v16, v16, v15
	s_waitcnt lgkmcnt(0)
	v_add3_u32 v16, v16, v17, v18
	; wave barrier
	s_nop 1
	v_mov_b32_dpp v17, v16 row_shr:1 row_mask:0xf bank_mask:0xf
	v_cndmask_b32_e32 v17, 0, v17, vcc
	v_add_u32_e32 v16, v17, v16
	v_cmp_lt_u32_e32 vcc, 1, v9
	s_nop 0
	v_mov_b32_dpp v17, v16 row_shr:2 row_mask:0xf bank_mask:0xf
	v_cndmask_b32_e32 v17, 0, v17, vcc
	v_add_u32_e32 v16, v16, v17
	v_cmp_lt_u32_e32 vcc, 3, v9
	;; [unrolled: 5-line block ×3, first 2 shown]
	s_nop 0
	v_mov_b32_dpp v17, v16 row_shr:8 row_mask:0xf bank_mask:0xf
	v_cndmask_b32_e32 v9, 0, v17, vcc
	v_add_u32_e32 v9, v16, v9
	v_bfe_i32 v17, v0, 4, 1
	v_cmp_lt_u32_e32 vcc, 31, v0
	v_mov_b32_dpp v16, v9 row_bcast:15 row_mask:0xf bank_mask:0xf
	v_and_b32_e32 v16, v17, v16
	v_add_u32_e32 v9, v9, v16
	v_and_b32_e32 v17, 64, v0
	s_nop 0
	v_mov_b32_dpp v16, v9 row_bcast:31 row_mask:0xf bank_mask:0xf
	v_cndmask_b32_e32 v16, 0, v16, vcc
	v_add_u32_e32 v9, v9, v16
	v_add_u32_e32 v16, -1, v0
	v_cmp_lt_i32_e32 vcc, v16, v17
	v_cndmask_b32_e32 v16, v16, v0, vcc
	v_lshlrev_b32_e32 v16, 2, v16
	ds_bpermute_b32 v9, v16, v9
	s_waitcnt lgkmcnt(0)
	v_add_u32_e32 v9, v9, v15
	v_cndmask_b32_e64 v9, v9, v8, s[2:3]
	ds_write_b32 v2, v9
	; wave barrier
	ds_read2_b32 v[15:16], v2 offset0:1 offset1:2
	ds_read_b32 v17, v2 offset:12
	s_waitcnt lgkmcnt(1)
	v_add_u32_e32 v9, v15, v9
	v_add_u32_e32 v15, v16, v9
	ds_write2_b32 v2, v9, v15 offset0:1 offset1:2
	s_waitcnt lgkmcnt(1)
	v_add_u32_e32 v9, v17, v15
	ds_write_b32 v2, v9 offset:12
.LBB161_46:                             ;   in Loop: Header=BB161_35 Depth=1
	s_or_b64 exec, exec, s[18:19]
	v_mov_b32_e32 v9, 0
	s_waitcnt lgkmcnt(0)
	s_barrier
	s_and_saveexec_b64 s[18:19], s[0:1]
; %bb.47:                               ;   in Loop: Header=BB161_35 Depth=1
	ds_read_b32 v9, v13
; %bb.48:                               ;   in Loop: Header=BB161_35 Depth=1
	s_or_b64 exec, exec, s[18:19]
	ds_read_b32 v2, v5 offset:1048
	v_cmp_ne_u32_e32 vcc, 0, v8
	s_waitcnt lgkmcnt(0)
	s_barrier
	s_and_saveexec_b64 s[18:19], vcc
	s_cbranch_execz .LBB161_33
; %bb.49:                               ;   in Loop: Header=BB161_35 Depth=1
	v_add_u32_e32 v8, v9, v1
	v_mov_b32_e32 v9, v5
	v_cmp_gt_u64_e32 vcc, s[10:11], v[8:9]
	s_and_b64 exec, exec, vcc
	s_cbranch_execz .LBB161_33
; %bb.50:                               ;   in Loop: Header=BB161_35 Depth=1
	v_mad_u64_u32 v[15:16], s[28:29], s20, v8, 0
	v_mad_u64_u32 v[17:18], s[28:29], s14, v8, 0
	v_mov_b32_e32 v9, v16
	v_mad_u64_u32 v[19:20], s[28:29], s21, v8, v[9:10]
	v_mov_b32_e32 v9, v18
	;; [unrolled: 2-line block ×3, first 2 shown]
	v_lshlrev_b64 v[15:16], 3, v[15:16]
	v_mov_b32_e32 v18, v8
	v_mov_b32_e32 v20, s27
	v_add_co_u32_e32 v15, vcc, s26, v15
	v_lshlrev_b64 v[8:9], 3, v[17:18]
	v_addc_co_u32_e32 v16, vcc, v20, v16, vcc
	global_store_dwordx2 v[15:16], v[6:7], off
	v_mov_b32_e32 v15, s23
	v_add_co_u32_e32 v8, vcc, s22, v8
	v_addc_co_u32_e32 v9, vcc, v15, v9, vcc
	global_store_dwordx2 v[8:9], v[4:5], off
	s_branch .LBB161_33
.LBB161_51:                             ;   in Loop: Header=BB161_52 Depth=1
	s_add_u32 s20, s20, 4
	s_addc_u32 s21, s21, 0
	s_waitcnt lgkmcnt(0)
	s_add_i32 s53, s19, s53
	s_add_u32 s22, s22, 4
	s_addc_u32 s23, s23, 0
	s_add_i32 s18, s18, 1
	s_cmp_lt_u32 s18, s35
	s_cbranch_scc0 .LBB161_30
.LBB161_52:                             ; =>This Inner Loop Header: Depth=1
	s_load_dword s19, s[20:21], 0x0
	s_cmp_ge_u32 s18, s78
	s_cbranch_scc1 .LBB161_51
; %bb.53:                               ;   in Loop: Header=BB161_52 Depth=1
	s_load_dword s54, s[22:23], 0x0
	s_waitcnt lgkmcnt(0)
	s_add_i32 s55, s19, s55
	s_add_i32 s7, s54, s7
	s_branch .LBB161_51
.LBB161_54:
	s_endpgm
	.section	.rodata,"a",@progbits
	.p2align	6, 0x0
	.amdhsa_kernel _ZN2at6native6mbtopk10gatherTopKIlmLi3EEEvNS_4cuda6detail10TensorInfoIKT_T0_EES8_S8_bjS8_NS5_IS6_S8_EES8_NS5_IlS8_EES8_jjPS6_PjSD_j
		.amdhsa_group_segment_fixed_size 1068
		.amdhsa_private_segment_fixed_size 0
		.amdhsa_kernarg_size 1592
		.amdhsa_user_sgpr_count 6
		.amdhsa_user_sgpr_private_segment_buffer 1
		.amdhsa_user_sgpr_dispatch_ptr 0
		.amdhsa_user_sgpr_queue_ptr 0
		.amdhsa_user_sgpr_kernarg_segment_ptr 1
		.amdhsa_user_sgpr_dispatch_id 0
		.amdhsa_user_sgpr_flat_scratch_init 0
		.amdhsa_user_sgpr_private_segment_size 0
		.amdhsa_uses_dynamic_stack 0
		.amdhsa_system_sgpr_private_segment_wavefront_offset 0
		.amdhsa_system_sgpr_workgroup_id_x 1
		.amdhsa_system_sgpr_workgroup_id_y 1
		.amdhsa_system_sgpr_workgroup_id_z 1
		.amdhsa_system_sgpr_workgroup_info 0
		.amdhsa_system_vgpr_workitem_id 0
		.amdhsa_next_free_vgpr 21
		.amdhsa_next_free_sgpr 79
		.amdhsa_reserve_vcc 1
		.amdhsa_reserve_flat_scratch 0
		.amdhsa_float_round_mode_32 0
		.amdhsa_float_round_mode_16_64 0
		.amdhsa_float_denorm_mode_32 3
		.amdhsa_float_denorm_mode_16_64 3
		.amdhsa_dx10_clamp 1
		.amdhsa_ieee_mode 1
		.amdhsa_fp16_overflow 0
		.amdhsa_exception_fp_ieee_invalid_op 0
		.amdhsa_exception_fp_denorm_src 0
		.amdhsa_exception_fp_ieee_div_zero 0
		.amdhsa_exception_fp_ieee_overflow 0
		.amdhsa_exception_fp_ieee_underflow 0
		.amdhsa_exception_fp_ieee_inexact 0
		.amdhsa_exception_int_div_zero 0
	.end_amdhsa_kernel
	.section	.text._ZN2at6native6mbtopk10gatherTopKIlmLi3EEEvNS_4cuda6detail10TensorInfoIKT_T0_EES8_S8_bjS8_NS5_IS6_S8_EES8_NS5_IlS8_EES8_jjPS6_PjSD_j,"axG",@progbits,_ZN2at6native6mbtopk10gatherTopKIlmLi3EEEvNS_4cuda6detail10TensorInfoIKT_T0_EES8_S8_bjS8_NS5_IS6_S8_EES8_NS5_IlS8_EES8_jjPS6_PjSD_j,comdat
.Lfunc_end161:
	.size	_ZN2at6native6mbtopk10gatherTopKIlmLi3EEEvNS_4cuda6detail10TensorInfoIKT_T0_EES8_S8_bjS8_NS5_IS6_S8_EES8_NS5_IlS8_EES8_jjPS6_PjSD_j, .Lfunc_end161-_ZN2at6native6mbtopk10gatherTopKIlmLi3EEEvNS_4cuda6detail10TensorInfoIKT_T0_EES8_S8_bjS8_NS5_IS6_S8_EES8_NS5_IlS8_EES8_jjPS6_PjSD_j
                                        ; -- End function
	.set _ZN2at6native6mbtopk10gatherTopKIlmLi3EEEvNS_4cuda6detail10TensorInfoIKT_T0_EES8_S8_bjS8_NS5_IS6_S8_EES8_NS5_IlS8_EES8_jjPS6_PjSD_j.num_vgpr, 21
	.set _ZN2at6native6mbtopk10gatherTopKIlmLi3EEEvNS_4cuda6detail10TensorInfoIKT_T0_EES8_S8_bjS8_NS5_IS6_S8_EES8_NS5_IlS8_EES8_jjPS6_PjSD_j.num_agpr, 0
	.set _ZN2at6native6mbtopk10gatherTopKIlmLi3EEEvNS_4cuda6detail10TensorInfoIKT_T0_EES8_S8_bjS8_NS5_IS6_S8_EES8_NS5_IlS8_EES8_jjPS6_PjSD_j.numbered_sgpr, 79
	.set _ZN2at6native6mbtopk10gatherTopKIlmLi3EEEvNS_4cuda6detail10TensorInfoIKT_T0_EES8_S8_bjS8_NS5_IS6_S8_EES8_NS5_IlS8_EES8_jjPS6_PjSD_j.num_named_barrier, 0
	.set _ZN2at6native6mbtopk10gatherTopKIlmLi3EEEvNS_4cuda6detail10TensorInfoIKT_T0_EES8_S8_bjS8_NS5_IS6_S8_EES8_NS5_IlS8_EES8_jjPS6_PjSD_j.private_seg_size, 0
	.set _ZN2at6native6mbtopk10gatherTopKIlmLi3EEEvNS_4cuda6detail10TensorInfoIKT_T0_EES8_S8_bjS8_NS5_IS6_S8_EES8_NS5_IlS8_EES8_jjPS6_PjSD_j.uses_vcc, 1
	.set _ZN2at6native6mbtopk10gatherTopKIlmLi3EEEvNS_4cuda6detail10TensorInfoIKT_T0_EES8_S8_bjS8_NS5_IS6_S8_EES8_NS5_IlS8_EES8_jjPS6_PjSD_j.uses_flat_scratch, 0
	.set _ZN2at6native6mbtopk10gatherTopKIlmLi3EEEvNS_4cuda6detail10TensorInfoIKT_T0_EES8_S8_bjS8_NS5_IS6_S8_EES8_NS5_IlS8_EES8_jjPS6_PjSD_j.has_dyn_sized_stack, 0
	.set _ZN2at6native6mbtopk10gatherTopKIlmLi3EEEvNS_4cuda6detail10TensorInfoIKT_T0_EES8_S8_bjS8_NS5_IS6_S8_EES8_NS5_IlS8_EES8_jjPS6_PjSD_j.has_recursion, 0
	.set _ZN2at6native6mbtopk10gatherTopKIlmLi3EEEvNS_4cuda6detail10TensorInfoIKT_T0_EES8_S8_bjS8_NS5_IS6_S8_EES8_NS5_IlS8_EES8_jjPS6_PjSD_j.has_indirect_call, 0
	.section	.AMDGPU.csdata,"",@progbits
; Kernel info:
; codeLenInByte = 3252
; TotalNumSgprs: 83
; NumVgprs: 21
; ScratchSize: 0
; MemoryBound: 0
; FloatMode: 240
; IeeeMode: 1
; LDSByteSize: 1068 bytes/workgroup (compile time only)
; SGPRBlocks: 10
; VGPRBlocks: 5
; NumSGPRsForWavesPerEU: 83
; NumVGPRsForWavesPerEU: 21
; Occupancy: 9
; WaveLimiterHint : 1
; COMPUTE_PGM_RSRC2:SCRATCH_EN: 0
; COMPUTE_PGM_RSRC2:USER_SGPR: 6
; COMPUTE_PGM_RSRC2:TRAP_HANDLER: 0
; COMPUTE_PGM_RSRC2:TGID_X_EN: 1
; COMPUTE_PGM_RSRC2:TGID_Y_EN: 1
; COMPUTE_PGM_RSRC2:TGID_Z_EN: 1
; COMPUTE_PGM_RSRC2:TIDIG_COMP_CNT: 0
	.section	.text._ZN2at6native6sbtopk10gatherTopKIlmLi3ELb0EEEvNS_4cuda6detail10TensorInfoIKT_T0_EES8_S8_bS8_S8_NS5_IS6_S8_EES8_NS5_IlS8_EES8_PS6_,"axG",@progbits,_ZN2at6native6sbtopk10gatherTopKIlmLi3ELb0EEEvNS_4cuda6detail10TensorInfoIKT_T0_EES8_S8_bS8_S8_NS5_IS6_S8_EES8_NS5_IlS8_EES8_PS6_,comdat
	.protected	_ZN2at6native6sbtopk10gatherTopKIlmLi3ELb0EEEvNS_4cuda6detail10TensorInfoIKT_T0_EES8_S8_bS8_S8_NS5_IS6_S8_EES8_NS5_IlS8_EES8_PS6_ ; -- Begin function _ZN2at6native6sbtopk10gatherTopKIlmLi3ELb0EEEvNS_4cuda6detail10TensorInfoIKT_T0_EES8_S8_bS8_S8_NS5_IS6_S8_EES8_NS5_IlS8_EES8_PS6_
	.globl	_ZN2at6native6sbtopk10gatherTopKIlmLi3ELb0EEEvNS_4cuda6detail10TensorInfoIKT_T0_EES8_S8_bS8_S8_NS5_IS6_S8_EES8_NS5_IlS8_EES8_PS6_
	.p2align	8
	.type	_ZN2at6native6sbtopk10gatherTopKIlmLi3ELb0EEEvNS_4cuda6detail10TensorInfoIKT_T0_EES8_S8_bS8_S8_NS5_IS6_S8_EES8_NS5_IlS8_EES8_PS6_,@function
_ZN2at6native6sbtopk10gatherTopKIlmLi3ELb0EEEvNS_4cuda6detail10TensorInfoIKT_T0_EES8_S8_bS8_S8_NS5_IS6_S8_EES8_NS5_IlS8_EES8_PS6_: ; @_ZN2at6native6sbtopk10gatherTopKIlmLi3ELb0EEEvNS_4cuda6detail10TensorInfoIKT_T0_EES8_S8_bS8_S8_NS5_IS6_S8_EES8_NS5_IlS8_EES8_PS6_
; %bb.0:
	s_load_dwordx2 s[18:19], s[4:5], 0x520
	s_load_dwordx4 s[20:23], s[4:5], 0x1b8
	s_mov_b64 s[34:35], s[4:5]
	s_add_u32 s16, s34, 0x520
	s_addc_u32 s17, s35, 0
	s_waitcnt lgkmcnt(0)
	s_mul_i32 s0, s19, s8
	s_add_i32 s0, s0, s7
	s_mul_i32 s0, s0, s18
	s_add_i32 s36, s0, s6
	s_mov_b32 s37, 0
	v_mov_b32_e32 v1, s36
	v_mov_b32_e32 v2, s37
	v_cmp_le_u64_e32 vcc, s[20:21], v[1:2]
	s_cbranch_vccnz .LBB162_481
; %bb.1:
	s_load_dwordx4 s[0:3], s[34:35], 0x10
	s_mov_b64 s[10:11], 0
	s_mov_b64 s[8:9], 0
	s_waitcnt lgkmcnt(0)
	v_mov_b32_e32 v1, s2
	v_mov_b32_e32 v2, s3
	v_cmp_lt_u64_e32 vcc, s[36:37], v[1:2]
	s_cbranch_vccnz .LBB162_3
; %bb.2:
	v_cvt_f32_u32_e32 v1, s2
	s_sub_i32 s4, 0, s2
	s_mov_b32 s9, 0
	v_rcp_iflag_f32_e32 v1, v1
	v_mul_f32_e32 v1, 0x4f7ffffe, v1
	v_cvt_u32_f32_e32 v1, v1
	v_readfirstlane_b32 s5, v1
	s_mul_i32 s4, s4, s5
	s_mul_hi_u32 s4, s5, s4
	s_add_i32 s5, s5, s4
	s_mul_hi_u32 s4, s36, s5
	s_mul_i32 s7, s4, s2
	s_sub_i32 s7, s36, s7
	s_add_i32 s5, s4, 1
	s_sub_i32 s8, s7, s2
	s_cmp_ge_u32 s7, s2
	s_cselect_b32 s4, s5, s4
	s_cselect_b32 s7, s8, s7
	s_add_i32 s5, s4, 1
	s_cmp_ge_u32 s7, s2
	s_cselect_b32 s8, s5, s4
.LBB162_3:
	s_load_dwordx4 s[12:15], s[34:35], 0x1d8
	v_mov_b32_e32 v2, s1
	v_mov_b32_e32 v1, s0
	v_cmp_lt_u64_e32 vcc, s[8:9], v[1:2]
	s_cbranch_vccnz .LBB162_5
; %bb.4:
	v_cvt_f32_u32_e32 v1, s0
	s_sub_i32 s4, 0, s0
	v_rcp_iflag_f32_e32 v1, v1
	v_mul_f32_e32 v1, 0x4f7ffffe, v1
	v_cvt_u32_f32_e32 v1, v1
	v_readfirstlane_b32 s5, v1
	s_mul_i32 s4, s4, s5
	s_mul_hi_u32 s4, s5, s4
	s_add_i32 s5, s5, s4
	s_mul_hi_u32 s4, s8, s5
	s_mul_i32 s7, s4, s0
	s_sub_i32 s7, s8, s7
	s_add_i32 s5, s4, 1
	s_sub_i32 s10, s7, s0
	s_cmp_ge_u32 s7, s0
	s_cselect_b32 s4, s5, s4
	s_cselect_b32 s7, s10, s7
	s_add_i32 s5, s4, 1
	s_cmp_ge_u32 s7, s0
	s_cselect_b32 s10, s5, s4
.LBB162_5:
	s_waitcnt lgkmcnt(0)
	v_mov_b32_e32 v1, s14
	v_mov_b32_e32 v2, s15
	v_cmp_lt_u64_e32 vcc, s[36:37], v[1:2]
	s_mov_b64 s[4:5], 0
                                        ; implicit-def: $vgpr45 : SGPR spill to VGPR lane
	v_writelane_b32 v45, s4, 0
	s_mov_b64 s[24:25], 0
	v_writelane_b32 v45, s5, 1
	s_cbranch_vccnz .LBB162_7
; %bb.6:
	v_cvt_f32_u32_e32 v1, s14
	s_sub_i32 s4, 0, s14
	s_mov_b32 s25, 0
	v_rcp_iflag_f32_e32 v1, v1
	v_mul_f32_e32 v1, 0x4f7ffffe, v1
	v_cvt_u32_f32_e32 v1, v1
	v_readfirstlane_b32 s5, v1
	s_mul_i32 s4, s4, s5
	s_mul_hi_u32 s4, s5, s4
	s_add_i32 s5, s5, s4
	s_mul_hi_u32 s4, s36, s5
	s_mul_i32 s7, s4, s14
	s_sub_i32 s7, s36, s7
	s_add_i32 s5, s4, 1
	s_sub_i32 s11, s7, s14
	s_cmp_ge_u32 s7, s14
	s_cselect_b32 s4, s5, s4
	s_cselect_b32 s7, s11, s7
	s_add_i32 s5, s4, 1
	s_cmp_ge_u32 s7, s14
	s_cselect_b32 s24, s5, s4
.LBB162_7:
	s_load_dwordx4 s[40:43], s[34:35], 0x380
	v_mov_b32_e32 v1, s12
	v_mov_b32_e32 v2, s13
	v_cmp_lt_u64_e32 vcc, s[24:25], v[1:2]
	s_cbranch_vccnz .LBB162_9
; %bb.8:
	v_cvt_f32_u32_e32 v1, s12
	s_sub_i32 s4, 0, s12
	v_rcp_iflag_f32_e32 v1, v1
	v_mul_f32_e32 v1, 0x4f7ffffe, v1
	v_cvt_u32_f32_e32 v1, v1
	v_readfirstlane_b32 s5, v1
	s_mul_i32 s4, s4, s5
	s_mul_hi_u32 s4, s5, s4
	s_add_i32 s5, s5, s4
	s_mul_hi_u32 s4, s24, s5
	s_mul_i32 s7, s4, s12
	s_sub_i32 s7, s24, s7
	s_add_i32 s5, s4, 1
	s_sub_i32 s11, s7, s12
	s_cmp_ge_u32 s7, s12
	s_cselect_b32 s4, s5, s4
	s_cselect_b32 s7, s11, s7
	s_add_i32 s5, s4, 1
	s_cmp_ge_u32 s7, s12
	s_cselect_b32 s4, s5, s4
	v_writelane_b32 v45, s4, 0
	v_writelane_b32 v45, s5, 1
.LBB162_9:
	v_writelane_b32 v45, s12, 2
	v_writelane_b32 v45, s13, 3
	;; [unrolled: 1-line block ×4, first 2 shown]
	s_load_dwordx2 s[20:21], s[34:35], 0xe0
	s_load_dwordx4 s[12:15], s[34:35], 0xd0
	s_waitcnt lgkmcnt(0)
	v_mov_b32_e32 v1, s42
	v_mov_b32_e32 v2, s43
	v_cmp_lt_u64_e32 vcc, s[36:37], v[1:2]
	s_mov_b64 s[4:5], 0
	v_writelane_b32 v45, s4, 6
	s_mov_b64 s[26:27], 0
	v_writelane_b32 v45, s5, 7
	s_cbranch_vccnz .LBB162_11
; %bb.10:
	v_cvt_f32_u32_e32 v1, s42
	s_sub_i32 s4, 0, s42
	s_mov_b32 s27, 0
	v_rcp_iflag_f32_e32 v1, v1
	v_mul_f32_e32 v1, 0x4f7ffffe, v1
	v_cvt_u32_f32_e32 v1, v1
	v_readfirstlane_b32 s5, v1
	s_mul_i32 s4, s4, s5
	s_mul_hi_u32 s4, s5, s4
	s_add_i32 s5, s5, s4
	s_mul_hi_u32 s4, s36, s5
	s_mul_i32 s7, s4, s42
	s_sub_i32 s7, s36, s7
	s_add_i32 s5, s4, 1
	s_sub_i32 s11, s7, s42
	s_cmp_ge_u32 s7, s42
	s_cselect_b32 s4, s5, s4
	s_cselect_b32 s7, s11, s7
	s_add_i32 s5, s4, 1
	s_cmp_ge_u32 s7, s42
	s_cselect_b32 s26, s5, s4
.LBB162_11:
	s_load_dwordx2 s[4:5], s[34:35], 0x450
	s_load_dwordx4 s[28:31], s[34:35], 0x440
	v_writelane_b32 v45, s24, 8
	v_writelane_b32 v45, s25, 9
	v_mov_b32_e32 v1, s40
	s_waitcnt lgkmcnt(0)
	v_writelane_b32 v45, s4, 10
	v_writelane_b32 v45, s5, 11
	;; [unrolled: 1-line block ×4, first 2 shown]
	s_load_dwordx2 s[4:5], s[34:35], 0x2a8
	v_writelane_b32 v45, s30, 14
	v_writelane_b32 v45, s31, 15
	s_load_dwordx4 s[28:31], s[34:35], 0x298
	v_mov_b32_e32 v2, s41
	s_waitcnt lgkmcnt(0)
	v_writelane_b32 v45, s4, 16
	v_writelane_b32 v45, s5, 17
	;; [unrolled: 1-line block ×6, first 2 shown]
	s_load_dwordx2 s[28:29], s[34:35], 0x0
	v_writelane_b32 v45, s26, 22
	v_cmp_lt_u64_e32 vcc, s[26:27], v[1:2]
	v_writelane_b32 v45, s27, 23
	s_cbranch_vccnz .LBB162_13
; %bb.12:
	v_cvt_f32_u32_e32 v1, s40
	s_sub_i32 s4, 0, s40
	v_readlane_b32 s24, v45, 22
	v_readlane_b32 s25, v45, 23
	v_rcp_iflag_f32_e32 v1, v1
	v_mul_f32_e32 v1, 0x4f7ffffe, v1
	v_cvt_u32_f32_e32 v1, v1
	v_readfirstlane_b32 s5, v1
	s_mul_i32 s4, s4, s5
	s_mul_hi_u32 s4, s5, s4
	s_add_i32 s5, s5, s4
	s_mul_hi_u32 s4, s24, s5
	s_mul_i32 s7, s4, s40
	s_sub_i32 s7, s24, s7
	s_add_i32 s5, s4, 1
	s_sub_i32 s11, s7, s40
	s_cmp_ge_u32 s7, s40
	s_cselect_b32 s4, s5, s4
	s_cselect_b32 s7, s11, s7
	s_add_i32 s5, s4, 1
	s_cmp_ge_u32 s7, s40
	s_cselect_b32 s4, s5, s4
	v_writelane_b32 v45, s4, 6
	v_writelane_b32 v45, s5, 7
.LBB162_13:
	s_load_dwordx2 s[4:5], s[34:35], 0x370
	v_writelane_b32 v45, s40, 24
	v_writelane_b32 v45, s41, 25
	;; [unrolled: 1-line block ×4, first 2 shown]
	s_waitcnt lgkmcnt(0)
	v_writelane_b32 v45, s4, 28
	v_writelane_b32 v45, s5, 29
	s_load_dwordx2 s[4:5], s[34:35], 0x1c8
	s_load_dwordx4 s[24:27], s[34:35], 0x1a0
	s_mov_b32 s65, 0
	v_cmp_eq_u32_e64 s[30:31], 0, v0
	s_waitcnt lgkmcnt(0)
	v_writelane_b32 v45, s4, 30
	v_writelane_b32 v45, s5, 31
	s_mov_b64 s[4:5], exec
	v_writelane_b32 v45, s30, 32
	v_writelane_b32 v45, s31, 33
	s_and_b64 s[30:31], s[4:5], s[30:31]
	s_mov_b64 exec, s[30:31]
	s_cbranch_execz .LBB162_15
; %bb.14:
	v_mov_b32_e32 v1, 0
	v_mov_b32_e32 v3, s24
	;; [unrolled: 1-line block ×4, first 2 shown]
	ds_write_b32 v1, v1 offset:5144
	ds_write_b128 v1, v[1:4] offset:5120
.LBB162_15:
	s_or_b64 exec, exec, s[4:5]
	s_mul_i32 s1, s10, s1
	s_mul_hi_u32 s4, s10, s0
	s_add_i32 s4, s4, s1
	s_mul_i32 s0, s10, s0
	s_sub_u32 s0, s8, s0
	s_subb_u32 s1, s9, s4
	s_mul_i32 s4, s0, s15
	s_mul_hi_u32 s5, s0, s14
	s_add_i32 s4, s5, s4
	s_mul_i32 s1, s1, s14
	s_add_i32 s1, s4, s1
	s_mul_i32 s4, s10, s13
	s_mul_hi_u32 s5, s10, s12
	s_mul_i32 s3, s8, s3
	s_mul_hi_u32 s7, s8, s2
	s_add_i32 s5, s5, s4
	s_add_i32 s7, s7, s3
	s_mul_i32 s2, s8, s2
	s_mov_b32 s8, s36
	v_writelane_b32 v45, s8, 34
	s_sub_u32 s2, s36, s2
	v_writelane_b32 v45, s9, 35
	s_subb_u32 s3, 0, s7
	s_mul_i32 s7, s2, s21
	s_mul_hi_u32 s8, s2, s20
	s_mul_i32 s4, s10, s12
	s_add_i32 s7, s8, s7
	s_mul_i32 s3, s3, s20
	s_add_i32 s3, s7, s3
	s_lshl_b64 s[4:5], s[4:5], 3
	s_mul_i32 s0, s0, s14
	s_add_u32 s4, s28, s4
	s_addc_u32 s5, s29, s5
	s_lshl_b64 s[0:1], s[0:1], 3
	v_writelane_b32 v45, s34, 36
	s_load_dword s7, s[34:35], 0x1b0
	s_mul_i32 s2, s2, s20
	s_add_u32 s4, s4, s0
	s_addc_u32 s5, s5, s1
	s_lshl_b64 s[0:1], s[2:3], 3
	s_add_u32 s33, s4, s0
	s_addc_u32 s66, s5, s1
	s_waitcnt lgkmcnt(0)
	s_bitcmp1_b32 s7, 0
	v_writelane_b32 v45, s35, 37
	s_cselect_b64 s[0:1], -1, 0
	v_writelane_b32 v45, s0, 38
	v_mbcnt_lo_u32_b32 v1, -1, 0
	v_writelane_b32 v45, s1, 39
	s_xor_b64 s[0:1], s[0:1], -1
	v_mbcnt_hi_u32_b32 v35, -1, v1
	v_writelane_b32 v45, s0, 40
	v_cmp_gt_u32_e32 vcc, 64, v0
	v_cmp_gt_i32_e64 s[10:11], 4, v35
	v_mad_u64_u32 v[2:3], s[2:3], s22, v0, 0
	v_writelane_b32 v45, s1, 41
	v_mov_b32_e32 v4, 0x180
	s_and_b64 s[2:3], vcc, s[10:11]
	v_mov_b32_e32 v5, 0
	v_writelane_b32 v45, s2, 42
	v_writelane_b32 v45, s3, 43
	v_cmp_gt_u64_e64 s[2:3], s[24:25], v[4:5]
	v_mov_b32_e32 v1, v3
	v_writelane_b32 v45, s2, 44
	v_mov_b32_e32 v19, 0
	v_writelane_b32 v45, s3, 45
	v_mad_u64_u32 v[3:4], s[2:3], s23, v0, v[1:2]
	v_mov_b32_e32 v1, v19
	v_cmp_gt_u64_e64 s[2:3], s[24:25], v[0:1]
	v_writelane_b32 v45, s2, 46
	v_writelane_b32 v45, s3, 47
	v_cmp_gt_u32_e64 s[2:3], 2, v0
	v_writelane_b32 v45, s2, 48
	s_barrier
	v_writelane_b32 v45, s3, 49
	s_load_dword s2, s[16:17], 0xc
	v_lshlrev_b64 v[2:3], 3, v[2:3]
	v_mov_b32_e32 v4, s66
	v_add_co_u32_e32 v16, vcc, s33, v2
	s_waitcnt lgkmcnt(0)
	s_and_b32 s67, s2, 0xffff
	s_bfe_u32 s2, s2, 0xa0006
	s_cmp_gt_u32 s67, 63
	s_cselect_b64 s[4:5], -1, 0
	v_writelane_b32 v45, s4, 50
	s_add_u32 s3, s67, -1
	v_writelane_b32 v45, s5, 51
	s_addc_u32 s4, 0, -1
	v_writelane_b32 v45, s3, 52
	s_add_u32 s3, s3, s24
	s_addc_u32 s73, s4, s25
	s_cmp_lt_u32 s6, s18
	v_writelane_b32 v45, s3, 53
	s_cselect_b32 s3, 12, 18
	v_writelane_b32 v45, s4, 54
	s_add_u32 s4, s16, s3
	s_addc_u32 s5, s17, 0
	v_writelane_b32 v45, s4, 55
	s_add_i32 s3, s2, -1
	v_writelane_b32 v45, s5, 56
	s_bfe_u32 s4, s67, 0x30006
	s_and_b32 s3, s3, 0xffff
	v_addc_co_u32_e32 v17, vcc, v4, v3, vcc
	v_lshlrev_b64 v[2:3], v35, -1
	s_cmp_gt_u32 s3, 6
	s_cselect_b64 s[6:7], -1, 0
	v_not_b32_e32 v34, v2
	v_lshrrev_b32_e32 v2, 1, v0
	v_writelane_b32 v45, s6, 57
	s_and_b32 s69, s2, 0x3f8
	v_and_b32_e32 v2, 0x1e0, v2
	v_writelane_b32 v45, s7, 58
	s_cmp_lg_u32 s4, 0
	v_lshlrev_b32_e32 v36, 3, v0
	v_lshlrev_b32_e32 v4, 2, v35
	v_or_b32_e32 v38, 0xc00, v2
	v_writelane_b32 v45, s4, 59
	s_cselect_b64 s[2:3], -1, 0
	v_mov_b32_e32 v2, 0xc00
	v_mov_b32_e32 v6, 0
	;; [unrolled: 1-line block ×5, first 2 shown]
	v_cmp_eq_u32_e64 s[0:1], 0, v35
	v_lshlrev_b32_e32 v20, 2, v0
	v_mov_b32_e32 v21, v19
	v_add_u32_e32 v37, 0xc00, v36
	v_and_b32_e32 v32, 0x100, v4
	v_not_b32_e32 v33, v3
	v_writelane_b32 v45, s2, 60
	v_lshlrev_b32_e32 v39, 5, v0
	v_lshl_or_b32 v40, v35, 3, v2
	s_lshl_b32 s74, s67, 3
	s_mov_b32 s75, 62
	s_mov_b64 s[80:81], 0
	v_mov_b32_e32 v7, 0
	v_mov_b32_e32 v27, s27
	;; [unrolled: 1-line block ×5, first 2 shown]
	s_mov_b32 s68, 0
	v_mov_b32_e32 v2, 1
	v_writelane_b32 v45, s3, 61
                                        ; implicit-def: $sgpr82_sgpr83
                                        ; implicit-def: $sgpr84_sgpr85
                                        ; implicit-def: $sgpr88_sgpr89
                                        ; implicit-def: $sgpr90_sgpr91
                                        ; implicit-def: $sgpr86_sgpr87
                                        ; implicit-def: $sgpr92_sgpr93
                                        ; implicit-def: $sgpr94_sgpr95
                                        ; implicit-def: $sgpr58_sgpr59
                                        ; implicit-def: $sgpr60_sgpr61
                                        ; implicit-def: $sgpr56_sgpr57
	s_branch .LBB162_18
.LBB162_16:                             ;   in Loop: Header=BB162_18 Depth=1
	s_or_b64 exec, exec, s[8:9]
	s_andn2_b64 s[8:9], s[56:57], exec
	s_and_b64 s[6:7], s[6:7], exec
	v_mov_b32_e32 v26, v28
	s_or_b64 s[56:57], s[8:9], s[6:7]
	s_andn2_b64 s[60:61], s[60:61], exec
	s_andn2_b64 s[58:59], s[58:59], exec
	;; [unrolled: 1-line block ×4, first 2 shown]
	s_orn2_b64 s[4:5], s[4:5], exec
	v_mov_b32_e32 v27, v29
.LBB162_17:                             ;   in Loop: Header=BB162_18 Depth=1
	s_or_b64 exec, exec, s[2:3]
	s_and_b64 s[2:3], exec, s[4:5]
	s_or_b64 s[80:81], s[2:3], s[80:81]
	s_andn2_b64 s[2:3], s[86:87], exec
	s_and_b64 s[4:5], s[56:57], exec
	s_or_b64 s[86:87], s[2:3], s[4:5]
	s_andn2_b64 s[2:3], s[90:91], exec
	s_and_b64 s[4:5], s[60:61], exec
	;; [unrolled: 3-line block ×5, first 2 shown]
	s_or_b64 s[82:83], s[2:3], s[4:5]
	s_andn2_b64 exec, exec, s[80:81]
	s_cbranch_execz .LBB162_477
.LBB162_18:                             ; =>This Loop Header: Depth=1
                                        ;     Child Loop BB162_24 Depth 2
                                        ;     Child Loop BB162_37 Depth 2
	;; [unrolled: 1-line block ×24, first 2 shown]
	ds_read_b128 v[8:11], v19 offset:5120
	s_waitcnt lgkmcnt(0)
	v_readfirstlane_b32 s3, v9
	v_readfirstlane_b32 s2, v8
	s_cmp_lg_u64 s[2:3], 0
	s_cbranch_scc1 .LBB162_45
; %bb.19:                               ;   in Loop: Header=BB162_18 Depth=1
	v_readlane_b32 s2, v45, 44
	v_readlane_b32 s3, v45, 45
	s_and_b64 vcc, exec, s[2:3]
	s_cbranch_vccz .LBB162_32
; %bb.20:                               ;   in Loop: Header=BB162_18 Depth=1
	s_mov_b64 s[2:3], 0x181
	v_cmp_gt_u64_e32 vcc, s[2:3], v[10:11]
	s_mov_b64 s[2:3], 0
	s_mov_b64 s[4:5], 0
	s_cbranch_vccz .LBB162_33
; %bb.21:                               ;   in Loop: Header=BB162_18 Depth=1
	s_mov_b64 s[8:9], exec
	v_readlane_b32 s4, v45, 46
	v_readlane_b32 s5, v45, 47
	s_and_b64 s[4:5], s[8:9], s[4:5]
	s_mov_b64 exec, s[4:5]
	s_cbranch_execz .LBB162_100
; %bb.22:                               ;   in Loop: Header=BB162_18 Depth=1
	v_readlane_b32 s4, v45, 55
	v_readlane_b32 s5, v45, 56
	global_load_dwordx2 v[3:4], v[16:17], off
	v_mov_b32_e32 v9, v1
	s_mov_b64 s[10:11], 0
	v_mov_b32_e32 v8, v0
	s_nop 0
	global_load_ushort v5, v19, s[4:5]
	s_branch .LBB162_24
.LBB162_23:                             ;   in Loop: Header=BB162_24 Depth=2
	s_or_b64 exec, exec, s[4:5]
	s_waitcnt vmcnt(0)
	v_mov_b32_e32 v3, v10
	v_mov_b32_e32 v4, v11
	s_andn2_b64 exec, exec, s[10:11]
	s_cbranch_execz .LBB162_100
.LBB162_24:                             ;   Parent Loop BB162_18 Depth=1
                                        ; =>  This Inner Loop Header: Depth=2
	s_waitcnt vmcnt(0)
	v_add_co_u32_sdwa v8, vcc, v8, v5 dst_sel:DWORD dst_unused:UNUSED_PAD src0_sel:DWORD src1_sel:WORD_0
	v_addc_co_u32_e32 v9, vcc, 0, v9, vcc
	v_cmp_gt_u64_e64 s[6:7], s[24:25], v[8:9]
	v_cmp_le_u64_e32 vcc, s[24:25], v[8:9]
	v_mov_b32_e32 v10, 0
	v_mov_b32_e32 v11, 0
	s_and_saveexec_b64 s[4:5], s[6:7]
	s_cbranch_execz .LBB162_26
; %bb.25:                               ;   in Loop: Header=BB162_24 Depth=2
	s_waitcnt lgkmcnt(0)
	v_mul_lo_u32 v12, v9, s22
	v_mul_lo_u32 v13, v8, s23
	v_mad_u64_u32 v[10:11], s[6:7], v8, s22, 0
	v_add3_u32 v11, v11, v13, v12
	v_lshlrev_b64 v[10:11], 3, v[10:11]
	v_mov_b32_e32 v12, s66
	v_add_co_u32_e64 v10, s[6:7], s33, v10
	v_addc_co_u32_e64 v11, s[6:7], v12, v11, s[6:7]
	global_load_dwordx2 v[10:11], v[10:11], off
.LBB162_26:                             ;   in Loop: Header=BB162_24 Depth=2
	s_or_b64 exec, exec, s[4:5]
	s_waitcnt lgkmcnt(0)
	v_xor_b32_e32 v12, 0x80000000, v4
	v_and_b32_e32 v13, v12, v25
	v_and_b32_e32 v12, v3, v24
	v_cmp_eq_u64_e64 s[14:15], v[12:13], v[22:23]
	v_mov_b32_e32 v12, 0
	s_cmp_lg_u64 s[14:15], 0
	s_cselect_b64 s[4:5], -1, 0
	s_and_b64 s[6:7], s[0:1], s[4:5]
	s_and_saveexec_b64 s[4:5], s[6:7]
	s_cbranch_execz .LBB162_30
; %bb.27:                               ;   in Loop: Header=BB162_24 Depth=2
	s_mov_b64 s[16:17], exec
	v_mbcnt_lo_u32_b32 v12, s16, 0
	v_mbcnt_hi_u32_b32 v12, s17, v12
	s_bcnt1_i32_b64 s18, s[14:15]
	v_cmp_eq_u32_e64 s[6:7], 0, v12
                                        ; implicit-def: $vgpr13
	s_and_saveexec_b64 s[12:13], s[6:7]
; %bb.28:                               ;   in Loop: Header=BB162_24 Depth=2
	s_bcnt1_i32_b64 s6, s[16:17]
	s_mul_i32 s6, s18, s6
	v_mov_b32_e32 v13, s6
	ds_add_rtn_u32 v13, v19, v13 offset:5144
; %bb.29:                               ;   in Loop: Header=BB162_24 Depth=2
	s_or_b64 exec, exec, s[12:13]
	s_waitcnt lgkmcnt(0)
	v_readfirstlane_b32 s6, v13
	v_mov_b32_e32 v13, s6
	v_mad_u32_u24 v12, s18, v12, v13
.LBB162_30:                             ;   in Loop: Header=BB162_24 Depth=2
	s_or_b64 exec, exec, s[4:5]
	ds_bpermute_b32 v12, v32, v12
	s_and_b64 s[4:5], exec, vcc
	s_or_b64 s[10:11], s[4:5], s[10:11]
	s_and_saveexec_b64 s[4:5], s[14:15]
	s_cbranch_execz .LBB162_23
; %bb.31:                               ;   in Loop: Header=BB162_24 Depth=2
	v_and_b32_e32 v14, s14, v34
	v_and_b32_e32 v13, s15, v33
	v_bcnt_u32_b32 v14, v14, 0
	v_bcnt_u32_b32 v13, v13, v14
	v_lshlrev_b32_e32 v13, 3, v13
	s_waitcnt lgkmcnt(0)
	v_lshl_add_u32 v12, v12, 3, v13
	ds_write_b64 v12, v[3:4]
	s_branch .LBB162_23
.LBB162_32:                             ;   in Loop: Header=BB162_18 Depth=1
	s_mov_b64 s[2:3], -1
	s_mov_b64 s[4:5], 0
.LBB162_33:                             ;   in Loop: Header=BB162_18 Depth=1
	s_and_b64 vcc, exec, s[2:3]
	s_cbranch_vccz .LBB162_43
.LBB162_34:                             ;   in Loop: Header=BB162_18 Depth=1
	s_mov_b64 s[2:3], exec
	v_readlane_b32 s4, v45, 46
	v_readlane_b32 s5, v45, 47
	s_and_b64 s[4:5], s[2:3], s[4:5]
	s_mov_b64 exec, s[4:5]
	s_cbranch_execz .LBB162_40
; %bb.35:                               ;   in Loop: Header=BB162_18 Depth=1
	v_readlane_b32 s4, v45, 55
	v_readlane_b32 s5, v45, 56
	s_nop 4
	global_load_ushort v5, v19, s[4:5]
	global_load_dwordx2 v[3:4], v[16:17], off
	v_mov_b32_e32 v8, v0
	s_waitcnt vmcnt(1)
	v_and_b32_e32 v5, 0xffff, v5
	v_add_u32_e32 v18, v5, v0
	v_cmp_gt_u64_e32 vcc, s[24:25], v[18:19]
	s_and_saveexec_b64 s[4:5], vcc
	s_cbranch_execz .LBB162_39
; %bb.36:                               ;   in Loop: Header=BB162_18 Depth=1
	v_mov_b32_e32 v12, v18
	v_mov_b32_e32 v9, v1
	s_mov_b64 s[6:7], 0
	v_mov_b32_e32 v13, v19
	v_mov_b32_e32 v8, v0
.LBB162_37:                             ;   Parent Loop BB162_18 Depth=1
                                        ; =>  This Inner Loop Header: Depth=2
	v_mov_b32_e32 v15, v13
	v_mov_b32_e32 v14, v12
	v_mul_lo_u32 v11, v15, s22
	v_mul_lo_u32 v12, v14, s23
	v_mad_u64_u32 v[9:10], s[8:9], v14, s22, 0
	v_mov_b32_e32 v13, s66
	v_lshlrev_b32_e32 v8, 3, v8
	v_add3_u32 v10, v10, v12, v11
	v_lshlrev_b64 v[9:10], 3, v[9:10]
	s_waitcnt vmcnt(0)
	ds_write_b64 v8, v[3:4]
	v_add_co_u32_e32 v9, vcc, s33, v9
	v_addc_co_u32_e32 v10, vcc, v13, v10, vcc
	global_load_dwordx2 v[10:11], v[9:10], off
	v_add_co_u32_e32 v12, vcc, v14, v5
	v_addc_co_u32_e32 v13, vcc, 0, v15, vcc
	v_cmp_le_u64_e32 vcc, s[24:25], v[12:13]
	v_mov_b32_e32 v8, v14
	s_or_b64 s[6:7], vcc, s[6:7]
	v_mov_b32_e32 v9, v15
	s_waitcnt vmcnt(0)
	v_mov_b32_e32 v3, v10
	v_mov_b32_e32 v4, v11
	s_andn2_b64 exec, exec, s[6:7]
	s_cbranch_execnz .LBB162_37
; %bb.38:                               ;   in Loop: Header=BB162_18 Depth=1
	s_or_b64 exec, exec, s[6:7]
	v_mov_b32_e32 v3, v10
	v_sub_u32_e32 v8, v12, v5
	v_mov_b32_e32 v4, v11
.LBB162_39:                             ;   in Loop: Header=BB162_18 Depth=1
	s_or_b64 exec, exec, s[4:5]
	v_lshlrev_b32_e32 v5, 3, v8
	s_waitcnt vmcnt(0)
	ds_write_b64 v5, v[3:4]
.LBB162_40:                             ;   in Loop: Header=BB162_18 Depth=1
	s_or_b64 exec, exec, s[2:3]
	s_waitcnt lgkmcnt(0)
	s_barrier
	s_mov_b64 s[2:3], exec
	v_readlane_b32 s4, v45, 32
	v_readlane_b32 s5, v45, 33
	s_and_b64 s[4:5], s[2:3], s[4:5]
	s_mov_b64 exec, s[4:5]
; %bb.41:                               ;   in Loop: Header=BB162_18 Depth=1
	v_mov_b32_e32 v3, s24
	v_mov_b32_e32 v4, s25
	ds_write_b64 v19, v[3:4] offset:5120
; %bb.42:                               ;   in Loop: Header=BB162_18 Depth=1
	s_or_b64 exec, exec, s[2:3]
	s_mov_b64 s[4:5], -1
	s_waitcnt lgkmcnt(0)
	s_barrier
.LBB162_43:                             ;   in Loop: Header=BB162_18 Depth=1
	s_mov_b64 s[2:3], 0
	s_and_b64 vcc, exec, s[4:5]
	s_cbranch_vccz .LBB162_45
; %bb.44:                               ;   in Loop: Header=BB162_18 Depth=1
	ds_read_b64 v[3:4], v19 offset:5120
	s_waitcnt lgkmcnt(0)
	v_readfirstlane_b32 s2, v3
.LBB162_45:                             ;   in Loop: Header=BB162_18 Depth=1
	s_cmp_lt_i32 s2, 1
	s_mov_b64 s[4:5], -1
                                        ; implicit-def: $vgpr14_vgpr15
                                        ; implicit-def: $vgpr10_vgpr11
	s_cbranch_scc1 .LBB162_55
; %bb.46:                               ;   in Loop: Header=BB162_18 Depth=1
	s_and_b64 vcc, exec, s[4:5]
	s_cbranch_vccnz .LBB162_69
.LBB162_47:                             ;   in Loop: Header=BB162_18 Depth=1
	s_lshl_b32 s4, s68, 6
	s_and_saveexec_b64 s[2:3], s[0:1]
	s_cbranch_execz .LBB162_49
.LBB162_48:                             ;   in Loop: Header=BB162_18 Depth=1
	v_lshl_add_u32 v3, s4, 3, v38
	ds_write_b128 v3, v[8:11]
	ds_write_b128 v3, v[12:15] offset:16
.LBB162_49:                             ;   in Loop: Header=BB162_18 Depth=1
	s_or_b64 exec, exec, s[2:3]
	s_waitcnt lgkmcnt(0)
	s_barrier
	s_mov_b64 s[2:3], exec
	v_readlane_b32 s6, v45, 42
	v_readlane_b32 s7, v45, 43
	s_and_b64 s[6:7], s[2:3], s[6:7]
	s_mov_b64 exec, s[6:7]
	s_cbranch_execz .LBB162_84
; %bb.50:                               ;   in Loop: Header=BB162_18 Depth=1
	v_readlane_b32 s6, v45, 50
	v_mov_b32_e32 v3, 0
	v_readlane_b32 s7, v45, 51
	v_mov_b32_e32 v4, 0
	s_andn2_b64 vcc, exec, s[6:7]
	s_cbranch_vccnz .LBB162_83
; %bb.51:                               ;   in Loop: Header=BB162_18 Depth=1
	v_readlane_b32 s6, v45, 57
	v_readlane_b32 s7, v45, 58
	s_andn2_b64 vcc, exec, s[6:7]
	s_cbranch_vccnz .LBB162_79
; %bb.52:                               ;   in Loop: Header=BB162_18 Depth=1
	v_mov_b32_e32 v3, 0
	v_lshl_add_u32 v5, s68, 9, v40
	v_mov_b32_e32 v4, 0
	s_mov_b32 s5, 0
.LBB162_53:                             ;   Parent Loop BB162_18 Depth=1
                                        ; =>  This Inner Loop Header: Depth=2
	ds_read2_b64 v[8:11], v5 offset1:4
	s_add_i32 s5, s5, 8
	s_cmp_eq_u32 s69, s5
	s_waitcnt lgkmcnt(0)
	v_add_co_u32_e32 v3, vcc, v8, v3
	v_addc_co_u32_e32 v4, vcc, v9, v4, vcc
	v_add_co_u32_e32 v3, vcc, v10, v3
	v_addc_co_u32_e32 v4, vcc, v11, v4, vcc
	ds_read2_b64 v[8:11], v5 offset0:8 offset1:12
	s_waitcnt lgkmcnt(0)
	v_add_co_u32_e32 v3, vcc, v8, v3
	v_addc_co_u32_e32 v4, vcc, v9, v4, vcc
	v_add_co_u32_e32 v3, vcc, v10, v3
	v_addc_co_u32_e32 v4, vcc, v11, v4, vcc
	ds_read2_b64 v[8:11], v5 offset0:16 offset1:20
	;; [unrolled: 6-line block ×3, first 2 shown]
	v_add_u32_e32 v5, 0x100, v5
	s_waitcnt lgkmcnt(0)
	v_add_co_u32_e32 v3, vcc, v8, v3
	v_addc_co_u32_e32 v4, vcc, v9, v4, vcc
	v_add_co_u32_e32 v3, vcc, v10, v3
	v_addc_co_u32_e32 v4, vcc, v11, v4, vcc
	s_cbranch_scc0 .LBB162_53
; %bb.54:                               ;   in Loop: Header=BB162_18 Depth=1
	s_mov_b32 s5, s69
	s_branch .LBB162_80
.LBB162_55:                             ;   in Loop: Header=BB162_18 Depth=1
	v_readlane_b32 s4, v45, 55
	v_readlane_b32 s5, v45, 56
	s_nop 4
	global_load_ushort v5, v19, s[4:5]
	s_mov_b32 s4, s65
	s_mov_b32 s5, s25
	s_waitcnt vmcnt(0)
	v_readfirstlane_b32 s3, v5
	s_and_b32 s3, 0xffff, s3
	s_lshl_b32 s3, s3, 2
	s_cmp_lg_u64 s[4:5], 0
	s_cbranch_scc0 .LBB162_78
; %bb.56:                               ;   in Loop: Header=BB162_18 Depth=1
	v_cvt_f32_u32_e32 v3, s3
	s_sub_u32 s6, 0, s3
	s_subb_u32 s7, 0, 0
	v_mac_f32_e32 v3, 0, v41
	v_rcp_f32_e32 v3, v3
	v_mul_f32_e32 v3, 0x5f7ffffc, v3
	v_mul_f32_e32 v4, 0x2f800000, v3
	v_trunc_f32_e32 v4, v4
	v_mac_f32_e32 v3, 0xcf800000, v4
	v_cvt_u32_f32_e32 v4, v4
	v_cvt_u32_f32_e32 v3, v3
	v_readfirstlane_b32 s8, v4
	v_readfirstlane_b32 s4, v3
	s_mul_i32 s5, s6, s8
	s_mul_hi_u32 s10, s6, s4
	s_mul_i32 s9, s7, s4
	s_add_i32 s5, s10, s5
	s_mul_i32 s11, s6, s4
	s_add_i32 s5, s5, s9
	s_mul_hi_u32 s10, s4, s11
	s_mul_i32 s12, s4, s5
	s_mul_hi_u32 s9, s4, s5
	s_add_u32 s10, s10, s12
	s_addc_u32 s9, 0, s9
	s_mul_hi_u32 s13, s8, s11
	s_mul_i32 s11, s8, s11
	s_add_u32 s10, s10, s11
	s_mul_hi_u32 s12, s8, s5
	s_addc_u32 s9, s9, s13
	s_addc_u32 s10, s12, 0
	s_mul_i32 s5, s8, s5
	s_add_u32 s5, s9, s5
	s_addc_u32 s9, 0, s10
	s_add_u32 s10, s4, s5
	s_cselect_b64 s[4:5], -1, 0
	s_cmp_lg_u64 s[4:5], 0
	s_addc_u32 s8, s8, s9
	s_mul_i32 s4, s6, s8
	s_mul_hi_u32 s5, s6, s10
	s_add_i32 s4, s5, s4
	s_mul_i32 s7, s7, s10
	s_add_i32 s4, s4, s7
	s_mul_i32 s6, s6, s10
	s_mul_hi_u32 s7, s8, s6
	s_mul_i32 s9, s8, s6
	s_mul_i32 s12, s10, s4
	s_mul_hi_u32 s6, s10, s6
	s_mul_hi_u32 s11, s10, s4
	s_add_u32 s6, s6, s12
	s_addc_u32 s11, 0, s11
	s_add_u32 s6, s6, s9
	s_mul_hi_u32 s5, s8, s4
	s_addc_u32 s6, s11, s7
	s_addc_u32 s5, s5, 0
	s_mul_i32 s4, s8, s4
	s_add_u32 s4, s6, s4
	s_addc_u32 s6, 0, s5
	s_add_u32 s7, s10, s4
	s_cselect_b64 s[4:5], -1, 0
	s_cmp_lg_u64 s[4:5], 0
	s_addc_u32 s4, s8, s6
	s_mul_i32 s6, s24, s4
	s_mul_hi_u32 s8, s24, s7
	s_mul_hi_u32 s5, s24, s4
	s_add_u32 s6, s8, s6
	s_addc_u32 s5, 0, s5
	s_mul_hi_u32 s9, s25, s7
	s_mul_i32 s7, s25, s7
	s_add_u32 s6, s6, s7
	s_mul_hi_u32 s8, s25, s4
	s_addc_u32 s5, s5, s9
	s_addc_u32 s6, s8, 0
	s_mul_i32 s4, s25, s4
	s_add_u32 s4, s5, s4
	s_addc_u32 s5, 0, s6
	s_mul_i32 s5, s3, s5
	s_mul_hi_u32 s6, s3, s4
	s_add_i32 s6, s6, s5
	s_mul_i32 s4, s3, s4
	s_sub_u32 s7, s24, s4
	s_cselect_b64 s[4:5], -1, 0
	s_cmp_lg_u64 s[4:5], 0
	s_subb_u32 s6, s25, s6
	s_sub_u32 s8, s7, s3
	s_cselect_b64 s[4:5], -1, 0
	s_cmp_lg_u64 s[4:5], 0
	s_subb_u32 s9, s6, 0
	;; [unrolled: 4-line block ×3, first 2 shown]
	s_cmp_ge_u32 s8, s3
	s_cselect_b32 s5, -1, 0
	s_cmp_eq_u32 s9, 0
	s_cselect_b32 s5, s5, -1
	s_cmp_lg_u32 s5, 0
	s_cselect_b32 s4, s4, s9
	s_cselect_b32 s8, s10, s8
	s_cmp_ge_u32 s7, s3
	s_cselect_b32 s5, -1, 0
	s_cmp_eq_u32 s6, 0
	s_cselect_b32 s5, s5, -1
	s_cmp_lg_u32 s5, 0
	s_cselect_b32 s5, s4, s6
	s_cselect_b32 s4, s8, s7
	s_cbranch_execnz .LBB162_58
.LBB162_57:                             ;   in Loop: Header=BB162_18 Depth=1
	v_cvt_f32_u32_e32 v3, s3
	s_sub_i32 s4, 0, s3
	v_rcp_iflag_f32_e32 v3, v3
	v_mul_f32_e32 v3, 0x4f7ffffe, v3
	v_cvt_u32_f32_e32 v3, v3
	v_readfirstlane_b32 s5, v3
	s_mul_i32 s4, s4, s5
	s_mul_hi_u32 s4, s5, s4
	s_add_i32 s5, s5, s4
	s_mul_hi_u32 s4, s24, s5
	s_mul_i32 s4, s4, s3
	s_sub_i32 s4, s24, s4
	s_sub_i32 s5, s4, s3
	s_cmp_ge_u32 s4, s3
	s_cselect_b32 s4, s5, s4
	s_sub_i32 s5, s4, s3
	s_cmp_ge_u32 s4, s3
	s_cselect_b32 s64, s5, s4
	s_mov_b64 s[4:5], s[64:65]
.LBB162_58:                             ;   in Loop: Header=BB162_18 Depth=1
	s_sub_u32 s28, s24, s4
	s_subb_u32 s29, s25, s5
	v_cmp_gt_u64_e32 vcc, s[28:29], v[20:21]
	v_mov_b32_e32 v8, 0
	v_mov_b32_e32 v10, 0
	;; [unrolled: 1-line block ×8, first 2 shown]
	s_and_saveexec_b64 s[30:31], vcc
	s_cbranch_execz .LBB162_62
; %bb.59:                               ;   in Loop: Header=BB162_18 Depth=1
	v_mov_b32_e32 v3, v20
	s_mov_b64 s[36:37], 0
	s_mov_b64 s[38:39], 0
	;; [unrolled: 1-line block ×5, first 2 shown]
	v_mov_b32_e32 v4, v21
.LBB162_60:                             ;   Parent Loop BB162_18 Depth=1
                                        ; =>  This Inner Loop Header: Depth=2
	v_mul_lo_u32 v10, v4, s22
	v_mul_lo_u32 v11, v3, s23
	v_mad_u64_u32 v[8:9], s[4:5], v3, s22, 0
	s_lshl_b64 s[4:5], s[22:23], 3
	v_add3_u32 v9, v9, v11, v10
	v_lshlrev_b64 v[8:9], 3, v[8:9]
	v_mov_b32_e32 v10, s66
	v_add_co_u32_e32 v8, vcc, s33, v8
	v_addc_co_u32_e32 v9, vcc, v10, v9, vcc
	global_load_dwordx2 v[14:15], v[8:9], off
	v_add_co_u32_e32 v8, vcc, s4, v8
	v_mov_b32_e32 v10, s5
	v_addc_co_u32_e32 v9, vcc, v9, v10, vcc
	global_load_dwordx2 v[28:29], v[8:9], off
	v_add_co_u32_e32 v8, vcc, s4, v8
	v_addc_co_u32_e32 v9, vcc, v9, v10, vcc
	global_load_dwordx2 v[12:13], v[8:9], off
	v_add_co_u32_e32 v8, vcc, s4, v8
	v_addc_co_u32_e32 v9, vcc, v9, v10, vcc
	global_load_dwordx2 v[10:11], v[8:9], off
	s_waitcnt vmcnt(3)
	v_xor_b32_e32 v15, 0x80000000, v15
	v_and_b32_e32 v9, v15, v25
	v_and_b32_e32 v8, v14, v24
	v_cmp_eq_u64_e32 vcc, v[8:9], v[22:23]
	s_waitcnt vmcnt(2)
	v_xor_b32_e32 v29, 0x80000000, v29
	v_and_b32_e32 v9, v29, v25
	v_and_b32_e32 v8, v28, v24
	v_cmp_eq_u64_e64 s[14:15], v[8:9], v[22:23]
	s_waitcnt vmcnt(1)
	v_xor_b32_e32 v13, 0x80000000, v13
	v_and_b32_e32 v9, v13, v25
	v_and_b32_e32 v8, v12, v24
	v_cmp_eq_u64_e64 s[16:17], v[8:9], v[22:23]
	v_lshrrev_b64 v[12:13], s75, v[12:13]
	s_waitcnt vmcnt(0)
	v_xor_b32_e32 v11, 0x80000000, v11
	v_and_b32_e32 v9, v11, v25
	v_and_b32_e32 v8, v10, v24
	v_cmp_eq_u64_e64 s[18:19], v[8:9], v[22:23]
	v_lshrrev_b64 v[8:9], s75, v[14:15]
	v_and_b32_e32 v12, 3, v12
	v_and_b32_e32 v18, 3, v8
	v_lshrrev_b64 v[8:9], s75, v[28:29]
	v_cmp_eq_u64_e64 s[6:7], 0, v[18:19]
	v_and_b32_e32 v8, 3, v8
	v_mov_b32_e32 v9, v19
	s_and_b64 s[4:5], vcc, s[6:7]
	v_cmp_eq_u64_e64 s[6:7], 0, v[8:9]
	v_mov_b32_e32 v13, v19
	v_lshrrev_b64 v[10:11], s75, v[10:11]
	s_and_b64 s[8:9], s[14:15], s[6:7]
	v_cmp_eq_u64_e64 s[6:7], 0, v[12:13]
	v_and_b32_e32 v10, 3, v10
	v_mov_b32_e32 v11, v19
	s_and_b64 s[10:11], s[16:17], s[6:7]
	v_cmp_eq_u64_e64 s[6:7], 0, v[10:11]
	v_cndmask_b32_e64 v14, 0, 1, s[4:5]
	s_and_b64 s[12:13], s[18:19], s[6:7]
	v_cmp_ne_u32_e64 s[6:7], 0, v14
	v_cndmask_b32_e64 v14, 0, 1, s[8:9]
	s_bcnt1_i32_b64 s4, s[6:7]
	v_cmp_ne_u32_e64 s[6:7], 0, v14
	v_cndmask_b32_e64 v14, 0, 1, s[10:11]
	s_bcnt1_i32_b64 s5, s[6:7]
	;; [unrolled: 3-line block ×3, first 2 shown]
	v_cmp_ne_u32_e64 s[6:7], 0, v14
	s_bcnt1_i32_b64 s6, s[6:7]
	s_add_u32 s4, s4, s44
	s_addc_u32 s7, 0, s45
	s_add_u32 s4, s4, s5
	s_addc_u32 s5, s7, 0
	;; [unrolled: 2-line block ×3, first 2 shown]
	s_add_u32 s44, s4, s6
	v_cmp_eq_u64_e64 s[6:7], 1, v[18:19]
	s_addc_u32 s45, s5, 0
	s_and_b64 s[4:5], vcc, s[6:7]
	v_cmp_eq_u64_e64 s[6:7], 1, v[8:9]
	v_cndmask_b32_e64 v14, 0, 1, s[4:5]
	s_and_b64 s[8:9], s[14:15], s[6:7]
	v_cmp_eq_u64_e64 s[6:7], 1, v[12:13]
	s_and_b64 s[10:11], s[16:17], s[6:7]
	v_cmp_eq_u64_e64 s[6:7], 1, v[10:11]
	s_and_b64 s[12:13], s[18:19], s[6:7]
	v_cmp_ne_u32_e64 s[6:7], 0, v14
	v_cndmask_b32_e64 v14, 0, 1, s[8:9]
	s_bcnt1_i32_b64 s4, s[6:7]
	v_cmp_ne_u32_e64 s[6:7], 0, v14
	v_cndmask_b32_e64 v14, 0, 1, s[10:11]
	s_bcnt1_i32_b64 s5, s[6:7]
	;; [unrolled: 3-line block ×3, first 2 shown]
	v_cmp_ne_u32_e64 s[6:7], 0, v14
	s_bcnt1_i32_b64 s6, s[6:7]
	s_add_u32 s4, s4, s42
	s_addc_u32 s7, 0, s43
	s_add_u32 s4, s4, s5
	s_addc_u32 s5, s7, 0
	;; [unrolled: 2-line block ×3, first 2 shown]
	s_add_u32 s42, s4, s6
	v_cmp_eq_u64_e64 s[6:7], 2, v[18:19]
	s_addc_u32 s43, s5, 0
	s_and_b64 s[4:5], vcc, s[6:7]
	v_cmp_eq_u64_e64 s[6:7], 2, v[8:9]
	v_cndmask_b32_e64 v14, 0, 1, s[4:5]
	s_and_b64 s[8:9], s[14:15], s[6:7]
	v_cmp_eq_u64_e64 s[6:7], 2, v[12:13]
	s_and_b64 s[10:11], s[16:17], s[6:7]
	v_cmp_eq_u64_e64 s[6:7], 2, v[10:11]
	s_and_b64 s[12:13], s[18:19], s[6:7]
	v_cmp_ne_u32_e64 s[6:7], 0, v14
	v_cndmask_b32_e64 v14, 0, 1, s[8:9]
	s_bcnt1_i32_b64 s4, s[6:7]
	v_cmp_ne_u32_e64 s[6:7], 0, v14
	v_cndmask_b32_e64 v14, 0, 1, s[10:11]
	s_bcnt1_i32_b64 s5, s[6:7]
	;; [unrolled: 3-line block ×3, first 2 shown]
	v_cmp_ne_u32_e64 s[6:7], 0, v14
	s_bcnt1_i32_b64 s6, s[6:7]
	s_add_u32 s4, s4, s40
	s_addc_u32 s7, 0, s41
	s_add_u32 s4, s4, s5
	s_addc_u32 s5, s7, 0
	;; [unrolled: 2-line block ×3, first 2 shown]
	s_add_u32 s40, s4, s6
	v_cmp_eq_u64_e64 s[6:7], 3, v[18:19]
	s_addc_u32 s41, s5, 0
	s_and_b64 s[4:5], vcc, s[6:7]
	v_cmp_eq_u64_e32 vcc, 3, v[8:9]
	v_cndmask_b32_e64 v8, 0, 1, s[4:5]
	s_and_b64 s[6:7], s[14:15], vcc
	v_cmp_eq_u64_e32 vcc, 3, v[12:13]
	v_mov_b32_e32 v12, s40
	s_and_b64 s[8:9], s[16:17], vcc
	v_cmp_eq_u64_e32 vcc, 3, v[10:11]
	v_mov_b32_e32 v10, s42
	s_and_b64 s[10:11], s[18:19], vcc
	v_cmp_ne_u32_e32 vcc, 0, v8
	v_cndmask_b32_e64 v8, 0, 1, s[6:7]
	s_bcnt1_i32_b64 s4, vcc
	v_cmp_ne_u32_e32 vcc, 0, v8
	v_cndmask_b32_e64 v8, 0, 1, s[8:9]
	s_bcnt1_i32_b64 s5, vcc
	;; [unrolled: 3-line block ×3, first 2 shown]
	v_cmp_ne_u32_e32 vcc, 0, v8
	s_bcnt1_i32_b64 s7, vcc
	s_add_u32 s4, s4, s38
	s_addc_u32 s8, 0, s39
	s_add_u32 s4, s4, s5
	s_addc_u32 s5, s8, 0
	s_add_u32 s4, s4, s6
	v_add_co_u32_e32 v3, vcc, s3, v3
	s_addc_u32 s5, s5, 0
	v_addc_co_u32_e32 v4, vcc, 0, v4, vcc
	s_add_u32 s38, s4, s7
	v_cmp_le_u64_e32 vcc, s[28:29], v[3:4]
	s_addc_u32 s39, s5, 0
	v_mov_b32_e32 v8, s44
	v_mov_b32_e32 v14, s38
	s_or_b64 s[36:37], vcc, s[36:37]
	v_mov_b32_e32 v9, s45
	v_mov_b32_e32 v11, s43
	;; [unrolled: 1-line block ×4, first 2 shown]
	s_andn2_b64 exec, exec, s[36:37]
	s_cbranch_execnz .LBB162_60
; %bb.61:                               ;   in Loop: Header=BB162_18 Depth=1
	s_or_b64 exec, exec, s[36:37]
.LBB162_62:                             ;   in Loop: Header=BB162_18 Depth=1
	s_or_b64 exec, exec, s[30:31]
	v_mov_b32_e32 v4, s29
	v_add_co_u32_e32 v3, vcc, s28, v0
	v_addc_co_u32_e32 v4, vcc, 0, v4, vcc
	v_cmp_gt_u64_e32 vcc, s[24:25], v[3:4]
	s_and_saveexec_b64 s[8:9], vcc
	s_cbranch_execz .LBB162_68
; %bb.63:                               ;   in Loop: Header=BB162_18 Depth=1
	v_mul_lo_u32 v18, v4, s22
	v_mul_lo_u32 v30, v3, s23
	v_mad_u64_u32 v[28:29], s[4:5], v3, s22, 0
	s_mov_b64 s[10:11], 0
	v_add3_u32 v29, v29, v30, v18
	v_lshlrev_b64 v[28:29], 3, v[28:29]
	v_mov_b32_e32 v18, s66
	v_add_co_u32_e32 v28, vcc, s33, v28
	v_addc_co_u32_e32 v29, vcc, v18, v29, vcc
	global_load_dwordx2 v[30:31], v[28:29], off
	s_branch .LBB162_65
.LBB162_64:                             ;   in Loop: Header=BB162_65 Depth=2
	s_or_b64 exec, exec, s[4:5]
	s_waitcnt vmcnt(0)
	v_xor_b32_e32 v31, 0x80000000, v31
	v_and_b32_e32 v43, v31, v25
	v_and_b32_e32 v42, v30, v24
	v_lshrrev_b64 v[30:31], s75, v[30:31]
	s_and_b64 s[4:5], exec, vcc
	v_and_b32_e32 v18, 3, v30
	v_cmp_eq_u64_e32 vcc, v[42:43], v[22:23]
	v_cmp_eq_u64_e64 s[6:7], 0, v[18:19]
	s_or_b64 s[10:11], s[4:5], s[10:11]
	s_and_b64 s[4:5], vcc, s[6:7]
	v_cndmask_b32_e64 v30, 0, 1, s[4:5]
	v_cmp_ne_u32_e64 s[6:7], 0, v30
	s_bcnt1_i32_b64 s3, s[6:7]
	v_add_co_u32_e64 v8, s[6:7], s3, v8
	v_addc_co_u32_e64 v9, s[6:7], 0, v9, s[6:7]
	v_cmp_eq_u64_e64 s[6:7], 1, v[18:19]
	s_and_b64 s[4:5], vcc, s[6:7]
	v_cndmask_b32_e64 v30, 0, 1, s[4:5]
	v_cmp_ne_u32_e64 s[6:7], 0, v30
	s_bcnt1_i32_b64 s3, s[6:7]
	v_add_co_u32_e64 v10, s[6:7], s3, v10
	v_addc_co_u32_e64 v11, s[6:7], 0, v11, s[6:7]
	v_cmp_eq_u64_e64 s[6:7], 2, v[18:19]
	;; [unrolled: 7-line block ×3, first 2 shown]
	v_mov_b32_e32 v31, v29
	s_and_b64 s[4:5], vcc, s[6:7]
	v_cndmask_b32_e64 v18, 0, 1, s[4:5]
	v_cmp_ne_u32_e32 vcc, 0, v18
	s_bcnt1_i32_b64 s3, vcc
	v_add_co_u32_e32 v14, vcc, s3, v14
	v_addc_co_u32_e32 v15, vcc, 0, v15, vcc
	v_mov_b32_e32 v30, v28
	s_andn2_b64 exec, exec, s[10:11]
	s_cbranch_execz .LBB162_67
.LBB162_65:                             ;   Parent Loop BB162_18 Depth=1
                                        ; =>  This Inner Loop Header: Depth=2
	v_add_co_u32_sdwa v3, vcc, v3, v5 dst_sel:DWORD dst_unused:UNUSED_PAD src0_sel:DWORD src1_sel:WORD_0
	v_addc_co_u32_e32 v4, vcc, 0, v4, vcc
	v_cmp_gt_u64_e64 s[6:7], s[24:25], v[3:4]
	v_cmp_le_u64_e32 vcc, s[24:25], v[3:4]
	v_mov_b32_e32 v28, 0
	v_mov_b32_e32 v29, 0
	s_and_saveexec_b64 s[4:5], s[6:7]
	s_cbranch_execz .LBB162_64
; %bb.66:                               ;   in Loop: Header=BB162_65 Depth=2
	v_mul_lo_u32 v18, v4, s22
	v_mul_lo_u32 v42, v3, s23
	v_mad_u64_u32 v[28:29], s[6:7], v3, s22, 0
	v_add3_u32 v29, v29, v42, v18
	v_lshlrev_b64 v[28:29], 3, v[28:29]
	v_mov_b32_e32 v18, s66
	v_add_co_u32_e64 v28, s[6:7], s33, v28
	v_addc_co_u32_e64 v29, s[6:7], v18, v29, s[6:7]
	global_load_dwordx2 v[28:29], v[28:29], off
	s_branch .LBB162_64
.LBB162_67:                             ;   in Loop: Header=BB162_18 Depth=1
	s_or_b64 exec, exec, s[10:11]
.LBB162_68:                             ;   in Loop: Header=BB162_18 Depth=1
	s_or_b64 exec, exec, s[8:9]
	s_branch .LBB162_47
.LBB162_69:                             ;   in Loop: Header=BB162_18 Depth=1
	v_readlane_b32 s4, v45, 55
	v_readlane_b32 s5, v45, 56
	v_mov_b32_e32 v8, 0
	v_mov_b32_e32 v10, 0
	;; [unrolled: 1-line block ×5, first 2 shown]
	global_load_ushort v5, v19, s[4:5]
	v_mov_b32_e32 v11, 0
	v_mov_b32_e32 v13, 0
	;; [unrolled: 1-line block ×3, first 2 shown]
	s_waitcnt vmcnt(0)
	v_readfirstlane_b32 s3, v5
	s_and_b32 s4, 0xffff, s3
	s_lshl_b32 s3, s4, 2
	v_cvt_f32_u32_e32 v3, s3
	s_sub_i32 s5, 0, s3
	v_rcp_iflag_f32_e32 v3, v3
	v_mul_f32_e32 v3, 0x4f7ffffe, v3
	v_cvt_u32_f32_e32 v3, v3
	v_readfirstlane_b32 s6, v3
	s_mul_i32 s5, s5, s6
	s_mul_hi_u32 s5, s6, s5
	s_add_i32 s6, s6, s5
	s_mul_hi_u32 s5, s2, s6
	s_mul_i32 s6, s5, s3
	s_sub_i32 s6, s2, s6
	s_add_i32 s7, s5, 1
	s_sub_i32 s8, s6, s3
	s_cmp_ge_u32 s6, s3
	s_cselect_b32 s5, s7, s5
	s_cselect_b32 s6, s8, s6
	s_add_i32 s7, s5, 1
	s_cmp_ge_u32 s6, s3
	s_cselect_b32 s5, s7, s5
	s_mul_hi_u32 s29, s4, s5
	s_mul_i32 s28, s4, s5
	s_lshl_b64 s[30:31], s[28:29], 2
	v_cmp_gt_u64_e32 vcc, s[30:31], v[20:21]
	s_and_saveexec_b64 s[36:37], vcc
	s_cbranch_execz .LBB162_73
; %bb.70:                               ;   in Loop: Header=BB162_18 Depth=1
	v_mov_b32_e32 v3, v20
	s_lshl_b32 s5, s4, 5
	s_mov_b64 s[38:39], 0
	v_mov_b32_e32 v28, v39
	s_mov_b64 s[40:41], 0
	s_mov_b64 s[42:43], 0
	;; [unrolled: 1-line block ×4, first 2 shown]
	v_mov_b32_e32 v4, v21
.LBB162_71:                             ;   Parent Loop BB162_18 Depth=1
                                        ; =>  This Inner Loop Header: Depth=2
	ds_read_b128 v[12:15], v28
	ds_read_b128 v[8:11], v28 offset:16
	v_add_u32_e32 v28, s5, v28
	s_waitcnt lgkmcnt(1)
	v_xor_b32_e32 v13, 0x80000000, v13
	v_and_b32_e32 v30, v13, v25
	v_and_b32_e32 v29, v12, v24
	v_lshrrev_b64 v[12:13], s75, v[12:13]
	v_xor_b32_e32 v15, 0x80000000, v15
	v_and_b32_e32 v18, 3, v12
	v_lshrrev_b64 v[12:13], s75, v[14:15]
	s_waitcnt lgkmcnt(0)
	v_xor_b32_e32 v9, 0x80000000, v9
	v_cmp_eq_u64_e32 vcc, v[29:30], v[22:23]
	v_and_b32_e32 v30, v15, v25
	v_and_b32_e32 v29, v14, v24
	v_cmp_eq_u64_e64 s[6:7], 0, v[18:19]
	v_cmp_eq_u64_e64 s[14:15], v[29:30], v[22:23]
	v_and_b32_e32 v30, v9, v25
	v_and_b32_e32 v29, v8, v24
	;; [unrolled: 1-line block ×3, first 2 shown]
	v_mov_b32_e32 v13, v19
	v_lshrrev_b64 v[8:9], s75, v[8:9]
	v_xor_b32_e32 v11, 0x80000000, v11
	s_and_b64 s[8:9], vcc, s[6:7]
	v_cmp_eq_u64_e64 s[6:7], 0, v[12:13]
	v_cmp_eq_u64_e64 s[16:17], v[29:30], v[22:23]
	v_and_b32_e32 v30, v11, v25
	v_and_b32_e32 v29, v10, v24
	;; [unrolled: 1-line block ×3, first 2 shown]
	v_mov_b32_e32 v9, v19
	v_lshrrev_b64 v[10:11], s75, v[10:11]
	s_and_b64 s[10:11], s[14:15], s[6:7]
	v_cmp_eq_u64_e64 s[6:7], 0, v[8:9]
	v_and_b32_e32 v10, 3, v10
	v_mov_b32_e32 v11, v19
	v_cmp_eq_u64_e64 s[18:19], v[29:30], v[22:23]
	s_and_b64 s[12:13], s[16:17], s[6:7]
	v_cmp_eq_u64_e64 s[6:7], 0, v[10:11]
	v_cndmask_b32_e64 v14, 0, 1, s[8:9]
	s_and_b64 s[20:21], s[18:19], s[6:7]
	v_cmp_ne_u32_e64 s[6:7], 0, v14
	v_cndmask_b32_e64 v14, 0, 1, s[10:11]
	s_bcnt1_i32_b64 s8, s[6:7]
	v_cmp_ne_u32_e64 s[6:7], 0, v14
	v_cndmask_b32_e64 v14, 0, 1, s[12:13]
	s_bcnt1_i32_b64 s9, s[6:7]
	;; [unrolled: 3-line block ×3, first 2 shown]
	v_cmp_ne_u32_e64 s[6:7], 0, v14
	s_bcnt1_i32_b64 s6, s[6:7]
	s_add_u32 s7, s8, s46
	s_addc_u32 s8, 0, s47
	s_add_u32 s7, s7, s9
	s_addc_u32 s8, s8, 0
	;; [unrolled: 2-line block ×3, first 2 shown]
	s_add_u32 s46, s7, s6
	v_cmp_eq_u64_e64 s[6:7], 1, v[18:19]
	s_addc_u32 s47, s8, 0
	s_and_b64 s[8:9], vcc, s[6:7]
	v_cmp_eq_u64_e64 s[6:7], 1, v[12:13]
	v_cndmask_b32_e64 v14, 0, 1, s[8:9]
	s_and_b64 s[10:11], s[14:15], s[6:7]
	v_cmp_eq_u64_e64 s[6:7], 1, v[8:9]
	s_and_b64 s[12:13], s[16:17], s[6:7]
	v_cmp_eq_u64_e64 s[6:7], 1, v[10:11]
	s_and_b64 s[20:21], s[18:19], s[6:7]
	v_cmp_ne_u32_e64 s[6:7], 0, v14
	v_cndmask_b32_e64 v14, 0, 1, s[10:11]
	s_bcnt1_i32_b64 s8, s[6:7]
	v_cmp_ne_u32_e64 s[6:7], 0, v14
	v_cndmask_b32_e64 v14, 0, 1, s[12:13]
	s_bcnt1_i32_b64 s9, s[6:7]
	;; [unrolled: 3-line block ×3, first 2 shown]
	v_cmp_ne_u32_e64 s[6:7], 0, v14
	s_bcnt1_i32_b64 s6, s[6:7]
	s_add_u32 s7, s8, s44
	s_addc_u32 s8, 0, s45
	s_add_u32 s7, s7, s9
	s_addc_u32 s8, s8, 0
	;; [unrolled: 2-line block ×3, first 2 shown]
	s_add_u32 s44, s7, s6
	v_cmp_eq_u64_e64 s[6:7], 2, v[18:19]
	s_addc_u32 s45, s8, 0
	s_and_b64 s[8:9], vcc, s[6:7]
	v_cmp_eq_u64_e64 s[6:7], 2, v[12:13]
	v_cndmask_b32_e64 v14, 0, 1, s[8:9]
	s_and_b64 s[10:11], s[14:15], s[6:7]
	v_cmp_eq_u64_e64 s[6:7], 2, v[8:9]
	s_and_b64 s[12:13], s[16:17], s[6:7]
	v_cmp_eq_u64_e64 s[6:7], 2, v[10:11]
	s_and_b64 s[20:21], s[18:19], s[6:7]
	v_cmp_ne_u32_e64 s[6:7], 0, v14
	v_cndmask_b32_e64 v14, 0, 1, s[10:11]
	s_bcnt1_i32_b64 s8, s[6:7]
	v_cmp_ne_u32_e64 s[6:7], 0, v14
	v_cndmask_b32_e64 v14, 0, 1, s[12:13]
	s_bcnt1_i32_b64 s9, s[6:7]
	;; [unrolled: 3-line block ×3, first 2 shown]
	v_cmp_ne_u32_e64 s[6:7], 0, v14
	s_bcnt1_i32_b64 s6, s[6:7]
	s_add_u32 s7, s8, s42
	s_addc_u32 s8, 0, s43
	s_add_u32 s7, s7, s9
	s_addc_u32 s8, s8, 0
	;; [unrolled: 2-line block ×3, first 2 shown]
	s_add_u32 s42, s7, s6
	v_cmp_eq_u64_e64 s[6:7], 3, v[18:19]
	s_addc_u32 s43, s8, 0
	s_and_b64 s[6:7], vcc, s[6:7]
	v_cmp_eq_u64_e32 vcc, 3, v[12:13]
	v_mov_b32_e32 v12, s42
	s_and_b64 s[8:9], s[14:15], vcc
	v_cmp_eq_u64_e32 vcc, 3, v[8:9]
	v_cndmask_b32_e64 v8, 0, 1, s[6:7]
	s_and_b64 s[10:11], s[16:17], vcc
	v_cmp_eq_u64_e32 vcc, 3, v[10:11]
	v_mov_b32_e32 v10, s44
	s_and_b64 s[12:13], s[18:19], vcc
	v_cmp_ne_u32_e32 vcc, 0, v8
	v_cndmask_b32_e64 v8, 0, 1, s[8:9]
	s_bcnt1_i32_b64 s6, vcc
	v_cmp_ne_u32_e32 vcc, 0, v8
	v_cndmask_b32_e64 v8, 0, 1, s[10:11]
	s_bcnt1_i32_b64 s7, vcc
	;; [unrolled: 3-line block ×3, first 2 shown]
	v_cmp_ne_u32_e32 vcc, 0, v8
	s_bcnt1_i32_b64 s9, vcc
	s_add_u32 s6, s6, s40
	s_addc_u32 s10, 0, s41
	s_add_u32 s6, s6, s7
	s_addc_u32 s7, s10, 0
	s_add_u32 s6, s6, s8
	v_add_co_u32_e32 v3, vcc, s3, v3
	s_addc_u32 s7, s7, 0
	v_addc_co_u32_e32 v4, vcc, 0, v4, vcc
	s_add_u32 s40, s6, s9
	v_cmp_le_u64_e32 vcc, s[30:31], v[3:4]
	s_addc_u32 s41, s7, 0
	v_mov_b32_e32 v8, s46
	v_mov_b32_e32 v14, s40
	s_or_b64 s[38:39], vcc, s[38:39]
	v_mov_b32_e32 v9, s47
	v_mov_b32_e32 v11, s45
	;; [unrolled: 1-line block ×4, first 2 shown]
	s_andn2_b64 exec, exec, s[38:39]
	s_cbranch_execnz .LBB162_71
; %bb.72:                               ;   in Loop: Header=BB162_18 Depth=1
	s_or_b64 exec, exec, s[38:39]
.LBB162_73:                             ;   in Loop: Header=BB162_18 Depth=1
	s_or_b64 exec, exec, s[36:37]
	v_mov_b32_e32 v4, s31
	v_add_co_u32_e32 v3, vcc, s30, v0
	s_and_b32 s64, s2, 0x7fffffff
	v_addc_co_u32_e32 v4, vcc, 0, v4, vcc
	v_cmp_gt_u64_e32 vcc, s[64:65], v[3:4]
	s_and_saveexec_b64 s[2:3], vcc
	s_cbranch_execz .LBB162_77
; %bb.74:                               ;   in Loop: Header=BB162_18 Depth=1
	v_lshl_add_u32 v28, s28, 5, v36
	s_lshl_b32 s4, s4, 3
	s_mov_b64 s[8:9], 0
.LBB162_75:                             ;   Parent Loop BB162_18 Depth=1
                                        ; =>  This Inner Loop Header: Depth=2
	ds_read_b64 v[29:30], v28
	v_add_u32_e32 v28, s4, v28
	s_waitcnt lgkmcnt(0)
	v_xor_b32_e32 v30, 0x80000000, v30
	v_and_b32_e32 v43, v30, v25
	v_and_b32_e32 v42, v29, v24
	v_lshrrev_b64 v[29:30], s75, v[29:30]
	v_cmp_eq_u64_e32 vcc, v[42:43], v[22:23]
	v_and_b32_e32 v18, 3, v29
	v_cmp_eq_u64_e64 s[6:7], 0, v[18:19]
	s_and_b64 s[6:7], vcc, s[6:7]
	v_cndmask_b32_e64 v29, 0, 1, s[6:7]
	v_cmp_ne_u32_e64 s[6:7], 0, v29
	s_bcnt1_i32_b64 s5, s[6:7]
	v_add_co_u32_e64 v8, s[6:7], s5, v8
	v_addc_co_u32_e64 v9, s[6:7], 0, v9, s[6:7]
	v_cmp_eq_u64_e64 s[6:7], 1, v[18:19]
	s_and_b64 s[6:7], vcc, s[6:7]
	v_cndmask_b32_e64 v29, 0, 1, s[6:7]
	v_cmp_ne_u32_e64 s[6:7], 0, v29
	s_bcnt1_i32_b64 s5, s[6:7]
	v_add_co_u32_e64 v10, s[6:7], s5, v10
	v_addc_co_u32_e64 v11, s[6:7], 0, v11, s[6:7]
	;; [unrolled: 7-line block ×3, first 2 shown]
	v_cmp_eq_u64_e64 s[6:7], 3, v[18:19]
	s_and_b64 s[6:7], vcc, s[6:7]
	v_cndmask_b32_e64 v18, 0, 1, s[6:7]
	v_cmp_ne_u32_e32 vcc, 0, v18
	s_bcnt1_i32_b64 s5, vcc
	v_add_co_u32_e32 v14, vcc, s5, v14
	v_addc_co_u32_e32 v15, vcc, 0, v15, vcc
	v_add_co_u32_sdwa v3, vcc, v3, v5 dst_sel:DWORD dst_unused:UNUSED_PAD src0_sel:DWORD src1_sel:WORD_0
	v_addc_co_u32_e32 v4, vcc, 0, v4, vcc
	v_cmp_le_u64_e32 vcc, s[64:65], v[3:4]
	s_or_b64 s[8:9], vcc, s[8:9]
	s_andn2_b64 exec, exec, s[8:9]
	s_cbranch_execnz .LBB162_75
; %bb.76:                               ;   in Loop: Header=BB162_18 Depth=1
	s_or_b64 exec, exec, s[8:9]
.LBB162_77:                             ;   in Loop: Header=BB162_18 Depth=1
	s_or_b64 exec, exec, s[2:3]
	s_lshl_b32 s4, s68, 6
	s_and_saveexec_b64 s[2:3], s[0:1]
	s_cbranch_execnz .LBB162_48
	s_branch .LBB162_49
.LBB162_78:                             ;   in Loop: Header=BB162_18 Depth=1
                                        ; implicit-def: $sgpr4_sgpr5
	s_branch .LBB162_57
.LBB162_79:                             ;   in Loop: Header=BB162_18 Depth=1
	v_mov_b32_e32 v3, 0
	v_mov_b32_e32 v4, 0
	s_mov_b32 s5, 0
.LBB162_80:                             ;   in Loop: Header=BB162_18 Depth=1
	v_readlane_b32 s6, v45, 60
	v_readlane_b32 s7, v45, 61
	s_andn2_b64 vcc, exec, s[6:7]
	s_cbranch_vccnz .LBB162_83
; %bb.81:                               ;   in Loop: Header=BB162_18 Depth=1
	s_lshl_b32 s6, s68, 9
	s_lshl_b32 s5, s5, 5
	s_add_i32 s6, s6, s5
	v_add_u32_e32 v5, s6, v40
	v_readlane_b32 s5, v45, 59
.LBB162_82:                             ;   Parent Loop BB162_18 Depth=1
                                        ; =>  This Inner Loop Header: Depth=2
	ds_read_b64 v[8:9], v5
	s_add_i32 s5, s5, -1
	v_add_u32_e32 v5, 32, v5
	s_cmp_lg_u32 s5, 0
	s_waitcnt lgkmcnt(0)
	v_add_co_u32_e32 v3, vcc, v8, v3
	v_addc_co_u32_e32 v4, vcc, v9, v4, vcc
	s_cbranch_scc1 .LBB162_82
.LBB162_83:                             ;   in Loop: Header=BB162_18 Depth=1
	v_add_lshl_u32 v5, s4, v35, 3
	ds_write_b64 v5, v[3:4] offset:3072
.LBB162_84:                             ;   in Loop: Header=BB162_18 Depth=1
	s_or_b64 exec, exec, s[2:3]
	s_lshl_b32 s2, s4, 3
	v_mov_b32_e32 v3, s2
	s_waitcnt lgkmcnt(0)
	s_barrier
	ds_read_b128 v[8:11], v3 offset:3072
	ds_read_b128 v[12:15], v3 offset:3088
	v_readlane_b32 s2, v45, 40
	s_lshl_b64 s[18:19], 3, s75
	v_cmp_eq_u64_e64 s[14:15], 1, v[26:27]
	v_readlane_b32 s3, v45, 41
	s_waitcnt lgkmcnt(1)
	v_readfirstlane_b32 s17, v9
	v_readfirstlane_b32 s16, v8
	;; [unrolled: 1-line block ×4, first 2 shown]
	s_waitcnt lgkmcnt(0)
	v_readfirstlane_b32 s45, v13
	v_readfirstlane_b32 s44, v12
	;; [unrolled: 1-line block ×4, first 2 shown]
	s_not_b64 s[62:63], s[18:19]
	s_mov_b64 s[30:31], -1
	s_mov_b64 s[40:41], 0
	s_andn2_b64 vcc, exec, s[2:3]
	s_mov_b64 s[52:53], 0
	s_mov_b64 s[50:51], 0
                                        ; implicit-def: $sgpr2_sgpr3
                                        ; implicit-def: $sgpr28_sgpr29
                                        ; implicit-def: $vgpr28_vgpr29
                                        ; implicit-def: $vgpr42
                                        ; implicit-def: $vgpr12_vgpr13
                                        ; implicit-def: $vgpr14_vgpr15
                                        ; implicit-def: $vgpr10_vgpr11
                                        ; implicit-def: $vgpr44 : SGPR spill to VGPR lane
	s_cbranch_vccnz .LBB162_280
; %bb.85:                               ;   in Loop: Header=BB162_18 Depth=1
	s_cmp_eq_u64 s[16:17], 1
	s_cselect_b64 s[2:3], -1, 0
	v_mov_b32_e32 v12, v22
	v_mov_b32_e32 v14, v24
	;; [unrolled: 1-line block ×3, first 2 shown]
	s_and_b64 s[6:7], s[2:3], s[14:15]
	s_mov_b64 s[4:5], -1
	v_mov_b32_e32 v13, v23
	v_mov_b32_e32 v15, v25
	;; [unrolled: 1-line block ×3, first 2 shown]
                                        ; implicit-def: $sgpr28_sgpr29
                                        ; implicit-def: $sgpr2_sgpr3
	s_and_saveexec_b64 s[20:21], s[6:7]
	s_cbranch_execz .LBB162_120
; %bb.86:                               ;   in Loop: Header=BB162_18 Depth=1
	ds_read_b64 v[3:4], v19 offset:5120
	s_waitcnt lgkmcnt(0)
	s_barrier
	v_readfirstlane_b32 s10, v3
	v_readfirstlane_b32 s11, v4
	s_mov_b64 s[2:3], exec
	v_readlane_b32 s4, v45, 48
	v_readlane_b32 s5, v45, 49
	s_and_b64 s[4:5], s[2:3], s[4:5]
	s_mov_b64 exec, s[4:5]
; %bb.87:                               ;   in Loop: Header=BB162_18 Depth=1
	v_mov_b32_e32 v18, v19
	ds_write_b64 v37, v[18:19]
; %bb.88:                               ;   in Loop: Header=BB162_18 Depth=1
	s_or_b64 exec, exec, s[2:3]
	v_and_b32_e32 v13, s63, v23
	v_and_b32_e32 v12, s62, v22
	v_or_b32_e32 v15, s19, v25
	v_or_b32_e32 v14, s18, v24
	s_mov_b64 s[2:3], -1
	s_mov_b64 s[28:29], 0
	s_cmp_eq_u64 s[10:11], 0
	s_mov_b64 s[8:9], 0
	s_waitcnt lgkmcnt(0)
	s_barrier
                                        ; implicit-def: $vgpr10_vgpr11
	s_cbranch_scc1 .LBB162_105
; %bb.89:                               ;   in Loop: Header=BB162_18 Depth=1
	v_readlane_b32 s4, v45, 52
	s_add_u32 s30, s10, s4
	v_readlane_b32 s4, v45, 54
	s_addc_u32 s9, s11, s4
	s_mov_b32 s8, s65
	s_cmp_lg_u64 s[8:9], 0
	s_cbranch_scc0 .LBB162_146
; %bb.90:                               ;   in Loop: Header=BB162_18 Depth=1
	v_cvt_f32_u32_e32 v3, s67
	s_sub_u32 s8, 0, s67
	s_subb_u32 s12, 0, 0
	v_mac_f32_e32 v3, 0, v41
	v_rcp_f32_e32 v3, v3
	v_mul_f32_e32 v3, 0x5f7ffffc, v3
	v_mul_f32_e32 v4, 0x2f800000, v3
	v_trunc_f32_e32 v4, v4
	v_mac_f32_e32 v3, 0xcf800000, v4
	v_cvt_u32_f32_e32 v4, v4
	v_cvt_u32_f32_e32 v3, v3
	v_readfirstlane_b32 s13, v4
	v_readfirstlane_b32 s4, v3
	s_mul_i32 s5, s8, s13
	s_mul_hi_u32 s34, s8, s4
	s_mul_i32 s31, s12, s4
	s_add_i32 s5, s34, s5
	s_mul_i32 s35, s8, s4
	s_add_i32 s5, s5, s31
	s_mul_hi_u32 s34, s4, s35
	s_mul_i32 s36, s4, s5
	s_mul_hi_u32 s31, s4, s5
	s_add_u32 s34, s34, s36
	s_addc_u32 s31, 0, s31
	s_mul_hi_u32 s37, s13, s35
	s_mul_i32 s35, s13, s35
	s_add_u32 s34, s34, s35
	s_mul_hi_u32 s36, s13, s5
	s_addc_u32 s31, s31, s37
	s_addc_u32 s34, s36, 0
	s_mul_i32 s5, s13, s5
	s_add_u32 s5, s31, s5
	s_addc_u32 s31, 0, s34
	s_add_u32 s34, s4, s5
	s_cselect_b64 s[4:5], -1, 0
	s_cmp_lg_u64 s[4:5], 0
	s_addc_u32 s13, s13, s31
	s_mul_i32 s4, s8, s13
	s_mul_hi_u32 s5, s8, s34
	s_add_i32 s4, s5, s4
	s_mul_i32 s12, s12, s34
	s_add_i32 s4, s4, s12
	s_mul_i32 s8, s8, s34
	s_mul_hi_u32 s12, s13, s8
	s_mul_i32 s31, s13, s8
	s_mul_i32 s36, s34, s4
	s_mul_hi_u32 s8, s34, s8
	s_mul_hi_u32 s35, s34, s4
	s_add_u32 s8, s8, s36
	s_addc_u32 s35, 0, s35
	s_add_u32 s8, s8, s31
	s_mul_hi_u32 s5, s13, s4
	s_addc_u32 s8, s35, s12
	s_addc_u32 s5, s5, 0
	s_mul_i32 s4, s13, s4
	s_add_u32 s4, s8, s4
	s_addc_u32 s8, 0, s5
	s_add_u32 s12, s34, s4
	s_cselect_b64 s[4:5], -1, 0
	s_cmp_lg_u64 s[4:5], 0
	s_addc_u32 s4, s13, s8
	s_mul_i32 s8, s30, s4
	s_mul_hi_u32 s13, s30, s12
	s_mul_hi_u32 s5, s30, s4
	s_add_u32 s8, s13, s8
	s_addc_u32 s5, 0, s5
	s_mul_hi_u32 s31, s9, s12
	s_mul_i32 s12, s9, s12
	s_add_u32 s8, s8, s12
	s_mul_hi_u32 s13, s9, s4
	s_addc_u32 s5, s5, s31
	s_addc_u32 s8, s13, 0
	s_mul_i32 s4, s9, s4
	s_add_u32 s4, s5, s4
	s_addc_u32 s5, 0, s8
	s_mul_i32 s5, s67, s5
	s_mul_hi_u32 s8, s67, s4
	s_add_i32 s8, s8, s5
	s_mul_i32 s4, s67, s4
	s_sub_u32 s12, s30, s4
	s_cselect_b64 s[4:5], -1, 0
	s_cmp_lg_u64 s[4:5], 0
	s_subb_u32 s8, s9, s8
	s_sub_u32 s13, s12, s67
	s_cselect_b64 s[4:5], -1, 0
	s_cmp_lg_u64 s[4:5], 0
	s_subb_u32 s31, s8, 0
	;; [unrolled: 4-line block ×3, first 2 shown]
	s_cmp_ge_u32 s13, s67
	s_cselect_b32 s5, -1, 0
	s_cmp_eq_u32 s31, 0
	s_cselect_b32 s5, s5, -1
	s_cmp_lg_u32 s5, 0
	s_cselect_b32 s4, s4, s31
	s_cselect_b32 s13, s34, s13
	s_cmp_ge_u32 s12, s67
	s_cselect_b32 s5, -1, 0
	s_cmp_eq_u32 s8, 0
	s_cselect_b32 s5, s5, -1
	s_cmp_lg_u32 s5, 0
	s_cselect_b32 s5, s4, s8
	s_cselect_b32 s4, s13, s12
	s_cbranch_execnz .LBB162_92
.LBB162_91:                             ;   in Loop: Header=BB162_18 Depth=1
	v_cvt_f32_u32_e32 v3, s67
	s_sub_i32 s4, 0, s67
	v_rcp_iflag_f32_e32 v3, v3
	v_mul_f32_e32 v3, 0x4f7ffffe, v3
	v_cvt_u32_f32_e32 v3, v3
	v_readfirstlane_b32 s5, v3
	s_mul_i32 s4, s4, s5
	s_mul_hi_u32 s4, s5, s4
	s_add_i32 s5, s5, s4
	s_mul_hi_u32 s4, s30, s5
	s_mul_i32 s4, s4, s67
	s_sub_i32 s4, s30, s4
	s_sub_i32 s5, s4, s67
	s_cmp_ge_u32 s4, s67
	s_cselect_b32 s4, s5, s4
	s_sub_i32 s5, s4, s67
	s_cmp_ge_u32 s4, s67
	s_cselect_b32 s64, s5, s4
	s_mov_b64 s[4:5], s[64:65]
.LBB162_92:                             ;   in Loop: Header=BB162_18 Depth=1
	s_sub_u32 s12, s30, s4
	s_subb_u32 s13, s9, s5
	v_cmp_gt_u64_e32 vcc, s[12:13], v[0:1]
	s_mov_b64 s[30:31], 0
	s_mov_b64 s[8:9], 0
                                        ; implicit-def: $vgpr10_vgpr11
	s_and_saveexec_b64 s[34:35], vcc
	s_cbranch_execz .LBB162_104
; %bb.93:                               ;   in Loop: Header=BB162_18 Depth=1
	v_mov_b32_e32 v29, v1
	v_mov_b32_e32 v18, v36
	;; [unrolled: 1-line block ×3, first 2 shown]
                                        ; implicit-def: $sgpr4_sgpr5
	s_branch .LBB162_96
.LBB162_94:                             ;   in Loop: Header=BB162_96 Depth=2
	s_or_b64 exec, exec, s[36:37]
	s_waitcnt lgkmcnt(0)
	s_barrier
	ds_read_b128 v[8:11], v19 offset:3072
	s_mov_b64 s[36:37], -1
	s_mov_b64 s[38:39], -1
	s_waitcnt lgkmcnt(0)
	s_barrier
	v_cmp_ne_u64_e32 vcc, 0, v[8:9]
	s_cbranch_vccz .LBB162_99
.LBB162_95:                             ;   in Loop: Header=BB162_96 Depth=2
	s_and_b64 s[36:37], exec, s[36:37]
	s_or_b64 s[8:9], s[36:37], s[8:9]
	s_andn2_b64 s[4:5], s[4:5], exec
	s_and_b64 s[36:37], s[38:39], exec
	s_or_b64 s[4:5], s[4:5], s[36:37]
	s_andn2_b64 exec, exec, s[8:9]
	s_cbranch_execz .LBB162_103
.LBB162_96:                             ;   Parent Loop BB162_18 Depth=1
                                        ; =>  This Inner Loop Header: Depth=2
	v_cmp_gt_u64_e32 vcc, s[10:11], v[28:29]
	s_and_saveexec_b64 s[36:37], vcc
	s_cbranch_execz .LBB162_94
; %bb.97:                               ;   in Loop: Header=BB162_96 Depth=2
	ds_read_b64 v[4:5], v18
	s_waitcnt lgkmcnt(0)
	v_xor_b32_e32 v3, 0x80000000, v5
	v_and_b32_e32 v9, v3, v15
	v_and_b32_e32 v8, v4, v14
	v_cmp_eq_u64_e32 vcc, v[8:9], v[12:13]
	s_and_b64 exec, exec, vcc
	s_cbranch_execz .LBB162_94
; %bb.98:                               ;   in Loop: Header=BB162_96 Depth=2
	v_mov_b32_e32 v3, v19
	ds_write_b128 v19, v[2:5] offset:3072
	s_branch .LBB162_94
.LBB162_99:                             ;   in Loop: Header=BB162_96 Depth=2
	v_add_co_u32_e32 v28, vcc, s67, v28
	v_addc_co_u32_e32 v29, vcc, 0, v29, vcc
	v_cmp_le_u64_e32 vcc, s[12:13], v[28:29]
	v_add_u32_e32 v18, s74, v18
	s_mov_b64 s[38:39], 0
	s_orn2_b64 s[36:37], vcc, exec
	s_branch .LBB162_95
.LBB162_100:                            ;   in Loop: Header=BB162_18 Depth=1
	s_or_b64 exec, exec, s[8:9]
	s_waitcnt lgkmcnt(0)
	s_barrier
	s_mov_b64 s[4:5], exec
	v_readlane_b32 s6, v45, 32
	v_readlane_b32 s7, v45, 33
	s_and_b64 s[6:7], s[4:5], s[6:7]
	s_mov_b64 exec, s[6:7]
	s_cbranch_execz .LBB162_102
; %bb.101:                              ;   in Loop: Header=BB162_18 Depth=1
	ds_read_b32 v3, v19 offset:5144
	s_waitcnt lgkmcnt(0)
	v_ashrrev_i32_e32 v4, 31, v3
	ds_write_b64 v19, v[3:4] offset:5120
.LBB162_102:                            ;   in Loop: Header=BB162_18 Depth=1
	s_or_b64 exec, exec, s[4:5]
	s_waitcnt lgkmcnt(0)
	s_barrier
	s_mov_b64 s[4:5], -1
	s_and_b64 vcc, exec, s[2:3]
	s_cbranch_vccnz .LBB162_34
	s_branch .LBB162_43
.LBB162_103:                            ;   in Loop: Header=BB162_18 Depth=1
	s_or_b64 exec, exec, s[8:9]
	s_and_b64 s[8:9], s[4:5], exec
.LBB162_104:                            ;   in Loop: Header=BB162_18 Depth=1
	s_or_b64 exec, exec, s[34:35]
.LBB162_105:                            ;   in Loop: Header=BB162_18 Depth=1
	s_and_b64 vcc, exec, s[30:31]
	s_cbranch_vccz .LBB162_119
; %bb.106:                              ;   in Loop: Header=BB162_18 Depth=1
	s_mov_b32 s72, s65
	s_cmp_lg_u64 s[72:73], 0
	s_cbranch_scc0 .LBB162_147
; %bb.107:                              ;   in Loop: Header=BB162_18 Depth=1
	v_cvt_f32_u32_e32 v3, s67
	s_sub_u32 s4, 0, s67
	s_subb_u32 s5, 0, 0
	v_mac_f32_e32 v3, 0, v41
	v_rcp_f32_e32 v3, v3
	v_mul_f32_e32 v3, 0x5f7ffffc, v3
	v_mul_f32_e32 v4, 0x2f800000, v3
	v_trunc_f32_e32 v4, v4
	v_mac_f32_e32 v3, 0xcf800000, v4
	v_cvt_u32_f32_e32 v4, v4
	v_cvt_u32_f32_e32 v3, v3
	v_readfirstlane_b32 s10, v4
	v_readfirstlane_b32 s2, v3
	s_mul_i32 s3, s4, s10
	s_mul_hi_u32 s12, s4, s2
	s_mul_i32 s11, s5, s2
	s_add_i32 s3, s12, s3
	s_mul_i32 s13, s4, s2
	s_add_i32 s3, s3, s11
	s_mul_hi_u32 s12, s2, s13
	s_mul_i32 s28, s2, s3
	s_mul_hi_u32 s11, s2, s3
	s_add_u32 s12, s12, s28
	s_addc_u32 s11, 0, s11
	s_mul_hi_u32 s29, s10, s13
	s_mul_i32 s13, s10, s13
	s_add_u32 s12, s12, s13
	s_mul_hi_u32 s28, s10, s3
	s_addc_u32 s11, s11, s29
	s_addc_u32 s12, s28, 0
	s_mul_i32 s3, s10, s3
	s_add_u32 s3, s11, s3
	s_addc_u32 s11, 0, s12
	s_add_u32 s12, s2, s3
	s_cselect_b64 s[2:3], -1, 0
	s_cmp_lg_u64 s[2:3], 0
	s_addc_u32 s10, s10, s11
	s_mul_i32 s2, s4, s10
	s_mul_hi_u32 s3, s4, s12
	s_add_i32 s2, s3, s2
	s_mul_i32 s5, s5, s12
	s_add_i32 s2, s2, s5
	s_mul_i32 s4, s4, s12
	s_mul_hi_u32 s5, s10, s4
	s_mul_i32 s11, s10, s4
	s_mul_i32 s28, s12, s2
	s_mul_hi_u32 s4, s12, s4
	s_mul_hi_u32 s13, s12, s2
	s_add_u32 s4, s4, s28
	s_addc_u32 s13, 0, s13
	s_add_u32 s4, s4, s11
	s_mul_hi_u32 s3, s10, s2
	s_addc_u32 s4, s13, s5
	s_addc_u32 s3, s3, 0
	s_mul_i32 s2, s10, s2
	s_add_u32 s2, s4, s2
	s_addc_u32 s4, 0, s3
	s_add_u32 s5, s12, s2
	s_cselect_b64 s[2:3], -1, 0
	s_cmp_lg_u64 s[2:3], 0
	s_addc_u32 s2, s10, s4
	v_readlane_b32 s13, v45, 53
	s_mul_i32 s4, s13, s2
	s_mul_hi_u32 s10, s13, s5
	s_mul_hi_u32 s3, s13, s2
	s_add_u32 s4, s10, s4
	s_addc_u32 s3, 0, s3
	s_mul_hi_u32 s11, s73, s5
	s_mul_i32 s5, s73, s5
	s_add_u32 s4, s4, s5
	s_mul_hi_u32 s10, s73, s2
	s_addc_u32 s3, s3, s11
	s_addc_u32 s4, s10, 0
	s_mul_i32 s2, s73, s2
	s_add_u32 s2, s3, s2
	s_addc_u32 s3, 0, s4
	s_mul_i32 s3, s67, s3
	s_mul_hi_u32 s4, s67, s2
	s_add_i32 s4, s4, s3
	s_mul_i32 s2, s67, s2
	s_sub_u32 s5, s13, s2
	s_cselect_b64 s[2:3], -1, 0
	s_cmp_lg_u64 s[2:3], 0
	s_subb_u32 s4, s73, s4
	s_sub_u32 s10, s5, s67
	s_cselect_b64 s[2:3], -1, 0
	s_cmp_lg_u64 s[2:3], 0
	s_subb_u32 s11, s4, 0
	;; [unrolled: 4-line block ×3, first 2 shown]
	s_cmp_ge_u32 s10, s67
	s_cselect_b32 s3, -1, 0
	s_cmp_eq_u32 s11, 0
	s_cselect_b32 s3, s3, -1
	s_cmp_lg_u32 s3, 0
	s_cselect_b32 s2, s2, s11
	s_cselect_b32 s10, s12, s10
	s_cmp_ge_u32 s5, s67
	s_cselect_b32 s3, -1, 0
	s_cmp_eq_u32 s4, 0
	s_cselect_b32 s3, s3, -1
	s_cmp_lg_u32 s3, 0
	s_cselect_b32 s3, s2, s4
	s_cselect_b32 s2, s10, s5
	s_cbranch_execnz .LBB162_109
.LBB162_108:                            ;   in Loop: Header=BB162_18 Depth=1
	v_cvt_f32_u32_e32 v3, s67
	s_sub_i32 s2, 0, s67
	v_rcp_iflag_f32_e32 v3, v3
	v_mul_f32_e32 v3, 0x4f7ffffe, v3
	v_cvt_u32_f32_e32 v3, v3
	v_readfirstlane_b32 s3, v3
	s_mul_i32 s2, s2, s3
	s_mul_hi_u32 s2, s3, s2
	s_add_i32 s3, s3, s2
	s_mul_hi_u32 s2, s13, s3
	s_mul_i32 s2, s2, s67
	s_sub_i32 s2, s13, s2
	s_sub_i32 s3, s2, s67
	s_cmp_ge_u32 s2, s67
	s_cselect_b32 s2, s3, s2
	s_sub_i32 s3, s2, s67
	s_cmp_ge_u32 s2, s67
	s_cselect_b32 s64, s3, s2
	s_mov_b64 s[2:3], s[64:65]
.LBB162_109:                            ;   in Loop: Header=BB162_18 Depth=1
	s_sub_u32 s10, s13, s2
	s_subb_u32 s11, s73, s3
	v_cmp_gt_u64_e32 vcc, s[10:11], v[0:1]
                                        ; implicit-def: $vgpr10_vgpr11
	s_and_saveexec_b64 s[2:3], vcc
	s_cbranch_execz .LBB162_118
; %bb.110:                              ;   in Loop: Header=BB162_18 Depth=1
	v_mov_b32_e32 v29, v1
	s_mov_b64 s[28:29], 0
	v_mov_b32_e32 v28, v0
                                        ; implicit-def: $sgpr12_sgpr13
	s_branch .LBB162_113
.LBB162_111:                            ;   in Loop: Header=BB162_113 Depth=2
	s_or_b64 exec, exec, s[4:5]
	s_waitcnt lgkmcnt(0)
	s_barrier
	ds_read_b128 v[8:11], v19 offset:3072
	s_mov_b64 s[30:31], -1
	s_mov_b64 s[4:5], -1
	s_waitcnt lgkmcnt(0)
	s_barrier
	v_cmp_ne_u64_e32 vcc, 0, v[8:9]
	s_cbranch_vccz .LBB162_116
.LBB162_112:                            ;   in Loop: Header=BB162_113 Depth=2
	s_and_b64 s[30:31], exec, s[30:31]
	s_or_b64 s[28:29], s[30:31], s[28:29]
	s_andn2_b64 s[12:13], s[12:13], exec
	s_and_b64 s[4:5], s[4:5], exec
	s_or_b64 s[12:13], s[12:13], s[4:5]
	s_andn2_b64 exec, exec, s[28:29]
	s_cbranch_execz .LBB162_117
.LBB162_113:                            ;   Parent Loop BB162_18 Depth=1
                                        ; =>  This Inner Loop Header: Depth=2
	v_cmp_gt_u64_e32 vcc, s[24:25], v[28:29]
	s_and_saveexec_b64 s[4:5], vcc
	s_cbranch_execz .LBB162_111
; %bb.114:                              ;   in Loop: Header=BB162_113 Depth=2
	v_mul_lo_u32 v5, v29, s22
	v_mul_lo_u32 v8, v28, s23
	v_mad_u64_u32 v[3:4], s[30:31], v28, s22, 0
	v_add3_u32 v4, v4, v8, v5
	v_lshlrev_b64 v[3:4], 3, v[3:4]
	v_mov_b32_e32 v5, s66
	v_add_co_u32_e32 v3, vcc, s33, v3
	v_addc_co_u32_e32 v4, vcc, v5, v4, vcc
	global_load_dwordx2 v[4:5], v[3:4], off
	s_waitcnt vmcnt(0)
	v_xor_b32_e32 v3, 0x80000000, v5
	v_and_b32_e32 v9, v3, v15
	v_and_b32_e32 v8, v4, v14
	v_cmp_eq_u64_e32 vcc, v[8:9], v[12:13]
	s_and_b64 exec, exec, vcc
	s_cbranch_execz .LBB162_111
; %bb.115:                              ;   in Loop: Header=BB162_113 Depth=2
	v_mov_b32_e32 v3, v19
	ds_write_b128 v19, v[2:5] offset:3072
	s_branch .LBB162_111
.LBB162_116:                            ;   in Loop: Header=BB162_113 Depth=2
	v_add_co_u32_e32 v28, vcc, s67, v28
	v_addc_co_u32_e32 v29, vcc, 0, v29, vcc
	v_cmp_le_u64_e32 vcc, s[10:11], v[28:29]
	s_mov_b64 s[4:5], 0
	s_orn2_b64 s[30:31], vcc, exec
	s_branch .LBB162_112
.LBB162_117:                            ;   in Loop: Header=BB162_18 Depth=1
	s_or_b64 exec, exec, s[28:29]
	s_andn2_b64 s[4:5], s[8:9], exec
	s_and_b64 s[8:9], s[12:13], exec
	s_or_b64 s[8:9], s[4:5], s[8:9]
.LBB162_118:                            ;   in Loop: Header=BB162_18 Depth=1
	s_or_b64 exec, exec, s[2:3]
	s_mov_b64 s[2:3], 0
	s_mov_b64 s[28:29], -1
.LBB162_119:                            ;   in Loop: Header=BB162_18 Depth=1
	s_orn2_b64 s[4:5], s[8:9], exec
.LBB162_120:                            ;   in Loop: Header=BB162_18 Depth=1
	s_or_b64 exec, exec, s[20:21]
	s_mov_b64 s[30:31], 0
	s_mov_b64 s[52:53], 0
	;; [unrolled: 1-line block ×3, first 2 shown]
                                        ; implicit-def: $vgpr28_vgpr29
                                        ; implicit-def: $vgpr42
	s_and_saveexec_b64 s[36:37], s[4:5]
	s_cbranch_execz .LBB162_279
; %bb.121:                              ;   in Loop: Header=BB162_18 Depth=1
	v_mov_b32_e32 v28, 1
	s_xor_b64 s[4:5], s[6:7], -1
	v_mov_b32_e32 v42, 1
	v_mov_b32_e32 v29, 0
	s_mov_b64 s[8:9], 0
	s_and_saveexec_b64 s[6:7], s[4:5]
	s_cbranch_execz .LBB162_130
; %bb.122:                              ;   in Loop: Header=BB162_18 Depth=1
	v_cmp_ge_u64_e32 vcc, s[16:17], v[26:27]
	s_and_saveexec_b64 s[4:5], vcc
	s_xor_b64 s[4:5], exec, s[4:5]
	s_cbranch_execz .LBB162_127
; %bb.123:                              ;   in Loop: Header=BB162_18 Depth=1
	ds_read_b64 v[3:4], v19 offset:5120
	v_and_b32_e32 v13, s63, v13
	v_and_b32_e32 v12, s62, v12
	v_or_b32_e32 v15, s19, v15
	v_or_b32_e32 v14, s18, v14
	s_waitcnt lgkmcnt(0)
	v_cmp_ne_u64_e32 vcc, 0, v[3:4]
	s_cbranch_vccnz .LBB162_127
; %bb.124:                              ;   in Loop: Header=BB162_18 Depth=1
	s_mov_b64 s[8:9], exec
	v_readlane_b32 s10, v45, 32
	v_readlane_b32 s11, v45, 33
	s_and_b64 s[10:11], s[8:9], s[10:11]
	s_mov_b64 exec, s[10:11]
; %bb.125:                              ;   in Loop: Header=BB162_18 Depth=1
	v_mov_b32_e32 v3, s16
	v_mov_b32_e32 v4, s17
	ds_write_b64 v19, v[3:4] offset:5128
; %bb.126:                              ;   in Loop: Header=BB162_18 Depth=1
	s_or_b64 exec, exec, s[8:9]
	s_waitcnt lgkmcnt(0)
	s_barrier
.LBB162_127:                            ;   in Loop: Header=BB162_18 Depth=1
	s_or_saveexec_b64 s[4:5], s[4:5]
	v_mov_b32_e32 v29, v27
	s_mov_b64 s[8:9], 0
	v_mov_b32_e32 v42, 8
	v_mov_b32_e32 v28, v26
	s_xor_b64 exec, exec, s[4:5]
; %bb.128:                              ;   in Loop: Header=BB162_18 Depth=1
	v_subrev_co_u32_e32 v28, vcc, s16, v26
	v_mov_b32_e32 v3, s17
	v_subb_co_u32_e32 v29, vcc, v27, v3, vcc
	v_mov_b32_e32 v42, 0
	s_mov_b64 s[8:9], exec
; %bb.129:                              ;   in Loop: Header=BB162_18 Depth=1
	s_or_b64 exec, exec, s[4:5]
	s_and_b64 s[8:9], s[8:9], exec
.LBB162_130:                            ;   in Loop: Header=BB162_18 Depth=1
	s_or_b64 exec, exec, s[6:7]
	s_mov_b64 s[4:5], -1
                                        ; implicit-def: $sgpr38_sgpr39
                                        ; implicit-def: $sgpr50_sgpr51
	s_and_saveexec_b64 s[6:7], s[8:9]
	s_xor_b64 s[6:7], exec, s[6:7]
	s_cbranch_execz .LBB162_276
; %bb.131:                              ;   in Loop: Header=BB162_18 Depth=1
	s_cmp_eq_u64 s[42:43], 1
	v_cmp_eq_u64_e32 vcc, 1, v[28:29]
	s_cselect_b64 s[4:5], -1, 0
	s_and_b64 s[20:21], s[4:5], vcc
	s_mov_b64 s[4:5], -1
                                        ; implicit-def: $sgpr50_sgpr51
                                        ; implicit-def: $sgpr38_sgpr39
	s_and_saveexec_b64 s[48:49], s[20:21]
	s_cbranch_execz .LBB162_165
; %bb.132:                              ;   in Loop: Header=BB162_18 Depth=1
	ds_read_b64 v[3:4], v19 offset:5120
	s_waitcnt lgkmcnt(0)
	s_barrier
	v_readfirstlane_b32 s10, v3
	v_readfirstlane_b32 s11, v4
	s_mov_b64 s[4:5], exec
	v_readlane_b32 s8, v45, 48
	v_readlane_b32 s9, v45, 49
	s_and_b64 s[8:9], s[4:5], s[8:9]
	s_mov_b64 exec, s[8:9]
; %bb.133:                              ;   in Loop: Header=BB162_18 Depth=1
	v_mov_b32_e32 v18, v19
	ds_write_b64 v37, v[18:19]
; %bb.134:                              ;   in Loop: Header=BB162_18 Depth=1
	s_or_b64 exec, exec, s[4:5]
	s_lshl_b64 s[4:5], 1, s75
	v_and_b32_e32 v3, s63, v13
	v_and_b32_e32 v4, s62, v12
	v_or_b32_e32 v13, s5, v3
	v_or_b32_e32 v12, s4, v4
	;; [unrolled: 1-line block ×4, first 2 shown]
	s_mov_b64 s[38:39], -1
	s_mov_b64 s[50:51], 0
	s_cmp_eq_u64 s[10:11], 0
	s_mov_b64 s[8:9], 0
	s_mov_b64 s[34:35], -1
	s_waitcnt lgkmcnt(0)
	s_barrier
                                        ; implicit-def: $vgpr10_vgpr11
	s_cbranch_scc1 .LBB162_150
; %bb.135:                              ;   in Loop: Header=BB162_18 Depth=1
	v_readlane_b32 s4, v45, 52
	s_add_u32 s34, s10, s4
	v_readlane_b32 s4, v45, 54
	s_addc_u32 s9, s11, s4
	s_mov_b32 s8, s65
	s_cmp_lg_u64 s[8:9], 0
	s_cbranch_scc0 .LBB162_191
; %bb.136:                              ;   in Loop: Header=BB162_18 Depth=1
	v_cvt_f32_u32_e32 v3, s67
	s_sub_u32 s8, 0, s67
	s_subb_u32 s12, 0, 0
	v_mac_f32_e32 v3, 0, v41
	v_rcp_f32_e32 v3, v3
	v_mul_f32_e32 v3, 0x5f7ffffc, v3
	v_mul_f32_e32 v4, 0x2f800000, v3
	v_trunc_f32_e32 v4, v4
	v_mac_f32_e32 v3, 0xcf800000, v4
	v_cvt_u32_f32_e32 v4, v4
	v_cvt_u32_f32_e32 v3, v3
	v_readfirstlane_b32 s13, v4
	v_readfirstlane_b32 s4, v3
	s_mul_i32 s5, s8, s13
	s_mul_hi_u32 s52, s8, s4
	s_mul_i32 s35, s12, s4
	s_add_i32 s5, s52, s5
	s_mul_i32 s53, s8, s4
	s_add_i32 s5, s5, s35
	s_mul_hi_u32 s52, s4, s53
	s_mul_i32 s54, s4, s5
	s_mul_hi_u32 s35, s4, s5
	s_add_u32 s52, s52, s54
	s_addc_u32 s35, 0, s35
	s_mul_hi_u32 s55, s13, s53
	s_mul_i32 s53, s13, s53
	s_add_u32 s52, s52, s53
	s_mul_hi_u32 s54, s13, s5
	s_addc_u32 s35, s35, s55
	s_addc_u32 s52, s54, 0
	s_mul_i32 s5, s13, s5
	s_add_u32 s5, s35, s5
	s_addc_u32 s35, 0, s52
	s_add_u32 s52, s4, s5
	s_cselect_b64 s[4:5], -1, 0
	s_cmp_lg_u64 s[4:5], 0
	s_addc_u32 s13, s13, s35
	s_mul_i32 s4, s8, s13
	s_mul_hi_u32 s5, s8, s52
	s_add_i32 s4, s5, s4
	s_mul_i32 s12, s12, s52
	s_add_i32 s4, s4, s12
	s_mul_i32 s8, s8, s52
	s_mul_hi_u32 s12, s13, s8
	s_mul_i32 s35, s13, s8
	s_mul_i32 s54, s52, s4
	s_mul_hi_u32 s8, s52, s8
	s_mul_hi_u32 s53, s52, s4
	s_add_u32 s8, s8, s54
	s_addc_u32 s53, 0, s53
	s_add_u32 s8, s8, s35
	s_mul_hi_u32 s5, s13, s4
	s_addc_u32 s8, s53, s12
	s_addc_u32 s5, s5, 0
	s_mul_i32 s4, s13, s4
	s_add_u32 s4, s8, s4
	s_addc_u32 s8, 0, s5
	s_add_u32 s12, s52, s4
	s_cselect_b64 s[4:5], -1, 0
	s_cmp_lg_u64 s[4:5], 0
	s_addc_u32 s4, s13, s8
	s_mul_i32 s8, s34, s4
	s_mul_hi_u32 s13, s34, s12
	s_mul_hi_u32 s5, s34, s4
	s_add_u32 s8, s13, s8
	s_addc_u32 s5, 0, s5
	s_mul_hi_u32 s35, s9, s12
	s_mul_i32 s12, s9, s12
	s_add_u32 s8, s8, s12
	s_mul_hi_u32 s13, s9, s4
	s_addc_u32 s5, s5, s35
	s_addc_u32 s8, s13, 0
	s_mul_i32 s4, s9, s4
	s_add_u32 s4, s5, s4
	s_addc_u32 s5, 0, s8
	s_mul_i32 s5, s67, s5
	s_mul_hi_u32 s8, s67, s4
	s_add_i32 s8, s8, s5
	s_mul_i32 s4, s67, s4
	s_sub_u32 s12, s34, s4
	s_cselect_b64 s[4:5], -1, 0
	s_cmp_lg_u64 s[4:5], 0
	s_subb_u32 s8, s9, s8
	s_sub_u32 s13, s12, s67
	s_cselect_b64 s[4:5], -1, 0
	s_cmp_lg_u64 s[4:5], 0
	s_subb_u32 s35, s8, 0
	;; [unrolled: 4-line block ×3, first 2 shown]
	s_cmp_ge_u32 s13, s67
	s_cselect_b32 s5, -1, 0
	s_cmp_eq_u32 s35, 0
	s_cselect_b32 s5, s5, -1
	s_cmp_lg_u32 s5, 0
	s_cselect_b32 s4, s4, s35
	s_cselect_b32 s13, s52, s13
	s_cmp_ge_u32 s12, s67
	s_cselect_b32 s5, -1, 0
	s_cmp_eq_u32 s8, 0
	s_cselect_b32 s5, s5, -1
	s_cmp_lg_u32 s5, 0
	s_cselect_b32 s5, s4, s8
	s_cselect_b32 s4, s13, s12
	s_cbranch_execnz .LBB162_138
.LBB162_137:                            ;   in Loop: Header=BB162_18 Depth=1
	v_cvt_f32_u32_e32 v3, s67
	s_sub_i32 s4, 0, s67
	v_rcp_iflag_f32_e32 v3, v3
	v_mul_f32_e32 v3, 0x4f7ffffe, v3
	v_cvt_u32_f32_e32 v3, v3
	v_readfirstlane_b32 s5, v3
	s_mul_i32 s4, s4, s5
	s_mul_hi_u32 s4, s5, s4
	s_add_i32 s5, s5, s4
	s_mul_hi_u32 s4, s34, s5
	s_mul_i32 s4, s4, s67
	s_sub_i32 s4, s34, s4
	s_sub_i32 s5, s4, s67
	s_cmp_ge_u32 s4, s67
	s_cselect_b32 s4, s5, s4
	s_sub_i32 s5, s4, s67
	s_cmp_ge_u32 s4, s67
	s_cselect_b32 s64, s5, s4
	s_mov_b64 s[4:5], s[64:65]
.LBB162_138:                            ;   in Loop: Header=BB162_18 Depth=1
	s_sub_u32 s54, s34, s4
	s_subb_u32 s55, s9, s5
	v_cmp_gt_u64_e32 vcc, s[54:55], v[0:1]
	s_mov_b64 s[34:35], 0
	s_mov_b64 s[8:9], 0
                                        ; implicit-def: $vgpr10_vgpr11
	s_and_saveexec_b64 s[52:53], vcc
	s_cbranch_execz .LBB162_149
; %bb.139:                              ;   in Loop: Header=BB162_18 Depth=1
	v_mov_b32_e32 v31, v1
	v_mov_b32_e32 v18, v36
	;; [unrolled: 1-line block ×3, first 2 shown]
                                        ; implicit-def: $sgpr12_sgpr13
	s_branch .LBB162_142
.LBB162_140:                            ;   in Loop: Header=BB162_142 Depth=2
	s_or_b64 exec, exec, s[4:5]
	s_waitcnt lgkmcnt(0)
	s_barrier
	ds_read_b128 v[8:11], v19 offset:3072
	s_mov_b64 s[4:5], -1
	s_mov_b64 s[70:71], -1
	s_waitcnt lgkmcnt(0)
	s_barrier
	v_cmp_ne_u64_e32 vcc, 0, v[8:9]
	s_cbranch_vccz .LBB162_145
.LBB162_141:                            ;   in Loop: Header=BB162_142 Depth=2
	s_and_b64 s[4:5], exec, s[4:5]
	s_or_b64 s[8:9], s[4:5], s[8:9]
	s_andn2_b64 s[4:5], s[12:13], exec
	s_and_b64 s[12:13], s[70:71], exec
	s_or_b64 s[12:13], s[4:5], s[12:13]
	s_andn2_b64 exec, exec, s[8:9]
	s_cbranch_execz .LBB162_148
.LBB162_142:                            ;   Parent Loop BB162_18 Depth=1
                                        ; =>  This Inner Loop Header: Depth=2
	v_cmp_gt_u64_e32 vcc, s[10:11], v[30:31]
	s_and_saveexec_b64 s[4:5], vcc
	s_cbranch_execz .LBB162_140
; %bb.143:                              ;   in Loop: Header=BB162_142 Depth=2
	ds_read_b64 v[4:5], v18
	s_waitcnt lgkmcnt(0)
	v_xor_b32_e32 v3, 0x80000000, v5
	v_and_b32_e32 v9, v3, v15
	v_and_b32_e32 v8, v4, v14
	v_cmp_eq_u64_e32 vcc, v[8:9], v[12:13]
	s_and_b64 exec, exec, vcc
	s_cbranch_execz .LBB162_140
; %bb.144:                              ;   in Loop: Header=BB162_142 Depth=2
	v_mov_b32_e32 v3, v19
	ds_write_b128 v19, v[2:5] offset:3072
	s_branch .LBB162_140
.LBB162_145:                            ;   in Loop: Header=BB162_142 Depth=2
	v_add_co_u32_e32 v30, vcc, s67, v30
	v_addc_co_u32_e32 v31, vcc, 0, v31, vcc
	v_cmp_le_u64_e32 vcc, s[54:55], v[30:31]
	v_add_u32_e32 v18, s74, v18
	s_mov_b64 s[70:71], 0
	s_orn2_b64 s[4:5], vcc, exec
	s_branch .LBB162_141
.LBB162_146:                            ;   in Loop: Header=BB162_18 Depth=1
                                        ; implicit-def: $sgpr4_sgpr5
	s_branch .LBB162_91
.LBB162_147:                            ;   in Loop: Header=BB162_18 Depth=1
	v_readlane_b32 s13, v45, 53
                                        ; implicit-def: $sgpr2_sgpr3
	s_branch .LBB162_108
.LBB162_148:                            ;   in Loop: Header=BB162_18 Depth=1
	s_or_b64 exec, exec, s[8:9]
	s_and_b64 s[8:9], s[12:13], exec
.LBB162_149:                            ;   in Loop: Header=BB162_18 Depth=1
	s_or_b64 exec, exec, s[52:53]
.LBB162_150:                            ;   in Loop: Header=BB162_18 Depth=1
	s_and_b64 vcc, exec, s[34:35]
	s_cbranch_vccz .LBB162_164
; %bb.151:                              ;   in Loop: Header=BB162_18 Depth=1
	s_mov_b32 s72, s65
	s_cmp_lg_u64 s[72:73], 0
	s_cbranch_scc0 .LBB162_192
; %bb.152:                              ;   in Loop: Header=BB162_18 Depth=1
	v_cvt_f32_u32_e32 v3, s67
	s_sub_u32 s10, 0, s67
	s_subb_u32 s11, 0, 0
	v_mac_f32_e32 v3, 0, v41
	v_rcp_f32_e32 v3, v3
	v_mul_f32_e32 v3, 0x5f7ffffc, v3
	v_mul_f32_e32 v4, 0x2f800000, v3
	v_trunc_f32_e32 v4, v4
	v_mac_f32_e32 v3, 0xcf800000, v4
	v_cvt_u32_f32_e32 v4, v4
	v_cvt_u32_f32_e32 v3, v3
	v_readfirstlane_b32 s12, v4
	v_readfirstlane_b32 s4, v3
	s_mul_i32 s5, s10, s12
	s_mul_hi_u32 s34, s10, s4
	s_mul_i32 s13, s11, s4
	s_add_i32 s5, s34, s5
	s_mul_i32 s35, s10, s4
	s_add_i32 s5, s5, s13
	s_mul_hi_u32 s34, s4, s35
	s_mul_i32 s38, s4, s5
	s_mul_hi_u32 s13, s4, s5
	s_add_u32 s34, s34, s38
	s_addc_u32 s13, 0, s13
	s_mul_hi_u32 s39, s12, s35
	s_mul_i32 s35, s12, s35
	s_add_u32 s34, s34, s35
	s_mul_hi_u32 s38, s12, s5
	s_addc_u32 s13, s13, s39
	s_addc_u32 s34, s38, 0
	s_mul_i32 s5, s12, s5
	s_add_u32 s5, s13, s5
	s_addc_u32 s13, 0, s34
	s_add_u32 s34, s4, s5
	s_cselect_b64 s[4:5], -1, 0
	s_cmp_lg_u64 s[4:5], 0
	s_addc_u32 s12, s12, s13
	s_mul_i32 s4, s10, s12
	s_mul_hi_u32 s5, s10, s34
	s_add_i32 s4, s5, s4
	s_mul_i32 s11, s11, s34
	s_add_i32 s4, s4, s11
	s_mul_i32 s10, s10, s34
	s_mul_hi_u32 s11, s12, s10
	s_mul_i32 s13, s12, s10
	s_mul_i32 s38, s34, s4
	s_mul_hi_u32 s10, s34, s10
	s_mul_hi_u32 s35, s34, s4
	s_add_u32 s10, s10, s38
	s_addc_u32 s35, 0, s35
	s_add_u32 s10, s10, s13
	s_mul_hi_u32 s5, s12, s4
	s_addc_u32 s10, s35, s11
	s_addc_u32 s5, s5, 0
	s_mul_i32 s4, s12, s4
	s_add_u32 s4, s10, s4
	s_addc_u32 s10, 0, s5
	s_add_u32 s11, s34, s4
	s_cselect_b64 s[4:5], -1, 0
	s_cmp_lg_u64 s[4:5], 0
	s_addc_u32 s4, s12, s10
	v_readlane_b32 s35, v45, 53
	s_mul_i32 s10, s35, s4
	s_mul_hi_u32 s12, s35, s11
	s_mul_hi_u32 s5, s35, s4
	s_add_u32 s10, s12, s10
	s_addc_u32 s5, 0, s5
	s_mul_hi_u32 s13, s73, s11
	s_mul_i32 s11, s73, s11
	s_add_u32 s10, s10, s11
	s_mul_hi_u32 s12, s73, s4
	s_addc_u32 s5, s5, s13
	s_addc_u32 s10, s12, 0
	s_mul_i32 s4, s73, s4
	s_add_u32 s4, s5, s4
	s_addc_u32 s5, 0, s10
	s_mul_i32 s5, s67, s5
	s_mul_hi_u32 s10, s67, s4
	s_add_i32 s10, s10, s5
	s_mul_i32 s4, s67, s4
	s_sub_u32 s11, s35, s4
	s_cselect_b64 s[4:5], -1, 0
	s_cmp_lg_u64 s[4:5], 0
	s_subb_u32 s10, s73, s10
	s_sub_u32 s12, s11, s67
	s_cselect_b64 s[4:5], -1, 0
	s_cmp_lg_u64 s[4:5], 0
	s_subb_u32 s13, s10, 0
	s_sub_u32 s34, s12, s67
	s_cselect_b64 s[4:5], -1, 0
	s_cmp_lg_u64 s[4:5], 0
	s_subb_u32 s4, s13, 0
	s_cmp_ge_u32 s12, s67
	s_cselect_b32 s5, -1, 0
	s_cmp_eq_u32 s13, 0
	s_cselect_b32 s5, s5, -1
	s_cmp_lg_u32 s5, 0
	s_cselect_b32 s4, s4, s13
	s_cselect_b32 s12, s34, s12
	s_cmp_ge_u32 s11, s67
	s_cselect_b32 s5, -1, 0
	s_cmp_eq_u32 s10, 0
	s_cselect_b32 s5, s5, -1
	s_cmp_lg_u32 s5, 0
	s_cselect_b32 s5, s4, s10
	s_cselect_b32 s4, s12, s11
	s_cbranch_execnz .LBB162_154
.LBB162_153:                            ;   in Loop: Header=BB162_18 Depth=1
	v_cvt_f32_u32_e32 v3, s67
	s_sub_i32 s4, 0, s67
	v_rcp_iflag_f32_e32 v3, v3
	v_mul_f32_e32 v3, 0x4f7ffffe, v3
	v_cvt_u32_f32_e32 v3, v3
	v_readfirstlane_b32 s5, v3
	s_mul_i32 s4, s4, s5
	s_mul_hi_u32 s4, s5, s4
	s_add_i32 s5, s5, s4
	s_mul_hi_u32 s4, s35, s5
	s_mul_i32 s4, s4, s67
	s_sub_i32 s4, s35, s4
	s_sub_i32 s5, s4, s67
	s_cmp_ge_u32 s4, s67
	s_cselect_b32 s4, s5, s4
	s_sub_i32 s5, s4, s67
	s_cmp_ge_u32 s4, s67
	s_cselect_b32 s64, s5, s4
	s_mov_b64 s[4:5], s[64:65]
.LBB162_154:                            ;   in Loop: Header=BB162_18 Depth=1
	s_sub_u32 s34, s35, s4
	s_subb_u32 s35, s73, s5
	v_cmp_gt_u64_e32 vcc, s[34:35], v[0:1]
                                        ; implicit-def: $vgpr10_vgpr11
	s_and_saveexec_b64 s[10:11], vcc
	s_cbranch_execz .LBB162_163
; %bb.155:                              ;   in Loop: Header=BB162_18 Depth=1
	v_mov_b32_e32 v31, v1
	s_mov_b64 s[12:13], 0
	v_mov_b32_e32 v30, v0
                                        ; implicit-def: $sgpr38_sgpr39
	s_branch .LBB162_158
.LBB162_156:                            ;   in Loop: Header=BB162_158 Depth=2
	s_or_b64 exec, exec, s[4:5]
	s_waitcnt lgkmcnt(0)
	s_barrier
	ds_read_b128 v[8:11], v19 offset:3072
	s_mov_b64 s[50:51], -1
	s_mov_b64 s[4:5], -1
	s_waitcnt lgkmcnt(0)
	s_barrier
	v_cmp_eq_u64_e32 vcc, 0, v[8:9]
	s_cbranch_vccnz .LBB162_161
.LBB162_157:                            ;   in Loop: Header=BB162_158 Depth=2
	s_and_b64 s[50:51], exec, s[50:51]
	s_or_b64 s[12:13], s[50:51], s[12:13]
	s_andn2_b64 s[38:39], s[38:39], exec
	s_and_b64 s[4:5], s[4:5], exec
	s_or_b64 s[38:39], s[38:39], s[4:5]
	s_andn2_b64 exec, exec, s[12:13]
	s_cbranch_execz .LBB162_162
.LBB162_158:                            ;   Parent Loop BB162_18 Depth=1
                                        ; =>  This Inner Loop Header: Depth=2
	v_cmp_gt_u64_e32 vcc, s[24:25], v[30:31]
	s_and_saveexec_b64 s[4:5], vcc
	s_cbranch_execz .LBB162_156
; %bb.159:                              ;   in Loop: Header=BB162_158 Depth=2
	v_mul_lo_u32 v5, v31, s22
	v_mul_lo_u32 v8, v30, s23
	v_mad_u64_u32 v[3:4], s[50:51], v30, s22, 0
	v_add3_u32 v4, v4, v8, v5
	v_lshlrev_b64 v[3:4], 3, v[3:4]
	v_mov_b32_e32 v5, s66
	v_add_co_u32_e32 v3, vcc, s33, v3
	v_addc_co_u32_e32 v4, vcc, v5, v4, vcc
	global_load_dwordx2 v[4:5], v[3:4], off
	s_waitcnt vmcnt(0)
	v_xor_b32_e32 v3, 0x80000000, v5
	v_and_b32_e32 v9, v3, v15
	v_and_b32_e32 v8, v4, v14
	v_cmp_eq_u64_e32 vcc, v[8:9], v[12:13]
	s_and_b64 exec, exec, vcc
	s_cbranch_execz .LBB162_156
; %bb.160:                              ;   in Loop: Header=BB162_158 Depth=2
	v_mov_b32_e32 v3, v19
	ds_write_b128 v19, v[2:5] offset:3072
	s_branch .LBB162_156
.LBB162_161:                            ;   in Loop: Header=BB162_158 Depth=2
	v_add_co_u32_e32 v30, vcc, s67, v30
	v_addc_co_u32_e32 v31, vcc, 0, v31, vcc
	v_cmp_le_u64_e32 vcc, s[34:35], v[30:31]
	s_mov_b64 s[4:5], 0
	s_orn2_b64 s[50:51], vcc, exec
	s_branch .LBB162_157
.LBB162_162:                            ;   in Loop: Header=BB162_18 Depth=1
	s_or_b64 exec, exec, s[12:13]
	s_andn2_b64 s[4:5], s[8:9], exec
	s_and_b64 s[8:9], s[38:39], exec
	s_or_b64 s[8:9], s[4:5], s[8:9]
.LBB162_163:                            ;   in Loop: Header=BB162_18 Depth=1
	s_or_b64 exec, exec, s[10:11]
	s_mov_b64 s[38:39], 0
	s_mov_b64 s[50:51], -1
.LBB162_164:                            ;   in Loop: Header=BB162_18 Depth=1
	s_orn2_b64 s[4:5], s[8:9], exec
.LBB162_165:                            ;   in Loop: Header=BB162_18 Depth=1
	s_or_b64 exec, exec, s[48:49]
	s_mov_b64 s[8:9], 0
	s_and_saveexec_b64 s[52:53], s[4:5]
	s_cbranch_execz .LBB162_275
; %bb.166:                              ;   in Loop: Header=BB162_18 Depth=1
	v_mov_b32_e32 v30, 1
	s_xor_b64 s[4:5], s[20:21], -1
	v_mov_b32_e32 v42, 1
	v_mov_b32_e32 v31, 0
	s_mov_b64 s[10:11], 0
	s_and_saveexec_b64 s[8:9], s[4:5]
	s_cbranch_execz .LBB162_175
; %bb.167:                              ;   in Loop: Header=BB162_18 Depth=1
	v_cmp_ge_u64_e32 vcc, s[42:43], v[28:29]
	s_and_saveexec_b64 s[4:5], vcc
	s_xor_b64 s[10:11], exec, s[4:5]
	s_cbranch_execz .LBB162_172
; %bb.168:                              ;   in Loop: Header=BB162_18 Depth=1
	s_lshl_b64 s[4:5], 1, s75
	v_and_b32_e32 v3, s63, v13
	v_and_b32_e32 v4, s62, v12
	v_or_b32_e32 v13, s5, v3
	v_or_b32_e32 v12, s4, v4
	ds_read_b64 v[3:4], v19 offset:5120
	v_or_b32_e32 v15, s19, v15
	v_or_b32_e32 v14, s18, v14
	s_waitcnt lgkmcnt(0)
	v_cmp_ne_u64_e32 vcc, 0, v[3:4]
	s_cbranch_vccnz .LBB162_172
; %bb.169:                              ;   in Loop: Header=BB162_18 Depth=1
	s_mov_b64 s[4:5], exec
	v_readlane_b32 s12, v45, 32
	v_readlane_b32 s13, v45, 33
	s_and_b64 s[12:13], s[4:5], s[12:13]
	s_mov_b64 exec, s[12:13]
; %bb.170:                              ;   in Loop: Header=BB162_18 Depth=1
	v_mov_b32_e32 v3, s42
	v_mov_b32_e32 v4, s43
	ds_write_b64 v19, v[3:4] offset:5128
; %bb.171:                              ;   in Loop: Header=BB162_18 Depth=1
	s_or_b64 exec, exec, s[4:5]
	s_waitcnt lgkmcnt(0)
	s_barrier
.LBB162_172:                            ;   in Loop: Header=BB162_18 Depth=1
	s_or_saveexec_b64 s[4:5], s[10:11]
	s_mov_b64 s[10:11], 0
	v_mov_b32_e32 v42, 8
	s_xor_b64 exec, exec, s[4:5]
; %bb.173:                              ;   in Loop: Header=BB162_18 Depth=1
	v_subrev_co_u32_e32 v28, vcc, s42, v28
	v_mov_b32_e32 v3, s43
	v_subb_co_u32_e32 v29, vcc, v29, v3, vcc
	v_mov_b32_e32 v42, 0
	s_mov_b64 s[10:11], exec
; %bb.174:                              ;   in Loop: Header=BB162_18 Depth=1
	s_or_b64 exec, exec, s[4:5]
	v_mov_b32_e32 v31, v29
	s_and_b64 s[10:11], s[10:11], exec
	v_mov_b32_e32 v30, v28
.LBB162_175:                            ;   in Loop: Header=BB162_18 Depth=1
	s_or_b64 exec, exec, s[8:9]
	s_mov_b64 s[8:9], -1
                                        ; implicit-def: $sgpr76_sgpr77
                                        ; implicit-def: $sgpr4_sgpr5
                                        ; kill: killed $sgpr4_sgpr5
	s_and_saveexec_b64 s[48:49], s[10:11]
	s_cbranch_execz .LBB162_274
; %bb.176:                              ;   in Loop: Header=BB162_18 Depth=1
	s_cmp_eq_u64 s[44:45], 1
	v_cmp_eq_u64_e32 vcc, 1, v[30:31]
	s_cselect_b64 s[4:5], -1, 0
	s_and_b64 s[20:21], s[4:5], vcc
                                        ; implicit-def: $sgpr4_sgpr5
                                        ; kill: killed $sgpr4_sgpr5
                                        ; implicit-def: $sgpr76_sgpr77
	s_and_saveexec_b64 s[78:79], s[20:21]
	s_cbranch_execz .LBB162_210
; %bb.177:                              ;   in Loop: Header=BB162_18 Depth=1
	ds_read_b64 v[3:4], v19 offset:5120
	s_waitcnt lgkmcnt(0)
	s_barrier
	v_readfirstlane_b32 s10, v3
	v_readfirstlane_b32 s11, v4
	s_mov_b64 s[4:5], exec
	v_readlane_b32 s8, v45, 48
	v_readlane_b32 s9, v45, 49
	s_and_b64 s[8:9], s[4:5], s[8:9]
	s_mov_b64 exec, s[8:9]
; %bb.178:                              ;   in Loop: Header=BB162_18 Depth=1
	v_mov_b32_e32 v18, v19
	ds_write_b64 v37, v[18:19]
; %bb.179:                              ;   in Loop: Header=BB162_18 Depth=1
	s_or_b64 exec, exec, s[4:5]
	s_lshl_b64 s[4:5], 2, s75
	v_and_b32_e32 v3, s63, v13
	v_and_b32_e32 v4, s62, v12
	v_or_b32_e32 v13, s5, v3
	v_or_b32_e32 v12, s4, v4
	s_mov_b64 s[4:5], 0
	v_or_b32_e32 v15, s19, v15
	v_or_b32_e32 v14, s18, v14
	s_mov_b64 s[76:77], -1
	v_writelane_b32 v44, s4, 0
	s_cmp_eq_u64 s[10:11], 0
	s_mov_b64 s[8:9], 0
	s_mov_b64 s[34:35], -1
	s_waitcnt lgkmcnt(0)
	s_barrier
	v_writelane_b32 v44, s5, 1
                                        ; implicit-def: $vgpr10_vgpr11
	s_cbranch_scc1 .LBB162_195
; %bb.180:                              ;   in Loop: Header=BB162_18 Depth=1
	v_readlane_b32 s4, v45, 52
	s_add_u32 s34, s10, s4
	v_readlane_b32 s4, v45, 54
	s_addc_u32 s9, s11, s4
	s_mov_b32 s8, s65
	s_cmp_lg_u64 s[8:9], 0
	s_cbranch_scc0 .LBB162_227
; %bb.181:                              ;   in Loop: Header=BB162_18 Depth=1
	v_cvt_f32_u32_e32 v3, s67
	s_sub_u32 s8, 0, s67
	s_subb_u32 s12, 0, 0
	v_mac_f32_e32 v3, 0, v41
	v_rcp_f32_e32 v3, v3
	v_mul_f32_e32 v3, 0x5f7ffffc, v3
	v_mul_f32_e32 v4, 0x2f800000, v3
	v_trunc_f32_e32 v4, v4
	v_mac_f32_e32 v3, 0xcf800000, v4
	v_cvt_u32_f32_e32 v4, v4
	v_cvt_u32_f32_e32 v3, v3
	v_readfirstlane_b32 s13, v4
	v_readfirstlane_b32 s4, v3
	s_mul_i32 s5, s8, s13
	s_mul_hi_u32 s54, s8, s4
	s_mul_i32 s35, s12, s4
	s_add_i32 s5, s54, s5
	s_mul_i32 s55, s8, s4
	s_add_i32 s5, s5, s35
	s_mul_hi_u32 s54, s4, s55
	s_mul_i32 s64, s4, s5
	s_mul_hi_u32 s35, s4, s5
	s_add_u32 s54, s54, s64
	s_addc_u32 s35, 0, s35
	s_mul_hi_u32 s70, s13, s55
	s_mul_i32 s55, s13, s55
	s_add_u32 s54, s54, s55
	s_mul_hi_u32 s64, s13, s5
	s_addc_u32 s35, s35, s70
	s_addc_u32 s54, s64, 0
	s_mul_i32 s5, s13, s5
	s_add_u32 s5, s35, s5
	s_addc_u32 s35, 0, s54
	s_add_u32 s54, s4, s5
	s_cselect_b64 s[4:5], -1, 0
	s_cmp_lg_u64 s[4:5], 0
	s_addc_u32 s13, s13, s35
	s_mul_i32 s4, s8, s13
	s_mul_hi_u32 s5, s8, s54
	s_add_i32 s4, s5, s4
	s_mul_i32 s12, s12, s54
	s_add_i32 s4, s4, s12
	s_mul_i32 s8, s8, s54
	s_mul_hi_u32 s12, s13, s8
	s_mul_i32 s35, s13, s8
	s_mul_i32 s64, s54, s4
	s_mul_hi_u32 s8, s54, s8
	s_mul_hi_u32 s55, s54, s4
	s_add_u32 s8, s8, s64
	s_addc_u32 s55, 0, s55
	s_add_u32 s8, s8, s35
	s_mul_hi_u32 s5, s13, s4
	s_addc_u32 s8, s55, s12
	s_addc_u32 s5, s5, 0
	s_mul_i32 s4, s13, s4
	s_add_u32 s4, s8, s4
	s_addc_u32 s8, 0, s5
	s_add_u32 s12, s54, s4
	s_cselect_b64 s[4:5], -1, 0
	s_cmp_lg_u64 s[4:5], 0
	s_addc_u32 s4, s13, s8
	s_mul_i32 s8, s34, s4
	s_mul_hi_u32 s13, s34, s12
	s_mul_hi_u32 s5, s34, s4
	s_add_u32 s8, s13, s8
	s_addc_u32 s5, 0, s5
	s_mul_hi_u32 s35, s9, s12
	s_mul_i32 s12, s9, s12
	s_add_u32 s8, s8, s12
	s_mul_hi_u32 s13, s9, s4
	s_addc_u32 s5, s5, s35
	s_addc_u32 s8, s13, 0
	s_mul_i32 s4, s9, s4
	s_add_u32 s4, s5, s4
	s_addc_u32 s5, 0, s8
	s_mul_i32 s5, s67, s5
	s_mul_hi_u32 s8, s67, s4
	s_add_i32 s8, s8, s5
	s_mul_i32 s4, s67, s4
	s_sub_u32 s12, s34, s4
	s_cselect_b64 s[4:5], -1, 0
	s_cmp_lg_u64 s[4:5], 0
	s_subb_u32 s8, s9, s8
	s_sub_u32 s13, s12, s67
	s_cselect_b64 s[4:5], -1, 0
	s_cmp_lg_u64 s[4:5], 0
	s_subb_u32 s35, s8, 0
	;; [unrolled: 4-line block ×3, first 2 shown]
	s_cmp_ge_u32 s13, s67
	s_cselect_b32 s5, -1, 0
	s_cmp_eq_u32 s35, 0
	s_cselect_b32 s5, s5, -1
	s_cmp_lg_u32 s5, 0
	s_cselect_b32 s4, s4, s35
	s_cselect_b32 s13, s54, s13
	s_cmp_ge_u32 s12, s67
	s_cselect_b32 s5, -1, 0
	s_cmp_eq_u32 s8, 0
	s_cselect_b32 s5, s5, -1
	s_cmp_lg_u32 s5, 0
	s_cselect_b32 s5, s4, s8
	s_cselect_b32 s4, s13, s12
	s_cbranch_execnz .LBB162_183
.LBB162_182:                            ;   in Loop: Header=BB162_18 Depth=1
	v_cvt_f32_u32_e32 v3, s67
	s_sub_i32 s4, 0, s67
	v_rcp_iflag_f32_e32 v3, v3
	v_mul_f32_e32 v3, 0x4f7ffffe, v3
	v_cvt_u32_f32_e32 v3, v3
	v_readfirstlane_b32 s5, v3
	s_mul_i32 s4, s4, s5
	s_mul_hi_u32 s4, s5, s4
	s_add_i32 s5, s5, s4
	s_mul_hi_u32 s4, s34, s5
	s_mul_i32 s4, s4, s67
	s_sub_i32 s4, s34, s4
	s_sub_i32 s5, s4, s67
	s_cmp_ge_u32 s4, s67
	s_cselect_b32 s4, s5, s4
	s_sub_i32 s5, s4, s67
	s_cmp_ge_u32 s4, s67
	s_cselect_b32 s64, s5, s4
	s_mov_b64 s[4:5], s[64:65]
.LBB162_183:                            ;   in Loop: Header=BB162_18 Depth=1
	s_sub_u32 s12, s34, s4
	s_subb_u32 s13, s9, s5
	v_cmp_gt_u64_e32 vcc, s[12:13], v[0:1]
	s_mov_b64 s[34:35], 0
	s_mov_b64 s[8:9], 0
                                        ; implicit-def: $vgpr10_vgpr11
	s_and_saveexec_b64 s[70:71], vcc
	s_cbranch_execz .LBB162_194
; %bb.184:                              ;   in Loop: Header=BB162_18 Depth=1
	v_mov_b32_e32 v29, v1
	v_mov_b32_e32 v18, v36
	;; [unrolled: 1-line block ×3, first 2 shown]
                                        ; implicit-def: $sgpr54_sgpr55
	s_branch .LBB162_187
.LBB162_185:                            ;   in Loop: Header=BB162_187 Depth=2
	s_or_b64 exec, exec, s[4:5]
	s_waitcnt lgkmcnt(0)
	s_barrier
	ds_read_b128 v[8:11], v19 offset:3072
	s_mov_b64 s[4:5], -1
	s_mov_b64 s[76:77], -1
	s_waitcnt lgkmcnt(0)
	s_barrier
	v_cmp_ne_u64_e32 vcc, 0, v[8:9]
	s_cbranch_vccz .LBB162_190
.LBB162_186:                            ;   in Loop: Header=BB162_187 Depth=2
	s_and_b64 s[4:5], exec, s[4:5]
	s_or_b64 s[8:9], s[4:5], s[8:9]
	s_andn2_b64 s[4:5], s[54:55], exec
	s_and_b64 s[54:55], s[76:77], exec
	s_or_b64 s[54:55], s[4:5], s[54:55]
	s_andn2_b64 exec, exec, s[8:9]
	s_cbranch_execz .LBB162_193
.LBB162_187:                            ;   Parent Loop BB162_18 Depth=1
                                        ; =>  This Inner Loop Header: Depth=2
	v_cmp_gt_u64_e32 vcc, s[10:11], v[28:29]
	s_and_saveexec_b64 s[4:5], vcc
	s_cbranch_execz .LBB162_185
; %bb.188:                              ;   in Loop: Header=BB162_187 Depth=2
	ds_read_b64 v[4:5], v18
	s_waitcnt lgkmcnt(0)
	v_xor_b32_e32 v3, 0x80000000, v5
	v_and_b32_e32 v9, v3, v15
	v_and_b32_e32 v8, v4, v14
	v_cmp_eq_u64_e32 vcc, v[8:9], v[12:13]
	s_and_b64 exec, exec, vcc
	s_cbranch_execz .LBB162_185
; %bb.189:                              ;   in Loop: Header=BB162_187 Depth=2
	v_mov_b32_e32 v3, v19
	ds_write_b128 v19, v[2:5] offset:3072
	s_branch .LBB162_185
.LBB162_190:                            ;   in Loop: Header=BB162_187 Depth=2
	v_add_co_u32_e32 v28, vcc, s67, v28
	v_addc_co_u32_e32 v29, vcc, 0, v29, vcc
	v_cmp_le_u64_e32 vcc, s[12:13], v[28:29]
	v_add_u32_e32 v18, s74, v18
	s_mov_b64 s[76:77], 0
	s_orn2_b64 s[4:5], vcc, exec
	s_branch .LBB162_186
.LBB162_191:                            ;   in Loop: Header=BB162_18 Depth=1
                                        ; implicit-def: $sgpr4_sgpr5
	s_branch .LBB162_137
.LBB162_192:                            ;   in Loop: Header=BB162_18 Depth=1
	v_readlane_b32 s35, v45, 53
                                        ; implicit-def: $sgpr4_sgpr5
	s_branch .LBB162_153
.LBB162_193:                            ;   in Loop: Header=BB162_18 Depth=1
	s_or_b64 exec, exec, s[8:9]
	s_and_b64 s[8:9], s[54:55], exec
	s_mov_b64 s[76:77], -1
.LBB162_194:                            ;   in Loop: Header=BB162_18 Depth=1
	s_or_b64 exec, exec, s[70:71]
.LBB162_195:                            ;   in Loop: Header=BB162_18 Depth=1
	s_and_b64 vcc, exec, s[34:35]
	s_cbranch_vccz .LBB162_209
; %bb.196:                              ;   in Loop: Header=BB162_18 Depth=1
	s_mov_b32 s72, s65
	s_cmp_lg_u64 s[72:73], 0
	s_cbranch_scc0 .LBB162_228
; %bb.197:                              ;   in Loop: Header=BB162_18 Depth=1
	v_cvt_f32_u32_e32 v3, s67
	s_sub_u32 s10, 0, s67
	s_subb_u32 s11, 0, 0
	v_mac_f32_e32 v3, 0, v41
	v_rcp_f32_e32 v3, v3
	v_mul_f32_e32 v3, 0x5f7ffffc, v3
	v_mul_f32_e32 v4, 0x2f800000, v3
	v_trunc_f32_e32 v4, v4
	v_mac_f32_e32 v3, 0xcf800000, v4
	v_cvt_u32_f32_e32 v4, v4
	v_cvt_u32_f32_e32 v3, v3
	v_readfirstlane_b32 s12, v4
	v_readfirstlane_b32 s4, v3
	s_mul_i32 s5, s10, s12
	s_mul_hi_u32 s34, s10, s4
	s_mul_i32 s13, s11, s4
	s_add_i32 s5, s34, s5
	s_mul_i32 s35, s10, s4
	s_add_i32 s5, s5, s13
	s_mul_hi_u32 s34, s4, s35
	s_mul_i32 s54, s4, s5
	s_mul_hi_u32 s13, s4, s5
	s_add_u32 s34, s34, s54
	s_addc_u32 s13, 0, s13
	s_mul_hi_u32 s55, s12, s35
	s_mul_i32 s35, s12, s35
	s_add_u32 s34, s34, s35
	s_mul_hi_u32 s54, s12, s5
	s_addc_u32 s13, s13, s55
	s_addc_u32 s34, s54, 0
	s_mul_i32 s5, s12, s5
	s_add_u32 s5, s13, s5
	s_addc_u32 s13, 0, s34
	s_add_u32 s34, s4, s5
	s_cselect_b64 s[4:5], -1, 0
	s_cmp_lg_u64 s[4:5], 0
	s_addc_u32 s12, s12, s13
	s_mul_i32 s4, s10, s12
	s_mul_hi_u32 s5, s10, s34
	s_add_i32 s4, s5, s4
	s_mul_i32 s11, s11, s34
	s_add_i32 s4, s4, s11
	s_mul_i32 s10, s10, s34
	s_mul_hi_u32 s11, s12, s10
	s_mul_i32 s13, s12, s10
	s_mul_i32 s54, s34, s4
	s_mul_hi_u32 s10, s34, s10
	s_mul_hi_u32 s35, s34, s4
	s_add_u32 s10, s10, s54
	s_addc_u32 s35, 0, s35
	s_add_u32 s10, s10, s13
	s_mul_hi_u32 s5, s12, s4
	s_addc_u32 s10, s35, s11
	s_addc_u32 s5, s5, 0
	s_mul_i32 s4, s12, s4
	s_add_u32 s4, s10, s4
	s_addc_u32 s10, 0, s5
	s_add_u32 s11, s34, s4
	s_cselect_b64 s[4:5], -1, 0
	s_cmp_lg_u64 s[4:5], 0
	s_addc_u32 s4, s12, s10
	v_readlane_b32 s35, v45, 53
	s_mul_i32 s10, s35, s4
	s_mul_hi_u32 s12, s35, s11
	s_mul_hi_u32 s5, s35, s4
	s_add_u32 s10, s12, s10
	s_addc_u32 s5, 0, s5
	s_mul_hi_u32 s13, s73, s11
	s_mul_i32 s11, s73, s11
	s_add_u32 s10, s10, s11
	s_mul_hi_u32 s12, s73, s4
	s_addc_u32 s5, s5, s13
	s_addc_u32 s10, s12, 0
	s_mul_i32 s4, s73, s4
	s_add_u32 s4, s5, s4
	s_addc_u32 s5, 0, s10
	s_mul_i32 s5, s67, s5
	s_mul_hi_u32 s10, s67, s4
	s_add_i32 s10, s10, s5
	s_mul_i32 s4, s67, s4
	s_sub_u32 s11, s35, s4
	s_cselect_b64 s[4:5], -1, 0
	s_cmp_lg_u64 s[4:5], 0
	s_subb_u32 s10, s73, s10
	s_sub_u32 s12, s11, s67
	s_cselect_b64 s[4:5], -1, 0
	s_cmp_lg_u64 s[4:5], 0
	s_subb_u32 s13, s10, 0
	;; [unrolled: 4-line block ×3, first 2 shown]
	s_cmp_ge_u32 s12, s67
	s_cselect_b32 s5, -1, 0
	s_cmp_eq_u32 s13, 0
	s_cselect_b32 s5, s5, -1
	s_cmp_lg_u32 s5, 0
	s_cselect_b32 s4, s4, s13
	s_cselect_b32 s12, s34, s12
	s_cmp_ge_u32 s11, s67
	s_cselect_b32 s5, -1, 0
	s_cmp_eq_u32 s10, 0
	s_cselect_b32 s5, s5, -1
	s_cmp_lg_u32 s5, 0
	s_cselect_b32 s5, s4, s10
	s_cselect_b32 s4, s12, s11
	s_cbranch_execnz .LBB162_199
.LBB162_198:                            ;   in Loop: Header=BB162_18 Depth=1
	v_cvt_f32_u32_e32 v3, s67
	s_sub_i32 s4, 0, s67
	v_rcp_iflag_f32_e32 v3, v3
	v_mul_f32_e32 v3, 0x4f7ffffe, v3
	v_cvt_u32_f32_e32 v3, v3
	v_readfirstlane_b32 s5, v3
	s_mul_i32 s4, s4, s5
	s_mul_hi_u32 s4, s5, s4
	s_add_i32 s5, s5, s4
	s_mul_hi_u32 s4, s35, s5
	s_mul_i32 s4, s4, s67
	s_sub_i32 s4, s35, s4
	s_sub_i32 s5, s4, s67
	s_cmp_ge_u32 s4, s67
	s_cselect_b32 s4, s5, s4
	s_sub_i32 s5, s4, s67
	s_cmp_ge_u32 s4, s67
	s_cselect_b32 s64, s5, s4
	s_mov_b64 s[4:5], s[64:65]
.LBB162_199:                            ;   in Loop: Header=BB162_18 Depth=1
	s_sub_u32 s34, s35, s4
	s_subb_u32 s35, s73, s5
	v_cmp_gt_u64_e32 vcc, s[34:35], v[0:1]
                                        ; implicit-def: $vgpr10_vgpr11
	s_and_saveexec_b64 s[10:11], vcc
	s_cbranch_execz .LBB162_208
; %bb.200:                              ;   in Loop: Header=BB162_18 Depth=1
	v_mov_b32_e32 v29, v1
	s_mov_b64 s[12:13], 0
	v_mov_b32_e32 v28, v0
                                        ; implicit-def: $sgpr54_sgpr55
	s_branch .LBB162_203
.LBB162_201:                            ;   in Loop: Header=BB162_203 Depth=2
	s_or_b64 exec, exec, s[4:5]
	s_waitcnt lgkmcnt(0)
	s_barrier
	ds_read_b128 v[8:11], v19 offset:3072
	s_mov_b64 s[70:71], -1
	s_mov_b64 s[4:5], -1
	s_waitcnt lgkmcnt(0)
	s_barrier
	v_cmp_eq_u64_e32 vcc, 0, v[8:9]
	s_cbranch_vccnz .LBB162_206
.LBB162_202:                            ;   in Loop: Header=BB162_203 Depth=2
	s_and_b64 s[70:71], exec, s[70:71]
	s_or_b64 s[12:13], s[70:71], s[12:13]
	s_andn2_b64 s[54:55], s[54:55], exec
	s_and_b64 s[4:5], s[4:5], exec
	s_or_b64 s[54:55], s[54:55], s[4:5]
	s_andn2_b64 exec, exec, s[12:13]
	s_cbranch_execz .LBB162_207
.LBB162_203:                            ;   Parent Loop BB162_18 Depth=1
                                        ; =>  This Inner Loop Header: Depth=2
	v_cmp_gt_u64_e32 vcc, s[24:25], v[28:29]
	s_and_saveexec_b64 s[4:5], vcc
	s_cbranch_execz .LBB162_201
; %bb.204:                              ;   in Loop: Header=BB162_203 Depth=2
	v_mul_lo_u32 v5, v29, s22
	v_mul_lo_u32 v8, v28, s23
	v_mad_u64_u32 v[3:4], s[70:71], v28, s22, 0
	v_add3_u32 v4, v4, v8, v5
	v_lshlrev_b64 v[3:4], 3, v[3:4]
	v_mov_b32_e32 v5, s66
	v_add_co_u32_e32 v3, vcc, s33, v3
	v_addc_co_u32_e32 v4, vcc, v5, v4, vcc
	global_load_dwordx2 v[4:5], v[3:4], off
	s_waitcnt vmcnt(0)
	v_xor_b32_e32 v3, 0x80000000, v5
	v_and_b32_e32 v9, v3, v15
	v_and_b32_e32 v8, v4, v14
	v_cmp_eq_u64_e32 vcc, v[8:9], v[12:13]
	s_and_b64 exec, exec, vcc
	s_cbranch_execz .LBB162_201
; %bb.205:                              ;   in Loop: Header=BB162_203 Depth=2
	v_mov_b32_e32 v3, v19
	ds_write_b128 v19, v[2:5] offset:3072
	s_branch .LBB162_201
.LBB162_206:                            ;   in Loop: Header=BB162_203 Depth=2
	v_add_co_u32_e32 v28, vcc, s67, v28
	v_addc_co_u32_e32 v29, vcc, 0, v29, vcc
	v_cmp_le_u64_e32 vcc, s[34:35], v[28:29]
	s_mov_b64 s[4:5], 0
	s_orn2_b64 s[70:71], vcc, exec
	s_branch .LBB162_202
.LBB162_207:                            ;   in Loop: Header=BB162_18 Depth=1
	s_or_b64 exec, exec, s[12:13]
	s_andn2_b64 s[4:5], s[8:9], exec
	s_and_b64 s[8:9], s[54:55], exec
	s_or_b64 s[8:9], s[4:5], s[8:9]
.LBB162_208:                            ;   in Loop: Header=BB162_18 Depth=1
	s_or_b64 exec, exec, s[10:11]
	s_mov_b64 s[4:5], -1
	s_mov_b64 s[76:77], 0
	v_writelane_b32 v44, s4, 0
	v_writelane_b32 v44, s5, 1
.LBB162_209:                            ;   in Loop: Header=BB162_18 Depth=1
	s_orn2_b64 s[8:9], s[8:9], exec
.LBB162_210:                            ;   in Loop: Header=BB162_18 Depth=1
	s_or_b64 exec, exec, s[78:79]
	s_mov_b64 s[10:11], 0
	s_and_saveexec_b64 s[78:79], s[8:9]
	s_cbranch_execz .LBB162_273
; %bb.211:                              ;   in Loop: Header=BB162_18 Depth=1
	v_mov_b32_e32 v28, 1
	s_xor_b64 s[4:5], s[20:21], -1
	v_mov_b32_e32 v42, 1
	v_mov_b32_e32 v29, 0
	s_and_saveexec_b64 s[8:9], s[4:5]
	s_cbranch_execz .LBB162_220
; %bb.212:                              ;   in Loop: Header=BB162_18 Depth=1
	v_cmp_ge_u64_e32 vcc, s[44:45], v[30:31]
	s_and_saveexec_b64 s[4:5], vcc
	s_xor_b64 s[10:11], exec, s[4:5]
	s_cbranch_execz .LBB162_217
; %bb.213:                              ;   in Loop: Header=BB162_18 Depth=1
	s_lshl_b64 s[4:5], 2, s75
	v_and_b32_e32 v3, s63, v13
	v_and_b32_e32 v4, s62, v12
	v_or_b32_e32 v13, s5, v3
	v_or_b32_e32 v12, s4, v4
	ds_read_b64 v[3:4], v19 offset:5120
	v_or_b32_e32 v15, s19, v15
	v_or_b32_e32 v14, s18, v14
	s_waitcnt lgkmcnt(0)
	v_cmp_ne_u64_e32 vcc, 0, v[3:4]
	s_cbranch_vccnz .LBB162_217
; %bb.214:                              ;   in Loop: Header=BB162_18 Depth=1
	s_mov_b64 s[4:5], exec
	v_readlane_b32 s12, v45, 32
	v_readlane_b32 s13, v45, 33
	s_and_b64 s[12:13], s[4:5], s[12:13]
	s_mov_b64 exec, s[12:13]
; %bb.215:                              ;   in Loop: Header=BB162_18 Depth=1
	v_mov_b32_e32 v3, s44
	v_mov_b32_e32 v4, s45
	ds_write_b64 v19, v[3:4] offset:5128
; %bb.216:                              ;   in Loop: Header=BB162_18 Depth=1
	s_or_b64 exec, exec, s[4:5]
	s_waitcnt lgkmcnt(0)
	s_barrier
.LBB162_217:                            ;   in Loop: Header=BB162_18 Depth=1
	s_or_saveexec_b64 s[10:11], s[10:11]
	s_mov_b64 s[12:13], 0
	v_mov_b32_e32 v42, 8
	s_xor_b64 exec, exec, s[10:11]
; %bb.218:                              ;   in Loop: Header=BB162_18 Depth=1
	v_subrev_co_u32_e32 v30, vcc, s44, v30
	v_mov_b32_e32 v3, s45
	v_subb_co_u32_e32 v31, vcc, v31, v3, vcc
	v_mov_b32_e32 v42, 0
	s_mov_b64 s[12:13], exec
; %bb.219:                              ;   in Loop: Header=BB162_18 Depth=1
	s_or_b64 exec, exec, s[10:11]
	v_mov_b32_e32 v28, v30
	s_and_b64 s[10:11], s[12:13], exec
	v_mov_b32_e32 v29, v31
.LBB162_220:                            ;   in Loop: Header=BB162_18 Depth=1
	s_or_b64 exec, exec, s[8:9]
	s_mov_b64 s[8:9], -1
                                        ; implicit-def: $sgpr4_sgpr5
                                        ; kill: killed $sgpr4_sgpr5
                                        ; implicit-def: $sgpr34_sgpr35
	s_and_saveexec_b64 s[20:21], s[10:11]
	s_cbranch_execz .LBB162_272
; %bb.221:                              ;   in Loop: Header=BB162_18 Depth=1
	s_cmp_eq_u64 s[46:47], 1
	v_cmp_eq_u64_e32 vcc, 1, v[28:29]
	s_cselect_b64 s[4:5], -1, 0
	s_and_b64 s[4:5], s[4:5], vcc
                                        ; implicit-def: $sgpr10_sgpr11
                                        ; kill: killed $sgpr10_sgpr11
                                        ; implicit-def: $sgpr34_sgpr35
	s_mov_b64 s[10:11], exec
	v_writelane_b32 v44, s4, 2
	v_writelane_b32 v44, s5, 3
	;; [unrolled: 1-line block ×3, first 2 shown]
	s_and_b64 s[4:5], s[10:11], s[4:5]
	v_writelane_b32 v44, s11, 5
	s_mov_b64 exec, s[4:5]
	s_cbranch_execz .LBB162_260
; %bb.222:                              ;   in Loop: Header=BB162_18 Depth=1
	ds_read_b64 v[3:4], v19 offset:5120
	s_waitcnt lgkmcnt(0)
	s_barrier
	v_readfirstlane_b32 s34, v3
	v_readfirstlane_b32 s35, v4
	s_mov_b64 s[4:5], exec
	v_readlane_b32 s8, v45, 48
	v_readlane_b32 s9, v45, 49
	s_and_b64 s[8:9], s[4:5], s[8:9]
	s_mov_b64 exec, s[8:9]
; %bb.223:                              ;   in Loop: Header=BB162_18 Depth=1
	v_mov_b32_e32 v18, v19
	ds_write_b64 v37, v[18:19]
; %bb.224:                              ;   in Loop: Header=BB162_18 Depth=1
	s_or_b64 exec, exec, s[4:5]
	s_mov_b64 s[4:5], 0
	v_or_b32_e32 v13, s19, v13
	v_or_b32_e32 v12, s18, v12
	;; [unrolled: 1-line block ×4, first 2 shown]
	v_writelane_b32 v45, s4, 62
	s_cmp_eq_u64 s[34:35], 0
	s_mov_b64 s[54:55], 0
	s_mov_b64 s[10:11], -1
	s_waitcnt lgkmcnt(0)
	s_barrier
	v_writelane_b32 v45, s5, 63
                                        ; implicit-def: $vgpr10_vgpr11
	s_cbranch_scc1 .LBB162_242
; %bb.225:                              ;   in Loop: Header=BB162_18 Depth=1
	v_readlane_b32 s4, v45, 52
	s_add_u32 s12, s34, s4
	v_readlane_b32 s4, v45, 54
	s_addc_u32 s11, s35, s4
	s_mov_b32 s10, s65
	s_cmp_lg_u64 s[10:11], 0
	s_cbranch_scc0 .LBB162_229
; %bb.226:                              ;   in Loop: Header=BB162_18 Depth=1
	v_cvt_f32_u32_e32 v3, s67
	s_sub_u32 s8, 0, s67
	s_subb_u32 s9, 0, 0
	v_mac_f32_e32 v3, 0, v41
	v_rcp_f32_e32 v3, v3
	v_mul_f32_e32 v3, 0x5f7ffffc, v3
	v_mul_f32_e32 v4, 0x2f800000, v3
	v_trunc_f32_e32 v4, v4
	v_mac_f32_e32 v3, 0xcf800000, v4
	v_cvt_u32_f32_e32 v4, v4
	v_cvt_u32_f32_e32 v3, v3
	v_readfirstlane_b32 s10, v4
	v_readfirstlane_b32 s4, v3
	s_mul_i32 s5, s8, s10
	s_mul_hi_u32 s54, s8, s4
	s_mul_i32 s13, s9, s4
	s_add_i32 s5, s54, s5
	s_mul_i32 s55, s8, s4
	s_add_i32 s5, s5, s13
	s_mul_hi_u32 s54, s4, s55
	s_mul_i32 s64, s4, s5
	s_mul_hi_u32 s13, s4, s5
	s_add_u32 s54, s54, s64
	s_addc_u32 s13, 0, s13
	s_mul_hi_u32 s70, s10, s55
	s_mul_i32 s55, s10, s55
	s_add_u32 s54, s54, s55
	s_mul_hi_u32 s64, s10, s5
	s_addc_u32 s13, s13, s70
	s_addc_u32 s54, s64, 0
	s_mul_i32 s5, s10, s5
	s_add_u32 s5, s13, s5
	s_addc_u32 s13, 0, s54
	s_add_u32 s54, s4, s5
	s_cselect_b64 s[4:5], -1, 0
	s_cmp_lg_u64 s[4:5], 0
	s_addc_u32 s10, s10, s13
	s_mul_i32 s4, s8, s10
	s_mul_hi_u32 s5, s8, s54
	s_add_i32 s4, s5, s4
	s_mul_i32 s9, s9, s54
	s_add_i32 s4, s4, s9
	s_mul_i32 s8, s8, s54
	s_mul_hi_u32 s9, s10, s8
	s_mul_i32 s13, s10, s8
	s_mul_i32 s64, s54, s4
	s_mul_hi_u32 s8, s54, s8
	s_mul_hi_u32 s55, s54, s4
	s_add_u32 s8, s8, s64
	s_addc_u32 s55, 0, s55
	s_add_u32 s8, s8, s13
	s_mul_hi_u32 s5, s10, s4
	s_addc_u32 s8, s55, s9
	s_addc_u32 s5, s5, 0
	s_mul_i32 s4, s10, s4
	s_add_u32 s4, s8, s4
	s_addc_u32 s8, 0, s5
	s_add_u32 s9, s54, s4
	s_cselect_b64 s[4:5], -1, 0
	s_cmp_lg_u64 s[4:5], 0
	s_addc_u32 s4, s10, s8
	s_mul_i32 s8, s12, s4
	s_mul_hi_u32 s10, s12, s9
	s_mul_hi_u32 s5, s12, s4
	s_add_u32 s8, s10, s8
	s_addc_u32 s5, 0, s5
	s_mul_hi_u32 s13, s11, s9
	s_mul_i32 s9, s11, s9
	s_add_u32 s8, s8, s9
	s_mul_hi_u32 s10, s11, s4
	s_addc_u32 s5, s5, s13
	s_addc_u32 s8, s10, 0
	s_mul_i32 s4, s11, s4
	s_add_u32 s4, s5, s4
	s_addc_u32 s5, 0, s8
	s_mul_i32 s5, s67, s5
	s_mul_hi_u32 s8, s67, s4
	s_add_i32 s8, s8, s5
	s_mul_i32 s4, s67, s4
	s_sub_u32 s9, s12, s4
	s_cselect_b64 s[4:5], -1, 0
	s_cmp_lg_u64 s[4:5], 0
	s_subb_u32 s8, s11, s8
	s_sub_u32 s10, s9, s67
	s_cselect_b64 s[4:5], -1, 0
	s_cmp_lg_u64 s[4:5], 0
	s_subb_u32 s13, s8, 0
	;; [unrolled: 4-line block ×3, first 2 shown]
	s_cmp_ge_u32 s10, s67
	s_cselect_b32 s5, -1, 0
	s_cmp_eq_u32 s13, 0
	s_cselect_b32 s5, s5, -1
	s_cmp_lg_u32 s5, 0
	s_cselect_b32 s4, s4, s13
	s_cselect_b32 s10, s54, s10
	s_cmp_ge_u32 s9, s67
	s_cselect_b32 s5, -1, 0
	s_cmp_eq_u32 s8, 0
	s_cselect_b32 s5, s5, -1
	s_cmp_lg_u32 s5, 0
	s_cselect_b32 s5, s4, s8
	s_cselect_b32 s4, s10, s9
	s_mov_b64 s[8:9], 0
	s_branch .LBB162_230
.LBB162_227:                            ;   in Loop: Header=BB162_18 Depth=1
                                        ; implicit-def: $sgpr4_sgpr5
	s_branch .LBB162_182
.LBB162_228:                            ;   in Loop: Header=BB162_18 Depth=1
	v_readlane_b32 s35, v45, 53
                                        ; implicit-def: $sgpr4_sgpr5
	s_branch .LBB162_198
.LBB162_229:                            ;   in Loop: Header=BB162_18 Depth=1
	s_mov_b64 s[8:9], -1
                                        ; implicit-def: $sgpr4_sgpr5
.LBB162_230:                            ;   in Loop: Header=BB162_18 Depth=1
	s_andn2_b64 vcc, exec, s[8:9]
	s_cbranch_vccnz .LBB162_232
; %bb.231:                              ;   in Loop: Header=BB162_18 Depth=1
	v_cvt_f32_u32_e32 v3, s67
	s_sub_i32 s4, 0, s67
	v_rcp_iflag_f32_e32 v3, v3
	v_mul_f32_e32 v3, 0x4f7ffffe, v3
	v_cvt_u32_f32_e32 v3, v3
	v_readfirstlane_b32 s5, v3
	s_mul_i32 s4, s4, s5
	s_mul_hi_u32 s4, s5, s4
	s_add_i32 s5, s5, s4
	s_mul_hi_u32 s4, s12, s5
	s_mul_i32 s4, s4, s67
	s_sub_i32 s4, s12, s4
	s_sub_i32 s5, s4, s67
	s_cmp_ge_u32 s4, s67
	s_cselect_b32 s4, s5, s4
	s_sub_i32 s5, s4, s67
	s_cmp_ge_u32 s4, s67
	s_cselect_b32 s64, s5, s4
	s_mov_b64 s[4:5], s[64:65]
.LBB162_232:                            ;   in Loop: Header=BB162_18 Depth=1
	s_sub_u32 s12, s12, s4
	s_subb_u32 s13, s11, s5
	v_cmp_gt_u64_e32 vcc, s[12:13], v[0:1]
	s_mov_b64 s[10:11], 0
	s_mov_b64 s[54:55], 0
                                        ; implicit-def: $vgpr10_vgpr11
	s_and_saveexec_b64 s[70:71], vcc
	s_cbranch_execz .LBB162_241
; %bb.233:                              ;   in Loop: Header=BB162_18 Depth=1
	v_mov_b32_e32 v31, v1
	v_writelane_b32 v44, s76, 6
	s_mov_b64 s[8:9], 0
	v_mov_b32_e32 v18, v36
	v_mov_b32_e32 v30, v0
	v_writelane_b32 v44, s77, 7
                                        ; implicit-def: $sgpr54_sgpr55
	s_branch .LBB162_236
.LBB162_234:                            ;   in Loop: Header=BB162_236 Depth=2
	s_or_b64 exec, exec, s[4:5]
	s_waitcnt lgkmcnt(0)
	s_barrier
	ds_read_b128 v[8:11], v19 offset:3072
	s_mov_b64 s[4:5], -1
	s_mov_b64 s[76:77], -1
	s_waitcnt lgkmcnt(0)
	s_barrier
	v_cmp_ne_u64_e32 vcc, 0, v[8:9]
	s_cbranch_vccz .LBB162_239
.LBB162_235:                            ;   in Loop: Header=BB162_236 Depth=2
	s_and_b64 s[4:5], exec, s[4:5]
	s_or_b64 s[8:9], s[4:5], s[8:9]
	s_andn2_b64 s[4:5], s[54:55], exec
	s_and_b64 s[54:55], s[76:77], exec
	s_or_b64 s[54:55], s[4:5], s[54:55]
	s_andn2_b64 exec, exec, s[8:9]
	s_cbranch_execz .LBB162_240
.LBB162_236:                            ;   Parent Loop BB162_18 Depth=1
                                        ; =>  This Inner Loop Header: Depth=2
	v_cmp_gt_u64_e32 vcc, s[34:35], v[30:31]
	s_and_saveexec_b64 s[4:5], vcc
	s_cbranch_execz .LBB162_234
; %bb.237:                              ;   in Loop: Header=BB162_236 Depth=2
	ds_read_b64 v[4:5], v18
	s_waitcnt lgkmcnt(0)
	v_xor_b32_e32 v3, 0x80000000, v5
	v_and_b32_e32 v9, v3, v15
	v_and_b32_e32 v8, v4, v14
	v_cmp_eq_u64_e32 vcc, v[8:9], v[12:13]
	s_and_b64 exec, exec, vcc
	s_cbranch_execz .LBB162_234
; %bb.238:                              ;   in Loop: Header=BB162_236 Depth=2
	v_mov_b32_e32 v3, v19
	ds_write_b128 v19, v[2:5] offset:3072
	s_branch .LBB162_234
.LBB162_239:                            ;   in Loop: Header=BB162_236 Depth=2
	v_add_co_u32_e32 v30, vcc, s67, v30
	v_addc_co_u32_e32 v31, vcc, 0, v31, vcc
	v_cmp_le_u64_e32 vcc, s[12:13], v[30:31]
	v_add_u32_e32 v18, s74, v18
	s_mov_b64 s[76:77], 0
	s_orn2_b64 s[4:5], vcc, exec
	s_branch .LBB162_235
.LBB162_240:                            ;   in Loop: Header=BB162_18 Depth=1
	s_or_b64 exec, exec, s[8:9]
	v_readlane_b32 s76, v44, 6
	s_and_b64 s[54:55], s[54:55], exec
	v_readlane_b32 s77, v44, 7
.LBB162_241:                            ;   in Loop: Header=BB162_18 Depth=1
	s_or_b64 exec, exec, s[70:71]
.LBB162_242:                            ;   in Loop: Header=BB162_18 Depth=1
	s_and_b64 vcc, exec, s[10:11]
	s_cbranch_vccz .LBB162_245
; %bb.243:                              ;   in Loop: Header=BB162_18 Depth=1
	s_mov_b32 s72, s65
	s_cmp_lg_u64 s[72:73], 0
	s_cbranch_scc0 .LBB162_246
; %bb.244:                              ;   in Loop: Header=BB162_18 Depth=1
	v_cvt_f32_u32_e32 v3, s67
	s_sub_u32 s8, 0, s67
	s_subb_u32 s9, 0, 0
	v_mac_f32_e32 v3, 0, v41
	v_rcp_f32_e32 v3, v3
	v_mul_f32_e32 v3, 0x5f7ffffc, v3
	v_mul_f32_e32 v4, 0x2f800000, v3
	v_trunc_f32_e32 v4, v4
	v_mac_f32_e32 v3, 0xcf800000, v4
	v_cvt_u32_f32_e32 v4, v4
	v_cvt_u32_f32_e32 v3, v3
	v_readfirstlane_b32 s10, v4
	v_readfirstlane_b32 s4, v3
	s_mul_i32 s5, s8, s10
	s_mul_hi_u32 s12, s8, s4
	s_mul_i32 s11, s9, s4
	s_add_i32 s5, s12, s5
	s_mul_i32 s13, s8, s4
	s_add_i32 s5, s5, s11
	s_mul_hi_u32 s12, s4, s13
	s_mul_i32 s34, s4, s5
	s_mul_hi_u32 s11, s4, s5
	s_add_u32 s12, s12, s34
	s_addc_u32 s11, 0, s11
	s_mul_hi_u32 s35, s10, s13
	s_mul_i32 s13, s10, s13
	s_add_u32 s12, s12, s13
	s_mul_hi_u32 s34, s10, s5
	s_addc_u32 s11, s11, s35
	s_addc_u32 s12, s34, 0
	s_mul_i32 s5, s10, s5
	s_add_u32 s5, s11, s5
	s_addc_u32 s11, 0, s12
	s_add_u32 s12, s4, s5
	s_cselect_b64 s[4:5], -1, 0
	s_cmp_lg_u64 s[4:5], 0
	s_addc_u32 s10, s10, s11
	s_mul_i32 s4, s8, s10
	s_mul_hi_u32 s5, s8, s12
	s_add_i32 s4, s5, s4
	s_mul_i32 s9, s9, s12
	s_add_i32 s4, s4, s9
	s_mul_i32 s8, s8, s12
	s_mul_hi_u32 s9, s10, s8
	s_mul_i32 s11, s10, s8
	s_mul_i32 s34, s12, s4
	s_mul_hi_u32 s8, s12, s8
	s_mul_hi_u32 s13, s12, s4
	s_add_u32 s8, s8, s34
	s_addc_u32 s13, 0, s13
	s_add_u32 s8, s8, s11
	s_mul_hi_u32 s5, s10, s4
	s_addc_u32 s8, s13, s9
	s_addc_u32 s5, s5, 0
	s_mul_i32 s4, s10, s4
	s_add_u32 s4, s8, s4
	s_addc_u32 s8, 0, s5
	s_add_u32 s9, s12, s4
	s_cselect_b64 s[4:5], -1, 0
	s_cmp_lg_u64 s[4:5], 0
	s_addc_u32 s4, s10, s8
	v_readlane_b32 s13, v45, 53
	s_mul_i32 s8, s13, s4
	s_mul_hi_u32 s10, s13, s9
	s_mul_hi_u32 s5, s13, s4
	s_add_u32 s8, s10, s8
	s_addc_u32 s5, 0, s5
	s_mul_hi_u32 s11, s73, s9
	s_mul_i32 s9, s73, s9
	s_add_u32 s8, s8, s9
	s_mul_hi_u32 s10, s73, s4
	s_addc_u32 s5, s5, s11
	s_addc_u32 s8, s10, 0
	s_mul_i32 s4, s73, s4
	s_add_u32 s4, s5, s4
	s_addc_u32 s5, 0, s8
	s_mul_i32 s5, s67, s5
	s_mul_hi_u32 s8, s67, s4
	s_add_i32 s8, s8, s5
	s_mul_i32 s4, s67, s4
	s_sub_u32 s9, s13, s4
	s_cselect_b64 s[4:5], -1, 0
	s_cmp_lg_u64 s[4:5], 0
	s_subb_u32 s8, s73, s8
	s_sub_u32 s10, s9, s67
	s_cselect_b64 s[4:5], -1, 0
	s_cmp_lg_u64 s[4:5], 0
	s_subb_u32 s11, s8, 0
	;; [unrolled: 4-line block ×3, first 2 shown]
	s_cmp_ge_u32 s10, s67
	s_cselect_b32 s5, -1, 0
	s_cmp_eq_u32 s11, 0
	s_cselect_b32 s5, s5, -1
	s_cmp_lg_u32 s5, 0
	s_cselect_b32 s4, s4, s11
	s_cselect_b32 s10, s12, s10
	s_cmp_ge_u32 s9, s67
	s_cselect_b32 s5, -1, 0
	s_cmp_eq_u32 s8, 0
	s_cselect_b32 s5, s5, -1
	s_cmp_lg_u32 s5, 0
	s_cselect_b32 s5, s4, s8
	s_cselect_b32 s4, s10, s9
	s_mov_b64 s[8:9], 0
	s_branch .LBB162_247
.LBB162_245:                            ;   in Loop: Header=BB162_18 Depth=1
	s_mov_b64 s[34:35], -1
	s_branch .LBB162_259
.LBB162_246:                            ;   in Loop: Header=BB162_18 Depth=1
	s_mov_b64 s[8:9], -1
	v_readlane_b32 s13, v45, 53
                                        ; implicit-def: $sgpr4_sgpr5
.LBB162_247:                            ;   in Loop: Header=BB162_18 Depth=1
	s_andn2_b64 vcc, exec, s[8:9]
	s_cbranch_vccnz .LBB162_249
; %bb.248:                              ;   in Loop: Header=BB162_18 Depth=1
	v_cvt_f32_u32_e32 v3, s67
	s_sub_i32 s4, 0, s67
	v_rcp_iflag_f32_e32 v3, v3
	v_mul_f32_e32 v3, 0x4f7ffffe, v3
	v_cvt_u32_f32_e32 v3, v3
	v_readfirstlane_b32 s5, v3
	s_mul_i32 s4, s4, s5
	s_mul_hi_u32 s4, s5, s4
	s_add_i32 s5, s5, s4
	s_mul_hi_u32 s4, s13, s5
	s_mul_i32 s4, s4, s67
	s_sub_i32 s4, s13, s4
	s_sub_i32 s5, s4, s67
	s_cmp_ge_u32 s4, s67
	s_cselect_b32 s4, s5, s4
	s_sub_i32 s5, s4, s67
	s_cmp_ge_u32 s4, s67
	s_cselect_b32 s64, s5, s4
	s_mov_b64 s[4:5], s[64:65]
.LBB162_249:                            ;   in Loop: Header=BB162_18 Depth=1
	s_sub_u32 s10, s13, s4
	s_subb_u32 s11, s73, s5
	v_cmp_gt_u64_e32 vcc, s[10:11], v[0:1]
                                        ; implicit-def: $vgpr10_vgpr11
	s_and_saveexec_b64 s[8:9], vcc
	s_cbranch_execz .LBB162_258
; %bb.250:                              ;   in Loop: Header=BB162_18 Depth=1
	v_mov_b32_e32 v31, v1
	s_mov_b64 s[70:71], s[54:55]
	s_mov_b64 s[12:13], 0
	v_mov_b32_e32 v30, v0
                                        ; implicit-def: $sgpr34_sgpr35
	s_branch .LBB162_253
.LBB162_251:                            ;   in Loop: Header=BB162_253 Depth=2
	s_or_b64 exec, exec, s[54:55]
	s_waitcnt lgkmcnt(0)
	s_barrier
	ds_read_b128 v[8:11], v19 offset:3072
	s_mov_b64 s[54:55], -1
	s_mov_b64 s[4:5], -1
	s_waitcnt lgkmcnt(0)
	s_barrier
	v_cmp_eq_u64_e32 vcc, 0, v[8:9]
	s_cbranch_vccnz .LBB162_256
.LBB162_252:                            ;   in Loop: Header=BB162_253 Depth=2
	s_and_b64 s[54:55], exec, s[54:55]
	s_or_b64 s[12:13], s[54:55], s[12:13]
	s_andn2_b64 s[34:35], s[34:35], exec
	s_and_b64 s[4:5], s[4:5], exec
	s_or_b64 s[34:35], s[34:35], s[4:5]
	s_andn2_b64 exec, exec, s[12:13]
	s_cbranch_execz .LBB162_257
.LBB162_253:                            ;   Parent Loop BB162_18 Depth=1
                                        ; =>  This Inner Loop Header: Depth=2
	v_cmp_gt_u64_e32 vcc, s[24:25], v[30:31]
	s_and_saveexec_b64 s[54:55], vcc
	s_cbranch_execz .LBB162_251
; %bb.254:                              ;   in Loop: Header=BB162_253 Depth=2
	v_mul_lo_u32 v5, v31, s22
	v_mul_lo_u32 v8, v30, s23
	v_mad_u64_u32 v[3:4], s[4:5], v30, s22, 0
	v_add3_u32 v4, v4, v8, v5
	v_lshlrev_b64 v[3:4], 3, v[3:4]
	v_mov_b32_e32 v5, s66
	v_add_co_u32_e32 v3, vcc, s33, v3
	v_addc_co_u32_e32 v4, vcc, v5, v4, vcc
	global_load_dwordx2 v[4:5], v[3:4], off
	s_waitcnt vmcnt(0)
	v_xor_b32_e32 v3, 0x80000000, v5
	v_and_b32_e32 v9, v3, v15
	v_and_b32_e32 v8, v4, v14
	v_cmp_eq_u64_e32 vcc, v[8:9], v[12:13]
	s_and_b64 exec, exec, vcc
	s_cbranch_execz .LBB162_251
; %bb.255:                              ;   in Loop: Header=BB162_253 Depth=2
	v_mov_b32_e32 v3, v19
	ds_write_b128 v19, v[2:5] offset:3072
	s_branch .LBB162_251
.LBB162_256:                            ;   in Loop: Header=BB162_253 Depth=2
	v_add_co_u32_e32 v30, vcc, s67, v30
	v_addc_co_u32_e32 v31, vcc, 0, v31, vcc
	v_cmp_le_u64_e32 vcc, s[10:11], v[30:31]
	s_mov_b64 s[4:5], 0
	s_orn2_b64 s[54:55], vcc, exec
	s_branch .LBB162_252
.LBB162_257:                            ;   in Loop: Header=BB162_18 Depth=1
	s_or_b64 exec, exec, s[12:13]
	s_andn2_b64 s[4:5], s[70:71], exec
	s_and_b64 s[10:11], s[34:35], exec
	s_or_b64 s[54:55], s[4:5], s[10:11]
.LBB162_258:                            ;   in Loop: Header=BB162_18 Depth=1
	s_or_b64 exec, exec, s[8:9]
	s_mov_b64 s[4:5], -1
	v_writelane_b32 v45, s4, 62
	s_mov_b64 s[34:35], 0
	v_writelane_b32 v45, s5, 63
.LBB162_259:                            ;   in Loop: Header=BB162_18 Depth=1
	s_orn2_b64 s[8:9], s[54:55], exec
.LBB162_260:                            ;   in Loop: Header=BB162_18 Depth=1
	v_readlane_b32 s4, v44, 4
	v_readlane_b32 s5, v44, 5
	s_or_b64 exec, exec, s[4:5]
	s_mov_b64 s[4:5], 0
	s_and_saveexec_b64 s[10:11], s[8:9]
	s_cbranch_execz .LBB162_271
; %bb.261:                              ;   in Loop: Header=BB162_18 Depth=1
	v_readlane_b32 s4, v44, 2
	v_readlane_b32 s5, v44, 3
	v_mov_b32_e32 v3, 1
	s_xor_b64 s[4:5], s[4:5], -1
	v_mov_b32_e32 v4, 0
	v_mov_b32_e32 v42, 1
	s_and_saveexec_b64 s[12:13], s[4:5]
	s_cbranch_execz .LBB162_270
; %bb.262:                              ;   in Loop: Header=BB162_18 Depth=1
	v_cmp_ge_u64_e32 vcc, s[46:47], v[28:29]
	s_mov_b64 s[54:55], s[34:35]
	s_and_saveexec_b64 s[4:5], vcc
	s_xor_b64 s[8:9], exec, s[4:5]
	s_cbranch_execz .LBB162_267
; %bb.263:                              ;   in Loop: Header=BB162_18 Depth=1
	ds_read_b64 v[3:4], v19 offset:5120
	v_or_b32_e32 v13, s19, v13
	v_or_b32_e32 v12, s18, v12
	;; [unrolled: 1-line block ×4, first 2 shown]
	s_waitcnt lgkmcnt(0)
	v_cmp_ne_u64_e32 vcc, 0, v[3:4]
	s_cbranch_vccnz .LBB162_267
; %bb.264:                              ;   in Loop: Header=BB162_18 Depth=1
	s_mov_b64 s[4:5], exec
	v_readlane_b32 s34, v45, 32
	v_readlane_b32 s35, v45, 33
	s_and_b64 s[34:35], s[4:5], s[34:35]
	s_mov_b64 exec, s[34:35]
; %bb.265:                              ;   in Loop: Header=BB162_18 Depth=1
	v_mov_b32_e32 v3, s46
	v_mov_b32_e32 v4, s47
	ds_write_b64 v19, v[3:4] offset:5128
; %bb.266:                              ;   in Loop: Header=BB162_18 Depth=1
	s_or_b64 exec, exec, s[4:5]
	s_waitcnt lgkmcnt(0)
	s_barrier
.LBB162_267:                            ;   in Loop: Header=BB162_18 Depth=1
	s_andn2_saveexec_b64 s[4:5], s[8:9]
; %bb.268:                              ;   in Loop: Header=BB162_18 Depth=1
	v_mov_b32_e32 v3, s47
	v_subrev_co_u32_e32 v28, vcc, s46, v28
	v_subb_co_u32_e32 v29, vcc, v29, v3, vcc
; %bb.269:                              ;   in Loop: Header=BB162_18 Depth=1
	s_or_b64 exec, exec, s[4:5]
	v_mov_b32_e32 v3, v28
	v_mov_b32_e32 v42, 8
	;; [unrolled: 1-line block ×3, first 2 shown]
	s_mov_b64 s[34:35], s[54:55]
.LBB162_270:                            ;   in Loop: Header=BB162_18 Depth=1
	s_or_b64 exec, exec, s[12:13]
	v_mov_b32_e32 v29, v4
	s_mov_b64 s[4:5], exec
	v_mov_b32_e32 v28, v3
.LBB162_271:                            ;   in Loop: Header=BB162_18 Depth=1
	s_or_b64 exec, exec, s[10:11]
	s_orn2_b64 s[8:9], s[4:5], exec
.LBB162_272:                            ;   in Loop: Header=BB162_18 Depth=1
	s_or_b64 exec, exec, s[20:21]
	v_readlane_b32 s4, v44, 0
	v_readlane_b32 s10, v45, 62
	;; [unrolled: 1-line block ×4, first 2 shown]
	s_andn2_b64 s[4:5], s[4:5], exec
	s_and_b64 s[10:11], s[10:11], exec
	s_or_b64 s[4:5], s[4:5], s[10:11]
	v_writelane_b32 v44, s4, 0
	v_writelane_b32 v44, s5, 1
	s_andn2_b64 s[4:5], s[76:77], exec
	s_and_b64 s[10:11], s[34:35], exec
	v_mov_b32_e32 v31, v29
	s_or_b64 s[76:77], s[4:5], s[10:11]
	s_and_b64 s[10:11], s[8:9], exec
	v_mov_b32_e32 v30, v28
.LBB162_273:                            ;   in Loop: Header=BB162_18 Depth=1
	s_or_b64 exec, exec, s[78:79]
	s_orn2_b64 s[8:9], s[10:11], exec
.LBB162_274:                            ;   in Loop: Header=BB162_18 Depth=1
	s_or_b64 exec, exec, s[48:49]
	v_readlane_b32 s10, v44, 0
	v_readlane_b32 s11, v44, 1
	s_andn2_b64 s[4:5], s[50:51], exec
	s_and_b64 s[10:11], s[10:11], exec
	s_or_b64 s[50:51], s[4:5], s[10:11]
	s_andn2_b64 s[4:5], s[38:39], exec
	s_and_b64 s[10:11], s[76:77], exec
	v_mov_b32_e32 v28, v30
	s_or_b64 s[38:39], s[4:5], s[10:11]
	s_and_b64 s[8:9], s[8:9], exec
	v_mov_b32_e32 v29, v31
.LBB162_275:                            ;   in Loop: Header=BB162_18 Depth=1
	s_or_b64 exec, exec, s[52:53]
	s_orn2_b64 s[4:5], s[8:9], exec
.LBB162_276:                            ;   in Loop: Header=BB162_18 Depth=1
	s_or_b64 exec, exec, s[6:7]
	s_mov_b64 s[6:7], 0
	s_mov_b64 s[8:9], 0
	s_and_saveexec_b64 s[10:11], s[4:5]
	s_xor_b64 s[4:5], exec, s[10:11]
; %bb.277:                              ;   in Loop: Header=BB162_18 Depth=1
	v_cmp_eq_u32_e32 vcc, 8, v42
	v_cmp_ne_u32_e64 s[6:7], 8, v42
	s_and_b64 s[8:9], s[6:7], exec
	s_and_b64 s[6:7], vcc, exec
; %bb.278:                              ;   in Loop: Header=BB162_18 Depth=1
	s_or_b64 exec, exec, s[4:5]
	s_andn2_b64 s[4:5], s[28:29], exec
	s_and_b64 s[10:11], s[50:51], exec
	s_or_b64 s[28:29], s[4:5], s[10:11]
	s_andn2_b64 s[2:3], s[2:3], exec
	s_and_b64 s[4:5], s[38:39], exec
	s_or_b64 s[2:3], s[2:3], s[4:5]
	s_and_b64 s[50:51], s[8:9], exec
	s_and_b64 s[52:53], s[6:7], exec
.LBB162_279:                            ;   in Loop: Header=BB162_18 Depth=1
	s_or_b64 exec, exec, s[36:37]
.LBB162_280:                            ;   in Loop: Header=BB162_18 Depth=1
	s_and_b64 vcc, exec, s[30:31]
	s_cbranch_vccz .LBB162_296
; %bb.281:                              ;   in Loop: Header=BB162_18 Depth=1
	s_cmp_eq_u64 s[46:47], 1
	s_cselect_b64 s[2:3], -1, 0
	s_and_b64 s[6:7], s[2:3], s[14:15]
	s_mov_b64 s[4:5], -1
                                        ; implicit-def: $sgpr14_sgpr15
                                        ; implicit-def: $sgpr40_sgpr41
	s_and_saveexec_b64 s[2:3], s[6:7]
	s_cbranch_execz .LBB162_314
; %bb.282:                              ;   in Loop: Header=BB162_18 Depth=1
	ds_read_b64 v[3:4], v19 offset:5120
	s_waitcnt lgkmcnt(0)
	s_barrier
	v_readfirstlane_b32 s10, v3
	v_readfirstlane_b32 s11, v4
	s_mov_b64 s[4:5], exec
	v_readlane_b32 s8, v45, 48
	v_readlane_b32 s9, v45, 49
	s_and_b64 s[8:9], s[4:5], s[8:9]
	s_mov_b64 exec, s[8:9]
; %bb.283:                              ;   in Loop: Header=BB162_18 Depth=1
	v_mov_b32_e32 v18, v19
	ds_write_b64 v37, v[18:19]
; %bb.284:                              ;   in Loop: Header=BB162_18 Depth=1
	s_or_b64 exec, exec, s[4:5]
	v_or_b32_e32 v23, s19, v23
	v_or_b32_e32 v22, s18, v22
	;; [unrolled: 1-line block ×4, first 2 shown]
	s_mov_b64 s[40:41], -1
	s_mov_b64 s[14:15], 0
	s_cmp_eq_u64 s[10:11], 0
	s_mov_b64 s[8:9], 0
	s_mov_b64 s[20:21], -1
	s_waitcnt lgkmcnt(0)
	s_barrier
                                        ; implicit-def: $vgpr6_vgpr7
	s_cbranch_scc1 .LBB162_299
; %bb.285:                              ;   in Loop: Header=BB162_18 Depth=1
	v_readlane_b32 s4, v45, 52
	s_add_u32 s20, s10, s4
	v_readlane_b32 s4, v45, 54
	s_addc_u32 s9, s11, s4
	s_mov_b32 s8, s65
	s_cmp_lg_u64 s[8:9], 0
	s_cbranch_scc0 .LBB162_340
; %bb.286:                              ;   in Loop: Header=BB162_18 Depth=1
	v_cvt_f32_u32_e32 v3, s67
	s_sub_u32 s8, 0, s67
	s_subb_u32 s12, 0, 0
	v_mac_f32_e32 v3, 0, v41
	v_rcp_f32_e32 v3, v3
	v_mul_f32_e32 v3, 0x5f7ffffc, v3
	v_mul_f32_e32 v4, 0x2f800000, v3
	v_trunc_f32_e32 v4, v4
	v_mac_f32_e32 v3, 0xcf800000, v4
	v_cvt_u32_f32_e32 v4, v4
	v_cvt_u32_f32_e32 v3, v3
	v_readfirstlane_b32 s13, v4
	v_readfirstlane_b32 s4, v3
	s_mul_i32 s5, s8, s13
	s_mul_hi_u32 s28, s8, s4
	s_mul_i32 s21, s12, s4
	s_add_i32 s5, s28, s5
	s_mul_i32 s29, s8, s4
	s_add_i32 s5, s5, s21
	s_mul_hi_u32 s28, s4, s29
	s_mul_i32 s30, s4, s5
	s_mul_hi_u32 s21, s4, s5
	s_add_u32 s28, s28, s30
	s_addc_u32 s21, 0, s21
	s_mul_hi_u32 s31, s13, s29
	s_mul_i32 s29, s13, s29
	s_add_u32 s28, s28, s29
	s_mul_hi_u32 s30, s13, s5
	s_addc_u32 s21, s21, s31
	s_addc_u32 s28, s30, 0
	s_mul_i32 s5, s13, s5
	s_add_u32 s5, s21, s5
	s_addc_u32 s21, 0, s28
	s_add_u32 s28, s4, s5
	s_cselect_b64 s[4:5], -1, 0
	s_cmp_lg_u64 s[4:5], 0
	s_addc_u32 s13, s13, s21
	s_mul_i32 s4, s8, s13
	s_mul_hi_u32 s5, s8, s28
	s_add_i32 s4, s5, s4
	s_mul_i32 s12, s12, s28
	s_add_i32 s4, s4, s12
	s_mul_i32 s8, s8, s28
	s_mul_hi_u32 s12, s13, s8
	s_mul_i32 s21, s13, s8
	s_mul_i32 s30, s28, s4
	s_mul_hi_u32 s8, s28, s8
	s_mul_hi_u32 s29, s28, s4
	s_add_u32 s8, s8, s30
	s_addc_u32 s29, 0, s29
	s_add_u32 s8, s8, s21
	s_mul_hi_u32 s5, s13, s4
	s_addc_u32 s8, s29, s12
	s_addc_u32 s5, s5, 0
	s_mul_i32 s4, s13, s4
	s_add_u32 s4, s8, s4
	s_addc_u32 s8, 0, s5
	s_add_u32 s12, s28, s4
	s_cselect_b64 s[4:5], -1, 0
	s_cmp_lg_u64 s[4:5], 0
	s_addc_u32 s4, s13, s8
	s_mul_i32 s8, s20, s4
	s_mul_hi_u32 s13, s20, s12
	s_mul_hi_u32 s5, s20, s4
	s_add_u32 s8, s13, s8
	s_addc_u32 s5, 0, s5
	s_mul_hi_u32 s21, s9, s12
	s_mul_i32 s12, s9, s12
	s_add_u32 s8, s8, s12
	s_mul_hi_u32 s13, s9, s4
	s_addc_u32 s5, s5, s21
	s_addc_u32 s8, s13, 0
	s_mul_i32 s4, s9, s4
	s_add_u32 s4, s5, s4
	s_addc_u32 s5, 0, s8
	s_mul_i32 s5, s67, s5
	s_mul_hi_u32 s8, s67, s4
	s_add_i32 s8, s8, s5
	s_mul_i32 s4, s67, s4
	s_sub_u32 s12, s20, s4
	s_cselect_b64 s[4:5], -1, 0
	s_cmp_lg_u64 s[4:5], 0
	s_subb_u32 s8, s9, s8
	s_sub_u32 s13, s12, s67
	s_cselect_b64 s[4:5], -1, 0
	s_cmp_lg_u64 s[4:5], 0
	s_subb_u32 s21, s8, 0
	;; [unrolled: 4-line block ×3, first 2 shown]
	s_cmp_ge_u32 s13, s67
	s_cselect_b32 s5, -1, 0
	s_cmp_eq_u32 s21, 0
	s_cselect_b32 s5, s5, -1
	s_cmp_lg_u32 s5, 0
	s_cselect_b32 s4, s4, s21
	s_cselect_b32 s13, s28, s13
	s_cmp_ge_u32 s12, s67
	s_cselect_b32 s5, -1, 0
	s_cmp_eq_u32 s8, 0
	s_cselect_b32 s5, s5, -1
	s_cmp_lg_u32 s5, 0
	s_cselect_b32 s5, s4, s8
	s_cselect_b32 s4, s13, s12
	s_cbranch_execnz .LBB162_288
.LBB162_287:                            ;   in Loop: Header=BB162_18 Depth=1
	v_cvt_f32_u32_e32 v3, s67
	s_sub_i32 s4, 0, s67
	v_rcp_iflag_f32_e32 v3, v3
	v_mul_f32_e32 v3, 0x4f7ffffe, v3
	v_cvt_u32_f32_e32 v3, v3
	v_readfirstlane_b32 s5, v3
	s_mul_i32 s4, s4, s5
	s_mul_hi_u32 s4, s5, s4
	s_add_i32 s5, s5, s4
	s_mul_hi_u32 s4, s20, s5
	s_mul_i32 s4, s4, s67
	s_sub_i32 s4, s20, s4
	s_sub_i32 s5, s4, s67
	s_cmp_ge_u32 s4, s67
	s_cselect_b32 s4, s5, s4
	s_sub_i32 s5, s4, s67
	s_cmp_ge_u32 s4, s67
	s_cselect_b32 s64, s5, s4
	s_mov_b64 s[4:5], s[64:65]
.LBB162_288:                            ;   in Loop: Header=BB162_18 Depth=1
	s_sub_u32 s30, s20, s4
	s_subb_u32 s31, s9, s5
	v_cmp_gt_u64_e32 vcc, s[30:31], v[0:1]
	s_mov_b64 s[20:21], 0
	s_mov_b64 s[8:9], 0
                                        ; implicit-def: $vgpr6_vgpr7
	s_and_saveexec_b64 s[28:29], vcc
	s_cbranch_execz .LBB162_298
; %bb.289:                              ;   in Loop: Header=BB162_18 Depth=1
	v_mov_b32_e32 v9, v1
	v_mov_b32_e32 v10, v36
	;; [unrolled: 1-line block ×3, first 2 shown]
                                        ; implicit-def: $sgpr12_sgpr13
	s_branch .LBB162_292
.LBB162_290:                            ;   in Loop: Header=BB162_292 Depth=2
	s_or_b64 exec, exec, s[4:5]
	s_waitcnt lgkmcnt(0)
	s_barrier
	ds_read_b128 v[4:7], v19 offset:3072
	s_mov_b64 s[4:5], -1
	s_mov_b64 s[34:35], -1
	s_waitcnt lgkmcnt(0)
	s_barrier
	v_cmp_ne_u64_e32 vcc, 0, v[4:5]
	s_cbranch_vccz .LBB162_295
.LBB162_291:                            ;   in Loop: Header=BB162_292 Depth=2
	s_and_b64 s[4:5], exec, s[4:5]
	s_or_b64 s[8:9], s[4:5], s[8:9]
	s_andn2_b64 s[4:5], s[12:13], exec
	s_and_b64 s[12:13], s[34:35], exec
	s_or_b64 s[12:13], s[4:5], s[12:13]
	s_andn2_b64 exec, exec, s[8:9]
	s_cbranch_execz .LBB162_297
.LBB162_292:                            ;   Parent Loop BB162_18 Depth=1
                                        ; =>  This Inner Loop Header: Depth=2
	v_cmp_gt_u64_e32 vcc, s[10:11], v[8:9]
	s_and_saveexec_b64 s[4:5], vcc
	s_cbranch_execz .LBB162_290
; %bb.293:                              ;   in Loop: Header=BB162_292 Depth=2
	ds_read_b64 v[4:5], v10
	s_waitcnt lgkmcnt(0)
	v_xor_b32_e32 v3, 0x80000000, v5
	v_and_b32_e32 v7, v3, v25
	v_and_b32_e32 v6, v4, v24
	v_cmp_eq_u64_e32 vcc, v[6:7], v[22:23]
	s_and_b64 exec, exec, vcc
	s_cbranch_execz .LBB162_290
; %bb.294:                              ;   in Loop: Header=BB162_292 Depth=2
	v_mov_b32_e32 v3, v19
	ds_write_b128 v19, v[2:5] offset:3072
	s_branch .LBB162_290
.LBB162_295:                            ;   in Loop: Header=BB162_292 Depth=2
	v_add_co_u32_e32 v8, vcc, s67, v8
	v_addc_co_u32_e32 v9, vcc, 0, v9, vcc
	v_cmp_le_u64_e32 vcc, s[30:31], v[8:9]
	v_add_u32_e32 v10, s74, v10
	s_mov_b64 s[34:35], 0
	s_orn2_b64 s[4:5], vcc, exec
	s_branch .LBB162_291
.LBB162_296:                            ;   in Loop: Header=BB162_18 Depth=1
	v_mov_b32_e32 v23, v13
	v_mov_b32_e32 v25, v15
	;; [unrolled: 1-line block ×3, first 2 shown]
	s_mov_b64 s[14:15], 0
	v_mov_b32_e32 v22, v12
	v_mov_b32_e32 v24, v14
	;; [unrolled: 1-line block ×3, first 2 shown]
	s_and_saveexec_b64 s[4:5], s[52:53]
	s_cbranch_execnz .LBB162_473
	s_branch .LBB162_474
.LBB162_297:                            ;   in Loop: Header=BB162_18 Depth=1
	s_or_b64 exec, exec, s[8:9]
	s_and_b64 s[8:9], s[12:13], exec
.LBB162_298:                            ;   in Loop: Header=BB162_18 Depth=1
	s_or_b64 exec, exec, s[28:29]
.LBB162_299:                            ;   in Loop: Header=BB162_18 Depth=1
	s_and_b64 vcc, exec, s[20:21]
	s_cbranch_vccz .LBB162_313
; %bb.300:                              ;   in Loop: Header=BB162_18 Depth=1
	s_mov_b32 s72, s65
	s_cmp_lg_u64 s[72:73], 0
	s_cbranch_scc0 .LBB162_341
; %bb.301:                              ;   in Loop: Header=BB162_18 Depth=1
	v_cvt_f32_u32_e32 v3, s67
	s_sub_u32 s10, 0, s67
	s_subb_u32 s11, 0, 0
	v_mac_f32_e32 v3, 0, v41
	v_rcp_f32_e32 v3, v3
	v_mul_f32_e32 v3, 0x5f7ffffc, v3
	v_mul_f32_e32 v4, 0x2f800000, v3
	v_trunc_f32_e32 v4, v4
	v_mac_f32_e32 v3, 0xcf800000, v4
	v_cvt_u32_f32_e32 v4, v4
	v_cvt_u32_f32_e32 v3, v3
	v_readfirstlane_b32 s12, v4
	v_readfirstlane_b32 s4, v3
	s_mul_i32 s5, s10, s12
	s_mul_hi_u32 s14, s10, s4
	s_mul_i32 s13, s11, s4
	s_add_i32 s5, s14, s5
	s_mul_i32 s15, s10, s4
	s_add_i32 s5, s5, s13
	s_mul_hi_u32 s14, s4, s15
	s_mul_i32 s20, s4, s5
	s_mul_hi_u32 s13, s4, s5
	s_add_u32 s14, s14, s20
	s_addc_u32 s13, 0, s13
	s_mul_hi_u32 s21, s12, s15
	s_mul_i32 s15, s12, s15
	s_add_u32 s14, s14, s15
	s_mul_hi_u32 s20, s12, s5
	s_addc_u32 s13, s13, s21
	s_addc_u32 s14, s20, 0
	s_mul_i32 s5, s12, s5
	s_add_u32 s5, s13, s5
	s_addc_u32 s13, 0, s14
	s_add_u32 s14, s4, s5
	s_cselect_b64 s[4:5], -1, 0
	s_cmp_lg_u64 s[4:5], 0
	s_addc_u32 s12, s12, s13
	s_mul_i32 s4, s10, s12
	s_mul_hi_u32 s5, s10, s14
	s_add_i32 s4, s5, s4
	s_mul_i32 s11, s11, s14
	s_add_i32 s4, s4, s11
	s_mul_i32 s10, s10, s14
	s_mul_hi_u32 s11, s12, s10
	s_mul_i32 s13, s12, s10
	s_mul_i32 s20, s14, s4
	s_mul_hi_u32 s10, s14, s10
	s_mul_hi_u32 s15, s14, s4
	s_add_u32 s10, s10, s20
	s_addc_u32 s15, 0, s15
	s_add_u32 s10, s10, s13
	s_mul_hi_u32 s5, s12, s4
	s_addc_u32 s10, s15, s11
	s_addc_u32 s5, s5, 0
	s_mul_i32 s4, s12, s4
	s_add_u32 s4, s10, s4
	s_addc_u32 s10, 0, s5
	s_add_u32 s11, s14, s4
	s_cselect_b64 s[4:5], -1, 0
	s_cmp_lg_u64 s[4:5], 0
	s_addc_u32 s4, s12, s10
	v_readlane_b32 s15, v45, 53
	s_mul_i32 s10, s15, s4
	s_mul_hi_u32 s12, s15, s11
	s_mul_hi_u32 s5, s15, s4
	s_add_u32 s10, s12, s10
	s_addc_u32 s5, 0, s5
	s_mul_hi_u32 s13, s73, s11
	s_mul_i32 s11, s73, s11
	s_add_u32 s10, s10, s11
	s_mul_hi_u32 s12, s73, s4
	s_addc_u32 s5, s5, s13
	s_addc_u32 s10, s12, 0
	s_mul_i32 s4, s73, s4
	s_add_u32 s4, s5, s4
	s_addc_u32 s5, 0, s10
	s_mul_i32 s5, s67, s5
	s_mul_hi_u32 s10, s67, s4
	s_add_i32 s10, s10, s5
	s_mul_i32 s4, s67, s4
	s_sub_u32 s11, s15, s4
	s_cselect_b64 s[4:5], -1, 0
	s_cmp_lg_u64 s[4:5], 0
	s_subb_u32 s10, s73, s10
	s_sub_u32 s12, s11, s67
	s_cselect_b64 s[4:5], -1, 0
	s_cmp_lg_u64 s[4:5], 0
	s_subb_u32 s13, s10, 0
	;; [unrolled: 4-line block ×3, first 2 shown]
	s_cmp_ge_u32 s12, s67
	s_cselect_b32 s5, -1, 0
	s_cmp_eq_u32 s13, 0
	s_cselect_b32 s5, s5, -1
	s_cmp_lg_u32 s5, 0
	s_cselect_b32 s4, s4, s13
	s_cselect_b32 s12, s14, s12
	s_cmp_ge_u32 s11, s67
	s_cselect_b32 s5, -1, 0
	s_cmp_eq_u32 s10, 0
	s_cselect_b32 s5, s5, -1
	s_cmp_lg_u32 s5, 0
	s_cselect_b32 s5, s4, s10
	s_cselect_b32 s4, s12, s11
	s_cbranch_execnz .LBB162_303
.LBB162_302:                            ;   in Loop: Header=BB162_18 Depth=1
	v_cvt_f32_u32_e32 v3, s67
	s_sub_i32 s4, 0, s67
	v_rcp_iflag_f32_e32 v3, v3
	v_mul_f32_e32 v3, 0x4f7ffffe, v3
	v_cvt_u32_f32_e32 v3, v3
	v_readfirstlane_b32 s5, v3
	s_mul_i32 s4, s4, s5
	s_mul_hi_u32 s4, s5, s4
	s_add_i32 s5, s5, s4
	s_mul_hi_u32 s4, s15, s5
	s_mul_i32 s4, s4, s67
	s_sub_i32 s4, s15, s4
	s_sub_i32 s5, s4, s67
	s_cmp_ge_u32 s4, s67
	s_cselect_b32 s4, s5, s4
	s_sub_i32 s5, s4, s67
	s_cmp_ge_u32 s4, s67
	s_cselect_b32 s64, s5, s4
	s_mov_b64 s[4:5], s[64:65]
.LBB162_303:                            ;   in Loop: Header=BB162_18 Depth=1
	s_sub_u32 s14, s15, s4
	s_subb_u32 s15, s73, s5
	v_cmp_gt_u64_e32 vcc, s[14:15], v[0:1]
                                        ; implicit-def: $vgpr6_vgpr7
	s_and_saveexec_b64 s[10:11], vcc
	s_cbranch_execz .LBB162_312
; %bb.304:                              ;   in Loop: Header=BB162_18 Depth=1
	v_mov_b32_e32 v9, v1
	s_mov_b64 s[20:21], 0
	v_mov_b32_e32 v8, v0
                                        ; implicit-def: $sgpr12_sgpr13
	s_branch .LBB162_307
.LBB162_305:                            ;   in Loop: Header=BB162_307 Depth=2
	s_or_b64 exec, exec, s[4:5]
	s_waitcnt lgkmcnt(0)
	s_barrier
	ds_read_b128 v[4:7], v19 offset:3072
	s_mov_b64 s[28:29], -1
	s_mov_b64 s[4:5], -1
	s_waitcnt lgkmcnt(0)
	s_barrier
	v_cmp_ne_u64_e32 vcc, 0, v[4:5]
	s_cbranch_vccz .LBB162_310
.LBB162_306:                            ;   in Loop: Header=BB162_307 Depth=2
	s_and_b64 s[28:29], exec, s[28:29]
	s_or_b64 s[20:21], s[28:29], s[20:21]
	s_andn2_b64 s[12:13], s[12:13], exec
	s_and_b64 s[4:5], s[4:5], exec
	s_or_b64 s[12:13], s[12:13], s[4:5]
	s_andn2_b64 exec, exec, s[20:21]
	s_cbranch_execz .LBB162_311
.LBB162_307:                            ;   Parent Loop BB162_18 Depth=1
                                        ; =>  This Inner Loop Header: Depth=2
	v_cmp_gt_u64_e32 vcc, s[24:25], v[8:9]
	s_and_saveexec_b64 s[4:5], vcc
	s_cbranch_execz .LBB162_305
; %bb.308:                              ;   in Loop: Header=BB162_307 Depth=2
	v_mul_lo_u32 v5, v9, s22
	v_mul_lo_u32 v6, v8, s23
	v_mad_u64_u32 v[3:4], s[28:29], v8, s22, 0
	v_add3_u32 v4, v4, v6, v5
	v_lshlrev_b64 v[3:4], 3, v[3:4]
	v_mov_b32_e32 v5, s66
	v_add_co_u32_e32 v3, vcc, s33, v3
	v_addc_co_u32_e32 v4, vcc, v5, v4, vcc
	global_load_dwordx2 v[4:5], v[3:4], off
	s_waitcnt vmcnt(0)
	v_xor_b32_e32 v3, 0x80000000, v5
	v_and_b32_e32 v7, v3, v25
	v_and_b32_e32 v6, v4, v24
	v_cmp_eq_u64_e32 vcc, v[6:7], v[22:23]
	s_and_b64 exec, exec, vcc
	s_cbranch_execz .LBB162_305
; %bb.309:                              ;   in Loop: Header=BB162_307 Depth=2
	v_mov_b32_e32 v3, v19
	ds_write_b128 v19, v[2:5] offset:3072
	s_branch .LBB162_305
.LBB162_310:                            ;   in Loop: Header=BB162_307 Depth=2
	v_add_co_u32_e32 v8, vcc, s67, v8
	v_addc_co_u32_e32 v9, vcc, 0, v9, vcc
	v_cmp_le_u64_e32 vcc, s[14:15], v[8:9]
	s_mov_b64 s[4:5], 0
	s_orn2_b64 s[28:29], vcc, exec
	s_branch .LBB162_306
.LBB162_311:                            ;   in Loop: Header=BB162_18 Depth=1
	s_or_b64 exec, exec, s[20:21]
	s_andn2_b64 s[4:5], s[8:9], exec
	s_and_b64 s[8:9], s[12:13], exec
	s_or_b64 s[8:9], s[4:5], s[8:9]
.LBB162_312:                            ;   in Loop: Header=BB162_18 Depth=1
	s_or_b64 exec, exec, s[10:11]
	s_mov_b64 s[40:41], 0
	s_mov_b64 s[14:15], -1
.LBB162_313:                            ;   in Loop: Header=BB162_18 Depth=1
	s_orn2_b64 s[4:5], s[8:9], exec
.LBB162_314:                            ;   in Loop: Header=BB162_18 Depth=1
	s_or_b64 exec, exec, s[2:3]
                                        ; implicit-def: $vgpr28_vgpr29
                                        ; implicit-def: $vgpr42
	s_and_saveexec_b64 s[2:3], s[4:5]
	s_cbranch_execz .LBB162_472
; %bb.315:                              ;   in Loop: Header=BB162_18 Depth=1
	v_mov_b32_e32 v28, 1
	s_xor_b64 s[4:5], s[6:7], -1
	v_mov_b32_e32 v42, 1
	v_mov_b32_e32 v29, 0
	s_mov_b64 s[8:9], 0
	s_and_saveexec_b64 s[6:7], s[4:5]
	s_cbranch_execz .LBB162_324
; %bb.316:                              ;   in Loop: Header=BB162_18 Depth=1
	v_cmp_ge_u64_e32 vcc, s[46:47], v[26:27]
	s_and_saveexec_b64 s[4:5], vcc
	s_xor_b64 s[4:5], exec, s[4:5]
	s_cbranch_execz .LBB162_321
; %bb.317:                              ;   in Loop: Header=BB162_18 Depth=1
	ds_read_b64 v[3:4], v19 offset:5120
	v_or_b32_e32 v23, s19, v23
	v_or_b32_e32 v22, s18, v22
	;; [unrolled: 1-line block ×4, first 2 shown]
	s_waitcnt lgkmcnt(0)
	v_cmp_ne_u64_e32 vcc, 0, v[3:4]
	s_cbranch_vccnz .LBB162_321
; %bb.318:                              ;   in Loop: Header=BB162_18 Depth=1
	s_mov_b64 s[8:9], exec
	v_readlane_b32 s10, v45, 32
	v_readlane_b32 s11, v45, 33
	s_and_b64 s[10:11], s[8:9], s[10:11]
	s_mov_b64 exec, s[10:11]
; %bb.319:                              ;   in Loop: Header=BB162_18 Depth=1
	v_mov_b32_e32 v3, s46
	v_mov_b32_e32 v4, s47
	ds_write_b64 v19, v[3:4] offset:5128
; %bb.320:                              ;   in Loop: Header=BB162_18 Depth=1
	s_or_b64 exec, exec, s[8:9]
	s_waitcnt lgkmcnt(0)
	s_barrier
.LBB162_321:                            ;   in Loop: Header=BB162_18 Depth=1
	s_or_saveexec_b64 s[4:5], s[4:5]
	s_mov_b64 s[8:9], 0
	v_mov_b32_e32 v42, 5
	s_xor_b64 exec, exec, s[4:5]
; %bb.322:                              ;   in Loop: Header=BB162_18 Depth=1
	v_subrev_co_u32_e32 v26, vcc, s46, v26
	v_mov_b32_e32 v3, s47
	v_subb_co_u32_e32 v27, vcc, v27, v3, vcc
	v_mov_b32_e32 v42, 0
	s_mov_b64 s[8:9], exec
; %bb.323:                              ;   in Loop: Header=BB162_18 Depth=1
	s_or_b64 exec, exec, s[4:5]
	v_mov_b32_e32 v29, v27
	s_and_b64 s[8:9], s[8:9], exec
	v_mov_b32_e32 v28, v26
.LBB162_324:                            ;   in Loop: Header=BB162_18 Depth=1
	s_or_b64 exec, exec, s[6:7]
	s_mov_b64 s[4:5], -1
                                        ; implicit-def: $sgpr28_sgpr29
                                        ; implicit-def: $sgpr30_sgpr31
	s_and_saveexec_b64 s[6:7], s[8:9]
	s_xor_b64 s[6:7], exec, s[6:7]
	s_cbranch_execz .LBB162_469
; %bb.325:                              ;   in Loop: Header=BB162_18 Depth=1
	s_cmp_eq_u64 s[44:45], 1
	v_cmp_eq_u64_e32 vcc, 1, v[28:29]
	s_cselect_b64 s[4:5], -1, 0
	s_and_b64 s[20:21], s[4:5], vcc
	s_mov_b64 s[4:5], -1
                                        ; implicit-def: $sgpr30_sgpr31
                                        ; implicit-def: $sgpr28_sgpr29
	s_and_saveexec_b64 s[36:37], s[20:21]
	s_cbranch_execz .LBB162_359
; %bb.326:                              ;   in Loop: Header=BB162_18 Depth=1
	ds_read_b64 v[3:4], v19 offset:5120
	s_waitcnt lgkmcnt(0)
	s_barrier
	v_readfirstlane_b32 s10, v3
	v_readfirstlane_b32 s11, v4
	s_mov_b64 s[4:5], exec
	v_readlane_b32 s8, v45, 48
	v_readlane_b32 s9, v45, 49
	s_and_b64 s[8:9], s[4:5], s[8:9]
	s_mov_b64 exec, s[8:9]
; %bb.327:                              ;   in Loop: Header=BB162_18 Depth=1
	v_mov_b32_e32 v18, v19
	ds_write_b64 v37, v[18:19]
; %bb.328:                              ;   in Loop: Header=BB162_18 Depth=1
	s_or_b64 exec, exec, s[4:5]
	s_lshl_b64 s[4:5], 2, s75
	v_and_b32_e32 v3, s63, v23
	v_and_b32_e32 v4, s62, v22
	v_or_b32_e32 v23, s5, v3
	v_or_b32_e32 v22, s4, v4
	;; [unrolled: 1-line block ×4, first 2 shown]
	s_mov_b64 s[28:29], -1
	s_mov_b64 s[30:31], 0
	s_cmp_eq_u64 s[10:11], 0
	s_mov_b64 s[8:9], 0
	s_mov_b64 s[34:35], -1
	s_waitcnt lgkmcnt(0)
	s_barrier
                                        ; implicit-def: $vgpr6_vgpr7
	s_cbranch_scc1 .LBB162_344
; %bb.329:                              ;   in Loop: Header=BB162_18 Depth=1
	v_readlane_b32 s4, v45, 52
	s_add_u32 s34, s10, s4
	v_readlane_b32 s4, v45, 54
	s_addc_u32 s9, s11, s4
	s_mov_b32 s8, s65
	s_cmp_lg_u64 s[8:9], 0
	s_cbranch_scc0 .LBB162_385
; %bb.330:                              ;   in Loop: Header=BB162_18 Depth=1
	v_cvt_f32_u32_e32 v3, s67
	s_sub_u32 s8, 0, s67
	s_subb_u32 s12, 0, 0
	v_mac_f32_e32 v3, 0, v41
	v_rcp_f32_e32 v3, v3
	v_mul_f32_e32 v3, 0x5f7ffffc, v3
	v_mul_f32_e32 v4, 0x2f800000, v3
	v_trunc_f32_e32 v4, v4
	v_mac_f32_e32 v3, 0xcf800000, v4
	v_cvt_u32_f32_e32 v4, v4
	v_cvt_u32_f32_e32 v3, v3
	v_readfirstlane_b32 s13, v4
	v_readfirstlane_b32 s4, v3
	s_mul_i32 s5, s8, s13
	s_mul_hi_u32 s38, s8, s4
	s_mul_i32 s35, s12, s4
	s_add_i32 s5, s38, s5
	s_mul_i32 s39, s8, s4
	s_add_i32 s5, s5, s35
	s_mul_hi_u32 s38, s4, s39
	s_mul_i32 s46, s4, s5
	s_mul_hi_u32 s35, s4, s5
	s_add_u32 s38, s38, s46
	s_addc_u32 s35, 0, s35
	s_mul_hi_u32 s47, s13, s39
	s_mul_i32 s39, s13, s39
	s_add_u32 s38, s38, s39
	s_mul_hi_u32 s46, s13, s5
	s_addc_u32 s35, s35, s47
	s_addc_u32 s38, s46, 0
	s_mul_i32 s5, s13, s5
	s_add_u32 s5, s35, s5
	s_addc_u32 s35, 0, s38
	s_add_u32 s38, s4, s5
	s_cselect_b64 s[4:5], -1, 0
	s_cmp_lg_u64 s[4:5], 0
	s_addc_u32 s13, s13, s35
	s_mul_i32 s4, s8, s13
	s_mul_hi_u32 s5, s8, s38
	s_add_i32 s4, s5, s4
	s_mul_i32 s12, s12, s38
	s_add_i32 s4, s4, s12
	s_mul_i32 s8, s8, s38
	s_mul_hi_u32 s12, s13, s8
	s_mul_i32 s35, s13, s8
	s_mul_i32 s46, s38, s4
	s_mul_hi_u32 s8, s38, s8
	s_mul_hi_u32 s39, s38, s4
	s_add_u32 s8, s8, s46
	s_addc_u32 s39, 0, s39
	s_add_u32 s8, s8, s35
	s_mul_hi_u32 s5, s13, s4
	s_addc_u32 s8, s39, s12
	s_addc_u32 s5, s5, 0
	s_mul_i32 s4, s13, s4
	s_add_u32 s4, s8, s4
	s_addc_u32 s8, 0, s5
	s_add_u32 s12, s38, s4
	s_cselect_b64 s[4:5], -1, 0
	s_cmp_lg_u64 s[4:5], 0
	s_addc_u32 s4, s13, s8
	s_mul_i32 s8, s34, s4
	s_mul_hi_u32 s13, s34, s12
	s_mul_hi_u32 s5, s34, s4
	s_add_u32 s8, s13, s8
	s_addc_u32 s5, 0, s5
	s_mul_hi_u32 s35, s9, s12
	s_mul_i32 s12, s9, s12
	s_add_u32 s8, s8, s12
	s_mul_hi_u32 s13, s9, s4
	s_addc_u32 s5, s5, s35
	s_addc_u32 s8, s13, 0
	s_mul_i32 s4, s9, s4
	s_add_u32 s4, s5, s4
	s_addc_u32 s5, 0, s8
	s_mul_i32 s5, s67, s5
	s_mul_hi_u32 s8, s67, s4
	s_add_i32 s8, s8, s5
	s_mul_i32 s4, s67, s4
	s_sub_u32 s12, s34, s4
	s_cselect_b64 s[4:5], -1, 0
	s_cmp_lg_u64 s[4:5], 0
	s_subb_u32 s8, s9, s8
	s_sub_u32 s13, s12, s67
	s_cselect_b64 s[4:5], -1, 0
	s_cmp_lg_u64 s[4:5], 0
	s_subb_u32 s35, s8, 0
	;; [unrolled: 4-line block ×3, first 2 shown]
	s_cmp_ge_u32 s13, s67
	s_cselect_b32 s5, -1, 0
	s_cmp_eq_u32 s35, 0
	s_cselect_b32 s5, s5, -1
	s_cmp_lg_u32 s5, 0
	s_cselect_b32 s4, s4, s35
	s_cselect_b32 s13, s38, s13
	s_cmp_ge_u32 s12, s67
	s_cselect_b32 s5, -1, 0
	s_cmp_eq_u32 s8, 0
	s_cselect_b32 s5, s5, -1
	s_cmp_lg_u32 s5, 0
	s_cselect_b32 s5, s4, s8
	s_cselect_b32 s4, s13, s12
	s_cbranch_execnz .LBB162_332
.LBB162_331:                            ;   in Loop: Header=BB162_18 Depth=1
	v_cvt_f32_u32_e32 v3, s67
	s_sub_i32 s4, 0, s67
	v_rcp_iflag_f32_e32 v3, v3
	v_mul_f32_e32 v3, 0x4f7ffffe, v3
	v_cvt_u32_f32_e32 v3, v3
	v_readfirstlane_b32 s5, v3
	s_mul_i32 s4, s4, s5
	s_mul_hi_u32 s4, s5, s4
	s_add_i32 s5, s5, s4
	s_mul_hi_u32 s4, s34, s5
	s_mul_i32 s4, s4, s67
	s_sub_i32 s4, s34, s4
	s_sub_i32 s5, s4, s67
	s_cmp_ge_u32 s4, s67
	s_cselect_b32 s4, s5, s4
	s_sub_i32 s5, s4, s67
	s_cmp_ge_u32 s4, s67
	s_cselect_b32 s64, s5, s4
	s_mov_b64 s[4:5], s[64:65]
.LBB162_332:                            ;   in Loop: Header=BB162_18 Depth=1
	s_sub_u32 s46, s34, s4
	s_subb_u32 s47, s9, s5
	v_cmp_gt_u64_e32 vcc, s[46:47], v[0:1]
	s_mov_b64 s[34:35], 0
	s_mov_b64 s[8:9], 0
                                        ; implicit-def: $vgpr6_vgpr7
	s_and_saveexec_b64 s[38:39], vcc
	s_cbranch_execz .LBB162_343
; %bb.333:                              ;   in Loop: Header=BB162_18 Depth=1
	v_mov_b32_e32 v9, v1
	v_mov_b32_e32 v10, v36
	;; [unrolled: 1-line block ×3, first 2 shown]
                                        ; implicit-def: $sgpr12_sgpr13
	s_branch .LBB162_336
.LBB162_334:                            ;   in Loop: Header=BB162_336 Depth=2
	s_or_b64 exec, exec, s[4:5]
	s_waitcnt lgkmcnt(0)
	s_barrier
	ds_read_b128 v[4:7], v19 offset:3072
	s_mov_b64 s[4:5], -1
	s_mov_b64 s[48:49], -1
	s_waitcnt lgkmcnt(0)
	s_barrier
	v_cmp_ne_u64_e32 vcc, 0, v[4:5]
	s_cbranch_vccz .LBB162_339
.LBB162_335:                            ;   in Loop: Header=BB162_336 Depth=2
	s_and_b64 s[4:5], exec, s[4:5]
	s_or_b64 s[8:9], s[4:5], s[8:9]
	s_andn2_b64 s[4:5], s[12:13], exec
	s_and_b64 s[12:13], s[48:49], exec
	s_or_b64 s[12:13], s[4:5], s[12:13]
	s_andn2_b64 exec, exec, s[8:9]
	s_cbranch_execz .LBB162_342
.LBB162_336:                            ;   Parent Loop BB162_18 Depth=1
                                        ; =>  This Inner Loop Header: Depth=2
	v_cmp_gt_u64_e32 vcc, s[10:11], v[8:9]
	s_and_saveexec_b64 s[4:5], vcc
	s_cbranch_execz .LBB162_334
; %bb.337:                              ;   in Loop: Header=BB162_336 Depth=2
	ds_read_b64 v[4:5], v10
	s_waitcnt lgkmcnt(0)
	v_xor_b32_e32 v3, 0x80000000, v5
	v_and_b32_e32 v7, v3, v25
	v_and_b32_e32 v6, v4, v24
	v_cmp_eq_u64_e32 vcc, v[6:7], v[22:23]
	s_and_b64 exec, exec, vcc
	s_cbranch_execz .LBB162_334
; %bb.338:                              ;   in Loop: Header=BB162_336 Depth=2
	v_mov_b32_e32 v3, v19
	ds_write_b128 v19, v[2:5] offset:3072
	s_branch .LBB162_334
.LBB162_339:                            ;   in Loop: Header=BB162_336 Depth=2
	v_add_co_u32_e32 v8, vcc, s67, v8
	v_addc_co_u32_e32 v9, vcc, 0, v9, vcc
	v_cmp_le_u64_e32 vcc, s[46:47], v[8:9]
	v_add_u32_e32 v10, s74, v10
	s_mov_b64 s[48:49], 0
	s_orn2_b64 s[4:5], vcc, exec
	s_branch .LBB162_335
.LBB162_340:                            ;   in Loop: Header=BB162_18 Depth=1
                                        ; implicit-def: $sgpr4_sgpr5
	s_branch .LBB162_287
.LBB162_341:                            ;   in Loop: Header=BB162_18 Depth=1
	v_readlane_b32 s15, v45, 53
                                        ; implicit-def: $sgpr4_sgpr5
	s_branch .LBB162_302
.LBB162_342:                            ;   in Loop: Header=BB162_18 Depth=1
	s_or_b64 exec, exec, s[8:9]
	s_and_b64 s[8:9], s[12:13], exec
.LBB162_343:                            ;   in Loop: Header=BB162_18 Depth=1
	s_or_b64 exec, exec, s[38:39]
.LBB162_344:                            ;   in Loop: Header=BB162_18 Depth=1
	s_and_b64 vcc, exec, s[34:35]
	s_cbranch_vccz .LBB162_358
; %bb.345:                              ;   in Loop: Header=BB162_18 Depth=1
	s_mov_b32 s72, s65
	s_cmp_lg_u64 s[72:73], 0
	s_cbranch_scc0 .LBB162_386
; %bb.346:                              ;   in Loop: Header=BB162_18 Depth=1
	v_cvt_f32_u32_e32 v3, s67
	s_sub_u32 s10, 0, s67
	s_subb_u32 s11, 0, 0
	v_mac_f32_e32 v3, 0, v41
	v_rcp_f32_e32 v3, v3
	v_mul_f32_e32 v3, 0x5f7ffffc, v3
	v_mul_f32_e32 v4, 0x2f800000, v3
	v_trunc_f32_e32 v4, v4
	v_mac_f32_e32 v3, 0xcf800000, v4
	v_cvt_u32_f32_e32 v4, v4
	v_cvt_u32_f32_e32 v3, v3
	v_readfirstlane_b32 s12, v4
	v_readfirstlane_b32 s4, v3
	s_mul_i32 s5, s10, s12
	s_mul_hi_u32 s28, s10, s4
	s_mul_i32 s13, s11, s4
	s_add_i32 s5, s28, s5
	s_mul_i32 s29, s10, s4
	s_add_i32 s5, s5, s13
	s_mul_hi_u32 s28, s4, s29
	s_mul_i32 s30, s4, s5
	s_mul_hi_u32 s13, s4, s5
	s_add_u32 s28, s28, s30
	s_addc_u32 s13, 0, s13
	s_mul_hi_u32 s31, s12, s29
	s_mul_i32 s29, s12, s29
	s_add_u32 s28, s28, s29
	s_mul_hi_u32 s30, s12, s5
	s_addc_u32 s13, s13, s31
	s_addc_u32 s28, s30, 0
	s_mul_i32 s5, s12, s5
	s_add_u32 s5, s13, s5
	s_addc_u32 s13, 0, s28
	s_add_u32 s28, s4, s5
	s_cselect_b64 s[4:5], -1, 0
	s_cmp_lg_u64 s[4:5], 0
	s_addc_u32 s12, s12, s13
	s_mul_i32 s4, s10, s12
	s_mul_hi_u32 s5, s10, s28
	s_add_i32 s4, s5, s4
	s_mul_i32 s11, s11, s28
	s_add_i32 s4, s4, s11
	s_mul_i32 s10, s10, s28
	s_mul_hi_u32 s11, s12, s10
	s_mul_i32 s13, s12, s10
	s_mul_i32 s30, s28, s4
	s_mul_hi_u32 s10, s28, s10
	s_mul_hi_u32 s29, s28, s4
	s_add_u32 s10, s10, s30
	s_addc_u32 s29, 0, s29
	s_add_u32 s10, s10, s13
	s_mul_hi_u32 s5, s12, s4
	s_addc_u32 s10, s29, s11
	s_addc_u32 s5, s5, 0
	s_mul_i32 s4, s12, s4
	s_add_u32 s4, s10, s4
	s_addc_u32 s10, 0, s5
	s_add_u32 s11, s28, s4
	s_cselect_b64 s[4:5], -1, 0
	s_cmp_lg_u64 s[4:5], 0
	s_addc_u32 s4, s12, s10
	v_readlane_b32 s29, v45, 53
	s_mul_i32 s10, s29, s4
	s_mul_hi_u32 s12, s29, s11
	s_mul_hi_u32 s5, s29, s4
	s_add_u32 s10, s12, s10
	s_addc_u32 s5, 0, s5
	s_mul_hi_u32 s13, s73, s11
	s_mul_i32 s11, s73, s11
	s_add_u32 s10, s10, s11
	s_mul_hi_u32 s12, s73, s4
	s_addc_u32 s5, s5, s13
	s_addc_u32 s10, s12, 0
	s_mul_i32 s4, s73, s4
	s_add_u32 s4, s5, s4
	s_addc_u32 s5, 0, s10
	s_mul_i32 s5, s67, s5
	s_mul_hi_u32 s10, s67, s4
	s_add_i32 s10, s10, s5
	s_mul_i32 s4, s67, s4
	s_sub_u32 s11, s29, s4
	s_cselect_b64 s[4:5], -1, 0
	s_cmp_lg_u64 s[4:5], 0
	s_subb_u32 s10, s73, s10
	s_sub_u32 s12, s11, s67
	s_cselect_b64 s[4:5], -1, 0
	s_cmp_lg_u64 s[4:5], 0
	s_subb_u32 s13, s10, 0
	;; [unrolled: 4-line block ×3, first 2 shown]
	s_cmp_ge_u32 s12, s67
	s_cselect_b32 s5, -1, 0
	s_cmp_eq_u32 s13, 0
	s_cselect_b32 s5, s5, -1
	s_cmp_lg_u32 s5, 0
	s_cselect_b32 s4, s4, s13
	s_cselect_b32 s12, s28, s12
	s_cmp_ge_u32 s11, s67
	s_cselect_b32 s5, -1, 0
	s_cmp_eq_u32 s10, 0
	s_cselect_b32 s5, s5, -1
	s_cmp_lg_u32 s5, 0
	s_cselect_b32 s5, s4, s10
	s_cselect_b32 s4, s12, s11
	s_cbranch_execnz .LBB162_348
.LBB162_347:                            ;   in Loop: Header=BB162_18 Depth=1
	v_cvt_f32_u32_e32 v3, s67
	s_sub_i32 s4, 0, s67
	v_rcp_iflag_f32_e32 v3, v3
	v_mul_f32_e32 v3, 0x4f7ffffe, v3
	v_cvt_u32_f32_e32 v3, v3
	v_readfirstlane_b32 s5, v3
	s_mul_i32 s4, s4, s5
	s_mul_hi_u32 s4, s5, s4
	s_add_i32 s5, s5, s4
	s_mul_hi_u32 s4, s29, s5
	s_mul_i32 s4, s4, s67
	s_sub_i32 s4, s29, s4
	s_sub_i32 s5, s4, s67
	s_cmp_ge_u32 s4, s67
	s_cselect_b32 s4, s5, s4
	s_sub_i32 s5, s4, s67
	s_cmp_ge_u32 s4, s67
	s_cselect_b32 s64, s5, s4
	s_mov_b64 s[4:5], s[64:65]
.LBB162_348:                            ;   in Loop: Header=BB162_18 Depth=1
	s_sub_u32 s28, s29, s4
	s_subb_u32 s29, s73, s5
	v_cmp_gt_u64_e32 vcc, s[28:29], v[0:1]
                                        ; implicit-def: $vgpr6_vgpr7
	s_and_saveexec_b64 s[10:11], vcc
	s_cbranch_execz .LBB162_357
; %bb.349:                              ;   in Loop: Header=BB162_18 Depth=1
	v_mov_b32_e32 v9, v1
	s_mov_b64 s[12:13], 0
	v_mov_b32_e32 v8, v0
                                        ; implicit-def: $sgpr30_sgpr31
	s_branch .LBB162_352
.LBB162_350:                            ;   in Loop: Header=BB162_352 Depth=2
	s_or_b64 exec, exec, s[4:5]
	s_waitcnt lgkmcnt(0)
	s_barrier
	ds_read_b128 v[4:7], v19 offset:3072
	s_mov_b64 s[34:35], -1
	s_mov_b64 s[4:5], -1
	s_waitcnt lgkmcnt(0)
	s_barrier
	v_cmp_eq_u64_e32 vcc, 0, v[4:5]
	s_cbranch_vccnz .LBB162_355
.LBB162_351:                            ;   in Loop: Header=BB162_352 Depth=2
	s_and_b64 s[34:35], exec, s[34:35]
	s_or_b64 s[12:13], s[34:35], s[12:13]
	s_andn2_b64 s[30:31], s[30:31], exec
	s_and_b64 s[4:5], s[4:5], exec
	s_or_b64 s[30:31], s[30:31], s[4:5]
	s_andn2_b64 exec, exec, s[12:13]
	s_cbranch_execz .LBB162_356
.LBB162_352:                            ;   Parent Loop BB162_18 Depth=1
                                        ; =>  This Inner Loop Header: Depth=2
	v_cmp_gt_u64_e32 vcc, s[24:25], v[8:9]
	s_and_saveexec_b64 s[4:5], vcc
	s_cbranch_execz .LBB162_350
; %bb.353:                              ;   in Loop: Header=BB162_352 Depth=2
	v_mul_lo_u32 v5, v9, s22
	v_mul_lo_u32 v6, v8, s23
	v_mad_u64_u32 v[3:4], s[34:35], v8, s22, 0
	v_add3_u32 v4, v4, v6, v5
	v_lshlrev_b64 v[3:4], 3, v[3:4]
	v_mov_b32_e32 v5, s66
	v_add_co_u32_e32 v3, vcc, s33, v3
	v_addc_co_u32_e32 v4, vcc, v5, v4, vcc
	global_load_dwordx2 v[4:5], v[3:4], off
	s_waitcnt vmcnt(0)
	v_xor_b32_e32 v3, 0x80000000, v5
	v_and_b32_e32 v7, v3, v25
	v_and_b32_e32 v6, v4, v24
	v_cmp_eq_u64_e32 vcc, v[6:7], v[22:23]
	s_and_b64 exec, exec, vcc
	s_cbranch_execz .LBB162_350
; %bb.354:                              ;   in Loop: Header=BB162_352 Depth=2
	v_mov_b32_e32 v3, v19
	ds_write_b128 v19, v[2:5] offset:3072
	s_branch .LBB162_350
.LBB162_355:                            ;   in Loop: Header=BB162_352 Depth=2
	v_add_co_u32_e32 v8, vcc, s67, v8
	v_addc_co_u32_e32 v9, vcc, 0, v9, vcc
	v_cmp_le_u64_e32 vcc, s[28:29], v[8:9]
	s_mov_b64 s[4:5], 0
	s_orn2_b64 s[34:35], vcc, exec
	s_branch .LBB162_351
.LBB162_356:                            ;   in Loop: Header=BB162_18 Depth=1
	s_or_b64 exec, exec, s[12:13]
	s_andn2_b64 s[4:5], s[8:9], exec
	s_and_b64 s[8:9], s[30:31], exec
	s_or_b64 s[8:9], s[4:5], s[8:9]
.LBB162_357:                            ;   in Loop: Header=BB162_18 Depth=1
	s_or_b64 exec, exec, s[10:11]
	s_mov_b64 s[28:29], 0
	s_mov_b64 s[30:31], -1
.LBB162_358:                            ;   in Loop: Header=BB162_18 Depth=1
	s_orn2_b64 s[4:5], s[8:9], exec
.LBB162_359:                            ;   in Loop: Header=BB162_18 Depth=1
	s_or_b64 exec, exec, s[36:37]
	s_mov_b64 s[8:9], 0
	s_and_saveexec_b64 s[36:37], s[4:5]
	s_cbranch_execz .LBB162_468
; %bb.360:                              ;   in Loop: Header=BB162_18 Depth=1
	v_mov_b32_e32 v8, 1
	s_xor_b64 s[4:5], s[20:21], -1
	v_mov_b32_e32 v42, 1
	v_mov_b32_e32 v9, 0
	s_mov_b64 s[10:11], 0
	s_and_saveexec_b64 s[8:9], s[4:5]
	s_cbranch_execz .LBB162_369
; %bb.361:                              ;   in Loop: Header=BB162_18 Depth=1
	v_cmp_ge_u64_e32 vcc, s[44:45], v[28:29]
	s_and_saveexec_b64 s[4:5], vcc
	s_xor_b64 s[10:11], exec, s[4:5]
	s_cbranch_execz .LBB162_366
; %bb.362:                              ;   in Loop: Header=BB162_18 Depth=1
	s_lshl_b64 s[4:5], 2, s75
	v_and_b32_e32 v3, s63, v23
	v_and_b32_e32 v4, s62, v22
	v_or_b32_e32 v23, s5, v3
	v_or_b32_e32 v22, s4, v4
	ds_read_b64 v[3:4], v19 offset:5120
	v_or_b32_e32 v25, s19, v25
	v_or_b32_e32 v24, s18, v24
	s_waitcnt lgkmcnt(0)
	v_cmp_ne_u64_e32 vcc, 0, v[3:4]
	s_cbranch_vccnz .LBB162_366
; %bb.363:                              ;   in Loop: Header=BB162_18 Depth=1
	s_mov_b64 s[4:5], exec
	v_readlane_b32 s12, v45, 32
	v_readlane_b32 s13, v45, 33
	s_and_b64 s[12:13], s[4:5], s[12:13]
	s_mov_b64 exec, s[12:13]
; %bb.364:                              ;   in Loop: Header=BB162_18 Depth=1
	v_mov_b32_e32 v3, s44
	v_mov_b32_e32 v4, s45
	ds_write_b64 v19, v[3:4] offset:5128
; %bb.365:                              ;   in Loop: Header=BB162_18 Depth=1
	s_or_b64 exec, exec, s[4:5]
	s_waitcnt lgkmcnt(0)
	s_barrier
.LBB162_366:                            ;   in Loop: Header=BB162_18 Depth=1
	s_or_saveexec_b64 s[4:5], s[10:11]
	s_mov_b64 s[10:11], 0
	v_mov_b32_e32 v42, 5
	s_xor_b64 exec, exec, s[4:5]
; %bb.367:                              ;   in Loop: Header=BB162_18 Depth=1
	v_subrev_co_u32_e32 v28, vcc, s44, v28
	v_mov_b32_e32 v3, s45
	v_subb_co_u32_e32 v29, vcc, v29, v3, vcc
	v_mov_b32_e32 v42, 0
	s_mov_b64 s[10:11], exec
; %bb.368:                              ;   in Loop: Header=BB162_18 Depth=1
	s_or_b64 exec, exec, s[4:5]
	v_mov_b32_e32 v8, v28
	s_and_b64 s[10:11], s[10:11], exec
	v_mov_b32_e32 v9, v29
.LBB162_369:                            ;   in Loop: Header=BB162_18 Depth=1
	s_or_b64 exec, exec, s[8:9]
	s_mov_b64 s[4:5], -1
                                        ; implicit-def: $sgpr44_sgpr45
                                        ; implicit-def: $sgpr46_sgpr47
	s_and_saveexec_b64 s[38:39], s[10:11]
	s_cbranch_execz .LBB162_467
; %bb.370:                              ;   in Loop: Header=BB162_18 Depth=1
	s_cmp_eq_u64 s[42:43], 1
	v_cmp_eq_u64_e32 vcc, 1, v[8:9]
	s_cselect_b64 s[4:5], -1, 0
	s_and_b64 s[20:21], s[4:5], vcc
	s_mov_b64 s[4:5], -1
                                        ; implicit-def: $sgpr46_sgpr47
                                        ; implicit-def: $sgpr44_sgpr45
	s_and_saveexec_b64 s[48:49], s[20:21]
	s_cbranch_execz .LBB162_404
; %bb.371:                              ;   in Loop: Header=BB162_18 Depth=1
	ds_read_b64 v[3:4], v19 offset:5120
	s_waitcnt lgkmcnt(0)
	s_barrier
	v_readfirstlane_b32 s10, v3
	v_readfirstlane_b32 s11, v4
	s_mov_b64 s[4:5], exec
	v_readlane_b32 s8, v45, 48
	v_readlane_b32 s9, v45, 49
	s_and_b64 s[8:9], s[4:5], s[8:9]
	s_mov_b64 exec, s[8:9]
; %bb.372:                              ;   in Loop: Header=BB162_18 Depth=1
	v_mov_b32_e32 v18, v19
	ds_write_b64 v37, v[18:19]
; %bb.373:                              ;   in Loop: Header=BB162_18 Depth=1
	s_or_b64 exec, exec, s[4:5]
	s_lshl_b64 s[4:5], 1, s75
	v_and_b32_e32 v3, s63, v23
	v_and_b32_e32 v4, s62, v22
	v_or_b32_e32 v23, s5, v3
	v_or_b32_e32 v22, s4, v4
	;; [unrolled: 1-line block ×4, first 2 shown]
	s_mov_b64 s[44:45], -1
	s_mov_b64 s[46:47], 0
	s_cmp_eq_u64 s[10:11], 0
	s_mov_b64 s[8:9], 0
	s_mov_b64 s[34:35], -1
	s_waitcnt lgkmcnt(0)
	s_barrier
                                        ; implicit-def: $vgpr6_vgpr7
	s_cbranch_scc1 .LBB162_389
; %bb.374:                              ;   in Loop: Header=BB162_18 Depth=1
	v_readlane_b32 s4, v45, 52
	s_add_u32 s34, s10, s4
	v_readlane_b32 s4, v45, 54
	s_addc_u32 s9, s11, s4
	s_mov_b32 s8, s65
	s_cmp_lg_u64 s[8:9], 0
	s_cbranch_scc0 .LBB162_421
; %bb.375:                              ;   in Loop: Header=BB162_18 Depth=1
	v_cvt_f32_u32_e32 v3, s67
	s_sub_u32 s8, 0, s67
	s_subb_u32 s12, 0, 0
	v_mac_f32_e32 v3, 0, v41
	v_rcp_f32_e32 v3, v3
	v_mul_f32_e32 v3, 0x5f7ffffc, v3
	v_mul_f32_e32 v4, 0x2f800000, v3
	v_trunc_f32_e32 v4, v4
	v_mac_f32_e32 v3, 0xcf800000, v4
	v_cvt_u32_f32_e32 v4, v4
	v_cvt_u32_f32_e32 v3, v3
	v_readfirstlane_b32 s13, v4
	v_readfirstlane_b32 s4, v3
	s_mul_i32 s5, s8, s13
	s_mul_hi_u32 s54, s8, s4
	s_mul_i32 s35, s12, s4
	s_add_i32 s5, s54, s5
	s_mul_i32 s55, s8, s4
	s_add_i32 s5, s5, s35
	s_mul_hi_u32 s54, s4, s55
	s_mul_i32 s64, s4, s5
	s_mul_hi_u32 s35, s4, s5
	s_add_u32 s54, s54, s64
	s_addc_u32 s35, 0, s35
	s_mul_hi_u32 s70, s13, s55
	s_mul_i32 s55, s13, s55
	s_add_u32 s54, s54, s55
	s_mul_hi_u32 s64, s13, s5
	s_addc_u32 s35, s35, s70
	s_addc_u32 s54, s64, 0
	s_mul_i32 s5, s13, s5
	s_add_u32 s5, s35, s5
	s_addc_u32 s35, 0, s54
	s_add_u32 s54, s4, s5
	s_cselect_b64 s[4:5], -1, 0
	s_cmp_lg_u64 s[4:5], 0
	s_addc_u32 s13, s13, s35
	s_mul_i32 s4, s8, s13
	s_mul_hi_u32 s5, s8, s54
	s_add_i32 s4, s5, s4
	s_mul_i32 s12, s12, s54
	s_add_i32 s4, s4, s12
	s_mul_i32 s8, s8, s54
	s_mul_hi_u32 s12, s13, s8
	s_mul_i32 s35, s13, s8
	s_mul_i32 s64, s54, s4
	s_mul_hi_u32 s8, s54, s8
	s_mul_hi_u32 s55, s54, s4
	s_add_u32 s8, s8, s64
	s_addc_u32 s55, 0, s55
	s_add_u32 s8, s8, s35
	s_mul_hi_u32 s5, s13, s4
	s_addc_u32 s8, s55, s12
	s_addc_u32 s5, s5, 0
	s_mul_i32 s4, s13, s4
	s_add_u32 s4, s8, s4
	s_addc_u32 s8, 0, s5
	s_add_u32 s12, s54, s4
	s_cselect_b64 s[4:5], -1, 0
	s_cmp_lg_u64 s[4:5], 0
	s_addc_u32 s4, s13, s8
	s_mul_i32 s8, s34, s4
	s_mul_hi_u32 s13, s34, s12
	s_mul_hi_u32 s5, s34, s4
	s_add_u32 s8, s13, s8
	s_addc_u32 s5, 0, s5
	s_mul_hi_u32 s35, s9, s12
	s_mul_i32 s12, s9, s12
	s_add_u32 s8, s8, s12
	s_mul_hi_u32 s13, s9, s4
	s_addc_u32 s5, s5, s35
	s_addc_u32 s8, s13, 0
	s_mul_i32 s4, s9, s4
	s_add_u32 s4, s5, s4
	s_addc_u32 s5, 0, s8
	s_mul_i32 s5, s67, s5
	s_mul_hi_u32 s8, s67, s4
	s_add_i32 s8, s8, s5
	s_mul_i32 s4, s67, s4
	s_sub_u32 s12, s34, s4
	s_cselect_b64 s[4:5], -1, 0
	s_cmp_lg_u64 s[4:5], 0
	s_subb_u32 s8, s9, s8
	s_sub_u32 s13, s12, s67
	s_cselect_b64 s[4:5], -1, 0
	s_cmp_lg_u64 s[4:5], 0
	s_subb_u32 s35, s8, 0
	s_sub_u32 s54, s13, s67
	s_cselect_b64 s[4:5], -1, 0
	s_cmp_lg_u64 s[4:5], 0
	s_subb_u32 s4, s35, 0
	s_cmp_ge_u32 s13, s67
	s_cselect_b32 s5, -1, 0
	s_cmp_eq_u32 s35, 0
	s_cselect_b32 s5, s5, -1
	s_cmp_lg_u32 s5, 0
	s_cselect_b32 s4, s4, s35
	s_cselect_b32 s13, s54, s13
	s_cmp_ge_u32 s12, s67
	s_cselect_b32 s5, -1, 0
	s_cmp_eq_u32 s8, 0
	s_cselect_b32 s5, s5, -1
	s_cmp_lg_u32 s5, 0
	s_cselect_b32 s5, s4, s8
	s_cselect_b32 s4, s13, s12
	s_cbranch_execnz .LBB162_377
.LBB162_376:                            ;   in Loop: Header=BB162_18 Depth=1
	v_cvt_f32_u32_e32 v3, s67
	s_sub_i32 s4, 0, s67
	v_rcp_iflag_f32_e32 v3, v3
	v_mul_f32_e32 v3, 0x4f7ffffe, v3
	v_cvt_u32_f32_e32 v3, v3
	v_readfirstlane_b32 s5, v3
	s_mul_i32 s4, s4, s5
	s_mul_hi_u32 s4, s5, s4
	s_add_i32 s5, s5, s4
	s_mul_hi_u32 s4, s34, s5
	s_mul_i32 s4, s4, s67
	s_sub_i32 s4, s34, s4
	s_sub_i32 s5, s4, s67
	s_cmp_ge_u32 s4, s67
	s_cselect_b32 s4, s5, s4
	s_sub_i32 s5, s4, s67
	s_cmp_ge_u32 s4, s67
	s_cselect_b32 s64, s5, s4
	s_mov_b64 s[4:5], s[64:65]
.LBB162_377:                            ;   in Loop: Header=BB162_18 Depth=1
	s_sub_u32 s70, s34, s4
	s_subb_u32 s71, s9, s5
	v_cmp_gt_u64_e32 vcc, s[70:71], v[0:1]
	s_mov_b64 s[34:35], 0
	s_mov_b64 s[8:9], 0
                                        ; implicit-def: $vgpr6_vgpr7
	s_and_saveexec_b64 s[54:55], vcc
	s_cbranch_execz .LBB162_388
; %bb.378:                              ;   in Loop: Header=BB162_18 Depth=1
	v_mov_b32_e32 v11, v1
	v_mov_b32_e32 v12, v36
	;; [unrolled: 1-line block ×3, first 2 shown]
                                        ; implicit-def: $sgpr12_sgpr13
	s_branch .LBB162_381
.LBB162_379:                            ;   in Loop: Header=BB162_381 Depth=2
	s_or_b64 exec, exec, s[4:5]
	s_waitcnt lgkmcnt(0)
	s_barrier
	ds_read_b128 v[4:7], v19 offset:3072
	s_mov_b64 s[4:5], -1
	s_mov_b64 s[76:77], -1
	s_waitcnt lgkmcnt(0)
	s_barrier
	v_cmp_ne_u64_e32 vcc, 0, v[4:5]
	s_cbranch_vccz .LBB162_384
.LBB162_380:                            ;   in Loop: Header=BB162_381 Depth=2
	s_and_b64 s[4:5], exec, s[4:5]
	s_or_b64 s[8:9], s[4:5], s[8:9]
	s_andn2_b64 s[4:5], s[12:13], exec
	s_and_b64 s[12:13], s[76:77], exec
	s_or_b64 s[12:13], s[4:5], s[12:13]
	s_andn2_b64 exec, exec, s[8:9]
	s_cbranch_execz .LBB162_387
.LBB162_381:                            ;   Parent Loop BB162_18 Depth=1
                                        ; =>  This Inner Loop Header: Depth=2
	v_cmp_gt_u64_e32 vcc, s[10:11], v[10:11]
	s_and_saveexec_b64 s[4:5], vcc
	s_cbranch_execz .LBB162_379
; %bb.382:                              ;   in Loop: Header=BB162_381 Depth=2
	ds_read_b64 v[4:5], v12
	s_waitcnt lgkmcnt(0)
	v_xor_b32_e32 v3, 0x80000000, v5
	v_and_b32_e32 v7, v3, v25
	v_and_b32_e32 v6, v4, v24
	v_cmp_eq_u64_e32 vcc, v[6:7], v[22:23]
	s_and_b64 exec, exec, vcc
	s_cbranch_execz .LBB162_379
; %bb.383:                              ;   in Loop: Header=BB162_381 Depth=2
	v_mov_b32_e32 v3, v19
	ds_write_b128 v19, v[2:5] offset:3072
	s_branch .LBB162_379
.LBB162_384:                            ;   in Loop: Header=BB162_381 Depth=2
	v_add_co_u32_e32 v10, vcc, s67, v10
	v_addc_co_u32_e32 v11, vcc, 0, v11, vcc
	v_cmp_le_u64_e32 vcc, s[70:71], v[10:11]
	v_add_u32_e32 v12, s74, v12
	s_mov_b64 s[76:77], 0
	s_orn2_b64 s[4:5], vcc, exec
	s_branch .LBB162_380
.LBB162_385:                            ;   in Loop: Header=BB162_18 Depth=1
                                        ; implicit-def: $sgpr4_sgpr5
	s_branch .LBB162_331
.LBB162_386:                            ;   in Loop: Header=BB162_18 Depth=1
	v_readlane_b32 s29, v45, 53
                                        ; implicit-def: $sgpr4_sgpr5
	s_branch .LBB162_347
.LBB162_387:                            ;   in Loop: Header=BB162_18 Depth=1
	s_or_b64 exec, exec, s[8:9]
	s_and_b64 s[8:9], s[12:13], exec
.LBB162_388:                            ;   in Loop: Header=BB162_18 Depth=1
	s_or_b64 exec, exec, s[54:55]
.LBB162_389:                            ;   in Loop: Header=BB162_18 Depth=1
	s_and_b64 vcc, exec, s[34:35]
	s_cbranch_vccz .LBB162_403
; %bb.390:                              ;   in Loop: Header=BB162_18 Depth=1
	s_mov_b32 s72, s65
	s_cmp_lg_u64 s[72:73], 0
	s_cbranch_scc0 .LBB162_422
; %bb.391:                              ;   in Loop: Header=BB162_18 Depth=1
	v_cvt_f32_u32_e32 v3, s67
	s_sub_u32 s10, 0, s67
	s_subb_u32 s11, 0, 0
	v_mac_f32_e32 v3, 0, v41
	v_rcp_f32_e32 v3, v3
	v_mul_f32_e32 v3, 0x5f7ffffc, v3
	v_mul_f32_e32 v4, 0x2f800000, v3
	v_trunc_f32_e32 v4, v4
	v_mac_f32_e32 v3, 0xcf800000, v4
	v_cvt_u32_f32_e32 v4, v4
	v_cvt_u32_f32_e32 v3, v3
	v_readfirstlane_b32 s12, v4
	v_readfirstlane_b32 s4, v3
	s_mul_i32 s5, s10, s12
	s_mul_hi_u32 s34, s10, s4
	s_mul_i32 s13, s11, s4
	s_add_i32 s5, s34, s5
	s_mul_i32 s35, s10, s4
	s_add_i32 s5, s5, s13
	s_mul_hi_u32 s34, s4, s35
	s_mul_i32 s44, s4, s5
	s_mul_hi_u32 s13, s4, s5
	s_add_u32 s34, s34, s44
	s_addc_u32 s13, 0, s13
	s_mul_hi_u32 s45, s12, s35
	s_mul_i32 s35, s12, s35
	s_add_u32 s34, s34, s35
	s_mul_hi_u32 s44, s12, s5
	s_addc_u32 s13, s13, s45
	s_addc_u32 s34, s44, 0
	s_mul_i32 s5, s12, s5
	s_add_u32 s5, s13, s5
	s_addc_u32 s13, 0, s34
	s_add_u32 s34, s4, s5
	s_cselect_b64 s[4:5], -1, 0
	s_cmp_lg_u64 s[4:5], 0
	s_addc_u32 s12, s12, s13
	s_mul_i32 s4, s10, s12
	s_mul_hi_u32 s5, s10, s34
	s_add_i32 s4, s5, s4
	s_mul_i32 s11, s11, s34
	s_add_i32 s4, s4, s11
	s_mul_i32 s10, s10, s34
	s_mul_hi_u32 s11, s12, s10
	s_mul_i32 s13, s12, s10
	s_mul_i32 s44, s34, s4
	s_mul_hi_u32 s10, s34, s10
	s_mul_hi_u32 s35, s34, s4
	s_add_u32 s10, s10, s44
	s_addc_u32 s35, 0, s35
	s_add_u32 s10, s10, s13
	s_mul_hi_u32 s5, s12, s4
	s_addc_u32 s10, s35, s11
	s_addc_u32 s5, s5, 0
	s_mul_i32 s4, s12, s4
	s_add_u32 s4, s10, s4
	s_addc_u32 s10, 0, s5
	s_add_u32 s11, s34, s4
	s_cselect_b64 s[4:5], -1, 0
	s_cmp_lg_u64 s[4:5], 0
	s_addc_u32 s4, s12, s10
	v_readlane_b32 s35, v45, 53
	s_mul_i32 s10, s35, s4
	s_mul_hi_u32 s12, s35, s11
	s_mul_hi_u32 s5, s35, s4
	s_add_u32 s10, s12, s10
	s_addc_u32 s5, 0, s5
	s_mul_hi_u32 s13, s73, s11
	s_mul_i32 s11, s73, s11
	s_add_u32 s10, s10, s11
	s_mul_hi_u32 s12, s73, s4
	s_addc_u32 s5, s5, s13
	s_addc_u32 s10, s12, 0
	s_mul_i32 s4, s73, s4
	s_add_u32 s4, s5, s4
	s_addc_u32 s5, 0, s10
	s_mul_i32 s5, s67, s5
	s_mul_hi_u32 s10, s67, s4
	s_add_i32 s10, s10, s5
	s_mul_i32 s4, s67, s4
	s_sub_u32 s11, s35, s4
	s_cselect_b64 s[4:5], -1, 0
	s_cmp_lg_u64 s[4:5], 0
	s_subb_u32 s10, s73, s10
	s_sub_u32 s12, s11, s67
	s_cselect_b64 s[4:5], -1, 0
	s_cmp_lg_u64 s[4:5], 0
	s_subb_u32 s13, s10, 0
	s_sub_u32 s34, s12, s67
	s_cselect_b64 s[4:5], -1, 0
	s_cmp_lg_u64 s[4:5], 0
	s_subb_u32 s4, s13, 0
	s_cmp_ge_u32 s12, s67
	s_cselect_b32 s5, -1, 0
	s_cmp_eq_u32 s13, 0
	s_cselect_b32 s5, s5, -1
	s_cmp_lg_u32 s5, 0
	s_cselect_b32 s4, s4, s13
	s_cselect_b32 s12, s34, s12
	s_cmp_ge_u32 s11, s67
	s_cselect_b32 s5, -1, 0
	s_cmp_eq_u32 s10, 0
	s_cselect_b32 s5, s5, -1
	s_cmp_lg_u32 s5, 0
	s_cselect_b32 s5, s4, s10
	s_cselect_b32 s4, s12, s11
	s_cbranch_execnz .LBB162_393
.LBB162_392:                            ;   in Loop: Header=BB162_18 Depth=1
	v_cvt_f32_u32_e32 v3, s67
	s_sub_i32 s4, 0, s67
	v_rcp_iflag_f32_e32 v3, v3
	v_mul_f32_e32 v3, 0x4f7ffffe, v3
	v_cvt_u32_f32_e32 v3, v3
	v_readfirstlane_b32 s5, v3
	s_mul_i32 s4, s4, s5
	s_mul_hi_u32 s4, s5, s4
	s_add_i32 s5, s5, s4
	s_mul_hi_u32 s4, s35, s5
	s_mul_i32 s4, s4, s67
	s_sub_i32 s4, s35, s4
	s_sub_i32 s5, s4, s67
	s_cmp_ge_u32 s4, s67
	s_cselect_b32 s4, s5, s4
	s_sub_i32 s5, s4, s67
	s_cmp_ge_u32 s4, s67
	s_cselect_b32 s64, s5, s4
	s_mov_b64 s[4:5], s[64:65]
.LBB162_393:                            ;   in Loop: Header=BB162_18 Depth=1
	s_sub_u32 s34, s35, s4
	s_subb_u32 s35, s73, s5
	v_cmp_gt_u64_e32 vcc, s[34:35], v[0:1]
                                        ; implicit-def: $vgpr6_vgpr7
	s_and_saveexec_b64 s[10:11], vcc
	s_cbranch_execz .LBB162_402
; %bb.394:                              ;   in Loop: Header=BB162_18 Depth=1
	v_mov_b32_e32 v11, v1
	s_mov_b64 s[12:13], 0
	v_mov_b32_e32 v10, v0
                                        ; implicit-def: $sgpr44_sgpr45
	s_branch .LBB162_397
.LBB162_395:                            ;   in Loop: Header=BB162_397 Depth=2
	s_or_b64 exec, exec, s[4:5]
	s_waitcnt lgkmcnt(0)
	s_barrier
	ds_read_b128 v[4:7], v19 offset:3072
	s_mov_b64 s[46:47], -1
	s_mov_b64 s[4:5], -1
	s_waitcnt lgkmcnt(0)
	s_barrier
	v_cmp_eq_u64_e32 vcc, 0, v[4:5]
	s_cbranch_vccnz .LBB162_400
.LBB162_396:                            ;   in Loop: Header=BB162_397 Depth=2
	s_and_b64 s[46:47], exec, s[46:47]
	s_or_b64 s[12:13], s[46:47], s[12:13]
	s_andn2_b64 s[44:45], s[44:45], exec
	s_and_b64 s[4:5], s[4:5], exec
	s_or_b64 s[44:45], s[44:45], s[4:5]
	s_andn2_b64 exec, exec, s[12:13]
	s_cbranch_execz .LBB162_401
.LBB162_397:                            ;   Parent Loop BB162_18 Depth=1
                                        ; =>  This Inner Loop Header: Depth=2
	v_cmp_gt_u64_e32 vcc, s[24:25], v[10:11]
	s_and_saveexec_b64 s[4:5], vcc
	s_cbranch_execz .LBB162_395
; %bb.398:                              ;   in Loop: Header=BB162_397 Depth=2
	v_mul_lo_u32 v5, v11, s22
	v_mul_lo_u32 v6, v10, s23
	v_mad_u64_u32 v[3:4], s[46:47], v10, s22, 0
	v_add3_u32 v4, v4, v6, v5
	v_lshlrev_b64 v[3:4], 3, v[3:4]
	v_mov_b32_e32 v5, s66
	v_add_co_u32_e32 v3, vcc, s33, v3
	v_addc_co_u32_e32 v4, vcc, v5, v4, vcc
	global_load_dwordx2 v[4:5], v[3:4], off
	s_waitcnt vmcnt(0)
	v_xor_b32_e32 v3, 0x80000000, v5
	v_and_b32_e32 v7, v3, v25
	v_and_b32_e32 v6, v4, v24
	v_cmp_eq_u64_e32 vcc, v[6:7], v[22:23]
	s_and_b64 exec, exec, vcc
	s_cbranch_execz .LBB162_395
; %bb.399:                              ;   in Loop: Header=BB162_397 Depth=2
	v_mov_b32_e32 v3, v19
	ds_write_b128 v19, v[2:5] offset:3072
	s_branch .LBB162_395
.LBB162_400:                            ;   in Loop: Header=BB162_397 Depth=2
	v_add_co_u32_e32 v10, vcc, s67, v10
	v_addc_co_u32_e32 v11, vcc, 0, v11, vcc
	v_cmp_le_u64_e32 vcc, s[34:35], v[10:11]
	s_mov_b64 s[4:5], 0
	s_orn2_b64 s[46:47], vcc, exec
	s_branch .LBB162_396
.LBB162_401:                            ;   in Loop: Header=BB162_18 Depth=1
	s_or_b64 exec, exec, s[12:13]
	s_andn2_b64 s[4:5], s[8:9], exec
	s_and_b64 s[8:9], s[44:45], exec
	s_or_b64 s[8:9], s[4:5], s[8:9]
.LBB162_402:                            ;   in Loop: Header=BB162_18 Depth=1
	s_or_b64 exec, exec, s[10:11]
	s_mov_b64 s[44:45], 0
	s_mov_b64 s[46:47], -1
.LBB162_403:                            ;   in Loop: Header=BB162_18 Depth=1
	s_orn2_b64 s[4:5], s[8:9], exec
.LBB162_404:                            ;   in Loop: Header=BB162_18 Depth=1
	s_or_b64 exec, exec, s[48:49]
	s_mov_b64 s[8:9], 0
	s_and_saveexec_b64 s[48:49], s[4:5]
	s_cbranch_execz .LBB162_466
; %bb.405:                              ;   in Loop: Header=BB162_18 Depth=1
	v_mov_b32_e32 v10, 1
	s_xor_b64 s[4:5], s[20:21], -1
	v_mov_b32_e32 v42, 1
	v_mov_b32_e32 v11, 0
	s_mov_b64 s[12:13], 0
	s_and_saveexec_b64 s[8:9], s[4:5]
	s_cbranch_execz .LBB162_414
; %bb.406:                              ;   in Loop: Header=BB162_18 Depth=1
	v_cmp_ge_u64_e32 vcc, s[42:43], v[8:9]
	s_and_saveexec_b64 s[4:5], vcc
	s_xor_b64 s[10:11], exec, s[4:5]
	s_cbranch_execz .LBB162_411
; %bb.407:                              ;   in Loop: Header=BB162_18 Depth=1
	s_lshl_b64 s[4:5], 1, s75
	v_and_b32_e32 v3, s63, v23
	v_and_b32_e32 v4, s62, v22
	v_or_b32_e32 v23, s5, v3
	v_or_b32_e32 v22, s4, v4
	ds_read_b64 v[3:4], v19 offset:5120
	v_or_b32_e32 v25, s19, v25
	v_or_b32_e32 v24, s18, v24
	s_waitcnt lgkmcnt(0)
	v_cmp_ne_u64_e32 vcc, 0, v[3:4]
	s_cbranch_vccnz .LBB162_411
; %bb.408:                              ;   in Loop: Header=BB162_18 Depth=1
	s_mov_b64 s[4:5], exec
	v_readlane_b32 s12, v45, 32
	v_readlane_b32 s13, v45, 33
	s_and_b64 s[12:13], s[4:5], s[12:13]
	s_mov_b64 exec, s[12:13]
; %bb.409:                              ;   in Loop: Header=BB162_18 Depth=1
	v_mov_b32_e32 v3, s42
	v_mov_b32_e32 v4, s43
	ds_write_b64 v19, v[3:4] offset:5128
; %bb.410:                              ;   in Loop: Header=BB162_18 Depth=1
	s_or_b64 exec, exec, s[4:5]
	s_waitcnt lgkmcnt(0)
	s_barrier
.LBB162_411:                            ;   in Loop: Header=BB162_18 Depth=1
	s_or_saveexec_b64 s[4:5], s[10:11]
	s_mov_b64 s[10:11], 0
	v_mov_b32_e32 v42, 5
	s_xor_b64 exec, exec, s[4:5]
; %bb.412:                              ;   in Loop: Header=BB162_18 Depth=1
	v_subrev_co_u32_e32 v8, vcc, s42, v8
	v_mov_b32_e32 v3, s43
	v_subb_co_u32_e32 v9, vcc, v9, v3, vcc
	v_mov_b32_e32 v42, 0
	s_mov_b64 s[10:11], exec
; %bb.413:                              ;   in Loop: Header=BB162_18 Depth=1
	s_or_b64 exec, exec, s[4:5]
	v_mov_b32_e32 v11, v9
	s_and_b64 s[12:13], s[10:11], exec
	v_mov_b32_e32 v10, v8
.LBB162_414:                            ;   in Loop: Header=BB162_18 Depth=1
	s_or_b64 exec, exec, s[8:9]
	s_mov_b64 s[4:5], -1
                                        ; implicit-def: $sgpr10_sgpr11
                                        ; implicit-def: $sgpr8_sgpr9
	s_and_saveexec_b64 s[42:43], s[12:13]
	s_cbranch_execz .LBB162_465
; %bb.415:                              ;   in Loop: Header=BB162_18 Depth=1
	s_cmp_eq_u64 s[16:17], 1
	v_cmp_eq_u64_e32 vcc, 1, v[10:11]
	s_cselect_b64 s[4:5], -1, 0
	s_and_b64 s[54:55], s[4:5], vcc
	s_mov_b64 s[4:5], -1
                                        ; implicit-def: $sgpr10_sgpr11
                                        ; implicit-def: $sgpr8_sgpr9
	s_and_saveexec_b64 s[70:71], s[54:55]
	s_cbranch_execz .LBB162_453
; %bb.416:                              ;   in Loop: Header=BB162_18 Depth=1
	ds_read_b64 v[3:4], v19 offset:5120
	s_waitcnt lgkmcnt(0)
	s_barrier
	v_readfirstlane_b32 s78, v3
	v_readfirstlane_b32 s79, v4
	s_mov_b64 s[4:5], exec
	v_readlane_b32 s8, v45, 48
	v_readlane_b32 s9, v45, 49
	s_and_b64 s[8:9], s[4:5], s[8:9]
	s_mov_b64 exec, s[8:9]
; %bb.417:                              ;   in Loop: Header=BB162_18 Depth=1
	v_mov_b32_e32 v18, v19
	ds_write_b64 v37, v[18:19]
; %bb.418:                              ;   in Loop: Header=BB162_18 Depth=1
	s_or_b64 exec, exec, s[4:5]
	v_and_b32_e32 v23, s63, v23
	v_and_b32_e32 v22, s62, v22
	v_or_b32_e32 v25, s19, v25
	v_or_b32_e32 v24, s18, v24
	s_mov_b64 s[8:9], -1
	s_mov_b64 s[10:11], 0
	s_cmp_eq_u64 s[78:79], 0
	s_mov_b64 s[76:77], 0
	s_mov_b64 s[34:35], -1
	s_waitcnt lgkmcnt(0)
	s_barrier
                                        ; implicit-def: $vgpr6_vgpr7
	s_cbranch_scc1 .LBB162_436
; %bb.419:                              ;   in Loop: Header=BB162_18 Depth=1
	v_writelane_b32 v45, s70, 62
	v_writelane_b32 v45, s71, 63
	v_readlane_b32 s4, v45, 52
	s_add_u32 s20, s78, s4
	v_readlane_b32 s4, v45, 54
	s_addc_u32 s35, s79, s4
	s_mov_b32 s34, s65
	v_writelane_b32 v44, s54, 0
	s_cmp_lg_u64 s[34:35], 0
	v_writelane_b32 v44, s55, 1
	s_cbranch_scc0 .LBB162_423
; %bb.420:                              ;   in Loop: Header=BB162_18 Depth=1
	v_cvt_f32_u32_e32 v3, s67
	s_sub_u32 s12, 0, s67
	s_subb_u32 s13, 0, 0
	v_mac_f32_e32 v3, 0, v41
	v_rcp_f32_e32 v3, v3
	v_mul_f32_e32 v3, 0x5f7ffffc, v3
	v_mul_f32_e32 v4, 0x2f800000, v3
	v_trunc_f32_e32 v4, v4
	v_mac_f32_e32 v3, 0xcf800000, v4
	v_cvt_u32_f32_e32 v4, v4
	v_cvt_u32_f32_e32 v3, v3
	v_readfirstlane_b32 s21, v4
	v_readfirstlane_b32 s4, v3
	s_mul_i32 s5, s12, s21
	s_mul_hi_u32 s54, s12, s4
	s_mul_i32 s34, s13, s4
	s_add_i32 s5, s54, s5
	s_mul_i32 s55, s12, s4
	s_add_i32 s5, s5, s34
	s_mul_hi_u32 s54, s4, s55
	s_mul_i32 s64, s4, s5
	s_mul_hi_u32 s34, s4, s5
	s_add_u32 s54, s54, s64
	s_addc_u32 s34, 0, s34
	s_mul_hi_u32 s70, s21, s55
	s_mul_i32 s55, s21, s55
	s_add_u32 s54, s54, s55
	s_mul_hi_u32 s64, s21, s5
	s_addc_u32 s34, s34, s70
	s_addc_u32 s54, s64, 0
	s_mul_i32 s5, s21, s5
	s_add_u32 s5, s34, s5
	s_addc_u32 s34, 0, s54
	s_add_u32 s54, s4, s5
	s_cselect_b64 s[4:5], -1, 0
	s_cmp_lg_u64 s[4:5], 0
	s_addc_u32 s21, s21, s34
	s_mul_i32 s4, s12, s21
	s_mul_hi_u32 s5, s12, s54
	s_add_i32 s4, s5, s4
	s_mul_i32 s13, s13, s54
	s_add_i32 s4, s4, s13
	s_mul_i32 s12, s12, s54
	s_mul_hi_u32 s13, s21, s12
	s_mul_i32 s34, s21, s12
	s_mul_i32 s64, s54, s4
	s_mul_hi_u32 s12, s54, s12
	s_mul_hi_u32 s55, s54, s4
	s_add_u32 s12, s12, s64
	s_addc_u32 s55, 0, s55
	s_add_u32 s12, s12, s34
	s_mul_hi_u32 s5, s21, s4
	s_addc_u32 s12, s55, s13
	s_addc_u32 s5, s5, 0
	s_mul_i32 s4, s21, s4
	s_add_u32 s4, s12, s4
	s_addc_u32 s12, 0, s5
	s_add_u32 s13, s54, s4
	s_cselect_b64 s[4:5], -1, 0
	s_cmp_lg_u64 s[4:5], 0
	s_addc_u32 s4, s21, s12
	s_mul_i32 s12, s20, s4
	s_mul_hi_u32 s21, s20, s13
	s_mul_hi_u32 s5, s20, s4
	s_add_u32 s12, s21, s12
	s_addc_u32 s5, 0, s5
	s_mul_hi_u32 s34, s35, s13
	s_mul_i32 s13, s35, s13
	s_add_u32 s12, s12, s13
	s_mul_hi_u32 s21, s35, s4
	s_addc_u32 s5, s5, s34
	s_addc_u32 s12, s21, 0
	s_mul_i32 s4, s35, s4
	s_add_u32 s4, s5, s4
	s_addc_u32 s5, 0, s12
	s_mul_i32 s5, s67, s5
	s_mul_hi_u32 s12, s67, s4
	s_add_i32 s12, s12, s5
	s_mul_i32 s4, s67, s4
	s_sub_u32 s13, s20, s4
	s_cselect_b64 s[4:5], -1, 0
	s_cmp_lg_u64 s[4:5], 0
	s_subb_u32 s12, s35, s12
	s_sub_u32 s21, s13, s67
	s_cselect_b64 s[4:5], -1, 0
	s_cmp_lg_u64 s[4:5], 0
	s_subb_u32 s34, s12, 0
	;; [unrolled: 4-line block ×3, first 2 shown]
	s_cmp_ge_u32 s21, s67
	s_cselect_b32 s5, -1, 0
	s_cmp_eq_u32 s34, 0
	s_cselect_b32 s5, s5, -1
	s_cmp_lg_u32 s5, 0
	s_cselect_b32 s4, s4, s34
	s_cselect_b32 s21, s54, s21
	s_cmp_ge_u32 s13, s67
	s_cselect_b32 s5, -1, 0
	s_cmp_eq_u32 s12, 0
	s_cselect_b32 s5, s5, -1
	s_cmp_lg_u32 s5, 0
	s_cselect_b32 s5, s4, s12
	s_cselect_b32 s4, s21, s13
	s_mov_b64 s[12:13], 0
	s_branch .LBB162_424
.LBB162_421:                            ;   in Loop: Header=BB162_18 Depth=1
                                        ; implicit-def: $sgpr4_sgpr5
	s_branch .LBB162_376
.LBB162_422:                            ;   in Loop: Header=BB162_18 Depth=1
	v_readlane_b32 s35, v45, 53
                                        ; implicit-def: $sgpr4_sgpr5
	s_branch .LBB162_392
.LBB162_423:                            ;   in Loop: Header=BB162_18 Depth=1
	s_mov_b64 s[12:13], -1
                                        ; implicit-def: $sgpr4_sgpr5
.LBB162_424:                            ;   in Loop: Header=BB162_18 Depth=1
	s_andn2_b64 vcc, exec, s[12:13]
	s_cbranch_vccnz .LBB162_426
; %bb.425:                              ;   in Loop: Header=BB162_18 Depth=1
	v_cvt_f32_u32_e32 v3, s67
	s_sub_i32 s4, 0, s67
	v_rcp_iflag_f32_e32 v3, v3
	v_mul_f32_e32 v3, 0x4f7ffffe, v3
	v_cvt_u32_f32_e32 v3, v3
	v_readfirstlane_b32 s5, v3
	s_mul_i32 s4, s4, s5
	s_mul_hi_u32 s4, s5, s4
	s_add_i32 s5, s5, s4
	s_mul_hi_u32 s4, s20, s5
	s_mul_i32 s4, s4, s67
	s_sub_i32 s4, s20, s4
	s_sub_i32 s5, s4, s67
	s_cmp_ge_u32 s4, s67
	s_cselect_b32 s4, s5, s4
	s_sub_i32 s5, s4, s67
	s_cmp_ge_u32 s4, s67
	s_cselect_b32 s64, s5, s4
	s_mov_b64 s[4:5], s[64:65]
.LBB162_426:                            ;   in Loop: Header=BB162_18 Depth=1
	s_sub_u32 s70, s20, s4
	s_subb_u32 s71, s35, s5
	v_cmp_gt_u64_e32 vcc, s[70:71], v[0:1]
	s_mov_b64 s[34:35], 0
                                        ; implicit-def: $vgpr6_vgpr7
	s_and_saveexec_b64 s[20:21], vcc
	s_cbranch_execz .LBB162_435
; %bb.427:                              ;   in Loop: Header=BB162_18 Depth=1
	v_mov_b32_e32 v9, v1
	s_mov_b64 s[12:13], 0
	v_mov_b32_e32 v12, v36
	v_mov_b32_e32 v8, v0
                                        ; implicit-def: $sgpr76_sgpr77
	s_branch .LBB162_430
.LBB162_428:                            ;   in Loop: Header=BB162_430 Depth=2
	s_or_b64 exec, exec, s[4:5]
	s_waitcnt lgkmcnt(0)
	s_barrier
	ds_read_b128 v[4:7], v19 offset:3072
	s_mov_b64 s[4:5], -1
	s_mov_b64 s[54:55], -1
	s_waitcnt lgkmcnt(0)
	s_barrier
	v_cmp_ne_u64_e32 vcc, 0, v[4:5]
	s_cbranch_vccz .LBB162_433
.LBB162_429:                            ;   in Loop: Header=BB162_430 Depth=2
	s_and_b64 s[4:5], exec, s[4:5]
	s_or_b64 s[12:13], s[4:5], s[12:13]
	s_andn2_b64 s[4:5], s[76:77], exec
	s_and_b64 s[54:55], s[54:55], exec
	s_or_b64 s[76:77], s[4:5], s[54:55]
	s_andn2_b64 exec, exec, s[12:13]
	s_cbranch_execz .LBB162_434
.LBB162_430:                            ;   Parent Loop BB162_18 Depth=1
                                        ; =>  This Inner Loop Header: Depth=2
	v_cmp_gt_u64_e32 vcc, s[78:79], v[8:9]
	s_and_saveexec_b64 s[4:5], vcc
	s_cbranch_execz .LBB162_428
; %bb.431:                              ;   in Loop: Header=BB162_430 Depth=2
	ds_read_b64 v[4:5], v12
	s_waitcnt lgkmcnt(0)
	v_xor_b32_e32 v3, 0x80000000, v5
	v_and_b32_e32 v7, v3, v25
	v_and_b32_e32 v6, v4, v24
	v_cmp_eq_u64_e32 vcc, v[6:7], v[22:23]
	s_and_b64 exec, exec, vcc
	s_cbranch_execz .LBB162_428
; %bb.432:                              ;   in Loop: Header=BB162_430 Depth=2
	v_mov_b32_e32 v3, v19
	ds_write_b128 v19, v[2:5] offset:3072
	s_branch .LBB162_428
.LBB162_433:                            ;   in Loop: Header=BB162_430 Depth=2
	v_add_co_u32_e32 v8, vcc, s67, v8
	v_addc_co_u32_e32 v9, vcc, 0, v9, vcc
	v_cmp_le_u64_e32 vcc, s[70:71], v[8:9]
	v_add_u32_e32 v12, s74, v12
	s_mov_b64 s[54:55], 0
	s_orn2_b64 s[4:5], vcc, exec
	s_branch .LBB162_429
.LBB162_434:                            ;   in Loop: Header=BB162_18 Depth=1
	s_or_b64 exec, exec, s[12:13]
	s_and_b64 s[76:77], s[76:77], exec
.LBB162_435:                            ;   in Loop: Header=BB162_18 Depth=1
	s_or_b64 exec, exec, s[20:21]
	v_readlane_b32 s54, v44, 0
	v_readlane_b32 s70, v45, 62
	;; [unrolled: 1-line block ×4, first 2 shown]
.LBB162_436:                            ;   in Loop: Header=BB162_18 Depth=1
	s_and_b64 vcc, exec, s[34:35]
	s_cbranch_vccz .LBB162_452
; %bb.437:                              ;   in Loop: Header=BB162_18 Depth=1
	s_mov_b32 s72, s65
	s_cmp_lg_u64 s[72:73], 0
	s_cbranch_scc0 .LBB162_439
; %bb.438:                              ;   in Loop: Header=BB162_18 Depth=1
	v_cvt_f32_u32_e32 v3, s67
	s_sub_u32 s8, 0, s67
	s_subb_u32 s9, 0, 0
	v_mac_f32_e32 v3, 0, v41
	v_rcp_f32_e32 v3, v3
	v_mul_f32_e32 v3, 0x5f7ffffc, v3
	v_mul_f32_e32 v4, 0x2f800000, v3
	v_trunc_f32_e32 v4, v4
	v_mac_f32_e32 v3, 0xcf800000, v4
	v_cvt_u32_f32_e32 v4, v4
	v_cvt_u32_f32_e32 v3, v3
	v_readfirstlane_b32 s10, v4
	v_readfirstlane_b32 s4, v3
	s_mul_i32 s5, s8, s10
	s_mul_hi_u32 s12, s8, s4
	s_mul_i32 s11, s9, s4
	s_add_i32 s5, s12, s5
	s_mul_i32 s13, s8, s4
	s_add_i32 s5, s5, s11
	s_mul_hi_u32 s12, s4, s13
	s_mul_i32 s20, s4, s5
	s_mul_hi_u32 s11, s4, s5
	s_add_u32 s12, s12, s20
	s_addc_u32 s11, 0, s11
	s_mul_hi_u32 s21, s10, s13
	s_mul_i32 s13, s10, s13
	s_add_u32 s12, s12, s13
	s_mul_hi_u32 s20, s10, s5
	s_addc_u32 s11, s11, s21
	s_addc_u32 s12, s20, 0
	s_mul_i32 s5, s10, s5
	s_add_u32 s5, s11, s5
	s_addc_u32 s11, 0, s12
	s_add_u32 s12, s4, s5
	s_cselect_b64 s[4:5], -1, 0
	s_cmp_lg_u64 s[4:5], 0
	s_addc_u32 s10, s10, s11
	s_mul_i32 s4, s8, s10
	s_mul_hi_u32 s5, s8, s12
	s_add_i32 s4, s5, s4
	s_mul_i32 s9, s9, s12
	s_add_i32 s4, s4, s9
	s_mul_i32 s8, s8, s12
	s_mul_hi_u32 s9, s10, s8
	s_mul_i32 s11, s10, s8
	s_mul_i32 s20, s12, s4
	s_mul_hi_u32 s8, s12, s8
	s_mul_hi_u32 s13, s12, s4
	s_add_u32 s8, s8, s20
	s_addc_u32 s13, 0, s13
	s_add_u32 s8, s8, s11
	s_mul_hi_u32 s5, s10, s4
	s_addc_u32 s8, s13, s9
	s_addc_u32 s5, s5, 0
	s_mul_i32 s4, s10, s4
	s_add_u32 s4, s8, s4
	s_addc_u32 s8, 0, s5
	s_add_u32 s9, s12, s4
	s_cselect_b64 s[4:5], -1, 0
	s_cmp_lg_u64 s[4:5], 0
	s_addc_u32 s4, s10, s8
	v_readlane_b32 s13, v45, 53
	s_mul_i32 s8, s13, s4
	s_mul_hi_u32 s10, s13, s9
	s_mul_hi_u32 s5, s13, s4
	s_add_u32 s8, s10, s8
	s_addc_u32 s5, 0, s5
	s_mul_hi_u32 s11, s73, s9
	s_mul_i32 s9, s73, s9
	s_add_u32 s8, s8, s9
	s_mul_hi_u32 s10, s73, s4
	s_addc_u32 s5, s5, s11
	s_addc_u32 s8, s10, 0
	s_mul_i32 s4, s73, s4
	s_add_u32 s4, s5, s4
	s_addc_u32 s5, 0, s8
	s_mul_i32 s5, s67, s5
	s_mul_hi_u32 s8, s67, s4
	s_add_i32 s8, s8, s5
	s_mul_i32 s4, s67, s4
	s_sub_u32 s9, s13, s4
	s_cselect_b64 s[4:5], -1, 0
	s_cmp_lg_u64 s[4:5], 0
	s_subb_u32 s8, s73, s8
	s_sub_u32 s10, s9, s67
	s_cselect_b64 s[4:5], -1, 0
	s_cmp_lg_u64 s[4:5], 0
	s_subb_u32 s11, s8, 0
	;; [unrolled: 4-line block ×3, first 2 shown]
	s_cmp_ge_u32 s10, s67
	s_cselect_b32 s5, -1, 0
	s_cmp_eq_u32 s11, 0
	s_cselect_b32 s5, s5, -1
	s_cmp_lg_u32 s5, 0
	s_cselect_b32 s4, s4, s11
	s_cselect_b32 s10, s12, s10
	s_cmp_ge_u32 s9, s67
	s_cselect_b32 s5, -1, 0
	s_cmp_eq_u32 s8, 0
	s_cselect_b32 s5, s5, -1
	s_cmp_lg_u32 s5, 0
	s_cselect_b32 s5, s4, s8
	s_cselect_b32 s4, s10, s9
	s_mov_b64 s[8:9], 0
	s_branch .LBB162_440
.LBB162_439:                            ;   in Loop: Header=BB162_18 Depth=1
	s_mov_b64 s[8:9], -1
	v_readlane_b32 s13, v45, 53
                                        ; implicit-def: $sgpr4_sgpr5
.LBB162_440:                            ;   in Loop: Header=BB162_18 Depth=1
	s_andn2_b64 vcc, exec, s[8:9]
	s_cbranch_vccnz .LBB162_442
; %bb.441:                              ;   in Loop: Header=BB162_18 Depth=1
	v_cvt_f32_u32_e32 v3, s67
	s_sub_i32 s4, 0, s67
	v_rcp_iflag_f32_e32 v3, v3
	v_mul_f32_e32 v3, 0x4f7ffffe, v3
	v_cvt_u32_f32_e32 v3, v3
	v_readfirstlane_b32 s5, v3
	s_mul_i32 s4, s4, s5
	s_mul_hi_u32 s4, s5, s4
	s_add_i32 s5, s5, s4
	s_mul_hi_u32 s4, s13, s5
	s_mul_i32 s4, s4, s67
	s_sub_i32 s4, s13, s4
	s_sub_i32 s5, s4, s67
	s_cmp_ge_u32 s4, s67
	s_cselect_b32 s4, s5, s4
	s_sub_i32 s5, s4, s67
	s_cmp_ge_u32 s4, s67
	s_cselect_b32 s64, s5, s4
	s_mov_b64 s[4:5], s[64:65]
.LBB162_442:                            ;   in Loop: Header=BB162_18 Depth=1
	s_sub_u32 s10, s13, s4
	s_subb_u32 s11, s73, s5
	v_cmp_gt_u64_e32 vcc, s[10:11], v[0:1]
                                        ; implicit-def: $vgpr6_vgpr7
	s_and_saveexec_b64 s[8:9], vcc
	s_cbranch_execz .LBB162_451
; %bb.443:                              ;   in Loop: Header=BB162_18 Depth=1
	v_mov_b32_e32 v9, v1
	s_mov_b64 s[12:13], 0
	v_mov_b32_e32 v8, v0
                                        ; implicit-def: $sgpr20_sgpr21
	s_branch .LBB162_446
.LBB162_444:                            ;   in Loop: Header=BB162_446 Depth=2
	s_or_b64 exec, exec, s[4:5]
	s_waitcnt lgkmcnt(0)
	s_barrier
	ds_read_b128 v[4:7], v19 offset:3072
	s_mov_b64 s[34:35], -1
	s_mov_b64 s[4:5], -1
	s_waitcnt lgkmcnt(0)
	s_barrier
	v_cmp_eq_u64_e32 vcc, 0, v[4:5]
	s_cbranch_vccnz .LBB162_449
.LBB162_445:                            ;   in Loop: Header=BB162_446 Depth=2
	s_and_b64 s[34:35], exec, s[34:35]
	s_or_b64 s[12:13], s[34:35], s[12:13]
	s_andn2_b64 s[20:21], s[20:21], exec
	s_and_b64 s[4:5], s[4:5], exec
	s_or_b64 s[20:21], s[20:21], s[4:5]
	s_andn2_b64 exec, exec, s[12:13]
	s_cbranch_execz .LBB162_450
.LBB162_446:                            ;   Parent Loop BB162_18 Depth=1
                                        ; =>  This Inner Loop Header: Depth=2
	v_cmp_gt_u64_e32 vcc, s[24:25], v[8:9]
	s_and_saveexec_b64 s[4:5], vcc
	s_cbranch_execz .LBB162_444
; %bb.447:                              ;   in Loop: Header=BB162_446 Depth=2
	v_mul_lo_u32 v5, v9, s22
	v_mul_lo_u32 v6, v8, s23
	v_mad_u64_u32 v[3:4], s[34:35], v8, s22, 0
	v_add3_u32 v4, v4, v6, v5
	v_lshlrev_b64 v[3:4], 3, v[3:4]
	v_mov_b32_e32 v5, s66
	v_add_co_u32_e32 v3, vcc, s33, v3
	v_addc_co_u32_e32 v4, vcc, v5, v4, vcc
	global_load_dwordx2 v[4:5], v[3:4], off
	s_waitcnt vmcnt(0)
	v_xor_b32_e32 v3, 0x80000000, v5
	v_and_b32_e32 v7, v3, v25
	v_and_b32_e32 v6, v4, v24
	v_cmp_eq_u64_e32 vcc, v[6:7], v[22:23]
	s_and_b64 exec, exec, vcc
	s_cbranch_execz .LBB162_444
; %bb.448:                              ;   in Loop: Header=BB162_446 Depth=2
	v_mov_b32_e32 v3, v19
	ds_write_b128 v19, v[2:5] offset:3072
	s_branch .LBB162_444
.LBB162_449:                            ;   in Loop: Header=BB162_446 Depth=2
	v_add_co_u32_e32 v8, vcc, s67, v8
	v_addc_co_u32_e32 v9, vcc, 0, v9, vcc
	v_cmp_le_u64_e32 vcc, s[10:11], v[8:9]
	s_mov_b64 s[4:5], 0
	s_orn2_b64 s[34:35], vcc, exec
	s_branch .LBB162_445
.LBB162_450:                            ;   in Loop: Header=BB162_18 Depth=1
	s_or_b64 exec, exec, s[12:13]
	s_andn2_b64 s[4:5], s[76:77], exec
	s_and_b64 s[10:11], s[20:21], exec
	s_or_b64 s[76:77], s[4:5], s[10:11]
.LBB162_451:                            ;   in Loop: Header=BB162_18 Depth=1
	s_or_b64 exec, exec, s[8:9]
	s_mov_b64 s[8:9], 0
	s_mov_b64 s[10:11], -1
.LBB162_452:                            ;   in Loop: Header=BB162_18 Depth=1
	s_orn2_b64 s[4:5], s[76:77], exec
.LBB162_453:                            ;   in Loop: Header=BB162_18 Depth=1
	s_or_b64 exec, exec, s[70:71]
	s_mov_b64 s[12:13], 0
	s_and_saveexec_b64 s[34:35], s[4:5]
	s_cbranch_execz .LBB162_464
; %bb.454:                              ;   in Loop: Header=BB162_18 Depth=1
	v_mov_b32_e32 v3, 1
	s_xor_b64 s[4:5], s[54:55], -1
	v_mov_b32_e32 v4, 0
	v_mov_b32_e32 v42, 1
	s_and_saveexec_b64 s[12:13], s[4:5]
	s_cbranch_execz .LBB162_463
; %bb.455:                              ;   in Loop: Header=BB162_18 Depth=1
	v_cmp_ge_u64_e32 vcc, s[16:17], v[10:11]
	s_and_saveexec_b64 s[4:5], vcc
	s_xor_b64 s[4:5], exec, s[4:5]
	s_cbranch_execz .LBB162_460
; %bb.456:                              ;   in Loop: Header=BB162_18 Depth=1
	ds_read_b64 v[3:4], v19 offset:5120
	v_and_b32_e32 v23, s63, v23
	v_and_b32_e32 v22, s62, v22
	v_or_b32_e32 v25, s19, v25
	v_or_b32_e32 v24, s18, v24
	s_waitcnt lgkmcnt(0)
	v_cmp_ne_u64_e32 vcc, 0, v[3:4]
	s_cbranch_vccnz .LBB162_460
; %bb.457:                              ;   in Loop: Header=BB162_18 Depth=1
	s_mov_b64 s[18:19], exec
	v_readlane_b32 s20, v45, 32
	v_readlane_b32 s21, v45, 33
	s_and_b64 s[20:21], s[18:19], s[20:21]
	s_mov_b64 exec, s[20:21]
; %bb.458:                              ;   in Loop: Header=BB162_18 Depth=1
	v_mov_b32_e32 v3, s16
	v_mov_b32_e32 v4, s17
	ds_write_b64 v19, v[3:4] offset:5128
; %bb.459:                              ;   in Loop: Header=BB162_18 Depth=1
	s_or_b64 exec, exec, s[18:19]
	s_waitcnt lgkmcnt(0)
	s_barrier
.LBB162_460:                            ;   in Loop: Header=BB162_18 Depth=1
	s_andn2_saveexec_b64 s[4:5], s[4:5]
; %bb.461:                              ;   in Loop: Header=BB162_18 Depth=1
	v_mov_b32_e32 v3, s17
	v_subrev_co_u32_e32 v10, vcc, s16, v10
	v_subb_co_u32_e32 v11, vcc, v11, v3, vcc
; %bb.462:                              ;   in Loop: Header=BB162_18 Depth=1
	s_or_b64 exec, exec, s[4:5]
	v_mov_b32_e32 v3, v10
	v_mov_b32_e32 v42, 5
	;; [unrolled: 1-line block ×3, first 2 shown]
.LBB162_463:                            ;   in Loop: Header=BB162_18 Depth=1
	s_or_b64 exec, exec, s[12:13]
	v_mov_b32_e32 v11, v4
	s_mov_b64 s[12:13], exec
	v_mov_b32_e32 v10, v3
.LBB162_464:                            ;   in Loop: Header=BB162_18 Depth=1
	s_or_b64 exec, exec, s[34:35]
	s_orn2_b64 s[4:5], s[12:13], exec
.LBB162_465:                            ;   in Loop: Header=BB162_18 Depth=1
	s_or_b64 exec, exec, s[42:43]
	s_andn2_b64 s[12:13], s[46:47], exec
	s_and_b64 s[10:11], s[10:11], exec
	s_or_b64 s[46:47], s[12:13], s[10:11]
	s_andn2_b64 s[10:11], s[44:45], exec
	s_and_b64 s[8:9], s[8:9], exec
	v_mov_b32_e32 v8, v10
	s_or_b64 s[44:45], s[10:11], s[8:9]
	s_and_b64 s[8:9], s[4:5], exec
	v_mov_b32_e32 v9, v11
.LBB162_466:                            ;   in Loop: Header=BB162_18 Depth=1
	s_or_b64 exec, exec, s[48:49]
	s_orn2_b64 s[4:5], s[8:9], exec
.LBB162_467:                            ;   in Loop: Header=BB162_18 Depth=1
	s_or_b64 exec, exec, s[38:39]
	s_andn2_b64 s[8:9], s[30:31], exec
	s_and_b64 s[10:11], s[46:47], exec
	s_or_b64 s[30:31], s[8:9], s[10:11]
	s_andn2_b64 s[8:9], s[28:29], exec
	s_and_b64 s[10:11], s[44:45], exec
	v_mov_b32_e32 v29, v9
	s_or_b64 s[28:29], s[8:9], s[10:11]
	s_and_b64 s[8:9], s[4:5], exec
	v_mov_b32_e32 v28, v8
.LBB162_468:                            ;   in Loop: Header=BB162_18 Depth=1
	s_or_b64 exec, exec, s[36:37]
	s_orn2_b64 s[4:5], s[8:9], exec
.LBB162_469:                            ;   in Loop: Header=BB162_18 Depth=1
	s_or_b64 exec, exec, s[6:7]
	s_mov_b64 s[6:7], s[52:53]
	s_mov_b64 s[8:9], s[50:51]
	s_and_saveexec_b64 s[10:11], s[4:5]
; %bb.470:                              ;   in Loop: Header=BB162_18 Depth=1
	v_cmp_ne_u32_e64 s[6:7], 5, v42
	v_cmp_eq_u32_e32 vcc, 5, v42
	s_andn2_b64 s[4:5], s[50:51], exec
	s_and_b64 s[6:7], s[6:7], exec
	s_or_b64 s[8:9], s[4:5], s[6:7]
	s_andn2_b64 s[4:5], s[52:53], exec
	s_and_b64 s[6:7], vcc, exec
	s_or_b64 s[6:7], s[4:5], s[6:7]
; %bb.471:                              ;   in Loop: Header=BB162_18 Depth=1
	s_or_b64 exec, exec, s[10:11]
	s_andn2_b64 s[4:5], s[14:15], exec
	s_and_b64 s[10:11], s[30:31], exec
	s_or_b64 s[14:15], s[4:5], s[10:11]
	s_andn2_b64 s[4:5], s[40:41], exec
	s_and_b64 s[10:11], s[28:29], exec
	s_or_b64 s[40:41], s[4:5], s[10:11]
	;; [unrolled: 3-line block ×4, first 2 shown]
.LBB162_472:                            ;   in Loop: Header=BB162_18 Depth=1
	s_or_b64 exec, exec, s[2:3]
	s_mov_b64 s[2:3], 0
	s_mov_b64 s[28:29], 0
	s_and_saveexec_b64 s[4:5], s[52:53]
.LBB162_473:                            ;   in Loop: Header=BB162_18 Depth=1
	v_mov_b32_e32 v42, 0
	s_or_b64 s[50:51], s[50:51], exec
.LBB162_474:                            ;   in Loop: Header=BB162_18 Depth=1
	s_or_b64 exec, exec, s[4:5]
	s_andn2_b64 s[6:7], s[60:61], exec
	s_and_b64 s[8:9], s[14:15], exec
	s_or_b64 s[60:61], s[6:7], s[8:9]
	s_andn2_b64 s[6:7], s[58:59], exec
	s_and_b64 s[8:9], s[40:41], exec
	s_or_b64 s[58:59], s[6:7], s[8:9]
	;; [unrolled: 3-line block ×3, first 2 shown]
	s_andn2_b64 s[6:7], s[92:93], exec
	s_and_b64 s[2:3], s[2:3], exec
	v_mov_b32_e32 v26, v28
	s_mov_b64 s[4:5], -1
	s_andn2_b64 s[56:57], s[56:57], exec
	s_or_b64 s[92:93], s[6:7], s[2:3]
	v_mov_b32_e32 v27, v29
	s_and_saveexec_b64 s[2:3], s[50:51]
	s_xor_b64 s[2:3], exec, s[2:3]
	s_cbranch_execz .LBB162_17
; %bb.475:                              ;   in Loop: Header=BB162_18 Depth=1
	v_cmp_eq_u32_e32 vcc, 0, v42
	s_mov_b64 s[6:7], -1
	s_and_saveexec_b64 s[8:9], vcc
	s_cbranch_execz .LBB162_16
; %bb.476:                              ;   in Loop: Header=BB162_18 Depth=1
	s_xor_b32 s68, s68, 1
	s_add_i32 s10, s75, -2
	s_cmp_eq_u32 s75, 0
	s_cselect_b64 s[4:5], -1, 0
	s_xor_b64 s[6:7], exec, -1
	s_orn2_b64 s[4:5], s[4:5], exec
	s_mov_b32 s75, s10
	s_branch .LBB162_16
.LBB162_477:
	s_or_b64 exec, exec, s[80:81]
	s_xor_b64 s[4:5], s[90:91], -1
	s_xor_b64 s[8:9], s[88:89], -1
	;; [unrolled: 1-line block ×5, first 2 shown]
	s_mov_b64 s[6:7], 0
	s_and_saveexec_b64 s[14:15], s[10:11]
	s_xor_b64 s[10:11], exec, s[14:15]
	s_cbranch_execnz .LBB162_482
; %bb.478:
	s_andn2_saveexec_b64 s[0:1], s[10:11]
	s_cbranch_execnz .LBB162_501
.LBB162_479:
	s_or_b64 exec, exec, s[0:1]
	s_and_saveexec_b64 s[0:1], s[6:7]
.LBB162_480:
	; divergent unreachable
.LBB162_481:
	s_endpgm
.LBB162_482:
	s_and_saveexec_b64 s[14:15], s[12:13]
	s_xor_b64 s[12:13], exec, s[14:15]
	s_cbranch_execz .LBB162_499
; %bb.483:
	s_and_saveexec_b64 s[14:15], s[8:9]
	s_xor_b64 s[14:15], exec, s[14:15]
	s_cbranch_execz .LBB162_497
; %bb.484:
	;; [unrolled: 4-line block ×3, first 2 shown]
	s_and_saveexec_b64 s[4:5], s[2:3]
	s_xor_b64 s[2:3], exec, s[4:5]
; %bb.486:
	v_xor_b32_e32 v23, 0x80000000, v23
	v_mov_b32_e32 v6, v22
	v_mov_b32_e32 v7, v23
; %bb.487:
	s_or_b64 exec, exec, s[2:3]
	s_mov_b64 s[2:3], exec
	v_readlane_b32 s4, v45, 32
	v_readlane_b32 s5, v45, 33
	;; [unrolled: 1-line block ×4, first 2 shown]
	s_and_b64 s[4:5], s[2:3], s[4:5]
	v_readlane_b32 s31, v45, 37
	v_readlane_b32 s20, v45, 34
	;; [unrolled: 1-line block ×4, first 2 shown]
	s_mov_b64 exec, s[4:5]
; %bb.488:
	v_mov_b32_e32 v2, 0
	v_mov_b32_e32 v3, v2
	ds_write_b64 v2, v[2:3] offset:5136
; %bb.489:
	s_or_b64 exec, exec, s[2:3]
	v_mov_b32_e32 v2, 0
	v_mov_b32_e32 v3, 0
	s_waitcnt lgkmcnt(0)
	s_barrier
	s_mov_b64 s[2:3], exec
	v_readlane_b32 s4, v45, 46
	v_readlane_b32 s5, v45, 47
	;; [unrolled: 1-line block ×3, first 2 shown]
	s_and_b64 s[4:5], s[2:3], s[4:5]
	v_readlane_b32 s7, v45, 23
	s_mov_b64 exec, s[4:5]
	s_cbranch_execz .LBB162_491
; %bb.490:
	global_load_dwordx2 v[2:3], v[16:17], off
.LBB162_491:
	s_or_b64 exec, exec, s[2:3]
	v_readlane_b32 s40, v45, 24
	s_add_u32 s2, s24, 63
	v_readlane_b32 s42, v45, 26
	v_readlane_b32 s43, v45, 27
	s_addc_u32 s9, s25, 0
	s_and_b32 s8, s2, 0xffffffc0
	s_mul_i32 s2, s6, s43
	s_mul_hi_u32 s3, s6, s42
	s_add_i32 s3, s3, s2
	s_mul_i32 s2, s6, s42
	v_readlane_b32 s18, v45, 10
	s_sub_u32 s2, s20, s2
	v_readlane_b32 s19, v45, 11
	s_subb_u32 s3, 0, s3
	s_mul_i32 s4, s2, s19
	s_mul_hi_u32 s5, s2, s18
	s_add_i32 s4, s5, s4
	s_mul_i32 s3, s3, s18
	s_add_i32 s3, s4, s3
	v_readlane_b32 s36, v45, 2
	v_readlane_b32 s4, v45, 0
	s_mul_i32 s2, s2, s18
	v_readlane_b32 s37, v45, 3
	v_readlane_b32 s5, v45, 1
	s_mov_b32 s18, s4
	s_mul_i32 s4, s4, s37
	s_mul_hi_u32 s5, s18, s36
	s_add_i32 s5, s5, s4
	s_mul_i32 s4, s18, s36
	v_readlane_b32 s28, v45, 8
	v_readlane_b32 s44, v45, 18
	;; [unrolled: 1-line block ×3, first 2 shown]
	s_sub_u32 s4, s28, s4
	v_readlane_b32 s46, v45, 20
	v_readlane_b32 s47, v45, 21
	s_subb_u32 s5, s29, s5
	s_mov_b64 s[36:37], s[6:7]
	s_mul_i32 s6, s4, s47
	s_mul_hi_u32 s7, s4, s46
	v_readlane_b32 s45, v45, 19
	s_add_i32 s6, s7, s6
	s_mul_i32 s5, s5, s46
	v_readlane_b32 s38, v45, 4
	v_readlane_b32 s39, v45, 5
	s_add_i32 s5, s6, s5
	s_mul_i32 s6, s18, s45
	s_mul_hi_u32 s7, s18, s44
	s_add_i32 s7, s7, s6
	s_mul_i32 s6, s18, s44
	s_mul_i32 s18, s28, s39
	s_mul_hi_u32 s19, s28, s38
	s_add_i32 s19, s19, s18
	s_mul_i32 s18, s28, s38
	v_readlane_b32 s28, v45, 16
	s_sub_u32 s18, s20, s18
	v_readlane_b32 s29, v45, 17
	s_subb_u32 s19, 0, s19
	s_mul_i32 s20, s18, s29
	s_mul_hi_u32 s21, s18, s28
	s_add_i32 s20, s21, s20
	s_mul_i32 s19, s19, s28
	s_add_i32 s19, s20, s19
	v_readlane_b32 s20, v45, 6
	v_readlane_b32 s41, v45, 25
	;; [unrolled: 1-line block ×3, first 2 shown]
	s_mov_b32 s34, s20
	s_mul_i32 s20, s20, s41
	s_mul_hi_u32 s21, s34, s40
	s_add_i32 s21, s21, s20
	s_mul_i32 s20, s34, s40
	s_sub_u32 s20, s36, s20
	s_subb_u32 s21, s37, s21
	v_readlane_b32 s36, v45, 12
	v_readlane_b32 s38, v45, 14
	;; [unrolled: 1-line block ×3, first 2 shown]
	s_mul_i32 s18, s18, s28
	s_mul_i32 s28, s20, s39
	s_mul_hi_u32 s29, s20, s38
	v_readlane_b32 s37, v45, 13
	s_add_i32 s28, s29, s28
	s_mul_i32 s21, s21, s38
	s_add_i32 s21, s28, s21
	s_mul_i32 s28, s34, s37
	s_mul_hi_u32 s29, s34, s36
	s_add_i32 s29, s29, s28
	s_mul_i32 s28, s34, s36
	s_lshl_b64 s[6:7], s[6:7], 3
	v_readlane_b32 s34, v45, 30
	s_mul_i32 s4, s4, s46
	v_readlane_b32 s35, v45, 31
	s_add_u32 s6, s34, s6
	s_addc_u32 s7, s35, s7
	s_lshl_b64 s[4:5], s[4:5], 3
	s_add_u32 s6, s6, s4
	s_addc_u32 s7, s7, s5
	s_lshl_b64 s[4:5], s[18:19], 3
	;; [unrolled: 3-line block ×3, first 2 shown]
	v_readlane_b32 s6, v45, 28
	s_mul_i32 s20, s20, s38
	v_readlane_b32 s7, v45, 29
	s_add_u32 s6, s6, s4
	s_addc_u32 s7, s7, s5
	s_lshl_b64 s[4:5], s[20:21], 3
	s_load_dwordx2 s[18:19], s[30:31], 0x368
	s_load_dwordx2 s[20:21], s[30:31], 0x510
	s_add_u32 s4, s6, s4
	s_addc_u32 s5, s7, s5
	s_lshl_b64 s[2:3], s[2:3], 3
	s_add_u32 s46, s4, s2
	v_cmp_gt_u64_e32 vcc, s[8:9], v[0:1]
	s_addc_u32 s47, s5, s3
	s_mov_b64 s[30:31], -1
	s_mov_b64 s[2:3], 0
	s_mov_b64 s[4:5], 0
	s_and_saveexec_b64 s[28:29], vcc
	s_cbranch_execnz .LBB162_502
; %bb.492:
	s_or_b64 exec, exec, s[28:29]
	s_and_saveexec_b64 s[6:7], s[30:31]
	s_cbranch_execnz .LBB162_517
.LBB162_493:
	s_or_b64 exec, exec, s[6:7]
	s_and_saveexec_b64 s[0:1], s[4:5]
	s_xor_b64 s[0:1], exec, s[0:1]
	s_cbranch_execnz .LBB162_540
.LBB162_494:
	s_or_b64 exec, exec, s[0:1]
	s_and_b64 s[6:7], s[2:3], exec
.LBB162_495:
	s_andn2_saveexec_b64 s[0:1], s[16:17]
	s_cbranch_execnz .LBB162_542
.LBB162_496:
	s_or_b64 exec, exec, s[0:1]
	s_and_b64 s[6:7], s[6:7], exec
.LBB162_497:
	s_andn2_saveexec_b64 s[0:1], s[14:15]
	s_cbranch_execnz .LBB162_541
.LBB162_498:
	s_or_b64 exec, exec, s[0:1]
	s_and_b64 s[6:7], s[6:7], exec
.LBB162_499:
	s_andn2_saveexec_b64 s[0:1], s[12:13]
	s_cbranch_execnz .LBB162_536
.LBB162_500:
	s_or_b64 exec, exec, s[0:1]
	s_and_b64 s[6:7], s[6:7], exec
	s_andn2_saveexec_b64 s[0:1], s[10:11]
	s_cbranch_execz .LBB162_479
.LBB162_501:
	s_or_b64 s[6:7], s[6:7], exec
	s_trap 2
	s_or_b64 exec, exec, s[0:1]
	s_and_saveexec_b64 s[0:1], s[6:7]
	s_cbranch_execnz .LBB162_480
	s_branch .LBB162_481
.LBB162_502:
	v_mov_b32_e32 v19, v1
	v_xor_b32_e32 v5, 0x80000000, v7
	v_mov_b32_e32 v4, v6
	s_mov_b64 s[30:31], 0
	v_mov_b32_e32 v9, 0
	v_mov_b32_e32 v18, v0
                                        ; implicit-def: $sgpr34_sgpr35
                                        ; implicit-def: $vgpr12_vgpr13
	s_branch .LBB162_504
.LBB162_503:                            ;   in Loop: Header=BB162_504 Depth=1
	s_or_b64 exec, exec, s[38:39]
	s_xor_b64 s[4:5], s[36:37], -1
	s_and_b64 s[6:7], exec, s[6:7]
	s_or_b64 s[30:31], s[6:7], s[30:31]
	s_andn2_b64 s[6:7], s[34:35], exec
	s_and_b64 s[4:5], s[4:5], exec
	v_mov_b32_e32 v2, v14
	v_mov_b32_e32 v19, v11
	s_or_b64 s[34:35], s[6:7], s[4:5]
	v_mov_b32_e32 v3, v15
	v_mov_b32_e32 v18, v10
	s_andn2_b64 exec, exec, s[30:31]
	s_cbranch_execz .LBB162_516
.LBB162_504:                            ; =>This Inner Loop Header: Depth=1
	v_add_co_u32_e64 v10, s[4:5], s67, v18
	v_addc_co_u32_e64 v11, s[4:5], 0, v19, s[4:5]
	v_cmp_gt_u64_e64 s[4:5], s[24:25], v[10:11]
	v_mov_b32_e32 v14, 0
	v_mov_b32_e32 v15, 0
	s_and_saveexec_b64 s[6:7], s[4:5]
	s_cbranch_execz .LBB162_506
; %bb.505:                              ;   in Loop: Header=BB162_504 Depth=1
	v_mul_lo_u32 v8, v11, s22
	v_mul_lo_u32 v20, v10, s23
	v_mad_u64_u32 v[14:15], s[4:5], v10, s22, 0
	v_add3_u32 v15, v15, v20, v8
	v_lshlrev_b64 v[14:15], 3, v[14:15]
	v_mov_b32_e32 v8, s66
	v_add_co_u32_e64 v14, s[4:5], s33, v14
	v_addc_co_u32_e64 v15, s[4:5], v8, v15, s[4:5]
	global_load_dwordx2 v[14:15], v[14:15], off
.LBB162_506:                            ;   in Loop: Header=BB162_504 Depth=1
	s_or_b64 exec, exec, s[6:7]
	s_waitcnt vmcnt(0)
	v_xor_b32_e32 v21, 0x80000000, v3
	v_mov_b32_e32 v20, v2
	v_cmp_gt_u64_e64 s[6:7], v[20:21], v[4:5]
	v_cmp_gt_u64_e64 s[4:5], s[24:25], v[18:19]
	v_cndmask_b32_e64 v8, 0, 1, s[6:7]
	v_cmp_lt_u64_e64 s[6:7], v[20:21], v[4:5]
	v_cndmask_b32_e64 v20, 0, 1, s[6:7]
	v_cndmask_b32_e64 v8, v20, v8, s[50:51]
	v_and_b32_e32 v8, 1, v8
	v_cmp_eq_u32_e64 s[6:7], 1, v8
	s_and_b64 s[38:39], s[4:5], s[6:7]
	v_cndmask_b32_e64 v8, 0, 1, s[38:39]
	v_cmp_ne_u32_e64 s[4:5], 0, v8
	s_cmp_lg_u64 s[4:5], 0
	s_cselect_b64 s[6:7], -1, 0
	s_and_b64 s[6:7], s[0:1], s[6:7]
	s_and_saveexec_b64 s[36:37], s[6:7]
	s_cbranch_execz .LBB162_510
; %bb.507:                              ;   in Loop: Header=BB162_504 Depth=1
	s_mov_b64 s[42:43], exec
	v_mbcnt_lo_u32_b32 v8, s42, 0
	v_mbcnt_hi_u32_b32 v20, s43, v8
	s_bcnt1_i32_b64 s48, s[4:5]
	v_cmp_eq_u32_e64 s[6:7], 0, v20
                                        ; implicit-def: $vgpr12_vgpr13
	s_and_saveexec_b64 s[40:41], s[6:7]
	s_cbranch_execz .LBB162_509
; %bb.508:                              ;   in Loop: Header=BB162_504 Depth=1
	s_bcnt1_i32_b64 s6, s[42:43]
	s_mul_i32 s6, s48, s6
	v_mov_b32_e32 v8, s6
	s_waitcnt lgkmcnt(0)
	ds_add_rtn_u64 v[12:13], v9, v[8:9] offset:5136
.LBB162_509:                            ;   in Loop: Header=BB162_504 Depth=1
	s_or_b64 exec, exec, s[40:41]
	s_waitcnt lgkmcnt(0)
	v_readfirstlane_b32 s6, v13
	v_readfirstlane_b32 s7, v12
	v_mov_b32_e32 v12, s7
	v_mov_b32_e32 v13, s6
	v_mad_u64_u32 v[12:13], s[6:7], s48, v20, v[12:13]
.LBB162_510:                            ;   in Loop: Header=BB162_504 Depth=1
	s_or_b64 exec, exec, s[36:37]
	s_waitcnt lgkmcnt(0)
	ds_bpermute_b32 v12, v32, v12
	ds_bpermute_b32 v13, v32, v13
	s_mov_b64 s[6:7], -1
	s_mov_b64 s[40:41], -1
	s_and_saveexec_b64 s[36:37], s[38:39]
	s_cbranch_execz .LBB162_514
; %bb.511:                              ;   in Loop: Header=BB162_504 Depth=1
	v_and_b32_e32 v20, s4, v34
	v_and_b32_e32 v8, s5, v33
	v_bcnt_u32_b32 v20, v20, 0
	v_bcnt_u32_b32 v8, v8, v20
	s_waitcnt lgkmcnt(0)
	v_add_co_u32_e64 v20, s[4:5], v12, v8
	v_addc_co_u32_e64 v21, s[4:5], 0, v13, s[4:5]
	v_cmp_gt_u64_e64 s[4:5], s[26:27], v[20:21]
	s_mov_b64 s[38:39], 0
	s_and_saveexec_b64 s[40:41], s[4:5]
; %bb.512:                              ;   in Loop: Header=BB162_504 Depth=1
	v_mul_lo_u32 v8, v21, s18
	v_mul_lo_u32 v24, v20, s19
	v_mad_u64_u32 v[22:23], s[4:5], v20, s18, 0
	v_mul_lo_u32 v25, v21, s20
	v_mul_lo_u32 v26, v20, s21
	v_mad_u64_u32 v[20:21], s[4:5], v20, s20, 0
	v_add3_u32 v23, v23, v24, v8
	v_lshlrev_b64 v[22:23], 3, v[22:23]
	v_mov_b32_e32 v8, s45
	v_add_co_u32_e64 v22, s[4:5], s44, v22
	v_add3_u32 v21, v21, v26, v25
	v_addc_co_u32_e64 v23, s[4:5], v8, v23, s[4:5]
	global_store_dwordx2 v[22:23], v[2:3], off
	v_lshlrev_b64 v[2:3], 3, v[20:21]
	v_mov_b32_e32 v8, s47
	v_add_co_u32_e64 v2, s[4:5], s46, v2
	s_mov_b64 s[38:39], exec
	v_addc_co_u32_e64 v3, s[4:5], v8, v3, s[4:5]
	global_store_dwordx2 v[2:3], v[18:19], off
; %bb.513:                              ;   in Loop: Header=BB162_504 Depth=1
	s_or_b64 exec, exec, s[40:41]
	s_orn2_b64 s[40:41], s[38:39], exec
.LBB162_514:                            ;   in Loop: Header=BB162_504 Depth=1
	s_or_b64 exec, exec, s[36:37]
	s_mov_b64 s[36:37], -1
	s_and_saveexec_b64 s[38:39], s[40:41]
	s_cbranch_execz .LBB162_503
; %bb.515:                              ;   in Loop: Header=BB162_504 Depth=1
	v_cmp_le_u64_e64 s[4:5], s[8:9], v[10:11]
	s_xor_b64 s[36:37], exec, -1
	s_orn2_b64 s[6:7], s[4:5], exec
	s_branch .LBB162_503
.LBB162_516:
	s_or_b64 exec, exec, s[30:31]
	s_mov_b64 s[4:5], exec
	s_orn2_b64 s[30:31], s[34:35], exec
	s_or_b64 exec, exec, s[28:29]
	s_and_saveexec_b64 s[6:7], s[30:31]
	s_cbranch_execz .LBB162_493
.LBB162_517:
	s_waitcnt lgkmcnt(0)
	v_mov_b32_e32 v12, 0
	v_mov_b32_e32 v13, 0
	s_waitcnt vmcnt(0)
	s_barrier
	s_mov_b64 s[2:3], exec
	v_readlane_b32 s28, v45, 46
	v_readlane_b32 s29, v45, 47
	s_and_b64 s[28:29], s[2:3], s[28:29]
	s_mov_b64 exec, s[28:29]
	s_cbranch_execz .LBB162_519
; %bb.518:
	global_load_dwordx2 v[12:13], v[16:17], off
.LBB162_519:
	s_or_b64 exec, exec, s[2:3]
	s_mov_b64 s[2:3], 0
	s_and_saveexec_b64 s[28:29], vcc
	s_cbranch_execz .LBB162_539
; %bb.520:
	s_mov_b64 s[30:31], 0
	v_mov_b32_e32 v3, 0
                                        ; implicit-def: $sgpr34_sgpr35
                                        ; implicit-def: $vgpr8_vgpr9
	s_branch .LBB162_523
.LBB162_521:                            ;   in Loop: Header=BB162_523 Depth=1
	s_or_b64 exec, exec, s[38:39]
	s_orn2_b64 s[40:41], s[42:43], exec
	s_orn2_b64 s[38:39], s[36:37], exec
.LBB162_522:                            ;   in Loop: Header=BB162_523 Depth=1
	s_or_b64 exec, exec, s[2:3]
	s_xor_b64 s[2:3], s[40:41], -1
	s_and_b64 s[36:37], exec, s[38:39]
	s_or_b64 s[30:31], s[36:37], s[30:31]
	s_andn2_b64 s[34:35], s[34:35], exec
	s_and_b64 s[2:3], s[2:3], exec
	v_mov_b32_e32 v0, v4
	v_mov_b32_e32 v13, v11
	s_or_b64 s[34:35], s[34:35], s[2:3]
	v_mov_b32_e32 v1, v5
	v_mov_b32_e32 v12, v10
	s_andn2_b64 exec, exec, s[30:31]
	s_cbranch_execz .LBB162_537
.LBB162_523:                            ; =>This Inner Loop Header: Depth=1
	v_add_co_u32_e32 v4, vcc, s67, v0
	v_addc_co_u32_e32 v5, vcc, 0, v1, vcc
	v_cmp_gt_u64_e32 vcc, s[24:25], v[4:5]
	v_mov_b32_e32 v10, 0
	v_mov_b32_e32 v11, 0
	s_and_saveexec_b64 s[2:3], vcc
	s_cbranch_execz .LBB162_525
; %bb.524:                              ;   in Loop: Header=BB162_523 Depth=1
	v_mul_lo_u32 v2, v5, s22
	v_mul_lo_u32 v14, v4, s23
	v_mad_u64_u32 v[10:11], s[36:37], v4, s22, 0
	v_add3_u32 v11, v11, v14, v2
	v_lshlrev_b64 v[10:11], 3, v[10:11]
	v_mov_b32_e32 v2, s66
	v_add_co_u32_e32 v10, vcc, s33, v10
	v_addc_co_u32_e32 v11, vcc, v2, v11, vcc
	global_load_dwordx2 v[10:11], v[10:11], off
.LBB162_525:                            ;   in Loop: Header=BB162_523 Depth=1
	s_or_b64 exec, exec, s[2:3]
	v_cmp_gt_u64_e32 vcc, s[24:25], v[0:1]
	s_waitcnt vmcnt(0)
	v_cmp_eq_u64_e64 s[2:3], v[12:13], v[6:7]
	s_and_b64 s[36:37], vcc, s[2:3]
	v_cndmask_b32_e64 v2, 0, 1, s[36:37]
	v_cmp_ne_u32_e32 vcc, 0, v2
	s_cmp_lg_u64 vcc, 0
	s_cselect_b64 s[2:3], -1, 0
	s_and_b64 s[2:3], s[0:1], s[2:3]
	s_and_saveexec_b64 s[38:39], s[2:3]
	s_cbranch_execz .LBB162_529
; %bb.526:                              ;   in Loop: Header=BB162_523 Depth=1
	s_mov_b64 s[42:43], exec
	v_mbcnt_lo_u32_b32 v2, s42, 0
	v_mbcnt_hi_u32_b32 v12, s43, v2
	s_bcnt1_i32_b64 s48, vcc
	v_cmp_eq_u32_e64 s[2:3], 0, v12
                                        ; implicit-def: $vgpr8_vgpr9
	s_and_saveexec_b64 s[40:41], s[2:3]
; %bb.527:                              ;   in Loop: Header=BB162_523 Depth=1
	s_bcnt1_i32_b64 s2, s[42:43]
	s_mul_i32 s2, s48, s2
	v_mov_b32_e32 v2, s2
	ds_add_rtn_u64 v[8:9], v3, v[2:3] offset:5136
; %bb.528:                              ;   in Loop: Header=BB162_523 Depth=1
	s_or_b64 exec, exec, s[40:41]
	s_waitcnt lgkmcnt(0)
	v_readfirstlane_b32 s2, v9
	v_readfirstlane_b32 s3, v8
	v_mov_b32_e32 v8, s3
	v_mov_b32_e32 v9, s2
	v_mad_u64_u32 v[8:9], s[2:3], s48, v12, v[8:9]
.LBB162_529:                            ;   in Loop: Header=BB162_523 Depth=1
	s_or_b64 exec, exec, s[38:39]
	ds_bpermute_b32 v8, v32, v8
	ds_bpermute_b32 v9, v32, v9
	s_cmp_eq_u64 vcc, 0
	s_cselect_b64 s[40:41], -1, 0
	s_mov_b64 s[38:39], -1
	s_waitcnt lgkmcnt(0)
	v_cmp_gt_u64_e64 s[2:3], s[26:27], v[8:9]
	s_or_b64 s[42:43], s[40:41], s[2:3]
	s_mov_b64 s[40:41], -1
	s_and_saveexec_b64 s[2:3], s[42:43]
	s_cbranch_execz .LBB162_522
; %bb.530:                              ;   in Loop: Header=BB162_523 Depth=1
	v_and_b32_e32 v12, vcc_lo, v34
	v_and_b32_e32 v2, vcc_hi, v33
	v_bcnt_u32_b32 v12, v12, 0
	v_bcnt_u32_b32 v2, v2, v12
	v_mov_b32_e32 v13, s27
	v_sub_co_u32_e32 v12, vcc, s26, v8
	v_subb_co_u32_e32 v13, vcc, v13, v9, vcc
	v_cmp_gt_u64_e32 vcc, v[12:13], v[2:3]
	s_mov_b64 s[42:43], -1
	s_and_b64 s[48:49], s[36:37], vcc
	s_mov_b64 s[36:37], -1
	s_and_saveexec_b64 s[38:39], s[48:49]
	s_cbranch_execz .LBB162_534
; %bb.531:                              ;   in Loop: Header=BB162_523 Depth=1
	v_add_co_u32_e32 v12, vcc, v8, v2
	v_addc_co_u32_e32 v13, vcc, 0, v9, vcc
	v_cmp_gt_u64_e32 vcc, s[26:27], v[12:13]
	s_mov_b64 s[40:41], 0
	s_and_saveexec_b64 s[42:43], vcc
; %bb.532:                              ;   in Loop: Header=BB162_523 Depth=1
	v_mul_lo_u32 v2, v13, s18
	v_mul_lo_u32 v16, v12, s19
	v_mad_u64_u32 v[14:15], s[48:49], v12, s18, 0
	v_mul_lo_u32 v17, v13, s20
	v_mul_lo_u32 v18, v12, s21
	v_mad_u64_u32 v[12:13], s[48:49], v12, s20, 0
	v_add3_u32 v15, v15, v16, v2
	v_lshlrev_b64 v[14:15], 3, v[14:15]
	v_add3_u32 v13, v13, v18, v17
	v_mov_b32_e32 v2, s45
	v_add_co_u32_e32 v14, vcc, s44, v14
	v_lshlrev_b64 v[12:13], 3, v[12:13]
	v_addc_co_u32_e32 v15, vcc, v2, v15, vcc
	v_mov_b32_e32 v2, s47
	v_add_co_u32_e32 v12, vcc, s46, v12
	s_mov_b64 s[40:41], exec
	v_addc_co_u32_e32 v13, vcc, v2, v13, vcc
	global_store_dwordx2 v[14:15], v[6:7], off
	global_store_dwordx2 v[12:13], v[0:1], off
; %bb.533:                              ;   in Loop: Header=BB162_523 Depth=1
	s_or_b64 exec, exec, s[42:43]
	s_xor_b64 s[42:43], exec, -1
	s_orn2_b64 s[40:41], s[40:41], exec
.LBB162_534:                            ;   in Loop: Header=BB162_523 Depth=1
	s_or_b64 exec, exec, s[38:39]
	s_and_saveexec_b64 s[38:39], s[40:41]
	s_cbranch_execz .LBB162_521
; %bb.535:                              ;   in Loop: Header=BB162_523 Depth=1
	v_cmp_le_u64_e32 vcc, s[8:9], v[4:5]
	s_or_b64 s[42:43], s[42:43], exec
	s_orn2_b64 s[36:37], vcc, exec
	s_branch .LBB162_521
.LBB162_536:
	s_or_b64 s[6:7], s[6:7], exec
	s_trap 2
	s_branch .LBB162_500
.LBB162_537:
	s_or_b64 exec, exec, s[30:31]
	s_mov_b64 s[0:1], 0
	s_and_saveexec_b64 s[2:3], s[34:35]
	s_xor_b64 s[2:3], exec, s[2:3]
	s_cbranch_execnz .LBB162_543
.LBB162_538:
	s_or_b64 exec, exec, s[2:3]
	s_and_b64 s[2:3], s[0:1], exec
.LBB162_539:
	s_or_b64 exec, exec, s[28:29]
	s_and_b64 s[2:3], s[2:3], exec
	s_andn2_b64 s[4:5], s[4:5], exec
	s_or_b64 exec, exec, s[6:7]
	s_and_saveexec_b64 s[0:1], s[4:5]
	s_xor_b64 s[0:1], exec, s[0:1]
	s_cbranch_execz .LBB162_494
.LBB162_540:
	s_trap 2
	s_or_b64 s[2:3], s[2:3], exec
	s_branch .LBB162_494
.LBB162_541:
	s_or_b64 s[6:7], s[6:7], exec
	s_trap 2
	s_branch .LBB162_498
.LBB162_542:
	s_trap 2
	s_or_b64 s[6:7], s[6:7], exec
	s_branch .LBB162_496
.LBB162_543:
	s_mov_b64 s[0:1], exec
	s_trap 2
	s_branch .LBB162_538
	.section	.rodata,"a",@progbits
	.p2align	6, 0x0
	.amdhsa_kernel _ZN2at6native6sbtopk10gatherTopKIlmLi3ELb0EEEvNS_4cuda6detail10TensorInfoIKT_T0_EES8_S8_bS8_S8_NS5_IS6_S8_EES8_NS5_IlS8_EES8_PS6_
		.amdhsa_group_segment_fixed_size 5152
		.amdhsa_private_segment_fixed_size 0
		.amdhsa_kernarg_size 1568
		.amdhsa_user_sgpr_count 6
		.amdhsa_user_sgpr_private_segment_buffer 1
		.amdhsa_user_sgpr_dispatch_ptr 0
		.amdhsa_user_sgpr_queue_ptr 0
		.amdhsa_user_sgpr_kernarg_segment_ptr 1
		.amdhsa_user_sgpr_dispatch_id 0
		.amdhsa_user_sgpr_flat_scratch_init 0
		.amdhsa_user_sgpr_private_segment_size 0
		.amdhsa_uses_dynamic_stack 0
		.amdhsa_system_sgpr_private_segment_wavefront_offset 0
		.amdhsa_system_sgpr_workgroup_id_x 1
		.amdhsa_system_sgpr_workgroup_id_y 1
		.amdhsa_system_sgpr_workgroup_id_z 1
		.amdhsa_system_sgpr_workgroup_info 0
		.amdhsa_system_vgpr_workitem_id 0
		.amdhsa_next_free_vgpr 46
		.amdhsa_next_free_sgpr 96
		.amdhsa_reserve_vcc 1
		.amdhsa_reserve_flat_scratch 0
		.amdhsa_float_round_mode_32 0
		.amdhsa_float_round_mode_16_64 0
		.amdhsa_float_denorm_mode_32 3
		.amdhsa_float_denorm_mode_16_64 3
		.amdhsa_dx10_clamp 1
		.amdhsa_ieee_mode 1
		.amdhsa_fp16_overflow 0
		.amdhsa_exception_fp_ieee_invalid_op 0
		.amdhsa_exception_fp_denorm_src 0
		.amdhsa_exception_fp_ieee_div_zero 0
		.amdhsa_exception_fp_ieee_overflow 0
		.amdhsa_exception_fp_ieee_underflow 0
		.amdhsa_exception_fp_ieee_inexact 0
		.amdhsa_exception_int_div_zero 0
	.end_amdhsa_kernel
	.section	.text._ZN2at6native6sbtopk10gatherTopKIlmLi3ELb0EEEvNS_4cuda6detail10TensorInfoIKT_T0_EES8_S8_bS8_S8_NS5_IS6_S8_EES8_NS5_IlS8_EES8_PS6_,"axG",@progbits,_ZN2at6native6sbtopk10gatherTopKIlmLi3ELb0EEEvNS_4cuda6detail10TensorInfoIKT_T0_EES8_S8_bS8_S8_NS5_IS6_S8_EES8_NS5_IlS8_EES8_PS6_,comdat
.Lfunc_end162:
	.size	_ZN2at6native6sbtopk10gatherTopKIlmLi3ELb0EEEvNS_4cuda6detail10TensorInfoIKT_T0_EES8_S8_bS8_S8_NS5_IS6_S8_EES8_NS5_IlS8_EES8_PS6_, .Lfunc_end162-_ZN2at6native6sbtopk10gatherTopKIlmLi3ELb0EEEvNS_4cuda6detail10TensorInfoIKT_T0_EES8_S8_bS8_S8_NS5_IS6_S8_EES8_NS5_IlS8_EES8_PS6_
                                        ; -- End function
	.set _ZN2at6native6sbtopk10gatherTopKIlmLi3ELb0EEEvNS_4cuda6detail10TensorInfoIKT_T0_EES8_S8_bS8_S8_NS5_IS6_S8_EES8_NS5_IlS8_EES8_PS6_.num_vgpr, 46
	.set _ZN2at6native6sbtopk10gatherTopKIlmLi3ELb0EEEvNS_4cuda6detail10TensorInfoIKT_T0_EES8_S8_bS8_S8_NS5_IS6_S8_EES8_NS5_IlS8_EES8_PS6_.num_agpr, 0
	.set _ZN2at6native6sbtopk10gatherTopKIlmLi3ELb0EEEvNS_4cuda6detail10TensorInfoIKT_T0_EES8_S8_bS8_S8_NS5_IS6_S8_EES8_NS5_IlS8_EES8_PS6_.numbered_sgpr, 96
	.set _ZN2at6native6sbtopk10gatherTopKIlmLi3ELb0EEEvNS_4cuda6detail10TensorInfoIKT_T0_EES8_S8_bS8_S8_NS5_IS6_S8_EES8_NS5_IlS8_EES8_PS6_.num_named_barrier, 0
	.set _ZN2at6native6sbtopk10gatherTopKIlmLi3ELb0EEEvNS_4cuda6detail10TensorInfoIKT_T0_EES8_S8_bS8_S8_NS5_IS6_S8_EES8_NS5_IlS8_EES8_PS6_.private_seg_size, 0
	.set _ZN2at6native6sbtopk10gatherTopKIlmLi3ELb0EEEvNS_4cuda6detail10TensorInfoIKT_T0_EES8_S8_bS8_S8_NS5_IS6_S8_EES8_NS5_IlS8_EES8_PS6_.uses_vcc, 1
	.set _ZN2at6native6sbtopk10gatherTopKIlmLi3ELb0EEEvNS_4cuda6detail10TensorInfoIKT_T0_EES8_S8_bS8_S8_NS5_IS6_S8_EES8_NS5_IlS8_EES8_PS6_.uses_flat_scratch, 0
	.set _ZN2at6native6sbtopk10gatherTopKIlmLi3ELb0EEEvNS_4cuda6detail10TensorInfoIKT_T0_EES8_S8_bS8_S8_NS5_IS6_S8_EES8_NS5_IlS8_EES8_PS6_.has_dyn_sized_stack, 0
	.set _ZN2at6native6sbtopk10gatherTopKIlmLi3ELb0EEEvNS_4cuda6detail10TensorInfoIKT_T0_EES8_S8_bS8_S8_NS5_IS6_S8_EES8_NS5_IlS8_EES8_PS6_.has_recursion, 0
	.set _ZN2at6native6sbtopk10gatherTopKIlmLi3ELb0EEEvNS_4cuda6detail10TensorInfoIKT_T0_EES8_S8_bS8_S8_NS5_IS6_S8_EES8_NS5_IlS8_EES8_PS6_.has_indirect_call, 0
	.section	.AMDGPU.csdata,"",@progbits
; Kernel info:
; codeLenInByte = 26628
; TotalNumSgprs: 100
; NumVgprs: 46
; ScratchSize: 0
; MemoryBound: 0
; FloatMode: 240
; IeeeMode: 1
; LDSByteSize: 5152 bytes/workgroup (compile time only)
; SGPRBlocks: 12
; VGPRBlocks: 11
; NumSGPRsForWavesPerEU: 100
; NumVGPRsForWavesPerEU: 46
; Occupancy: 5
; WaveLimiterHint : 1
; COMPUTE_PGM_RSRC2:SCRATCH_EN: 0
; COMPUTE_PGM_RSRC2:USER_SGPR: 6
; COMPUTE_PGM_RSRC2:TRAP_HANDLER: 0
; COMPUTE_PGM_RSRC2:TGID_X_EN: 1
; COMPUTE_PGM_RSRC2:TGID_Y_EN: 1
; COMPUTE_PGM_RSRC2:TGID_Z_EN: 1
; COMPUTE_PGM_RSRC2:TIDIG_COMP_CNT: 0
	.section	.text._ZN2at6native6mbtopk23computeBlockDigitCountsIlmmLin1EEEvNS_4cuda6detail10TensorInfoIKT_T0_EEjPjjS8_iijT1_PSB_Ps,"axG",@progbits,_ZN2at6native6mbtopk23computeBlockDigitCountsIlmmLin1EEEvNS_4cuda6detail10TensorInfoIKT_T0_EEjPjjS8_iijT1_PSB_Ps,comdat
	.protected	_ZN2at6native6mbtopk23computeBlockDigitCountsIlmmLin1EEEvNS_4cuda6detail10TensorInfoIKT_T0_EEjPjjS8_iijT1_PSB_Ps ; -- Begin function _ZN2at6native6mbtopk23computeBlockDigitCountsIlmmLin1EEEvNS_4cuda6detail10TensorInfoIKT_T0_EEjPjjS8_iijT1_PSB_Ps
	.globl	_ZN2at6native6mbtopk23computeBlockDigitCountsIlmmLin1EEEvNS_4cuda6detail10TensorInfoIKT_T0_EEjPjjS8_iijT1_PSB_Ps
	.p2align	8
	.type	_ZN2at6native6mbtopk23computeBlockDigitCountsIlmmLin1EEEvNS_4cuda6detail10TensorInfoIKT_T0_EEjPjjS8_iijT1_PSB_Ps,@function
_ZN2at6native6mbtopk23computeBlockDigitCountsIlmmLin1EEEvNS_4cuda6detail10TensorInfoIKT_T0_EEjPjjS8_iijT1_PSB_Ps: ; @_ZN2at6native6mbtopk23computeBlockDigitCountsIlmmLin1EEEvNS_4cuda6detail10TensorInfoIKT_T0_EEjPjjS8_iijT1_PSB_Ps
; %bb.0:
	s_load_dwordx4 s[0:3], s[4:5], 0x1c0
	s_load_dwordx2 s[10:11], s[4:5], 0x1e8
	s_waitcnt lgkmcnt(0)
	s_load_dword s3, s[4:5], 0x1b0
	s_mov_b32 s15, 0
	v_cvt_f32_u32_e32 v1, s2
	s_mul_i32 s8, s11, s8
	s_add_i32 s7, s8, s7
	s_mul_i32 s26, s7, s10
	v_rcp_iflag_f32_e32 v1, v1
	s_sub_i32 s9, 0, s2
	s_add_i32 s26, s26, s6
	v_mul_f32_e32 v1, 0x4f7ffffe, v1
	v_cvt_u32_f32_e32 v1, v1
	v_readfirstlane_b32 s6, v1
	s_mul_i32 s9, s9, s6
	s_mul_hi_u32 s7, s6, s9
	s_add_i32 s6, s6, s7
	s_mul_hi_u32 s6, s26, s6
	s_mul_i32 s7, s6, s2
	s_sub_i32 s7, s26, s7
	s_add_i32 s8, s6, 1
	s_sub_i32 s9, s7, s2
	s_cmp_ge_u32 s7, s2
	s_cselect_b32 s6, s8, s6
	s_cselect_b32 s7, s9, s7
	s_add_i32 s8, s6, 1
	s_cmp_ge_u32 s7, s2
	s_cselect_b32 s14, s8, s6
	s_waitcnt lgkmcnt(0)
	s_cmp_ge_u32 s14, s3
	s_cbranch_scc1 .LBB163_28
; %bb.1:
	s_load_dwordx4 s[8:11], s[4:5], 0x1d0
	s_load_dword s16, s[4:5], 0x198
	s_load_dwordx2 s[6:7], s[4:5], 0x1e0
	s_lshl_b64 s[12:13], s[14:15], 3
	s_mov_b64 s[22:23], s[14:15]
	s_waitcnt lgkmcnt(0)
	s_add_u32 s10, s10, s12
	s_addc_u32 s11, s11, s13
	s_load_dwordx2 s[10:11], s[10:11], 0x0
	s_cmp_lt_i32 s16, 2
	s_mov_b64 s[12:13], 0
	s_cbranch_scc1 .LBB163_7
; %bb.2:
	s_add_i32 s18, s16, -1
	s_mov_b32 s19, 0
	s_add_i32 s3, s16, 1
	s_lshl_b64 s[12:13], s[18:19], 3
	s_add_u32 s12, s4, s12
	s_addc_u32 s13, s5, s13
	s_add_u32 s20, s12, 8
	s_addc_u32 s21, s13, 0
	s_mov_b64 s[12:13], 0
.LBB163_3:                              ; =>This Inner Loop Header: Depth=1
	s_load_dwordx2 s[24:25], s[20:21], 0x0
	s_mov_b64 s[16:17], 0
	s_waitcnt lgkmcnt(0)
	v_mov_b32_e32 v1, s24
	v_mov_b32_e32 v2, s25
	v_cmp_lt_u64_e32 vcc, s[22:23], v[1:2]
	s_cbranch_vccnz .LBB163_5
; %bb.4:                                ;   in Loop: Header=BB163_3 Depth=1
	v_cvt_f32_u32_e32 v1, s24
	s_sub_i32 s15, 0, s24
	v_rcp_iflag_f32_e32 v1, v1
	v_mul_f32_e32 v1, 0x4f7ffffe, v1
	v_cvt_u32_f32_e32 v1, v1
	v_readfirstlane_b32 s16, v1
	s_mul_i32 s15, s15, s16
	s_mul_hi_u32 s15, s16, s15
	s_add_i32 s16, s16, s15
	s_mul_hi_u32 s15, s22, s16
	s_mul_i32 s17, s15, s24
	s_sub_i32 s17, s22, s17
	s_add_i32 s16, s15, 1
	s_sub_i32 s18, s17, s24
	s_cmp_ge_u32 s17, s24
	s_cselect_b32 s15, s16, s15
	s_cselect_b32 s17, s18, s17
	s_add_i32 s16, s15, 1
	s_cmp_ge_u32 s17, s24
	s_cselect_b32 s18, s16, s15
	s_mov_b64 s[16:17], s[18:19]
.LBB163_5:                              ;   in Loop: Header=BB163_3 Depth=1
	s_load_dwordx2 s[28:29], s[20:21], 0xc8
	s_mul_i32 s15, s16, s25
	s_mul_hi_u32 s18, s16, s24
	s_add_i32 s18, s18, s15
	s_mul_i32 s15, s16, s24
	s_sub_u32 s15, s22, s15
	s_subb_u32 s18, s23, s18
	s_waitcnt lgkmcnt(0)
	s_mul_i32 s18, s28, s18
	s_mul_hi_u32 s22, s28, s15
	s_add_i32 s18, s22, s18
	s_mul_i32 s22, s29, s15
	s_add_i32 s18, s18, s22
	s_mul_i32 s15, s28, s15
	s_add_u32 s12, s15, s12
	s_addc_u32 s13, s18, s13
	s_add_i32 s3, s3, -1
	s_add_u32 s20, s20, -8
	s_addc_u32 s21, s21, -1
	s_cmp_gt_u32 s3, 2
	s_cbranch_scc0 .LBB163_8
; %bb.6:                                ;   in Loop: Header=BB163_3 Depth=1
	s_mov_b64 s[22:23], s[16:17]
	s_branch .LBB163_3
.LBB163_7:
	s_mov_b64 s[16:17], s[22:23]
.LBB163_8:
	s_movk_i32 s3, 0x100
	v_cmp_gt_u32_e32 vcc, s3, v0
	v_lshlrev_b32_e32 v3, 2, v0
	s_and_saveexec_b64 s[18:19], vcc
; %bb.9:
	v_mov_b32_e32 v1, 0
	ds_write_b32 v3, v1
; %bb.10:
	s_or_b64 exec, exec, s[18:19]
	s_load_dword s15, s[4:5], 0x1a0
	s_mul_i32 s3, s14, s2
	s_sub_i32 s3, s26, s3
	s_add_i32 s14, s3, 1
	s_mul_i32 s3, s1, s3
	s_lshl_b32 s17, s3, 8
	s_waitcnt lgkmcnt(0)
	s_sub_i32 s3, s15, s17
	s_add_u32 s18, s3, 0xff
	s_addc_u32 s19, 0, 0
	s_lshr_b64 s[18:19], s[18:19], 8
	s_cmp_lt_u32 s14, s2
	s_cselect_b32 s14, s1, s18
	s_cmp_lt_i32 s14, 1
	s_mov_b32 s1, 0
	s_barrier
	s_cbranch_scc1 .LBB163_26
; %bb.11:
	s_load_dwordx2 s[18:19], s[4:5], 0xd0
	s_load_dwordx2 s[2:3], s[4:5], 0x1b8
	;; [unrolled: 1-line block ×3, first 2 shown]
	v_add_u32_e32 v4, s17, v0
	s_waitcnt lgkmcnt(0)
	s_mul_i32 s5, s19, s16
	s_mul_hi_u32 s19, s18, s16
	s_mul_i32 s4, s18, s16
	s_add_i32 s5, s19, s5
	s_lshl_b64 s[4:5], s[4:5], 3
	s_add_u32 s16, s20, s4
	s_addc_u32 s18, s21, s5
	s_lshl_b64 s[4:5], s[12:13], 3
	s_add_u32 s13, s16, s4
	s_addc_u32 s16, s18, s5
	s_and_b32 s12, s0, 0xff
	s_cmp_eq_u32 s14, 1
	s_cbranch_scc1 .LBB163_21
; %bb.12:
	s_and_b32 s17, s14, 0x7ffffffe
	s_mov_b32 s18, 0
	v_mov_b32_e32 v5, 1
	v_mov_b32_e32 v6, 2
	;; [unrolled: 1-line block ×3, first 2 shown]
	s_branch .LBB163_14
.LBB163_13:                             ;   in Loop: Header=BB163_14 Depth=1
	s_or_b64 exec, exec, s[4:5]
	s_add_i32 s18, s18, 2
	s_cmp_eq_u32 s17, s18
	v_add_u32_e32 v7, 0x200, v7
	s_cbranch_scc1 .LBB163_20
.LBB163_14:                             ; =>This Inner Loop Header: Depth=1
	v_cmp_gt_u32_e64 s[0:1], s15, v7
	s_and_saveexec_b64 s[4:5], s[0:1]
	s_cbranch_execz .LBB163_17
; %bb.15:                               ;   in Loop: Header=BB163_14 Depth=1
	v_mad_u64_u32 v[1:2], s[0:1], s2, v7, 0
	v_mad_u64_u32 v[8:9], s[0:1], s3, v7, v[2:3]
	v_mov_b32_e32 v9, s16
	v_mov_b32_e32 v2, v8
	v_lshlrev_b64 v[1:2], 3, v[1:2]
	v_add_co_u32_e64 v1, s[0:1], s13, v1
	v_addc_co_u32_e64 v2, s[0:1], v9, v2, s[0:1]
	global_load_dwordx2 v[1:2], v[1:2], off
	s_waitcnt vmcnt(0)
	v_xor_b32_e32 v2, 0x80000000, v2
	v_xor_b32_e32 v8, s10, v1
	;; [unrolled: 1-line block ×3, first 2 shown]
	v_and_b32_e32 v9, s9, v9
	v_and_b32_e32 v8, s8, v8
	v_cmp_eq_u64_e64 s[0:1], 0, v[8:9]
	s_and_b64 exec, exec, s[0:1]
; %bb.16:                               ;   in Loop: Header=BB163_14 Depth=1
	v_lshrrev_b64 v[1:2], s12, v[1:2]
	v_lshlrev_b32_sdwa v1, v6, v1 dst_sel:DWORD dst_unused:UNUSED_PAD src0_sel:DWORD src1_sel:BYTE_0
	ds_add_u32 v1, v5
.LBB163_17:                             ;   in Loop: Header=BB163_14 Depth=1
	s_or_b64 exec, exec, s[4:5]
	v_add_u32_e32 v1, 0x100, v7
	v_cmp_gt_u32_e64 s[0:1], s15, v1
	s_and_saveexec_b64 s[4:5], s[0:1]
	s_cbranch_execz .LBB163_13
; %bb.18:                               ;   in Loop: Header=BB163_14 Depth=1
	v_mad_u64_u32 v[8:9], s[0:1], s2, v1, 0
	v_mov_b32_e32 v10, s16
	v_mov_b32_e32 v2, v9
	v_mad_u64_u32 v[1:2], s[0:1], s3, v1, v[2:3]
	v_mov_b32_e32 v9, v1
	v_lshlrev_b64 v[1:2], 3, v[8:9]
	v_add_co_u32_e64 v1, s[0:1], s13, v1
	v_addc_co_u32_e64 v2, s[0:1], v10, v2, s[0:1]
	global_load_dwordx2 v[1:2], v[1:2], off
	s_waitcnt vmcnt(0)
	v_xor_b32_e32 v2, 0x80000000, v2
	v_xor_b32_e32 v8, s10, v1
	;; [unrolled: 1-line block ×3, first 2 shown]
	v_and_b32_e32 v9, s9, v9
	v_and_b32_e32 v8, s8, v8
	v_cmp_eq_u64_e64 s[0:1], 0, v[8:9]
	s_and_b64 exec, exec, s[0:1]
	s_cbranch_execz .LBB163_13
; %bb.19:                               ;   in Loop: Header=BB163_14 Depth=1
	v_lshrrev_b64 v[1:2], s12, v[1:2]
	v_lshlrev_b32_sdwa v1, v6, v1 dst_sel:DWORD dst_unused:UNUSED_PAD src0_sel:DWORD src1_sel:BYTE_0
	ds_add_u32 v1, v5
	s_branch .LBB163_13
.LBB163_20:
	s_lshl_b32 s1, s17, 8
.LBB163_21:
	s_bitcmp0_b32 s14, 0
	s_cbranch_scc1 .LBB163_26
; %bb.22:
	v_add_u32_e32 v1, s1, v4
	v_cmp_gt_u32_e64 s[0:1], s15, v1
	s_and_saveexec_b64 s[4:5], s[0:1]
	s_cbranch_execz .LBB163_25
; %bb.23:
	v_mad_u64_u32 v[4:5], s[0:1], s2, v1, 0
	v_mov_b32_e32 v6, s16
	v_mov_b32_e32 v2, v5
	v_mad_u64_u32 v[1:2], s[0:1], s3, v1, v[2:3]
	v_mov_b32_e32 v5, v1
	v_lshlrev_b64 v[1:2], 3, v[4:5]
	v_add_co_u32_e64 v1, s[0:1], s13, v1
	v_addc_co_u32_e64 v2, s[0:1], v6, v2, s[0:1]
	global_load_dwordx2 v[1:2], v[1:2], off
	s_waitcnt vmcnt(0)
	v_xor_b32_e32 v2, 0x80000000, v2
	v_xor_b32_e32 v4, s10, v1
	;; [unrolled: 1-line block ×3, first 2 shown]
	v_and_b32_e32 v5, s9, v5
	v_and_b32_e32 v4, s8, v4
	v_cmp_eq_u64_e64 s[0:1], 0, v[4:5]
	s_and_b64 exec, exec, s[0:1]
	s_cbranch_execz .LBB163_25
; %bb.24:
	v_lshrrev_b64 v[1:2], s12, v[1:2]
	v_mov_b32_e32 v2, 2
	v_lshlrev_b32_sdwa v1, v2, v1 dst_sel:DWORD dst_unused:UNUSED_PAD src0_sel:DWORD src1_sel:BYTE_0
	v_mov_b32_e32 v2, 1
	ds_add_u32 v1, v2
.LBB163_25:
	s_or_b64 exec, exec, s[4:5]
.LBB163_26:
	s_waitcnt lgkmcnt(0)
	s_barrier
	s_and_saveexec_b64 s[0:1], vcc
	s_cbranch_execz .LBB163_28
; %bb.27:
	v_lshl_or_b32 v0, s26, 8, v0
	v_mov_b32_e32 v1, 0
	ds_read_b32 v3, v3
	v_lshlrev_b64 v[0:1], 1, v[0:1]
	v_mov_b32_e32 v2, s7
	v_add_co_u32_e32 v0, vcc, s6, v0
	v_addc_co_u32_e32 v1, vcc, v2, v1, vcc
	s_waitcnt lgkmcnt(0)
	global_store_short v[0:1], v3, off
.LBB163_28:
	s_endpgm
	.section	.rodata,"a",@progbits
	.p2align	6, 0x0
	.amdhsa_kernel _ZN2at6native6mbtopk23computeBlockDigitCountsIlmmLin1EEEvNS_4cuda6detail10TensorInfoIKT_T0_EEjPjjS8_iijT1_PSB_Ps
		.amdhsa_group_segment_fixed_size 1024
		.amdhsa_private_segment_fixed_size 0
		.amdhsa_kernarg_size 744
		.amdhsa_user_sgpr_count 6
		.amdhsa_user_sgpr_private_segment_buffer 1
		.amdhsa_user_sgpr_dispatch_ptr 0
		.amdhsa_user_sgpr_queue_ptr 0
		.amdhsa_user_sgpr_kernarg_segment_ptr 1
		.amdhsa_user_sgpr_dispatch_id 0
		.amdhsa_user_sgpr_flat_scratch_init 0
		.amdhsa_user_sgpr_private_segment_size 0
		.amdhsa_uses_dynamic_stack 0
		.amdhsa_system_sgpr_private_segment_wavefront_offset 0
		.amdhsa_system_sgpr_workgroup_id_x 1
		.amdhsa_system_sgpr_workgroup_id_y 1
		.amdhsa_system_sgpr_workgroup_id_z 1
		.amdhsa_system_sgpr_workgroup_info 0
		.amdhsa_system_vgpr_workitem_id 0
		.amdhsa_next_free_vgpr 11
		.amdhsa_next_free_sgpr 30
		.amdhsa_reserve_vcc 1
		.amdhsa_reserve_flat_scratch 0
		.amdhsa_float_round_mode_32 0
		.amdhsa_float_round_mode_16_64 0
		.amdhsa_float_denorm_mode_32 3
		.amdhsa_float_denorm_mode_16_64 3
		.amdhsa_dx10_clamp 1
		.amdhsa_ieee_mode 1
		.amdhsa_fp16_overflow 0
		.amdhsa_exception_fp_ieee_invalid_op 0
		.amdhsa_exception_fp_denorm_src 0
		.amdhsa_exception_fp_ieee_div_zero 0
		.amdhsa_exception_fp_ieee_overflow 0
		.amdhsa_exception_fp_ieee_underflow 0
		.amdhsa_exception_fp_ieee_inexact 0
		.amdhsa_exception_int_div_zero 0
	.end_amdhsa_kernel
	.section	.text._ZN2at6native6mbtopk23computeBlockDigitCountsIlmmLin1EEEvNS_4cuda6detail10TensorInfoIKT_T0_EEjPjjS8_iijT1_PSB_Ps,"axG",@progbits,_ZN2at6native6mbtopk23computeBlockDigitCountsIlmmLin1EEEvNS_4cuda6detail10TensorInfoIKT_T0_EEjPjjS8_iijT1_PSB_Ps,comdat
.Lfunc_end163:
	.size	_ZN2at6native6mbtopk23computeBlockDigitCountsIlmmLin1EEEvNS_4cuda6detail10TensorInfoIKT_T0_EEjPjjS8_iijT1_PSB_Ps, .Lfunc_end163-_ZN2at6native6mbtopk23computeBlockDigitCountsIlmmLin1EEEvNS_4cuda6detail10TensorInfoIKT_T0_EEjPjjS8_iijT1_PSB_Ps
                                        ; -- End function
	.set _ZN2at6native6mbtopk23computeBlockDigitCountsIlmmLin1EEEvNS_4cuda6detail10TensorInfoIKT_T0_EEjPjjS8_iijT1_PSB_Ps.num_vgpr, 11
	.set _ZN2at6native6mbtopk23computeBlockDigitCountsIlmmLin1EEEvNS_4cuda6detail10TensorInfoIKT_T0_EEjPjjS8_iijT1_PSB_Ps.num_agpr, 0
	.set _ZN2at6native6mbtopk23computeBlockDigitCountsIlmmLin1EEEvNS_4cuda6detail10TensorInfoIKT_T0_EEjPjjS8_iijT1_PSB_Ps.numbered_sgpr, 30
	.set _ZN2at6native6mbtopk23computeBlockDigitCountsIlmmLin1EEEvNS_4cuda6detail10TensorInfoIKT_T0_EEjPjjS8_iijT1_PSB_Ps.num_named_barrier, 0
	.set _ZN2at6native6mbtopk23computeBlockDigitCountsIlmmLin1EEEvNS_4cuda6detail10TensorInfoIKT_T0_EEjPjjS8_iijT1_PSB_Ps.private_seg_size, 0
	.set _ZN2at6native6mbtopk23computeBlockDigitCountsIlmmLin1EEEvNS_4cuda6detail10TensorInfoIKT_T0_EEjPjjS8_iijT1_PSB_Ps.uses_vcc, 1
	.set _ZN2at6native6mbtopk23computeBlockDigitCountsIlmmLin1EEEvNS_4cuda6detail10TensorInfoIKT_T0_EEjPjjS8_iijT1_PSB_Ps.uses_flat_scratch, 0
	.set _ZN2at6native6mbtopk23computeBlockDigitCountsIlmmLin1EEEvNS_4cuda6detail10TensorInfoIKT_T0_EEjPjjS8_iijT1_PSB_Ps.has_dyn_sized_stack, 0
	.set _ZN2at6native6mbtopk23computeBlockDigitCountsIlmmLin1EEEvNS_4cuda6detail10TensorInfoIKT_T0_EEjPjjS8_iijT1_PSB_Ps.has_recursion, 0
	.set _ZN2at6native6mbtopk23computeBlockDigitCountsIlmmLin1EEEvNS_4cuda6detail10TensorInfoIKT_T0_EEjPjjS8_iijT1_PSB_Ps.has_indirect_call, 0
	.section	.AMDGPU.csdata,"",@progbits
; Kernel info:
; codeLenInByte = 1252
; TotalNumSgprs: 34
; NumVgprs: 11
; ScratchSize: 0
; MemoryBound: 0
; FloatMode: 240
; IeeeMode: 1
; LDSByteSize: 1024 bytes/workgroup (compile time only)
; SGPRBlocks: 4
; VGPRBlocks: 2
; NumSGPRsForWavesPerEU: 34
; NumVGPRsForWavesPerEU: 11
; Occupancy: 10
; WaveLimiterHint : 0
; COMPUTE_PGM_RSRC2:SCRATCH_EN: 0
; COMPUTE_PGM_RSRC2:USER_SGPR: 6
; COMPUTE_PGM_RSRC2:TRAP_HANDLER: 0
; COMPUTE_PGM_RSRC2:TGID_X_EN: 1
; COMPUTE_PGM_RSRC2:TGID_Y_EN: 1
; COMPUTE_PGM_RSRC2:TGID_Z_EN: 1
; COMPUTE_PGM_RSRC2:TIDIG_COMP_CNT: 0
	.section	.text._ZN2at6native6mbtopk10gatherTopKIlmLin1EEEvNS_4cuda6detail10TensorInfoIKT_T0_EES8_S8_bjS8_NS5_IS6_S8_EES8_NS5_IlS8_EES8_jjPS6_PjSD_j,"axG",@progbits,_ZN2at6native6mbtopk10gatherTopKIlmLin1EEEvNS_4cuda6detail10TensorInfoIKT_T0_EES8_S8_bjS8_NS5_IS6_S8_EES8_NS5_IlS8_EES8_jjPS6_PjSD_j,comdat
	.protected	_ZN2at6native6mbtopk10gatherTopKIlmLin1EEEvNS_4cuda6detail10TensorInfoIKT_T0_EES8_S8_bjS8_NS5_IS6_S8_EES8_NS5_IlS8_EES8_jjPS6_PjSD_j ; -- Begin function _ZN2at6native6mbtopk10gatherTopKIlmLin1EEEvNS_4cuda6detail10TensorInfoIKT_T0_EES8_S8_bjS8_NS5_IS6_S8_EES8_NS5_IlS8_EES8_jjPS6_PjSD_j
	.globl	_ZN2at6native6mbtopk10gatherTopKIlmLin1EEEvNS_4cuda6detail10TensorInfoIKT_T0_EES8_S8_bjS8_NS5_IS6_S8_EES8_NS5_IlS8_EES8_jjPS6_PjSD_j
	.p2align	8
	.type	_ZN2at6native6mbtopk10gatherTopKIlmLin1EEEvNS_4cuda6detail10TensorInfoIKT_T0_EES8_S8_bjS8_NS5_IS6_S8_EES8_NS5_IlS8_EES8_jjPS6_PjSD_j,@function
_ZN2at6native6mbtopk10gatherTopKIlmLin1EEEvNS_4cuda6detail10TensorInfoIKT_T0_EES8_S8_bjS8_NS5_IS6_S8_EES8_NS5_IlS8_EES8_jjPS6_PjSD_j: ; @_ZN2at6native6mbtopk10gatherTopKIlmLin1EEEvNS_4cuda6detail10TensorInfoIKT_T0_EES8_S8_bjS8_NS5_IS6_S8_EES8_NS5_IlS8_EES8_jjPS6_PjSD_j
; %bb.0:
	s_load_dwordx2 s[0:1], s[4:5], 0x538
	s_load_dword s3, s[4:5], 0x530
	s_waitcnt lgkmcnt(0)
	s_mul_i32 s1, s1, s8
	s_add_i32 s1, s1, s7
	s_mul_i32 s2, s1, s0
	s_add_i32 s2, s2, s6
	s_cmp_ge_u32 s2, s3
	s_cbranch_scc1 .LBB164_61
; %bb.1:
	s_load_dwordx2 s[20:21], s[4:5], 0x510
	s_load_dwordx4 s[8:11], s[4:5], 0x1a0
	s_mov_b32 s1, 0
	s_waitcnt lgkmcnt(0)
	v_cvt_f32_u32_e32 v1, s21
	s_sub_i32 s0, 0, s21
	s_lshl_b32 s3, s20, 8
	v_rcp_iflag_f32_e32 v1, v1
	v_mul_f32_e32 v1, 0x4f7ffffe, v1
	v_cvt_u32_f32_e32 v1, v1
	v_readfirstlane_b32 s6, v1
	s_mul_i32 s0, s0, s6
	s_mul_hi_u32 s0, s6, s0
	s_add_i32 s6, s6, s0
	s_mul_hi_u32 s0, s2, s6
	s_mul_i32 s6, s0, s21
	s_sub_i32 s6, s2, s6
	s_add_i32 s7, s0, 1
	s_sub_i32 s12, s6, s21
	s_cmp_ge_u32 s6, s21
	s_cselect_b32 s0, s7, s0
	s_cselect_b32 s6, s12, s6
	s_add_i32 s7, s0, 1
	s_cmp_ge_u32 s6, s21
	s_cselect_b32 s0, s7, s0
	s_mul_i32 s6, s0, s21
	s_sub_i32 s56, s2, s6
	s_add_i32 s2, s56, 1
	s_cmp_lt_u32 s2, s21
	s_mul_i32 s33, s56, s3
	s_cbranch_scc1 .LBB164_3
; %bb.2:
	s_sub_u32 s2, s8, s33
	s_subb_u32 s3, s9, 0
	s_add_u32 s2, s2, 0xff
	s_addc_u32 s3, s3, 0
	s_ashr_i32 s7, s3, 31
	s_lshr_b32 s7, s7, 24
	s_add_u32 s2, s2, s7
	s_addc_u32 s3, s3, 0
	s_lshr_b64 s[2:3], s[2:3], 8
	s_mov_b32 s20, s2
.LBB164_3:
	s_load_dword s2, s[4:5], 0x198
	s_mov_b64 s[22:23], 0
	s_mov_b64 s[24:25], s[0:1]
	s_waitcnt lgkmcnt(0)
	s_cmp_lt_i32 s2, 2
	s_cbranch_scc1 .LBB164_9
; %bb.4:
	s_add_i32 s7, s2, 1
	s_add_i32 s2, s2, -1
	s_mov_b32 s3, 0
	s_lshl_b64 s[12:13], s[2:3], 3
	s_add_u32 s2, s4, s12
	s_addc_u32 s13, s5, s13
	s_add_u32 s12, s2, 8
	s_addc_u32 s13, s13, 0
	s_mov_b64 s[14:15], s[0:1]
.LBB164_5:                              ; =>This Inner Loop Header: Depth=1
	s_load_dwordx2 s[16:17], s[12:13], 0x0
	s_mov_b64 s[24:25], 0
	s_waitcnt lgkmcnt(0)
	v_mov_b32_e32 v1, s16
	v_mov_b32_e32 v2, s17
	v_cmp_lt_u64_e32 vcc, s[14:15], v[1:2]
	s_cbranch_vccnz .LBB164_7
; %bb.6:                                ;   in Loop: Header=BB164_5 Depth=1
	v_cvt_f32_u32_e32 v1, s16
	s_sub_i32 s2, 0, s16
	v_rcp_iflag_f32_e32 v1, v1
	v_mul_f32_e32 v1, 0x4f7ffffe, v1
	v_cvt_u32_f32_e32 v1, v1
	v_readfirstlane_b32 s18, v1
	s_mul_i32 s2, s2, s18
	s_mul_hi_u32 s2, s18, s2
	s_add_i32 s18, s18, s2
	s_mul_hi_u32 s2, s14, s18
	s_mul_i32 s19, s2, s16
	s_sub_i32 s19, s14, s19
	s_add_i32 s18, s2, 1
	s_sub_i32 s24, s19, s16
	s_cmp_ge_u32 s19, s16
	s_cselect_b32 s2, s18, s2
	s_cselect_b32 s19, s24, s19
	s_add_i32 s18, s2, 1
	s_cmp_ge_u32 s19, s16
	s_cselect_b32 s2, s18, s2
	s_mov_b64 s[24:25], s[2:3]
.LBB164_7:                              ;   in Loop: Header=BB164_5 Depth=1
	s_load_dwordx2 s[18:19], s[12:13], 0xc8
	s_mul_i32 s2, s24, s17
	s_mul_hi_u32 s17, s24, s16
	s_add_i32 s17, s17, s2
	s_mul_i32 s2, s24, s16
	s_sub_u32 s2, s14, s2
	s_subb_u32 s14, s15, s17
	s_waitcnt lgkmcnt(0)
	s_mul_i32 s14, s18, s14
	s_mul_hi_u32 s15, s18, s2
	s_add_i32 s14, s15, s14
	s_mul_i32 s15, s19, s2
	s_add_i32 s14, s14, s15
	s_mul_i32 s2, s18, s2
	s_add_u32 s22, s2, s22
	s_addc_u32 s23, s14, s23
	s_add_i32 s7, s7, -1
	s_add_u32 s12, s12, -8
	s_addc_u32 s13, s13, -1
	s_cmp_gt_u32 s7, 2
	s_cbranch_scc0 .LBB164_9
; %bb.8:                                ;   in Loop: Header=BB164_5 Depth=1
	s_mov_b64 s[14:15], s[24:25]
	s_branch .LBB164_5
.LBB164_9:
	s_load_dword s12, s[4:5], 0x358
	s_load_dwordx2 s[28:29], s[4:5], 0xd0
	s_add_u32 s2, s4, 0x1c0
	s_addc_u32 s3, s5, 0
	s_mov_b64 s[26:27], 0
	s_waitcnt lgkmcnt(0)
	s_cmp_lt_i32 s12, 2
	s_mov_b64 s[30:31], s[0:1]
	s_cbranch_scc1 .LBB164_15
; %bb.10:
	s_add_i32 s7, s12, 1
	s_add_i32 s12, s12, -1
	s_mov_b32 s13, 0
	s_lshl_b64 s[14:15], s[12:13], 3
	s_add_u32 s12, s2, s14
	s_addc_u32 s15, s3, s15
	s_add_u32 s14, s12, 8
	s_addc_u32 s15, s15, 0
	s_mov_b64 s[16:17], s[0:1]
.LBB164_11:                             ; =>This Inner Loop Header: Depth=1
	s_load_dwordx2 s[18:19], s[14:15], 0x0
	s_mov_b64 s[30:31], 0
	s_waitcnt lgkmcnt(0)
	v_mov_b32_e32 v1, s18
	v_mov_b32_e32 v2, s19
	v_cmp_lt_u64_e32 vcc, s[16:17], v[1:2]
	s_cbranch_vccnz .LBB164_13
; %bb.12:                               ;   in Loop: Header=BB164_11 Depth=1
	v_cvt_f32_u32_e32 v1, s18
	s_sub_i32 s12, 0, s18
	v_rcp_iflag_f32_e32 v1, v1
	v_mul_f32_e32 v1, 0x4f7ffffe, v1
	v_cvt_u32_f32_e32 v1, v1
	v_readfirstlane_b32 s25, v1
	s_mul_i32 s12, s12, s25
	s_mul_hi_u32 s12, s25, s12
	s_add_i32 s25, s25, s12
	s_mul_hi_u32 s12, s16, s25
	s_mul_i32 s30, s12, s18
	s_sub_i32 s30, s16, s30
	s_add_i32 s25, s12, 1
	s_sub_i32 s31, s30, s18
	s_cmp_ge_u32 s30, s18
	s_cselect_b32 s12, s25, s12
	s_cselect_b32 s30, s31, s30
	s_add_i32 s25, s12, 1
	s_cmp_ge_u32 s30, s18
	s_cselect_b32 s12, s25, s12
	s_mov_b64 s[30:31], s[12:13]
.LBB164_13:                             ;   in Loop: Header=BB164_11 Depth=1
	s_load_dwordx2 s[34:35], s[14:15], 0xc8
	s_mul_i32 s12, s30, s19
	s_mul_hi_u32 s19, s30, s18
	s_add_i32 s19, s19, s12
	s_mul_i32 s12, s30, s18
	s_sub_u32 s12, s16, s12
	s_subb_u32 s16, s17, s19
	s_waitcnt lgkmcnt(0)
	s_mul_i32 s16, s34, s16
	s_mul_hi_u32 s17, s34, s12
	s_add_i32 s16, s17, s16
	s_mul_i32 s17, s35, s12
	s_add_i32 s16, s16, s17
	s_mul_i32 s12, s34, s12
	s_add_u32 s26, s12, s26
	s_addc_u32 s27, s16, s27
	s_add_i32 s7, s7, -1
	s_add_u32 s14, s14, -8
	s_addc_u32 s15, s15, -1
	s_cmp_gt_u32 s7, 2
	s_cbranch_scc0 .LBB164_15
; %bb.14:                               ;   in Loop: Header=BB164_11 Depth=1
	s_mov_b64 s[16:17], s[30:31]
	s_branch .LBB164_11
.LBB164_15:
	s_load_dword s14, s[4:5], 0x500
	s_load_dwordx2 s[36:37], s[2:3], 0xd0
	s_add_u32 s12, s4, 0x368
	s_addc_u32 s13, s5, 0
	s_mov_b64 s[34:35], 0
	s_waitcnt lgkmcnt(0)
	s_cmp_lt_i32 s14, 2
	s_cbranch_scc1 .LBB164_21
; %bb.16:
	s_add_i32 s2, s14, -1
	s_mov_b32 s3, 0
	s_add_i32 s7, s14, 1
	s_lshl_b64 s[14:15], s[2:3], 3
	s_add_u32 s2, s12, s14
	s_addc_u32 s13, s13, s15
	s_add_u32 s12, s2, 8
	s_addc_u32 s13, s13, 0
	s_mov_b64 s[14:15], s[0:1]
.LBB164_17:                             ; =>This Inner Loop Header: Depth=1
	s_load_dwordx2 s[16:17], s[12:13], 0x0
	s_mov_b64 s[38:39], 0
	s_waitcnt lgkmcnt(0)
	v_mov_b32_e32 v1, s16
	v_mov_b32_e32 v2, s17
	v_cmp_lt_u64_e32 vcc, s[14:15], v[1:2]
	s_cbranch_vccnz .LBB164_19
; %bb.18:                               ;   in Loop: Header=BB164_17 Depth=1
	v_cvt_f32_u32_e32 v1, s16
	s_sub_i32 s2, 0, s16
	v_rcp_iflag_f32_e32 v1, v1
	v_mul_f32_e32 v1, 0x4f7ffffe, v1
	v_cvt_u32_f32_e32 v1, v1
	v_readfirstlane_b32 s18, v1
	s_mul_i32 s2, s2, s18
	s_mul_hi_u32 s2, s18, s2
	s_add_i32 s18, s18, s2
	s_mul_hi_u32 s2, s14, s18
	s_mul_i32 s19, s2, s16
	s_sub_i32 s19, s14, s19
	s_add_i32 s18, s2, 1
	s_sub_i32 s25, s19, s16
	s_cmp_ge_u32 s19, s16
	s_cselect_b32 s2, s18, s2
	s_cselect_b32 s19, s25, s19
	s_add_i32 s18, s2, 1
	s_cmp_ge_u32 s19, s16
	s_cselect_b32 s2, s18, s2
	s_mov_b64 s[38:39], s[2:3]
.LBB164_19:                             ;   in Loop: Header=BB164_17 Depth=1
	s_load_dwordx2 s[18:19], s[12:13], 0xc8
	s_mul_i32 s2, s38, s17
	s_mul_hi_u32 s17, s38, s16
	s_add_i32 s17, s17, s2
	s_mul_i32 s2, s38, s16
	s_sub_u32 s2, s14, s2
	s_subb_u32 s14, s15, s17
	s_waitcnt lgkmcnt(0)
	s_mul_i32 s14, s18, s14
	s_mul_hi_u32 s15, s18, s2
	s_add_i32 s14, s15, s14
	s_mul_i32 s15, s19, s2
	s_add_i32 s14, s14, s15
	s_mul_i32 s2, s18, s2
	s_add_u32 s34, s2, s34
	s_addc_u32 s35, s14, s35
	s_add_i32 s7, s7, -1
	s_add_u32 s12, s12, -8
	s_addc_u32 s13, s13, -1
	s_cmp_gt_u32 s7, 2
	s_cbranch_scc0 .LBB164_22
; %bb.20:                               ;   in Loop: Header=BB164_17 Depth=1
	s_mov_b64 s[14:15], s[38:39]
	s_branch .LBB164_17
.LBB164_21:
	s_mov_b64 s[38:39], s[0:1]
.LBB164_22:
	s_load_dwordx4 s[12:15], s[4:5], 0x518
	s_load_dwordx2 s[46:47], s[4:5], 0x438
	s_load_dwordx2 s[44:45], s[4:5], 0x0
	;; [unrolled: 1-line block ×4, first 2 shown]
	s_lshl_b64 s[0:1], s[0:1], 3
	s_waitcnt lgkmcnt(0)
	s_add_u32 s0, s12, s0
	s_addc_u32 s1, s13, s1
	s_load_dwordx2 s[12:13], s[0:1], 0x0
	s_mov_b32 s7, 0
	v_cmp_ne_u32_e64 s[0:1], 0, v0
	v_cmp_eq_u32_e64 s[2:3], 0, v0
	s_and_saveexec_b64 s[48:49], s[2:3]
	s_cbranch_execz .LBB164_38
; %bb.23:
	s_load_dwordx2 s[50:51], s[4:5], 0x528
	s_lshl_b64 s[52:53], s[6:7], 2
	s_add_u32 s16, s14, s52
	s_addc_u32 s17, s15, s53
	s_mov_b32 s6, 0
	s_waitcnt lgkmcnt(0)
	s_add_u32 s18, s50, s52
	s_addc_u32 s19, s51, s53
	s_mov_b32 s25, 0
	s_cmp_lt_u32 s21, 4
	s_cbranch_scc1 .LBB164_35
; %bb.24:
	s_mov_b32 s31, 0
.LBB164_25:                             ; =>This Inner Loop Header: Depth=1
	s_add_u32 s54, s14, s52
	s_addc_u32 s55, s15, s53
	s_load_dwordx4 s[16:19], s[54:55], 0x0
	s_add_u32 s54, s50, s52
	s_addc_u32 s55, s51, s53
	s_cmp_ge_u32 s31, s56
	s_cbranch_scc0 .LBB164_32
; %bb.26:                               ;   in Loop: Header=BB164_25 Depth=1
	s_add_i32 s39, s31, 1
	s_cmp_ge_u32 s39, s56
	s_cbranch_scc0 .LBB164_33
.LBB164_27:                             ;   in Loop: Header=BB164_25 Depth=1
	s_add_i32 s39, s39, 1
	s_cmp_ge_u32 s39, s56
	s_cbranch_scc0 .LBB164_34
.LBB164_28:                             ;   in Loop: Header=BB164_25 Depth=1
	s_add_i32 s39, s39, 1
	s_cmp_ge_u32 s39, s56
	s_cbranch_scc1 .LBB164_30
.LBB164_29:                             ;   in Loop: Header=BB164_25 Depth=1
	s_load_dword s54, s[54:55], 0xc
	s_waitcnt lgkmcnt(0)
	s_add_i32 s7, s7, s19
	s_add_i32 s6, s54, s6
.LBB164_30:                             ;   in Loop: Header=BB164_25 Depth=1
	s_waitcnt lgkmcnt(0)
	s_add_i32 s16, s16, s25
	s_add_i32 s16, s16, s17
	;; [unrolled: 1-line block ×4, first 2 shown]
	s_add_u32 s14, s14, 16
	s_addc_u32 s15, s15, 0
	s_add_u32 s50, s50, 16
	s_addc_u32 s51, s51, 0
	s_add_i32 s54, s39, 4
	s_add_u32 s18, s50, s52
	s_addc_u32 s19, s51, s53
	s_add_u32 s16, s14, s52
	s_addc_u32 s17, s15, s53
	s_add_i32 s39, s39, 1
	s_cmp_ge_u32 s54, s21
	s_cbranch_scc1 .LBB164_36
; %bb.31:                               ;   in Loop: Header=BB164_25 Depth=1
	s_mov_b32 s31, s39
	s_branch .LBB164_25
.LBB164_32:                             ;   in Loop: Header=BB164_25 Depth=1
	s_load_dword s39, s[54:55], 0x0
	s_waitcnt lgkmcnt(0)
	s_add_i32 s7, s16, s7
	s_add_i32 s6, s39, s6
	;; [unrolled: 1-line block ×3, first 2 shown]
	s_cmp_ge_u32 s39, s56
	s_cbranch_scc1 .LBB164_27
.LBB164_33:                             ;   in Loop: Header=BB164_25 Depth=1
	s_load_dword s57, s[54:55], 0x4
	s_waitcnt lgkmcnt(0)
	s_add_i32 s7, s7, s17
	s_add_i32 s6, s57, s6
	;; [unrolled: 1-line block ×3, first 2 shown]
	s_cmp_ge_u32 s39, s56
	s_cbranch_scc1 .LBB164_28
.LBB164_34:                             ;   in Loop: Header=BB164_25 Depth=1
	s_load_dword s57, s[54:55], 0x8
	s_waitcnt lgkmcnt(0)
	s_add_i32 s7, s7, s18
	s_add_i32 s6, s57, s6
	;; [unrolled: 1-line block ×3, first 2 shown]
	s_cmp_ge_u32 s39, s56
	s_cbranch_scc0 .LBB164_29
	s_branch .LBB164_30
.LBB164_35:
	s_mov_b32 s14, 0
	s_cmp_ge_u32 s14, s21
	s_cbranch_scc0 .LBB164_59
	s_branch .LBB164_37
.LBB164_36:
	s_add_i32 s14, s31, 4
	s_cmp_ge_u32 s14, s21
	s_cbranch_scc0 .LBB164_59
.LBB164_37:
	v_mov_b32_e32 v1, s6
	v_mov_b32_e32 v2, s25
	;; [unrolled: 1-line block ×4, first 2 shown]
	ds_write_b96 v4, v[1:3] offset:1056
.LBB164_38:
	s_or_b64 exec, exec, s[48:49]
	s_cmp_eq_u32 s20, 0
	s_waitcnt lgkmcnt(0)
	s_barrier
	s_cbranch_scc1 .LBB164_61
; %bb.39:
	s_mul_i32 s14, s29, s24
	s_mul_hi_u32 s15, s28, s24
	s_mul_i32 s6, s37, s30
	s_mul_hi_u32 s7, s36, s30
	s_add_i32 s15, s15, s14
	s_mul_i32 s14, s28, s24
	s_mul_i32 s16, s47, s38
	s_mul_hi_u32 s17, s46, s38
	s_add_i32 s7, s7, s6
	s_add_i32 s17, s17, s16
	s_lshl_b64 s[14:15], s[14:15], 3
	s_add_u32 s18, s44, s14
	s_addc_u32 s19, s45, s15
	s_lshl_b64 s[14:15], s[22:23], 3
	s_mul_i32 s6, s36, s30
	s_add_u32 s21, s18, s14
	s_addc_u32 s28, s19, s15
	s_lshl_b64 s[6:7], s[6:7], 3
	v_mov_b32_e32 v5, 0
	s_add_u32 s14, s42, s6
	ds_read_b96 v[1:3], v5 offset:1056
	s_addc_u32 s15, s43, s7
	s_lshl_b64 s[6:7], s[26:27], 3
	s_mul_i32 s16, s46, s38
	s_add_u32 s26, s14, s6
	s_addc_u32 s27, s15, s7
	s_lshl_b64 s[6:7], s[16:17], 3
	s_add_u32 s14, s40, s6
	s_addc_u32 s15, s41, s7
	s_lshl_b64 s[6:7], s[34:35], 3
	s_waitcnt lgkmcnt(0)
	v_add_u32_e32 v1, v1, v2
	v_lshrrev_b32_e32 v2, 3, v0
	s_add_u32 s29, s14, s6
	s_load_dword s6, s[4:5], 0x1b0
	v_and_b32_e32 v2, 28, v2
	s_load_dwordx2 s[16:17], s[4:5], 0x1b8
	s_load_dwordx2 s[18:19], s[4:5], 0x360
	;; [unrolled: 1-line block ×3, first 2 shown]
	v_lshl_add_u32 v10, v0, 2, v2
	v_lshrrev_b32_e32 v2, 1, v0
	v_and_b32_e32 v11, 0x7c, v2
	v_add_u32_e32 v2, -1, v0
	v_lshrrev_b32_e32 v4, 3, v2
	s_addc_u32 s30, s15, s7
	s_xor_b32 s15, s13, 0x80000000
	v_and_b32_e32 v4, 0x1ffffffc, v4
	s_waitcnt lgkmcnt(0)
	s_bitcmp1_b32 s6, 0
	v_cmp_gt_u32_e64 s[6:7], 64, v0
	v_lshlrev_b32_e32 v12, 4, v0
	v_lshl_add_u32 v13, v2, 2, v4
	v_add_u32_e32 v4, s33, v0
	v_mbcnt_lo_u32_b32 v0, -1, 0
	s_mov_b32 s14, s12
	s_cselect_b64 s[4:5], -1, 0
	v_mbcnt_hi_u32_b32 v0, -1, v0
                                        ; implicit-def: $vgpr6_vgpr7
	s_branch .LBB164_42
.LBB164_40:                             ;   in Loop: Header=BB164_42 Depth=1
	s_or_b64 exec, exec, s[24:25]
	v_add_u32_e32 v1, v2, v1
.LBB164_41:                             ;   in Loop: Header=BB164_42 Depth=1
	s_add_i32 s20, s20, -1
	v_add_u32_e32 v3, v14, v3
	s_cmp_lg_u32 s20, 0
	v_add_u32_e32 v4, 0x100, v4
	s_cbranch_scc0 .LBB164_61
.LBB164_42:                             ; =>This Inner Loop Header: Depth=1
	v_cmp_gt_u64_e32 vcc, s[8:9], v[4:5]
	v_mov_b32_e32 v2, v5
	v_mov_b32_e32 v8, v5
	s_and_saveexec_b64 s[24:25], vcc
	s_cbranch_execz .LBB164_44
; %bb.43:                               ;   in Loop: Header=BB164_42 Depth=1
	v_mad_u64_u32 v[6:7], s[34:35], s16, v4, 0
	v_mov_b32_e32 v2, v7
	v_mad_u64_u32 v[7:8], s[34:35], s17, v4, v[2:3]
	v_mov_b32_e32 v2, s28
	v_lshlrev_b64 v[6:7], 3, v[6:7]
	v_add_co_u32_e32 v6, vcc, s21, v6
	v_addc_co_u32_e32 v7, vcc, v2, v7, vcc
	global_load_dwordx2 v[6:7], v[6:7], off
	s_waitcnt vmcnt(0)
	v_xor_b32_e32 v9, 0x80000000, v7
	v_mov_b32_e32 v8, v6
	v_cmp_lt_u64_e32 vcc, s[14:15], v[8:9]
	v_cndmask_b32_e64 v2, 0, 1, vcc
	v_cmp_gt_u64_e32 vcc, s[14:15], v[8:9]
	v_cndmask_b32_e64 v8, 0, 1, vcc
	v_cmp_eq_u64_e32 vcc, s[12:13], v[6:7]
	v_cndmask_b32_e64 v2, v8, v2, s[4:5]
	v_and_b32_e32 v2, 1, v2
	v_cndmask_b32_e64 v8, 0, 1, vcc
.LBB164_44:                             ;   in Loop: Header=BB164_42 Depth=1
	s_or_b64 exec, exec, s[24:25]
	ds_write_b32 v10, v2
	s_waitcnt vmcnt(0) lgkmcnt(0)
	s_barrier
	s_and_saveexec_b64 s[24:25], s[6:7]
	s_cbranch_execz .LBB164_46
; %bb.45:                               ;   in Loop: Header=BB164_42 Depth=1
	v_add_u32_e32 v9, v11, v12
	ds_read2_b32 v[14:15], v9 offset1:1
	ds_read2_b32 v[16:17], v9 offset0:2 offset1:3
	v_and_b32_e32 v18, 15, v0
	v_cmp_ne_u32_e32 vcc, 0, v18
	s_waitcnt lgkmcnt(1)
	v_add_u32_e32 v15, v15, v14
	s_waitcnt lgkmcnt(0)
	v_add3_u32 v15, v15, v16, v17
	v_bfe_i32 v17, v0, 4, 1
	; wave barrier
	s_nop 0
	v_mov_b32_dpp v16, v15 row_shr:1 row_mask:0xf bank_mask:0xf
	v_cndmask_b32_e32 v16, 0, v16, vcc
	v_add_u32_e32 v15, v16, v15
	v_cmp_lt_u32_e32 vcc, 1, v18
	s_nop 0
	v_mov_b32_dpp v16, v15 row_shr:2 row_mask:0xf bank_mask:0xf
	v_cndmask_b32_e32 v16, 0, v16, vcc
	v_add_u32_e32 v15, v15, v16
	v_cmp_lt_u32_e32 vcc, 3, v18
	;; [unrolled: 5-line block ×4, first 2 shown]
	s_nop 0
	v_mov_b32_dpp v16, v15 row_bcast:15 row_mask:0xf bank_mask:0xf
	v_and_b32_e32 v16, v17, v16
	v_add_u32_e32 v15, v15, v16
	v_and_b32_e32 v17, 64, v0
	s_nop 0
	v_mov_b32_dpp v16, v15 row_bcast:31 row_mask:0xf bank_mask:0xf
	v_cndmask_b32_e32 v16, 0, v16, vcc
	v_add_u32_e32 v15, v15, v16
	v_add_u32_e32 v16, -1, v0
	v_cmp_lt_i32_e32 vcc, v16, v17
	v_cndmask_b32_e32 v16, v16, v0, vcc
	v_lshlrev_b32_e32 v16, 2, v16
	ds_bpermute_b32 v15, v16, v15
	s_waitcnt lgkmcnt(0)
	v_add_u32_e32 v14, v15, v14
	v_cndmask_b32_e64 v16, v14, v2, s[2:3]
	ds_write_b32 v9, v16
	; wave barrier
	ds_read2_b32 v[14:15], v9 offset0:1 offset1:2
	ds_read_b32 v17, v9 offset:12
	s_waitcnt lgkmcnt(1)
	v_add_u32_e32 v14, v14, v16
	v_add_u32_e32 v15, v15, v14
	ds_write2_b32 v9, v14, v15 offset0:1 offset1:2
	s_waitcnt lgkmcnt(1)
	v_add_u32_e32 v14, v17, v15
	ds_write_b32 v9, v14 offset:12
.LBB164_46:                             ;   in Loop: Header=BB164_42 Depth=1
	s_or_b64 exec, exec, s[24:25]
	v_mov_b32_e32 v9, 0
	s_waitcnt lgkmcnt(0)
	s_barrier
	s_and_saveexec_b64 s[24:25], s[0:1]
; %bb.47:                               ;   in Loop: Header=BB164_42 Depth=1
	ds_read_b32 v9, v13
; %bb.48:                               ;   in Loop: Header=BB164_42 Depth=1
	s_or_b64 exec, exec, s[24:25]
	ds_read_b32 v14, v5 offset:1048
	v_cmp_ne_u32_e32 vcc, 0, v2
	s_waitcnt lgkmcnt(0)
	s_barrier
	s_and_saveexec_b64 s[24:25], vcc
	s_cbranch_execz .LBB164_50
; %bb.49:                               ;   in Loop: Header=BB164_42 Depth=1
	v_add_u32_e32 v9, v9, v3
	v_mad_u64_u32 v[15:16], s[34:35], s18, v9, 0
	v_mad_u64_u32 v[17:18], s[34:35], s22, v9, 0
	v_mov_b32_e32 v2, v16
	v_mad_u64_u32 v[19:20], s[34:35], s19, v9, v[2:3]
	v_mov_b32_e32 v2, v18
	v_mov_b32_e32 v20, s27
	;; [unrolled: 1-line block ×3, first 2 shown]
	v_lshlrev_b64 v[15:16], 3, v[15:16]
	v_mad_u64_u32 v[18:19], s[34:35], s23, v9, v[2:3]
	v_add_co_u32_e32 v15, vcc, s26, v15
	v_addc_co_u32_e32 v16, vcc, v20, v16, vcc
	global_store_dwordx2 v[15:16], v[6:7], off
	v_lshlrev_b64 v[15:16], 3, v[17:18]
	v_mov_b32_e32 v2, s30
	v_add_co_u32_e32 v15, vcc, s29, v15
	v_addc_co_u32_e32 v16, vcc, v2, v16, vcc
	global_store_dwordx2 v[15:16], v[4:5], off
.LBB164_50:                             ;   in Loop: Header=BB164_42 Depth=1
	s_or_b64 exec, exec, s[24:25]
	v_mov_b32_e32 v2, v5
	v_cmp_le_u64_e32 vcc, s[10:11], v[1:2]
	s_cbranch_vccnz .LBB164_41
; %bb.51:                               ;   in Loop: Header=BB164_42 Depth=1
	ds_write_b32 v10, v8
	s_waitcnt vmcnt(0) lgkmcnt(0)
	s_barrier
	s_and_saveexec_b64 s[24:25], s[6:7]
	s_cbranch_execz .LBB164_53
; %bb.52:                               ;   in Loop: Header=BB164_42 Depth=1
	v_add_u32_e32 v2, v11, v12
	ds_read2_b32 v[15:16], v2 offset1:1
	ds_read2_b32 v[17:18], v2 offset0:2 offset1:3
	v_and_b32_e32 v9, 15, v0
	v_cmp_ne_u32_e32 vcc, 0, v9
	s_waitcnt lgkmcnt(1)
	v_add_u32_e32 v16, v16, v15
	s_waitcnt lgkmcnt(0)
	v_add3_u32 v16, v16, v17, v18
	; wave barrier
	s_nop 1
	v_mov_b32_dpp v17, v16 row_shr:1 row_mask:0xf bank_mask:0xf
	v_cndmask_b32_e32 v17, 0, v17, vcc
	v_add_u32_e32 v16, v17, v16
	v_cmp_lt_u32_e32 vcc, 1, v9
	s_nop 0
	v_mov_b32_dpp v17, v16 row_shr:2 row_mask:0xf bank_mask:0xf
	v_cndmask_b32_e32 v17, 0, v17, vcc
	v_add_u32_e32 v16, v16, v17
	v_cmp_lt_u32_e32 vcc, 3, v9
	s_nop 0
	v_mov_b32_dpp v17, v16 row_shr:4 row_mask:0xf bank_mask:0xf
	v_cndmask_b32_e32 v17, 0, v17, vcc
	v_add_u32_e32 v16, v16, v17
	v_cmp_lt_u32_e32 vcc, 7, v9
	s_nop 0
	v_mov_b32_dpp v17, v16 row_shr:8 row_mask:0xf bank_mask:0xf
	v_cndmask_b32_e32 v9, 0, v17, vcc
	v_add_u32_e32 v9, v16, v9
	v_bfe_i32 v17, v0, 4, 1
	v_cmp_lt_u32_e32 vcc, 31, v0
	v_mov_b32_dpp v16, v9 row_bcast:15 row_mask:0xf bank_mask:0xf
	v_and_b32_e32 v16, v17, v16
	v_add_u32_e32 v9, v9, v16
	v_and_b32_e32 v17, 64, v0
	s_nop 0
	v_mov_b32_dpp v16, v9 row_bcast:31 row_mask:0xf bank_mask:0xf
	v_cndmask_b32_e32 v16, 0, v16, vcc
	v_add_u32_e32 v9, v9, v16
	v_add_u32_e32 v16, -1, v0
	v_cmp_lt_i32_e32 vcc, v16, v17
	v_cndmask_b32_e32 v16, v16, v0, vcc
	v_lshlrev_b32_e32 v16, 2, v16
	ds_bpermute_b32 v9, v16, v9
	s_waitcnt lgkmcnt(0)
	v_add_u32_e32 v9, v9, v15
	v_cndmask_b32_e64 v9, v9, v8, s[2:3]
	ds_write_b32 v2, v9
	; wave barrier
	ds_read2_b32 v[15:16], v2 offset0:1 offset1:2
	ds_read_b32 v17, v2 offset:12
	s_waitcnt lgkmcnt(1)
	v_add_u32_e32 v9, v15, v9
	v_add_u32_e32 v15, v16, v9
	ds_write2_b32 v2, v9, v15 offset0:1 offset1:2
	s_waitcnt lgkmcnt(1)
	v_add_u32_e32 v9, v17, v15
	ds_write_b32 v2, v9 offset:12
.LBB164_53:                             ;   in Loop: Header=BB164_42 Depth=1
	s_or_b64 exec, exec, s[24:25]
	v_mov_b32_e32 v9, 0
	s_waitcnt lgkmcnt(0)
	s_barrier
	s_and_saveexec_b64 s[24:25], s[0:1]
; %bb.54:                               ;   in Loop: Header=BB164_42 Depth=1
	ds_read_b32 v9, v13
; %bb.55:                               ;   in Loop: Header=BB164_42 Depth=1
	s_or_b64 exec, exec, s[24:25]
	ds_read_b32 v2, v5 offset:1048
	v_cmp_ne_u32_e32 vcc, 0, v8
	s_waitcnt lgkmcnt(0)
	s_barrier
	s_and_saveexec_b64 s[24:25], vcc
	s_cbranch_execz .LBB164_40
; %bb.56:                               ;   in Loop: Header=BB164_42 Depth=1
	v_add_u32_e32 v8, v9, v1
	v_mov_b32_e32 v9, v5
	v_cmp_gt_u64_e32 vcc, s[10:11], v[8:9]
	s_and_b64 exec, exec, vcc
	s_cbranch_execz .LBB164_40
; %bb.57:                               ;   in Loop: Header=BB164_42 Depth=1
	v_mad_u64_u32 v[15:16], s[34:35], s18, v8, 0
	v_mad_u64_u32 v[17:18], s[34:35], s22, v8, 0
	v_mov_b32_e32 v9, v16
	v_mad_u64_u32 v[19:20], s[34:35], s19, v8, v[9:10]
	v_mov_b32_e32 v9, v18
	;; [unrolled: 2-line block ×3, first 2 shown]
	v_lshlrev_b64 v[15:16], 3, v[15:16]
	v_mov_b32_e32 v18, v8
	v_mov_b32_e32 v20, s27
	v_add_co_u32_e32 v15, vcc, s26, v15
	v_lshlrev_b64 v[8:9], 3, v[17:18]
	v_addc_co_u32_e32 v16, vcc, v20, v16, vcc
	global_store_dwordx2 v[15:16], v[6:7], off
	v_mov_b32_e32 v15, s30
	v_add_co_u32_e32 v8, vcc, s29, v8
	v_addc_co_u32_e32 v9, vcc, v15, v9, vcc
	global_store_dwordx2 v[8:9], v[4:5], off
	s_branch .LBB164_40
.LBB164_58:                             ;   in Loop: Header=BB164_59 Depth=1
	s_add_u32 s16, s16, 4
	s_addc_u32 s17, s17, 0
	s_waitcnt lgkmcnt(0)
	s_add_i32 s25, s15, s25
	s_add_u32 s18, s18, 4
	s_addc_u32 s19, s19, 0
	s_add_i32 s14, s14, 1
	s_cmp_lt_u32 s14, s21
	s_cbranch_scc0 .LBB164_37
.LBB164_59:                             ; =>This Inner Loop Header: Depth=1
	s_load_dword s15, s[16:17], 0x0
	s_cmp_ge_u32 s14, s56
	s_cbranch_scc1 .LBB164_58
; %bb.60:                               ;   in Loop: Header=BB164_59 Depth=1
	s_load_dword s31, s[18:19], 0x0
	s_waitcnt lgkmcnt(0)
	s_add_i32 s7, s15, s7
	s_add_i32 s6, s31, s6
	s_branch .LBB164_58
.LBB164_61:
	s_endpgm
	.section	.rodata,"a",@progbits
	.p2align	6, 0x0
	.amdhsa_kernel _ZN2at6native6mbtopk10gatherTopKIlmLin1EEEvNS_4cuda6detail10TensorInfoIKT_T0_EES8_S8_bjS8_NS5_IS6_S8_EES8_NS5_IlS8_EES8_jjPS6_PjSD_j
		.amdhsa_group_segment_fixed_size 1068
		.amdhsa_private_segment_fixed_size 0
		.amdhsa_kernarg_size 1592
		.amdhsa_user_sgpr_count 6
		.amdhsa_user_sgpr_private_segment_buffer 1
		.amdhsa_user_sgpr_dispatch_ptr 0
		.amdhsa_user_sgpr_queue_ptr 0
		.amdhsa_user_sgpr_kernarg_segment_ptr 1
		.amdhsa_user_sgpr_dispatch_id 0
		.amdhsa_user_sgpr_flat_scratch_init 0
		.amdhsa_user_sgpr_private_segment_size 0
		.amdhsa_uses_dynamic_stack 0
		.amdhsa_system_sgpr_private_segment_wavefront_offset 0
		.amdhsa_system_sgpr_workgroup_id_x 1
		.amdhsa_system_sgpr_workgroup_id_y 1
		.amdhsa_system_sgpr_workgroup_id_z 1
		.amdhsa_system_sgpr_workgroup_info 0
		.amdhsa_system_vgpr_workitem_id 0
		.amdhsa_next_free_vgpr 21
		.amdhsa_next_free_sgpr 58
		.amdhsa_reserve_vcc 1
		.amdhsa_reserve_flat_scratch 0
		.amdhsa_float_round_mode_32 0
		.amdhsa_float_round_mode_16_64 0
		.amdhsa_float_denorm_mode_32 3
		.amdhsa_float_denorm_mode_16_64 3
		.amdhsa_dx10_clamp 1
		.amdhsa_ieee_mode 1
		.amdhsa_fp16_overflow 0
		.amdhsa_exception_fp_ieee_invalid_op 0
		.amdhsa_exception_fp_denorm_src 0
		.amdhsa_exception_fp_ieee_div_zero 0
		.amdhsa_exception_fp_ieee_overflow 0
		.amdhsa_exception_fp_ieee_underflow 0
		.amdhsa_exception_fp_ieee_inexact 0
		.amdhsa_exception_int_div_zero 0
	.end_amdhsa_kernel
	.section	.text._ZN2at6native6mbtopk10gatherTopKIlmLin1EEEvNS_4cuda6detail10TensorInfoIKT_T0_EES8_S8_bjS8_NS5_IS6_S8_EES8_NS5_IlS8_EES8_jjPS6_PjSD_j,"axG",@progbits,_ZN2at6native6mbtopk10gatherTopKIlmLin1EEEvNS_4cuda6detail10TensorInfoIKT_T0_EES8_S8_bjS8_NS5_IS6_S8_EES8_NS5_IlS8_EES8_jjPS6_PjSD_j,comdat
.Lfunc_end164:
	.size	_ZN2at6native6mbtopk10gatherTopKIlmLin1EEEvNS_4cuda6detail10TensorInfoIKT_T0_EES8_S8_bjS8_NS5_IS6_S8_EES8_NS5_IlS8_EES8_jjPS6_PjSD_j, .Lfunc_end164-_ZN2at6native6mbtopk10gatherTopKIlmLin1EEEvNS_4cuda6detail10TensorInfoIKT_T0_EES8_S8_bjS8_NS5_IS6_S8_EES8_NS5_IlS8_EES8_jjPS6_PjSD_j
                                        ; -- End function
	.set _ZN2at6native6mbtopk10gatherTopKIlmLin1EEEvNS_4cuda6detail10TensorInfoIKT_T0_EES8_S8_bjS8_NS5_IS6_S8_EES8_NS5_IlS8_EES8_jjPS6_PjSD_j.num_vgpr, 21
	.set _ZN2at6native6mbtopk10gatherTopKIlmLin1EEEvNS_4cuda6detail10TensorInfoIKT_T0_EES8_S8_bjS8_NS5_IS6_S8_EES8_NS5_IlS8_EES8_jjPS6_PjSD_j.num_agpr, 0
	.set _ZN2at6native6mbtopk10gatherTopKIlmLin1EEEvNS_4cuda6detail10TensorInfoIKT_T0_EES8_S8_bjS8_NS5_IS6_S8_EES8_NS5_IlS8_EES8_jjPS6_PjSD_j.numbered_sgpr, 58
	.set _ZN2at6native6mbtopk10gatherTopKIlmLin1EEEvNS_4cuda6detail10TensorInfoIKT_T0_EES8_S8_bjS8_NS5_IS6_S8_EES8_NS5_IlS8_EES8_jjPS6_PjSD_j.num_named_barrier, 0
	.set _ZN2at6native6mbtopk10gatherTopKIlmLin1EEEvNS_4cuda6detail10TensorInfoIKT_T0_EES8_S8_bjS8_NS5_IS6_S8_EES8_NS5_IlS8_EES8_jjPS6_PjSD_j.private_seg_size, 0
	.set _ZN2at6native6mbtopk10gatherTopKIlmLin1EEEvNS_4cuda6detail10TensorInfoIKT_T0_EES8_S8_bjS8_NS5_IS6_S8_EES8_NS5_IlS8_EES8_jjPS6_PjSD_j.uses_vcc, 1
	.set _ZN2at6native6mbtopk10gatherTopKIlmLin1EEEvNS_4cuda6detail10TensorInfoIKT_T0_EES8_S8_bjS8_NS5_IS6_S8_EES8_NS5_IlS8_EES8_jjPS6_PjSD_j.uses_flat_scratch, 0
	.set _ZN2at6native6mbtopk10gatherTopKIlmLin1EEEvNS_4cuda6detail10TensorInfoIKT_T0_EES8_S8_bjS8_NS5_IS6_S8_EES8_NS5_IlS8_EES8_jjPS6_PjSD_j.has_dyn_sized_stack, 0
	.set _ZN2at6native6mbtopk10gatherTopKIlmLin1EEEvNS_4cuda6detail10TensorInfoIKT_T0_EES8_S8_bjS8_NS5_IS6_S8_EES8_NS5_IlS8_EES8_jjPS6_PjSD_j.has_recursion, 0
	.set _ZN2at6native6mbtopk10gatherTopKIlmLin1EEEvNS_4cuda6detail10TensorInfoIKT_T0_EES8_S8_bjS8_NS5_IS6_S8_EES8_NS5_IlS8_EES8_jjPS6_PjSD_j.has_indirect_call, 0
	.section	.AMDGPU.csdata,"",@progbits
; Kernel info:
; codeLenInByte = 3120
; TotalNumSgprs: 62
; NumVgprs: 21
; ScratchSize: 0
; MemoryBound: 0
; FloatMode: 240
; IeeeMode: 1
; LDSByteSize: 1068 bytes/workgroup (compile time only)
; SGPRBlocks: 7
; VGPRBlocks: 5
; NumSGPRsForWavesPerEU: 62
; NumVGPRsForWavesPerEU: 21
; Occupancy: 10
; WaveLimiterHint : 1
; COMPUTE_PGM_RSRC2:SCRATCH_EN: 0
; COMPUTE_PGM_RSRC2:USER_SGPR: 6
; COMPUTE_PGM_RSRC2:TRAP_HANDLER: 0
; COMPUTE_PGM_RSRC2:TGID_X_EN: 1
; COMPUTE_PGM_RSRC2:TGID_Y_EN: 1
; COMPUTE_PGM_RSRC2:TGID_Z_EN: 1
; COMPUTE_PGM_RSRC2:TIDIG_COMP_CNT: 0
	.section	.text._ZN2at6native6sbtopk10gatherTopKIlmLin1ELb0EEEvNS_4cuda6detail10TensorInfoIKT_T0_EES8_S8_bS8_S8_NS5_IS6_S8_EES8_NS5_IlS8_EES8_PS6_,"axG",@progbits,_ZN2at6native6sbtopk10gatherTopKIlmLin1ELb0EEEvNS_4cuda6detail10TensorInfoIKT_T0_EES8_S8_bS8_S8_NS5_IS6_S8_EES8_NS5_IlS8_EES8_PS6_,comdat
	.protected	_ZN2at6native6sbtopk10gatherTopKIlmLin1ELb0EEEvNS_4cuda6detail10TensorInfoIKT_T0_EES8_S8_bS8_S8_NS5_IS6_S8_EES8_NS5_IlS8_EES8_PS6_ ; -- Begin function _ZN2at6native6sbtopk10gatherTopKIlmLin1ELb0EEEvNS_4cuda6detail10TensorInfoIKT_T0_EES8_S8_bS8_S8_NS5_IS6_S8_EES8_NS5_IlS8_EES8_PS6_
	.globl	_ZN2at6native6sbtopk10gatherTopKIlmLin1ELb0EEEvNS_4cuda6detail10TensorInfoIKT_T0_EES8_S8_bS8_S8_NS5_IS6_S8_EES8_NS5_IlS8_EES8_PS6_
	.p2align	8
	.type	_ZN2at6native6sbtopk10gatherTopKIlmLin1ELb0EEEvNS_4cuda6detail10TensorInfoIKT_T0_EES8_S8_bS8_S8_NS5_IS6_S8_EES8_NS5_IlS8_EES8_PS6_,@function
_ZN2at6native6sbtopk10gatherTopKIlmLin1ELb0EEEvNS_4cuda6detail10TensorInfoIKT_T0_EES8_S8_bS8_S8_NS5_IS6_S8_EES8_NS5_IlS8_EES8_PS6_: ; @_ZN2at6native6sbtopk10gatherTopKIlmLin1ELb0EEEvNS_4cuda6detail10TensorInfoIKT_T0_EES8_S8_bS8_S8_NS5_IS6_S8_EES8_NS5_IlS8_EES8_PS6_
; %bb.0:
	s_load_dwordx2 s[38:39], s[4:5], 0x520
	s_load_dwordx4 s[20:23], s[4:5], 0x1b8
	s_add_u32 s2, s4, 0x520
	s_addc_u32 s3, s5, 0
	s_mov_b32 s9, 0
	s_waitcnt lgkmcnt(0)
	s_mul_i32 s0, s39, s8
	s_add_i32 s0, s0, s7
	s_mul_i32 s0, s0, s38
	s_add_i32 s8, s0, s6
	v_mov_b32_e32 v1, s8
	v_mov_b32_e32 v2, s9
	v_cmp_le_u64_e32 vcc, s[20:21], v[1:2]
	s_cbranch_vccnz .LBB165_493
; %bb.1:
	s_load_dword s7, s[4:5], 0x198
	s_mov_b64 s[0:1], 0
	s_mov_b64 s[10:11], s[8:9]
	s_waitcnt lgkmcnt(0)
	s_cmp_lt_i32 s7, 2
	s_cbranch_scc1 .LBB165_9
; %bb.2:
	s_mov_b32 s12, 0
	s_add_i32 s0, s7, -1
	s_mov_b32 s1, s12
	s_add_i32 s29, s7, 1
	s_lshl_b64 s[0:1], s[0:1], 3
	s_add_u32 s0, s4, s0
	s_addc_u32 s1, s5, s1
	s_add_u32 s14, s0, 8
	s_addc_u32 s15, s1, 0
	s_mov_b64 s[0:1], 0
	s_mov_b64 s[16:17], s[8:9]
.LBB165_3:                              ; =>This Inner Loop Header: Depth=1
	s_load_dwordx2 s[18:19], s[14:15], 0x0
	s_waitcnt lgkmcnt(0)
	s_or_b64 s[10:11], s[16:17], s[18:19]
	s_mov_b32 s13, s11
	s_cmp_lg_u64 s[12:13], 0
	s_cbranch_scc0 .LBB165_8
; %bb.4:                                ;   in Loop: Header=BB165_3 Depth=1
	v_cvt_f32_u32_e32 v1, s18
	v_cvt_f32_u32_e32 v2, s19
	s_sub_u32 s7, 0, s18
	s_subb_u32 s13, 0, s19
	v_mac_f32_e32 v1, 0x4f800000, v2
	v_rcp_f32_e32 v1, v1
	v_mul_f32_e32 v1, 0x5f7ffffc, v1
	v_mul_f32_e32 v2, 0x2f800000, v1
	v_trunc_f32_e32 v2, v2
	v_mac_f32_e32 v1, 0xcf800000, v2
	v_cvt_u32_f32_e32 v2, v2
	v_cvt_u32_f32_e32 v1, v1
	v_readfirstlane_b32 s20, v2
	v_readfirstlane_b32 s10, v1
	s_mul_i32 s11, s7, s20
	s_mul_hi_u32 s24, s7, s10
	s_mul_i32 s21, s13, s10
	s_add_i32 s11, s24, s11
	s_mul_i32 s25, s7, s10
	s_add_i32 s11, s11, s21
	s_mul_i32 s24, s10, s11
	s_mul_hi_u32 s26, s10, s25
	s_mul_hi_u32 s21, s10, s11
	s_add_u32 s24, s26, s24
	s_addc_u32 s21, 0, s21
	s_mul_hi_u32 s27, s20, s25
	s_mul_i32 s25, s20, s25
	s_add_u32 s24, s24, s25
	s_mul_hi_u32 s26, s20, s11
	s_addc_u32 s21, s21, s27
	s_addc_u32 s24, s26, 0
	s_mul_i32 s11, s20, s11
	s_add_u32 s11, s21, s11
	s_addc_u32 s21, 0, s24
	s_add_u32 s24, s10, s11
	s_cselect_b64 s[10:11], -1, 0
	s_cmp_lg_u64 s[10:11], 0
	s_addc_u32 s20, s20, s21
	s_mul_i32 s10, s7, s20
	s_mul_hi_u32 s11, s7, s24
	s_add_i32 s10, s11, s10
	s_mul_i32 s13, s13, s24
	s_add_i32 s10, s10, s13
	s_mul_i32 s7, s7, s24
	s_mul_hi_u32 s13, s20, s7
	s_mul_i32 s21, s20, s7
	s_mul_i32 s26, s24, s10
	s_mul_hi_u32 s7, s24, s7
	s_mul_hi_u32 s25, s24, s10
	s_add_u32 s7, s7, s26
	s_addc_u32 s25, 0, s25
	s_add_u32 s7, s7, s21
	s_mul_hi_u32 s11, s20, s10
	s_addc_u32 s7, s25, s13
	s_addc_u32 s11, s11, 0
	s_mul_i32 s10, s20, s10
	s_add_u32 s7, s7, s10
	s_addc_u32 s13, 0, s11
	s_add_u32 s7, s24, s7
	s_cselect_b64 s[10:11], -1, 0
	s_cmp_lg_u64 s[10:11], 0
	s_addc_u32 s10, s20, s13
	s_mul_i32 s13, s16, s10
	s_mul_hi_u32 s20, s16, s7
	s_mul_hi_u32 s11, s16, s10
	s_add_u32 s13, s20, s13
	s_addc_u32 s11, 0, s11
	s_mul_hi_u32 s21, s17, s7
	s_mul_i32 s7, s17, s7
	s_add_u32 s7, s13, s7
	s_mul_hi_u32 s20, s17, s10
	s_addc_u32 s7, s11, s21
	s_addc_u32 s11, s20, 0
	s_mul_i32 s10, s17, s10
	s_add_u32 s7, s7, s10
	s_addc_u32 s13, 0, s11
	s_mul_i32 s10, s18, s13
	s_mul_hi_u32 s11, s18, s7
	s_add_i32 s10, s11, s10
	s_mul_i32 s11, s19, s7
	s_add_i32 s24, s10, s11
	s_sub_i32 s20, s17, s24
	s_mul_i32 s10, s18, s7
	s_sub_u32 s25, s16, s10
	s_cselect_b64 s[10:11], -1, 0
	s_cmp_lg_u64 s[10:11], 0
	s_subb_u32 s26, s20, s19
	s_sub_u32 s27, s25, s18
	s_cselect_b64 s[20:21], -1, 0
	s_cmp_lg_u64 s[20:21], 0
	s_subb_u32 s20, s26, 0
	s_cmp_ge_u32 s20, s19
	s_cselect_b32 s21, -1, 0
	s_cmp_ge_u32 s27, s18
	s_cselect_b32 s26, -1, 0
	s_cmp_eq_u32 s20, s19
	s_cselect_b32 s20, s26, s21
	s_add_u32 s21, s7, 1
	s_addc_u32 s26, s13, 0
	s_add_u32 s27, s7, 2
	s_addc_u32 s28, s13, 0
	s_cmp_lg_u32 s20, 0
	s_cselect_b32 s20, s27, s21
	s_cselect_b32 s21, s28, s26
	s_cmp_lg_u64 s[10:11], 0
	s_subb_u32 s10, s17, s24
	s_cmp_ge_u32 s10, s19
	s_cselect_b32 s11, -1, 0
	s_cmp_ge_u32 s25, s18
	s_cselect_b32 s24, -1, 0
	s_cmp_eq_u32 s10, s19
	s_cselect_b32 s10, s24, s11
	s_cmp_lg_u32 s10, 0
	s_cselect_b32 s11, s21, s13
	s_cselect_b32 s10, s20, s7
	s_cbranch_execnz .LBB165_6
.LBB165_5:                              ;   in Loop: Header=BB165_3 Depth=1
	v_cvt_f32_u32_e32 v1, s18
	s_sub_i32 s7, 0, s18
	v_rcp_iflag_f32_e32 v1, v1
	v_mul_f32_e32 v1, 0x4f7ffffe, v1
	v_cvt_u32_f32_e32 v1, v1
	v_readfirstlane_b32 s10, v1
	s_mul_i32 s7, s7, s10
	s_mul_hi_u32 s7, s10, s7
	s_add_i32 s10, s10, s7
	s_mul_hi_u32 s7, s16, s10
	s_mul_i32 s11, s7, s18
	s_sub_i32 s11, s16, s11
	s_add_i32 s10, s7, 1
	s_sub_i32 s13, s11, s18
	s_cmp_ge_u32 s11, s18
	s_cselect_b32 s7, s10, s7
	s_cselect_b32 s11, s13, s11
	s_add_i32 s10, s7, 1
	s_cmp_ge_u32 s11, s18
	s_cselect_b32 s10, s10, s7
	s_mov_b32 s11, s12
.LBB165_6:                              ;   in Loop: Header=BB165_3 Depth=1
	s_mul_i32 s7, s10, s19
	s_mul_hi_u32 s13, s10, s18
	s_load_dwordx2 s[20:21], s[14:15], 0xc8
	s_add_i32 s7, s13, s7
	s_mul_i32 s13, s11, s18
	s_add_i32 s7, s7, s13
	s_mul_i32 s13, s10, s18
	s_sub_u32 s13, s16, s13
	s_subb_u32 s7, s17, s7
	s_waitcnt lgkmcnt(0)
	s_mul_i32 s7, s20, s7
	s_mul_hi_u32 s16, s20, s13
	s_add_i32 s7, s16, s7
	s_mul_i32 s16, s21, s13
	s_add_i32 s7, s7, s16
	s_mul_i32 s13, s20, s13
	s_add_u32 s0, s13, s0
	s_addc_u32 s1, s7, s1
	s_add_i32 s29, s29, -1
	s_add_u32 s14, s14, -8
	s_addc_u32 s15, s15, -1
	s_cmp_gt_u32 s29, 2
	s_cbranch_scc0 .LBB165_9
; %bb.7:                                ;   in Loop: Header=BB165_3 Depth=1
	s_mov_b64 s[16:17], s[10:11]
	s_branch .LBB165_3
.LBB165_8:                              ;   in Loop: Header=BB165_3 Depth=1
                                        ; implicit-def: $sgpr10_sgpr11
	s_branch .LBB165_5
.LBB165_9:
	s_load_dword s7, s[4:5], 0x360
	s_load_dwordx2 s[12:13], s[4:5], 0xd0
	s_add_u32 s14, s4, 0x1c8
	s_addc_u32 s15, s5, 0
	s_mov_b64 s[28:29], 0
	s_waitcnt lgkmcnt(0)
	s_cmp_lt_i32 s7, 2
	s_mov_b64 s[34:35], s[8:9]
	s_cbranch_scc1 .LBB165_17
; %bb.10:
	s_mov_b32 s16, 0
	s_add_i32 s18, s7, -1
	s_mov_b32 s19, s16
	s_add_i32 s39, s7, 1
	s_lshl_b64 s[18:19], s[18:19], 3
	s_add_u32 s7, s14, s18
	s_addc_u32 s17, s15, s19
	s_add_u32 s18, s7, 8
	s_addc_u32 s19, s17, 0
	s_mov_b64 s[20:21], s[8:9]
.LBB165_11:                             ; =>This Inner Loop Header: Depth=1
	s_load_dwordx2 s[24:25], s[18:19], 0x0
	s_waitcnt lgkmcnt(0)
	s_or_b64 s[26:27], s[20:21], s[24:25]
	s_mov_b32 s17, s27
	s_cmp_lg_u64 s[16:17], 0
	s_cbranch_scc0 .LBB165_16
; %bb.12:                               ;   in Loop: Header=BB165_11 Depth=1
	v_cvt_f32_u32_e32 v1, s24
	v_cvt_f32_u32_e32 v2, s25
	s_sub_u32 s7, 0, s24
	s_subb_u32 s17, 0, s25
	v_mac_f32_e32 v1, 0x4f800000, v2
	v_rcp_f32_e32 v1, v1
	v_mul_f32_e32 v1, 0x5f7ffffc, v1
	v_mul_f32_e32 v2, 0x2f800000, v1
	v_trunc_f32_e32 v2, v2
	v_mac_f32_e32 v1, 0xcf800000, v2
	v_cvt_u32_f32_e32 v2, v2
	v_cvt_u32_f32_e32 v1, v1
	v_readfirstlane_b32 s30, v2
	v_readfirstlane_b32 s26, v1
	s_mul_i32 s27, s7, s30
	s_mul_hi_u32 s33, s7, s26
	s_mul_i32 s31, s17, s26
	s_add_i32 s27, s33, s27
	s_mul_i32 s34, s7, s26
	s_add_i32 s27, s27, s31
	s_mul_i32 s33, s26, s27
	s_mul_hi_u32 s35, s26, s34
	s_mul_hi_u32 s31, s26, s27
	s_add_u32 s33, s35, s33
	s_addc_u32 s31, 0, s31
	s_mul_hi_u32 s36, s30, s34
	s_mul_i32 s34, s30, s34
	s_add_u32 s33, s33, s34
	s_mul_hi_u32 s35, s30, s27
	s_addc_u32 s31, s31, s36
	s_addc_u32 s33, s35, 0
	s_mul_i32 s27, s30, s27
	s_add_u32 s27, s31, s27
	s_addc_u32 s31, 0, s33
	s_add_u32 s33, s26, s27
	s_cselect_b64 s[26:27], -1, 0
	s_cmp_lg_u64 s[26:27], 0
	s_addc_u32 s30, s30, s31
	s_mul_i32 s26, s7, s30
	s_mul_hi_u32 s27, s7, s33
	s_add_i32 s26, s27, s26
	s_mul_i32 s17, s17, s33
	s_add_i32 s26, s26, s17
	s_mul_i32 s7, s7, s33
	s_mul_hi_u32 s27, s30, s7
	s_mul_i32 s31, s30, s7
	s_mul_i32 s35, s33, s26
	s_mul_hi_u32 s7, s33, s7
	s_mul_hi_u32 s34, s33, s26
	s_add_u32 s7, s7, s35
	s_addc_u32 s34, 0, s34
	s_add_u32 s7, s7, s31
	s_mul_hi_u32 s17, s30, s26
	s_addc_u32 s7, s34, s27
	s_addc_u32 s17, s17, 0
	s_mul_i32 s26, s30, s26
	s_add_u32 s7, s7, s26
	s_addc_u32 s17, 0, s17
	s_add_u32 s7, s33, s7
	s_cselect_b64 s[26:27], -1, 0
	s_cmp_lg_u64 s[26:27], 0
	s_addc_u32 s17, s30, s17
	s_mul_i32 s27, s20, s17
	s_mul_hi_u32 s30, s20, s7
	s_mul_hi_u32 s26, s20, s17
	s_add_u32 s27, s30, s27
	s_addc_u32 s26, 0, s26
	s_mul_hi_u32 s31, s21, s7
	s_mul_i32 s7, s21, s7
	s_add_u32 s7, s27, s7
	s_mul_hi_u32 s30, s21, s17
	s_addc_u32 s7, s26, s31
	s_addc_u32 s26, s30, 0
	s_mul_i32 s17, s21, s17
	s_add_u32 s7, s7, s17
	s_addc_u32 s17, 0, s26
	s_mul_i32 s26, s24, s17
	s_mul_hi_u32 s27, s24, s7
	s_add_i32 s26, s27, s26
	s_mul_i32 s27, s25, s7
	s_add_i32 s33, s26, s27
	s_sub_i32 s30, s21, s33
	s_mul_i32 s26, s24, s7
	s_sub_u32 s34, s20, s26
	s_cselect_b64 s[26:27], -1, 0
	s_cmp_lg_u64 s[26:27], 0
	s_subb_u32 s35, s30, s25
	s_sub_u32 s36, s34, s24
	s_cselect_b64 s[30:31], -1, 0
	s_cmp_lg_u64 s[30:31], 0
	s_subb_u32 s30, s35, 0
	s_cmp_ge_u32 s30, s25
	s_cselect_b32 s31, -1, 0
	s_cmp_ge_u32 s36, s24
	s_cselect_b32 s35, -1, 0
	s_cmp_eq_u32 s30, s25
	s_cselect_b32 s30, s35, s31
	s_add_u32 s31, s7, 1
	s_addc_u32 s35, s17, 0
	s_add_u32 s36, s7, 2
	s_addc_u32 s37, s17, 0
	s_cmp_lg_u32 s30, 0
	s_cselect_b32 s30, s36, s31
	s_cselect_b32 s31, s37, s35
	s_cmp_lg_u64 s[26:27], 0
	s_subb_u32 s26, s21, s33
	s_cmp_ge_u32 s26, s25
	s_cselect_b32 s27, -1, 0
	s_cmp_ge_u32 s34, s24
	s_cselect_b32 s33, -1, 0
	s_cmp_eq_u32 s26, s25
	s_cselect_b32 s26, s33, s27
	s_cmp_lg_u32 s26, 0
	s_cselect_b32 s35, s31, s17
	s_cselect_b32 s34, s30, s7
	s_cbranch_execnz .LBB165_14
.LBB165_13:                             ;   in Loop: Header=BB165_11 Depth=1
	v_cvt_f32_u32_e32 v1, s24
	s_sub_i32 s7, 0, s24
	s_mov_b32 s35, s16
	v_rcp_iflag_f32_e32 v1, v1
	v_mul_f32_e32 v1, 0x4f7ffffe, v1
	v_cvt_u32_f32_e32 v1, v1
	v_readfirstlane_b32 s17, v1
	s_mul_i32 s7, s7, s17
	s_mul_hi_u32 s7, s17, s7
	s_add_i32 s17, s17, s7
	s_mul_hi_u32 s7, s20, s17
	s_mul_i32 s26, s7, s24
	s_sub_i32 s26, s20, s26
	s_add_i32 s17, s7, 1
	s_sub_i32 s27, s26, s24
	s_cmp_ge_u32 s26, s24
	s_cselect_b32 s7, s17, s7
	s_cselect_b32 s26, s27, s26
	s_add_i32 s17, s7, 1
	s_cmp_ge_u32 s26, s24
	s_cselect_b32 s34, s17, s7
.LBB165_14:                             ;   in Loop: Header=BB165_11 Depth=1
	s_mul_i32 s7, s34, s25
	s_mul_hi_u32 s17, s34, s24
	s_load_dwordx2 s[26:27], s[18:19], 0xc8
	s_add_i32 s7, s17, s7
	s_mul_i32 s17, s35, s24
	s_add_i32 s7, s7, s17
	s_mul_i32 s17, s34, s24
	s_sub_u32 s17, s20, s17
	s_subb_u32 s7, s21, s7
	s_waitcnt lgkmcnt(0)
	s_mul_i32 s7, s26, s7
	s_mul_hi_u32 s20, s26, s17
	s_add_i32 s7, s20, s7
	s_mul_i32 s20, s27, s17
	s_add_i32 s7, s7, s20
	s_mul_i32 s17, s26, s17
	s_add_u32 s28, s17, s28
	s_addc_u32 s29, s7, s29
	s_add_i32 s39, s39, -1
	s_add_u32 s18, s18, -8
	s_addc_u32 s19, s19, -1
	s_cmp_gt_u32 s39, 2
	s_cbranch_scc0 .LBB165_17
; %bb.15:                               ;   in Loop: Header=BB165_11 Depth=1
	s_mov_b64 s[20:21], s[34:35]
	s_branch .LBB165_11
.LBB165_16:                             ;   in Loop: Header=BB165_11 Depth=1
                                        ; implicit-def: $sgpr34_sgpr35
	s_branch .LBB165_13
.LBB165_17:
	s_load_dword s16, s[4:5], 0x508
	s_load_dwordx2 s[18:19], s[14:15], 0xd0
	s_add_u32 s7, s4, 0x370
                                        ; implicit-def: $vgpr59 : SGPR spill to VGPR lane
                                        ; kill: killed $sgpr14 killed $sgpr15
	s_addc_u32 s15, s5, 0
	s_mov_b64 s[42:43], 0
	s_waitcnt lgkmcnt(0)
	s_cmp_lt_i32 s16, 2
	v_writelane_b32 v59, s18, 0
	v_writelane_b32 v59, s19, 1
	s_cbranch_scc1 .LBB165_25
; %bb.18:
	s_mov_b32 s14, 0
	s_add_i32 s36, s16, 1
	s_add_i32 s16, s16, -1
	s_mov_b32 s17, s14
	s_lshl_b64 s[16:17], s[16:17], 3
	s_add_u32 s7, s7, s16
	s_addc_u32 s15, s15, s17
	s_add_u32 s16, s7, 8
	s_addc_u32 s17, s15, 0
.LBB165_19:                             ; =>This Inner Loop Header: Depth=1
	s_load_dwordx2 s[18:19], s[16:17], 0x0
	s_waitcnt lgkmcnt(0)
	s_or_b64 s[20:21], s[8:9], s[18:19]
	s_mov_b32 s15, s21
	s_cmp_lg_u64 s[14:15], 0
	s_cbranch_scc0 .LBB165_24
; %bb.20:                               ;   in Loop: Header=BB165_19 Depth=1
	v_cvt_f32_u32_e32 v1, s18
	v_cvt_f32_u32_e32 v2, s19
	s_sub_u32 s7, 0, s18
	s_subb_u32 s15, 0, s19
	v_mac_f32_e32 v1, 0x4f800000, v2
	v_rcp_f32_e32 v1, v1
	v_mul_f32_e32 v1, 0x5f7ffffc, v1
	v_mul_f32_e32 v2, 0x2f800000, v1
	v_trunc_f32_e32 v2, v2
	v_mac_f32_e32 v1, 0xcf800000, v2
	v_cvt_u32_f32_e32 v2, v2
	v_cvt_u32_f32_e32 v1, v1
	v_readfirstlane_b32 s24, v2
	v_readfirstlane_b32 s20, v1
	s_mul_i32 s21, s7, s24
	s_mul_hi_u32 s26, s7, s20
	s_mul_i32 s25, s15, s20
	s_add_i32 s21, s26, s21
	s_mul_i32 s27, s7, s20
	s_add_i32 s21, s21, s25
	s_mul_i32 s26, s20, s21
	s_mul_hi_u32 s30, s20, s27
	s_mul_hi_u32 s25, s20, s21
	s_add_u32 s26, s30, s26
	s_addc_u32 s25, 0, s25
	s_mul_hi_u32 s31, s24, s27
	s_mul_i32 s27, s24, s27
	s_add_u32 s26, s26, s27
	s_mul_hi_u32 s30, s24, s21
	s_addc_u32 s25, s25, s31
	s_addc_u32 s26, s30, 0
	s_mul_i32 s21, s24, s21
	s_add_u32 s21, s25, s21
	s_addc_u32 s25, 0, s26
	s_add_u32 s26, s20, s21
	s_cselect_b64 s[20:21], -1, 0
	s_cmp_lg_u64 s[20:21], 0
	s_addc_u32 s24, s24, s25
	s_mul_i32 s20, s7, s24
	s_mul_hi_u32 s21, s7, s26
	s_add_i32 s20, s21, s20
	s_mul_i32 s15, s15, s26
	s_add_i32 s20, s20, s15
	s_mul_i32 s7, s7, s26
	s_mul_hi_u32 s21, s24, s7
	s_mul_i32 s25, s24, s7
	s_mul_i32 s30, s26, s20
	s_mul_hi_u32 s7, s26, s7
	s_mul_hi_u32 s27, s26, s20
	s_add_u32 s7, s7, s30
	s_addc_u32 s27, 0, s27
	s_add_u32 s7, s7, s25
	s_mul_hi_u32 s15, s24, s20
	s_addc_u32 s7, s27, s21
	s_addc_u32 s15, s15, 0
	s_mul_i32 s20, s24, s20
	s_add_u32 s7, s7, s20
	s_addc_u32 s15, 0, s15
	s_add_u32 s7, s26, s7
	s_cselect_b64 s[20:21], -1, 0
	s_cmp_lg_u64 s[20:21], 0
	s_addc_u32 s15, s24, s15
	s_mul_i32 s21, s8, s15
	s_mul_hi_u32 s24, s8, s7
	s_mul_hi_u32 s20, s8, s15
	s_add_u32 s21, s24, s21
	s_addc_u32 s20, 0, s20
	s_mul_hi_u32 s25, s9, s7
	s_mul_i32 s7, s9, s7
	s_add_u32 s7, s21, s7
	s_mul_hi_u32 s24, s9, s15
	s_addc_u32 s7, s20, s25
	s_addc_u32 s20, s24, 0
	s_mul_i32 s15, s9, s15
	s_add_u32 s7, s7, s15
	s_addc_u32 s15, 0, s20
	s_mul_i32 s20, s18, s15
	s_mul_hi_u32 s21, s18, s7
	s_add_i32 s20, s21, s20
	s_mul_i32 s21, s19, s7
	s_add_i32 s26, s20, s21
	s_sub_i32 s24, s9, s26
	s_mul_i32 s20, s18, s7
	s_sub_u32 s27, s8, s20
	s_cselect_b64 s[20:21], -1, 0
	s_cmp_lg_u64 s[20:21], 0
	s_subb_u32 s30, s24, s19
	s_sub_u32 s31, s27, s18
	s_cselect_b64 s[24:25], -1, 0
	s_cmp_lg_u64 s[24:25], 0
	s_subb_u32 s24, s30, 0
	s_cmp_ge_u32 s24, s19
	s_cselect_b32 s25, -1, 0
	s_cmp_ge_u32 s31, s18
	s_cselect_b32 s30, -1, 0
	s_cmp_eq_u32 s24, s19
	s_cselect_b32 s24, s30, s25
	s_add_u32 s25, s7, 1
	s_addc_u32 s30, s15, 0
	s_add_u32 s31, s7, 2
	s_addc_u32 s33, s15, 0
	s_cmp_lg_u32 s24, 0
	s_cselect_b32 s24, s31, s25
	s_cselect_b32 s25, s33, s30
	s_cmp_lg_u64 s[20:21], 0
	s_subb_u32 s20, s9, s26
	s_cmp_ge_u32 s20, s19
	s_cselect_b32 s21, -1, 0
	s_cmp_ge_u32 s27, s18
	s_cselect_b32 s26, -1, 0
	s_cmp_eq_u32 s20, s19
	s_cselect_b32 s20, s26, s21
	s_cmp_lg_u32 s20, 0
	s_cselect_b32 s47, s25, s15
	s_cselect_b32 s46, s24, s7
	s_cbranch_execnz .LBB165_22
.LBB165_21:                             ;   in Loop: Header=BB165_19 Depth=1
	v_cvt_f32_u32_e32 v1, s18
	s_sub_i32 s7, 0, s18
	s_mov_b32 s47, s14
	v_rcp_iflag_f32_e32 v1, v1
	v_mul_f32_e32 v1, 0x4f7ffffe, v1
	v_cvt_u32_f32_e32 v1, v1
	v_readfirstlane_b32 s15, v1
	s_mul_i32 s7, s7, s15
	s_mul_hi_u32 s7, s15, s7
	s_add_i32 s15, s15, s7
	s_mul_hi_u32 s7, s8, s15
	s_mul_i32 s20, s7, s18
	s_sub_i32 s20, s8, s20
	s_add_i32 s15, s7, 1
	s_sub_i32 s21, s20, s18
	s_cmp_ge_u32 s20, s18
	s_cselect_b32 s7, s15, s7
	s_cselect_b32 s20, s21, s20
	s_add_i32 s15, s7, 1
	s_cmp_ge_u32 s20, s18
	s_cselect_b32 s46, s15, s7
.LBB165_22:                             ;   in Loop: Header=BB165_19 Depth=1
	s_mul_i32 s7, s46, s19
	s_mul_hi_u32 s15, s46, s18
	s_load_dwordx2 s[20:21], s[16:17], 0xc8
	s_add_i32 s7, s15, s7
	s_mul_i32 s15, s47, s18
	s_add_i32 s7, s7, s15
	s_mul_i32 s15, s46, s18
	s_sub_u32 s8, s8, s15
	s_subb_u32 s7, s9, s7
	s_waitcnt lgkmcnt(0)
	s_mul_i32 s7, s20, s7
	s_mul_hi_u32 s9, s20, s8
	s_add_i32 s7, s9, s7
	s_mul_i32 s9, s21, s8
	s_add_i32 s7, s7, s9
	s_mul_i32 s8, s20, s8
	s_add_u32 s42, s8, s42
	s_addc_u32 s43, s7, s43
	s_add_i32 s36, s36, -1
	s_add_u32 s16, s16, -8
	s_addc_u32 s17, s17, -1
	s_cmp_gt_u32 s36, 2
	s_cbranch_scc0 .LBB165_26
; %bb.23:                               ;   in Loop: Header=BB165_19 Depth=1
	s_mov_b64 s[8:9], s[46:47]
	s_branch .LBB165_19
.LBB165_24:                             ;   in Loop: Header=BB165_19 Depth=1
                                        ; implicit-def: $sgpr46_sgpr47
	s_branch .LBB165_21
.LBB165_25:
	s_mov_b64 s[46:47], s[8:9]
.LBB165_26:
	s_load_dwordx4 s[24:27], s[4:5], 0x1a0
	s_load_dwordx2 s[16:17], s[4:5], 0x0
	s_load_dwordx2 s[8:9], s[4:5], 0x440
	s_mov_b32 s55, 0
	v_cmp_eq_u32_e64 s[14:15], 0, v0
	s_waitcnt lgkmcnt(0)
	v_writelane_b32 v59, s8, 2
	v_writelane_b32 v59, s9, 3
	s_load_dwordx2 s[8:9], s[4:5], 0x1c8
	s_waitcnt lgkmcnt(0)
	v_writelane_b32 v59, s8, 4
	v_writelane_b32 v59, s9, 5
	s_load_dwordx2 s[8:9], s[4:5], 0x370
	s_waitcnt lgkmcnt(0)
	v_writelane_b32 v59, s8, 6
	v_writelane_b32 v59, s9, 7
	s_mov_b64 s[8:9], exec
	v_writelane_b32 v59, s14, 8
	v_writelane_b32 v59, s15, 9
	s_and_b64 s[14:15], s[8:9], s[14:15]
	s_mov_b64 exec, s[14:15]
	s_cbranch_execz .LBB165_28
; %bb.27:
	v_mov_b32_e32 v1, 0
	v_mov_b32_e32 v3, s24
	;; [unrolled: 1-line block ×4, first 2 shown]
	ds_write_b32 v1, v1 offset:5144
	ds_write_b128 v1, v[1:4] offset:5120
.LBB165_28:
	s_or_b64 exec, exec, s[8:9]
	s_mul_i32 s8, s12, s11
	s_mul_hi_u32 s7, s12, s10
	s_add_i32 s8, s7, s8
	s_mul_i32 s7, s13, s10
	s_add_i32 s9, s8, s7
	s_mul_i32 s8, s12, s10
	v_writelane_b32 v59, s4, 10
	s_lshl_b64 s[12:13], s[8:9], 3
	v_writelane_b32 v59, s5, 11
	s_load_dword s5, s[4:5], 0x1b0
	s_add_u32 s8, s16, s12
	s_addc_u32 s9, s17, s13
	s_lshl_b64 s[40:41], s[0:1], 3
	s_add_u32 s62, s8, s40
	s_addc_u32 s63, s9, s41
	s_waitcnt lgkmcnt(0)
	s_bitcmp1_b32 s5, 0
	s_cselect_b64 s[0:1], -1, 0
	v_writelane_b32 v59, s0, 12
	v_writelane_b32 v59, s1, 13
	s_xor_b64 s[0:1], s[0:1], -1
	v_mbcnt_lo_u32_b32 v1, -1, 0
	v_writelane_b32 v59, s0, 14
	v_mbcnt_hi_u32_b32 v49, -1, v1
	v_writelane_b32 v59, s1, 15
	v_cmp_gt_u32_e32 vcc, 64, v0
	v_cmp_gt_i32_e64 s[10:11], 4, v49
	v_mad_u64_u32 v[4:5], s[0:1], s22, v0, 0
	v_mov_b32_e32 v1, 0x180
	s_and_b64 s[0:1], vcc, s[10:11]
	v_mov_b32_e32 v2, 0
	v_writelane_b32 v59, s0, 16
	v_writelane_b32 v59, s1, 17
	v_cmp_gt_u64_e64 s[0:1], s[24:25], v[1:2]
	v_mov_b32_e32 v1, v5
	v_writelane_b32 v59, s0, 18
	v_mov_b32_e32 v19, 0
	v_writelane_b32 v59, s1, 19
	v_mad_u64_u32 v[2:3], s[0:1], s23, v0, v[1:2]
	v_mov_b32_e32 v1, v19
	v_cmp_gt_u64_e64 s[0:1], s[24:25], v[0:1]
	v_writelane_b32 v59, s0, 20
	v_writelane_b32 v59, s1, 21
	v_cmp_gt_u32_e64 s[0:1], 2, v0
	v_writelane_b32 v59, s0, 22
	s_barrier
	v_writelane_b32 v59, s1, 23
	s_load_dword s0, s[2:3], 0xc
	v_mov_b32_e32 v5, v2
	v_lshlrev_b64 v[2:3], 3, v[4:5]
	v_mov_b32_e32 v6, s63
	v_add_co_u32_e32 v16, vcc, s62, v2
	s_waitcnt lgkmcnt(0)
	s_and_b32 s33, s0, 0xffff
	s_bfe_u32 s5, s0, 0xa0006
	s_cmp_gt_u32 s33, 63
	s_cselect_b64 s[0:1], -1, 0
	v_writelane_b32 v59, s0, 24
	v_writelane_b32 v59, s1, 25
	s_add_u32 s0, s33, -1
	s_addc_u32 s1, 0, -1
	v_writelane_b32 v59, s0, 26
	s_add_u32 s0, s0, s24
	v_writelane_b32 v59, s0, 27
	v_writelane_b32 v59, s1, 28
	s_addc_u32 s1, s1, s25
	v_writelane_b32 v59, s0, 29
	s_cmp_lt_u32 s6, s38
	v_addc_co_u32_e32 v17, vcc, v6, v3, vcc
	v_lshlrev_b64 v[6:7], v49, -1
	v_writelane_b32 v59, s1, 30
	s_cselect_b32 s0, 12, 18
	s_add_u32 s0, s2, s0
	v_not_b32_e32 v48, v6
	v_lshrrev_b32_e32 v6, 1, v0
	s_addc_u32 s1, s3, 0
	v_and_b32_e32 v6, 0x1e0, v6
	v_writelane_b32 v59, s0, 31
	v_not_b32_e32 v47, v7
	v_or_b32_e32 v51, 0xc00, v6
	v_writelane_b32 v59, s1, 32
	s_add_i32 s0, s5, -1
	v_lshlrev_b32_e32 v52, 5, v0
	v_mov_b32_e32 v6, s8
	s_bfe_u32 s2, s33, 0x30006
	s_and_b32 s0, s0, 0xffff
	v_or_b32_e32 v9, 24, v52
	v_mov_b32_e32 v7, s9
	s_cmp_gt_u32 s0, 6
	v_mad_u64_u32 v[22:23], s[0:1], s22, v9, v[6:7]
	s_cselect_b64 s[0:1], -1, 0
	v_lshlrev_b32_e32 v8, 2, v49
	v_writelane_b32 v59, s0, 33
	v_and_b32_e32 v46, 0x100, v8
	v_writelane_b32 v59, s1, 34
	s_and_b32 s0, s5, 0x3f8
	v_mov_b32_e32 v8, v23
	v_writelane_b32 v59, s2, 35
	s_cmp_lg_u32 s2, 0
	v_mad_u64_u32 v[8:9], s[2:3], s23, v9, v[8:9]
	v_or_b32_e32 v9, 16, v52
	v_mad_u64_u32 v[24:25], s[2:3], s22, v9, v[6:7]
	s_cselect_b64 s[2:3], -1, 0
	v_writelane_b32 v59, s2, 36
	v_mov_b32_e32 v23, v8
	v_mov_b32_e32 v8, v25
	v_writelane_b32 v59, s3, 37
	v_mad_u64_u32 v[8:9], s[2:3], s23, v9, v[8:9]
	v_or_b32_e32 v9, 8, v52
	v_mad_u64_u32 v[26:27], s[2:3], s22, v9, v[6:7]
	s_add_u32 s1, s12, s40
	s_addc_u32 s4, s13, s41
	s_add_u32 s6, s16, s1
	v_mov_b32_e32 v6, v27
	s_addc_u32 s7, s17, s4
	v_mad_u64_u32 v[6:7], s[2:3], s23, v9, v[6:7]
	v_writelane_b32 v59, s6, 38
	v_writelane_b32 v59, s7, 39
	s_lshl_b64 s[2:3], s[22:23], 5
	v_writelane_b32 v59, s2, 40
	s_lshl_b64 s[36:37], s[22:23], 3
	v_writelane_b32 v59, s3, 41
	s_lshl_b32 s1, s33, 3
	v_lshlrev_b64 v[4:5], 5, v[4:5]
	v_writelane_b32 v59, s1, 42
	s_add_u32 s1, s16, s40
	v_writelane_b32 v59, s16, 43
	s_addc_u32 s2, s17, s41
	v_mov_b32_e32 v27, v6
	v_mov_b32_e32 v6, s9
	v_add_co_u32_e32 v28, vcc, s8, v4
	v_writelane_b32 v59, s17, 44
	s_add_u32 s1, s1, s12
	v_addc_co_u32_e32 v29, vcc, v6, v5, vcc
	v_writelane_b32 v59, s12, 45
	s_addc_u32 s2, s2, s13
	v_mov_b32_e32 v4, s2
	v_add_co_u32_e32 v32, vcc, s1, v2
	s_mul_i32 s1, s23, s33
	s_mul_hi_u32 s2, s22, s33
	s_add_i32 s3, s2, s1
	s_mul_i32 s2, s22, s33
	v_writelane_b32 v59, s13, 46
	s_lshl_b64 s[30:31], s[2:3], 3
	s_mov_b32 s2, 0
	v_cmp_eq_u32_e64 s[72:73], 0, v49
	v_writelane_b32 v59, s2, 47
	v_writelane_b32 v59, s72, 48
	v_lshlrev_b32_e32 v50, 3, v0
	v_mov_b32_e32 v2, 0xc00
	v_mov_b32_e32 v6, 0
	;; [unrolled: 1-line block ×5, first 2 shown]
	v_writelane_b32 v59, s73, 49
	v_lshlrev_b32_e32 v20, 2, v0
	v_mov_b32_e32 v21, v19
	v_mov_b32_e32 v25, v8
	v_addc_co_u32_e32 v33, vcc, v4, v3, vcc
	v_lshl_or_b32 v53, v49, 3, v2
	s_mov_b32 s1, 62
	s_mov_b64 s[76:77], 0
	v_mov_b32_e32 v7, 0
	v_mov_b32_e32 v36, s26
	;; [unrolled: 1-line block ×3, first 2 shown]
	v_add_u32_e32 v54, 0xc00, v50
	v_mov_b32_e32 v55, 0x4f800000
	v_mov_b32_e32 v35, 0
	;; [unrolled: 1-line block ×3, first 2 shown]
	v_writelane_b32 v59, s36, 50
                                        ; implicit-def: $sgpr78_sgpr79
                                        ; implicit-def: $sgpr80_sgpr81
                                        ; implicit-def: $sgpr84_sgpr85
                                        ; implicit-def: $sgpr86_sgpr87
                                        ; implicit-def: $sgpr82_sgpr83
                                        ; implicit-def: $sgpr88_sgpr89
                                        ; implicit-def: $sgpr90_sgpr91
                                        ; implicit-def: $sgpr92_sgpr93
                                        ; implicit-def: $sgpr94_sgpr95
                                        ; implicit-def: $sgpr48_sgpr49
	v_writelane_b32 v59, s37, 51
	s_branch .LBB165_31
.LBB165_29:                             ;   in Loop: Header=BB165_31 Depth=1
	s_or_b64 exec, exec, s[8:9]
	s_andn2_b64 s[8:9], s[48:49], exec
	s_and_b64 s[6:7], s[6:7], exec
	v_mov_b32_e32 v36, v38
	s_or_b64 s[48:49], s[8:9], s[6:7]
	s_andn2_b64 s[94:95], s[94:95], exec
	s_andn2_b64 s[92:93], s[92:93], exec
	s_andn2_b64 s[90:91], s[90:91], exec
	s_andn2_b64 s[88:89], s[88:89], exec
	s_orn2_b64 s[4:5], s[4:5], exec
	v_mov_b32_e32 v37, v39
.LBB165_30:                             ;   in Loop: Header=BB165_31 Depth=1
	s_or_b64 exec, exec, s[2:3]
	s_and_b64 s[2:3], exec, s[4:5]
	s_or_b64 s[76:77], s[2:3], s[76:77]
	s_andn2_b64 s[2:3], s[82:83], exec
	s_and_b64 s[4:5], s[48:49], exec
	s_or_b64 s[82:83], s[2:3], s[4:5]
	s_andn2_b64 s[2:3], s[86:87], exec
	s_and_b64 s[4:5], s[94:95], exec
	;; [unrolled: 3-line block ×5, first 2 shown]
	s_or_b64 s[78:79], s[2:3], s[4:5]
	s_andn2_b64 exec, exec, s[76:77]
	s_cbranch_execz .LBB165_489
.LBB165_31:                             ; =>This Loop Header: Depth=1
                                        ;     Child Loop BB165_37 Depth 2
                                        ;     Child Loop BB165_50 Depth 2
	;; [unrolled: 1-line block ×24, first 2 shown]
	ds_read_b128 v[8:11], v19 offset:5120
	s_waitcnt lgkmcnt(0)
	v_readfirstlane_b32 s3, v9
	v_readfirstlane_b32 s2, v8
	s_cmp_lg_u64 s[2:3], 0
	s_cbranch_scc1 .LBB165_58
; %bb.32:                               ;   in Loop: Header=BB165_31 Depth=1
	v_readlane_b32 s2, v59, 18
	v_readlane_b32 s3, v59, 19
	s_and_b64 vcc, exec, s[2:3]
	s_cbranch_vccz .LBB165_45
; %bb.33:                               ;   in Loop: Header=BB165_31 Depth=1
	s_mov_b64 s[2:3], 0x181
	v_cmp_gt_u64_e32 vcc, s[2:3], v[10:11]
	s_mov_b64 s[2:3], 0
	s_mov_b64 s[4:5], 0
	s_cbranch_vccz .LBB165_46
; %bb.34:                               ;   in Loop: Header=BB165_31 Depth=1
	s_mov_b64 s[4:5], exec
	v_readlane_b32 s6, v59, 20
	v_readlane_b32 s7, v59, 21
	s_and_b64 s[6:7], s[4:5], s[6:7]
	s_mov_b64 exec, s[6:7]
	s_cbranch_execz .LBB165_113
; %bb.35:                               ;   in Loop: Header=BB165_31 Depth=1
	v_readlane_b32 s6, v59, 31
	v_readlane_b32 s7, v59, 32
	s_nop 4
	global_load_ushort v5, v19, s[6:7]
	global_load_dwordx2 v[8:9], v[16:17], off
	v_readlane_b32 s6, v59, 38
	v_readlane_b32 s7, v59, 39
	v_mov_b32_e32 v3, s6
	v_mov_b32_e32 v4, s7
	s_mov_b64 s[8:9], 0
	s_waitcnt vmcnt(1)
	v_readfirstlane_b32 s6, v5
	s_and_b32 s10, 0xffff, s6
	v_add_u32_e32 v10, s10, v0
	v_mad_u64_u32 v[3:4], s[6:7], s36, v10, v[3:4]
	s_mul_i32 s11, s37, s10
	s_mul_i32 s18, s36, s10
	v_mad_u64_u32 v[10:11], s[6:7], s37, v10, v[4:5]
	s_mul_hi_u32 s6, s36, s10
	s_add_i32 s19, s6, s11
	v_mov_b32_e32 v4, v10
	v_mov_b32_e32 v11, v1
	;; [unrolled: 1-line block ×3, first 2 shown]
	s_branch .LBB165_37
.LBB165_36:                             ;   in Loop: Header=BB165_37 Depth=2
	s_or_b64 exec, exec, s[6:7]
	v_mov_b32_e32 v8, s19
	v_add_co_u32_e32 v3, vcc, s18, v3
	v_addc_co_u32_e32 v4, vcc, v4, v8, vcc
	v_mov_b32_e32 v8, v12
	v_mov_b32_e32 v9, v13
	s_andn2_b64 exec, exec, s[8:9]
	s_cbranch_execz .LBB165_113
.LBB165_37:                             ;   Parent Loop BB165_31 Depth=1
                                        ; =>  This Inner Loop Header: Depth=2
	v_add_co_u32_sdwa v10, vcc, v10, v5 dst_sel:DWORD dst_unused:UNUSED_PAD src0_sel:DWORD src1_sel:WORD_0
	v_addc_co_u32_e32 v11, vcc, 0, v11, vcc
	v_cmp_gt_u64_e64 s[6:7], s[24:25], v[10:11]
	v_cmp_le_u64_e32 vcc, s[24:25], v[10:11]
	v_mov_b32_e32 v12, 0
	v_mov_b32_e32 v13, 0
	s_and_saveexec_b64 s[10:11], s[6:7]
	s_cbranch_execz .LBB165_39
; %bb.38:                               ;   in Loop: Header=BB165_37 Depth=2
	global_load_dwordx2 v[12:13], v[3:4], off
.LBB165_39:                             ;   in Loop: Header=BB165_37 Depth=2
	s_or_b64 exec, exec, s[10:11]
	s_waitcnt vmcnt(0) lgkmcnt(0)
	v_xor_b32_e32 v14, 0x80000000, v9
	v_and_b32_e32 v15, v14, v35
	v_and_b32_e32 v14, v8, v34
	v_cmp_eq_u64_e64 s[14:15], v[14:15], v[30:31]
	v_mov_b32_e32 v14, 0
	s_cmp_lg_u64 s[14:15], 0
	s_cselect_b64 s[6:7], -1, 0
	s_and_b64 s[6:7], s[72:73], s[6:7]
	s_and_saveexec_b64 s[10:11], s[6:7]
	s_cbranch_execz .LBB165_43
; %bb.40:                               ;   in Loop: Header=BB165_37 Depth=2
	s_mov_b64 s[16:17], exec
	v_mbcnt_lo_u32_b32 v14, s16, 0
	v_mbcnt_hi_u32_b32 v14, s17, v14
	s_bcnt1_i32_b64 s20, s[14:15]
	v_cmp_eq_u32_e64 s[6:7], 0, v14
                                        ; implicit-def: $vgpr15
	s_and_saveexec_b64 s[12:13], s[6:7]
; %bb.41:                               ;   in Loop: Header=BB165_37 Depth=2
	s_bcnt1_i32_b64 s6, s[16:17]
	s_mul_i32 s6, s20, s6
	v_mov_b32_e32 v15, s6
	ds_add_rtn_u32 v15, v19, v15 offset:5144
; %bb.42:                               ;   in Loop: Header=BB165_37 Depth=2
	s_or_b64 exec, exec, s[12:13]
	s_waitcnt lgkmcnt(0)
	v_readfirstlane_b32 s6, v15
	v_mov_b32_e32 v15, s6
	v_mad_u32_u24 v14, s20, v14, v15
.LBB165_43:                             ;   in Loop: Header=BB165_37 Depth=2
	s_or_b64 exec, exec, s[10:11]
	ds_bpermute_b32 v14, v46, v14
	s_and_b64 s[6:7], exec, vcc
	s_or_b64 s[8:9], s[6:7], s[8:9]
	s_and_saveexec_b64 s[6:7], s[14:15]
	s_cbranch_execz .LBB165_36
; %bb.44:                               ;   in Loop: Header=BB165_37 Depth=2
	v_and_b32_e32 v18, s14, v48
	v_and_b32_e32 v15, s15, v47
	v_bcnt_u32_b32 v18, v18, 0
	v_bcnt_u32_b32 v15, v15, v18
	v_lshlrev_b32_e32 v15, 3, v15
	s_waitcnt lgkmcnt(0)
	v_lshl_add_u32 v14, v14, 3, v15
	ds_write_b64 v14, v[8:9]
	s_branch .LBB165_36
.LBB165_45:                             ;   in Loop: Header=BB165_31 Depth=1
	s_mov_b64 s[2:3], -1
	s_mov_b64 s[4:5], 0
.LBB165_46:                             ;   in Loop: Header=BB165_31 Depth=1
	s_and_b64 vcc, exec, s[2:3]
	s_cbranch_vccz .LBB165_56
.LBB165_47:                             ;   in Loop: Header=BB165_31 Depth=1
	s_mov_b64 s[2:3], exec
	v_readlane_b32 s4, v59, 20
	v_readlane_b32 s5, v59, 21
	s_and_b64 s[4:5], s[2:3], s[4:5]
	s_mov_b64 exec, s[4:5]
	s_cbranch_execz .LBB165_53
; %bb.48:                               ;   in Loop: Header=BB165_31 Depth=1
	v_readlane_b32 s4, v59, 31
	v_readlane_b32 s5, v59, 32
	s_nop 4
	global_load_ushort v5, v19, s[4:5]
	global_load_dwordx2 v[3:4], v[16:17], off
	s_waitcnt vmcnt(1)
	v_add_u32_sdwa v18, v5, v0 dst_sel:DWORD dst_unused:UNUSED_PAD src0_sel:WORD_0 src1_sel:DWORD
	v_cmp_gt_u64_e32 vcc, s[24:25], v[18:19]
	v_readfirstlane_b32 s6, v5
	v_mov_b32_e32 v5, v0
	s_and_saveexec_b64 s[4:5], vcc
	s_cbranch_execz .LBB165_52
; %bb.49:                               ;   in Loop: Header=BB165_31 Depth=1
	v_readlane_b32 s8, v59, 38
	v_readlane_b32 s9, v59, 39
	v_mov_b32_e32 v8, s8
	v_mov_b32_e32 v9, s9
	v_mad_u64_u32 v[8:9], s[8:9], s36, v18, v[8:9]
	s_and_b32 s8, s6, 0xffff
	v_mov_b32_e32 v12, v18
	v_mov_b32_e32 v5, v9
	v_mad_u64_u32 v[9:10], s[6:7], s37, v18, v[5:6]
	s_mul_i32 s6, s37, s8
	s_mul_hi_u32 s7, s36, s8
	v_mov_b32_e32 v15, v1
	s_add_i32 s9, s7, s6
	s_mov_b64 s[6:7], 0
	v_mov_b32_e32 v13, v19
	v_mov_b32_e32 v14, v0
.LBB165_50:                             ;   Parent Loop BB165_31 Depth=1
                                        ; =>  This Inner Loop Header: Depth=2
	global_load_dwordx2 v[10:11], v[8:9], off
	v_mov_b32_e32 v39, v13
	s_mul_i32 s10, s36, s8
	v_mov_b32_e32 v38, v12
	v_mov_b32_e32 v12, s9
	v_add_co_u32_e32 v8, vcc, s10, v8
	v_addc_co_u32_e32 v9, vcc, v9, v12, vcc
	v_add_co_u32_e32 v12, vcc, s8, v38
	v_addc_co_u32_e32 v13, vcc, 0, v39, vcc
	v_lshlrev_b32_e32 v5, 3, v14
	v_cmp_le_u64_e32 vcc, s[24:25], v[12:13]
	s_waitcnt vmcnt(1)
	ds_write_b64 v5, v[3:4]
	v_mov_b32_e32 v14, v38
	s_or_b64 s[6:7], vcc, s[6:7]
	v_mov_b32_e32 v15, v39
	s_waitcnt vmcnt(0)
	v_mov_b32_e32 v3, v10
	v_mov_b32_e32 v4, v11
	s_andn2_b64 exec, exec, s[6:7]
	s_cbranch_execnz .LBB165_50
; %bb.51:                               ;   in Loop: Header=BB165_31 Depth=1
	s_or_b64 exec, exec, s[6:7]
	v_mov_b32_e32 v3, v10
	v_subrev_u32_e32 v5, s8, v12
	v_mov_b32_e32 v4, v11
.LBB165_52:                             ;   in Loop: Header=BB165_31 Depth=1
	s_or_b64 exec, exec, s[4:5]
	v_lshlrev_b32_e32 v5, 3, v5
	s_waitcnt vmcnt(0)
	ds_write_b64 v5, v[3:4]
.LBB165_53:                             ;   in Loop: Header=BB165_31 Depth=1
	s_or_b64 exec, exec, s[2:3]
	s_waitcnt lgkmcnt(0)
	s_barrier
	s_mov_b64 s[2:3], exec
	v_readlane_b32 s4, v59, 8
	v_readlane_b32 s5, v59, 9
	s_and_b64 s[4:5], s[2:3], s[4:5]
	s_mov_b64 exec, s[4:5]
; %bb.54:                               ;   in Loop: Header=BB165_31 Depth=1
	v_mov_b32_e32 v3, s24
	v_mov_b32_e32 v4, s25
	ds_write_b64 v19, v[3:4] offset:5120
; %bb.55:                               ;   in Loop: Header=BB165_31 Depth=1
	s_or_b64 exec, exec, s[2:3]
	s_waitcnt lgkmcnt(0)
	s_barrier
	s_mov_b64 s[4:5], -1
.LBB165_56:                             ;   in Loop: Header=BB165_31 Depth=1
	s_mov_b64 s[2:3], 0
	s_and_b64 vcc, exec, s[4:5]
	s_cbranch_vccz .LBB165_58
; %bb.57:                               ;   in Loop: Header=BB165_31 Depth=1
	ds_read_b64 v[3:4], v19 offset:5120
	s_waitcnt lgkmcnt(0)
	v_readfirstlane_b32 s2, v3
.LBB165_58:                             ;   in Loop: Header=BB165_31 Depth=1
	s_cmp_lt_i32 s2, 1
	s_mov_b64 s[4:5], -1
                                        ; implicit-def: $vgpr14_vgpr15
                                        ; implicit-def: $vgpr10_vgpr11
	s_cbranch_scc0 .LBB165_73
; %bb.59:                               ;   in Loop: Header=BB165_31 Depth=1
	v_readlane_b32 s4, v59, 31
	v_readlane_b32 s5, v59, 32
	s_nop 4
	global_load_ushort v3, v19, s[4:5]
	s_mov_b32 s4, s55
	s_mov_b32 s5, s25
	s_waitcnt vmcnt(0)
	v_readfirstlane_b32 s3, v3
	s_and_b32 s3, s3, 0xffff
	s_lshl_b32 s50, s3, 2
	s_cmp_lg_u64 s[4:5], 0
	s_cbranch_scc0 .LBB165_91
; %bb.60:                               ;   in Loop: Header=BB165_31 Depth=1
	v_cvt_f32_u32_e32 v3, s50
	s_sub_u32 s6, 0, s50
	s_subb_u32 s7, 0, 0
	v_mac_f32_e32 v3, 0, v55
	v_rcp_f32_e32 v3, v3
	v_mul_f32_e32 v3, 0x5f7ffffc, v3
	v_mul_f32_e32 v4, 0x2f800000, v3
	v_trunc_f32_e32 v4, v4
	v_mac_f32_e32 v3, 0xcf800000, v4
	v_cvt_u32_f32_e32 v4, v4
	v_cvt_u32_f32_e32 v3, v3
	v_readfirstlane_b32 s8, v4
	v_readfirstlane_b32 s4, v3
	s_mul_i32 s5, s6, s8
	s_mul_hi_u32 s10, s6, s4
	s_mul_i32 s9, s7, s4
	s_add_i32 s5, s10, s5
	s_mul_i32 s11, s6, s4
	s_add_i32 s5, s5, s9
	s_mul_hi_u32 s10, s4, s11
	s_mul_i32 s12, s4, s5
	s_mul_hi_u32 s9, s4, s5
	s_add_u32 s10, s10, s12
	s_addc_u32 s9, 0, s9
	s_mul_hi_u32 s13, s8, s11
	s_mul_i32 s11, s8, s11
	s_add_u32 s10, s10, s11
	s_mul_hi_u32 s12, s8, s5
	s_addc_u32 s9, s9, s13
	s_addc_u32 s10, s12, 0
	s_mul_i32 s5, s8, s5
	s_add_u32 s5, s9, s5
	s_addc_u32 s9, 0, s10
	s_add_u32 s10, s4, s5
	s_cselect_b64 s[4:5], -1, 0
	s_cmp_lg_u64 s[4:5], 0
	s_addc_u32 s8, s8, s9
	s_mul_i32 s4, s6, s8
	s_mul_hi_u32 s5, s6, s10
	s_add_i32 s4, s5, s4
	s_mul_i32 s7, s7, s10
	s_add_i32 s4, s4, s7
	s_mul_i32 s6, s6, s10
	s_mul_hi_u32 s7, s8, s6
	s_mul_i32 s9, s8, s6
	s_mul_i32 s12, s10, s4
	s_mul_hi_u32 s6, s10, s6
	s_mul_hi_u32 s11, s10, s4
	s_add_u32 s6, s6, s12
	s_addc_u32 s11, 0, s11
	s_add_u32 s6, s6, s9
	s_mul_hi_u32 s5, s8, s4
	s_addc_u32 s6, s11, s7
	s_addc_u32 s5, s5, 0
	s_mul_i32 s4, s8, s4
	s_add_u32 s4, s6, s4
	s_addc_u32 s6, 0, s5
	s_add_u32 s7, s10, s4
	s_cselect_b64 s[4:5], -1, 0
	s_cmp_lg_u64 s[4:5], 0
	s_addc_u32 s4, s8, s6
	s_mul_i32 s6, s24, s4
	s_mul_hi_u32 s8, s24, s7
	s_mul_hi_u32 s5, s24, s4
	s_add_u32 s6, s8, s6
	s_addc_u32 s5, 0, s5
	s_mul_hi_u32 s9, s25, s7
	s_mul_i32 s7, s25, s7
	s_add_u32 s6, s6, s7
	s_mul_hi_u32 s8, s25, s4
	s_addc_u32 s5, s5, s9
	s_addc_u32 s6, s8, 0
	s_mul_i32 s4, s25, s4
	s_add_u32 s4, s5, s4
	s_addc_u32 s5, 0, s6
	s_mul_i32 s5, s50, s5
	s_mul_hi_u32 s6, s50, s4
	s_add_i32 s6, s6, s5
	s_mul_i32 s4, s50, s4
	s_sub_u32 s7, s24, s4
	s_cselect_b64 s[4:5], -1, 0
	s_cmp_lg_u64 s[4:5], 0
	s_subb_u32 s6, s25, s6
	s_sub_u32 s8, s7, s50
	s_cselect_b64 s[4:5], -1, 0
	s_cmp_lg_u64 s[4:5], 0
	s_subb_u32 s9, s6, 0
	;; [unrolled: 4-line block ×3, first 2 shown]
	s_cmp_ge_u32 s8, s50
	s_cselect_b32 s5, -1, 0
	s_cmp_eq_u32 s9, 0
	s_cselect_b32 s5, s5, -1
	s_cmp_lg_u32 s5, 0
	s_cselect_b32 s4, s4, s9
	s_cselect_b32 s8, s10, s8
	s_cmp_ge_u32 s7, s50
	s_cselect_b32 s5, -1, 0
	s_cmp_eq_u32 s6, 0
	s_cselect_b32 s5, s5, -1
	s_cmp_lg_u32 s5, 0
	s_cselect_b32 s5, s4, s6
	s_cselect_b32 s4, s8, s7
	s_cbranch_execnz .LBB165_62
.LBB165_61:                             ;   in Loop: Header=BB165_31 Depth=1
	v_cvt_f32_u32_e32 v3, s50
	s_sub_i32 s4, 0, s50
	v_rcp_iflag_f32_e32 v3, v3
	v_mul_f32_e32 v3, 0x4f7ffffe, v3
	v_cvt_u32_f32_e32 v3, v3
	v_readfirstlane_b32 s5, v3
	s_mul_i32 s4, s4, s5
	s_mul_hi_u32 s4, s5, s4
	s_add_i32 s5, s5, s4
	s_mul_hi_u32 s4, s24, s5
	s_mul_i32 s4, s4, s50
	s_sub_i32 s4, s24, s4
	s_sub_i32 s5, s4, s50
	s_cmp_ge_u32 s4, s50
	s_cselect_b32 s4, s5, s4
	s_sub_i32 s5, s4, s50
	s_cmp_ge_u32 s4, s50
	s_cselect_b32 s54, s5, s4
	s_mov_b64 s[4:5], s[54:55]
.LBB165_62:                             ;   in Loop: Header=BB165_31 Depth=1
	s_sub_u32 s8, s24, s4
	s_subb_u32 s9, s25, s5
	v_cmp_gt_u64_e32 vcc, s[8:9], v[20:21]
	v_mov_b32_e32 v8, 0
	v_mov_b32_e32 v10, 0
	;; [unrolled: 1-line block ×8, first 2 shown]
	s_and_saveexec_b64 s[10:11], vcc
	s_cbranch_execz .LBB165_66
; %bb.63:                               ;   in Loop: Header=BB165_31 Depth=1
	v_readlane_b32 s6, v59, 40
	v_readlane_b32 s7, v59, 41
	s_mul_i32 s4, s7, s3
	s_mul_hi_u32 s5, s6, s3
	v_mov_b32_e32 v3, v28
	v_mov_b32_e32 v39, v27
	;; [unrolled: 1-line block ×5, first 2 shown]
	s_add_i32 s4, s5, s4
	s_mul_i32 s5, s6, s3
	s_mov_b64 s[20:21], 0
	v_mov_b32_e32 v4, v29
	v_mov_b32_e32 v38, v26
	;; [unrolled: 1-line block ×4, first 2 shown]
	s_mov_b64 s[12:13], 0
	s_mov_b64 s[36:37], 0
	s_mov_b64 s[38:39], 0
	s_mov_b64 s[44:45], 0
	v_mov_b32_e32 v44, v20
.LBB165_64:                             ;   Parent Loop BB165_31 Depth=1
                                        ; =>  This Inner Loop Header: Depth=2
	v_add_co_u32_e32 v8, vcc, s40, v3
	v_mov_b32_e32 v5, s41
	v_addc_co_u32_e32 v9, vcc, v4, v5, vcc
	global_load_dwordx2 v[8:9], v[8:9], off
	v_add_co_u32_e32 v10, vcc, s40, v38
	v_addc_co_u32_e32 v11, vcc, v39, v5, vcc
	global_load_dwordx2 v[14:15], v[10:11], off
	v_add_co_u32_e32 v10, vcc, s40, v40
	v_addc_co_u32_e32 v11, vcc, v41, v5, vcc
	global_load_dwordx2 v[10:11], v[10:11], off
	v_add_co_u32_e32 v12, vcc, s40, v42
	v_addc_co_u32_e32 v13, vcc, v43, v5, vcc
	global_load_dwordx2 v[12:13], v[12:13], off
	s_waitcnt vmcnt(3)
	v_xor_b32_e32 v9, 0x80000000, v9
	v_and_b32_e32 v57, v9, v35
	v_and_b32_e32 v56, v8, v34
	v_lshrrev_b64 v[8:9], s1, v[8:9]
	v_cmp_eq_u64_e32 vcc, v[56:57], v[30:31]
	s_waitcnt vmcnt(2)
	v_xor_b32_e32 v15, 0x80000000, v15
	v_and_b32_e32 v18, 3, v8
	v_lshrrev_b64 v[8:9], s1, v[14:15]
	v_and_b32_e32 v57, v15, v35
	v_and_b32_e32 v56, v14, v34
	s_waitcnt vmcnt(1)
	v_xor_b32_e32 v11, 0x80000000, v11
	v_cmp_eq_u64_e64 s[6:7], 0, v[18:19]
	v_cmp_eq_u64_e64 s[14:15], v[56:57], v[30:31]
	v_and_b32_e32 v57, v11, v35
	v_and_b32_e32 v56, v10, v34
	;; [unrolled: 1-line block ×3, first 2 shown]
	v_mov_b32_e32 v9, v19
	v_lshrrev_b64 v[10:11], s1, v[10:11]
	s_waitcnt vmcnt(0)
	v_xor_b32_e32 v13, 0x80000000, v13
	s_and_b64 s[52:53], vcc, s[6:7]
	v_cmp_eq_u64_e64 s[6:7], 0, v[8:9]
	v_cmp_eq_u64_e64 s[16:17], v[56:57], v[30:31]
	v_and_b32_e32 v57, v13, v35
	v_and_b32_e32 v56, v12, v34
	;; [unrolled: 1-line block ×3, first 2 shown]
	v_mov_b32_e32 v11, v19
	v_lshrrev_b64 v[12:13], s1, v[12:13]
	s_and_b64 s[56:57], s[14:15], s[6:7]
	v_cmp_eq_u64_e64 s[6:7], 0, v[10:11]
	v_and_b32_e32 v12, 3, v12
	v_mov_b32_e32 v13, v19
	v_cmp_eq_u64_e64 s[18:19], v[56:57], v[30:31]
	s_and_b64 s[58:59], s[16:17], s[6:7]
	v_cmp_eq_u64_e64 s[6:7], 0, v[12:13]
	v_cndmask_b32_e64 v5, 0, 1, s[52:53]
	s_and_b64 s[60:61], s[18:19], s[6:7]
	v_cmp_ne_u32_e64 s[6:7], 0, v5
	v_cndmask_b32_e64 v5, 0, 1, s[56:57]
	s_bcnt1_i32_b64 s51, s[6:7]
	v_cmp_ne_u32_e64 s[6:7], 0, v5
	v_cndmask_b32_e64 v5, 0, 1, s[58:59]
	s_bcnt1_i32_b64 s52, s[6:7]
	;; [unrolled: 3-line block ×3, first 2 shown]
	v_cmp_ne_u32_e64 s[6:7], 0, v5
	s_bcnt1_i32_b64 s6, s[6:7]
	s_add_u32 s7, s51, s44
	s_addc_u32 s44, 0, s45
	s_add_u32 s7, s7, s52
	s_addc_u32 s44, s44, 0
	;; [unrolled: 2-line block ×3, first 2 shown]
	s_add_u32 s44, s7, s6
	v_cmp_eq_u64_e64 s[6:7], 1, v[18:19]
	s_addc_u32 s45, s45, 0
	s_and_b64 s[52:53], vcc, s[6:7]
	v_cmp_eq_u64_e64 s[6:7], 1, v[8:9]
	v_cndmask_b32_e64 v5, 0, 1, s[52:53]
	s_and_b64 s[56:57], s[14:15], s[6:7]
	v_cmp_eq_u64_e64 s[6:7], 1, v[10:11]
	s_and_b64 s[58:59], s[16:17], s[6:7]
	v_cmp_eq_u64_e64 s[6:7], 1, v[12:13]
	s_and_b64 s[60:61], s[18:19], s[6:7]
	v_cmp_ne_u32_e64 s[6:7], 0, v5
	v_cndmask_b32_e64 v5, 0, 1, s[56:57]
	s_bcnt1_i32_b64 s51, s[6:7]
	v_cmp_ne_u32_e64 s[6:7], 0, v5
	v_cndmask_b32_e64 v5, 0, 1, s[58:59]
	s_bcnt1_i32_b64 s52, s[6:7]
	;; [unrolled: 3-line block ×3, first 2 shown]
	v_cmp_ne_u32_e64 s[6:7], 0, v5
	s_bcnt1_i32_b64 s6, s[6:7]
	s_add_u32 s7, s51, s38
	s_addc_u32 s38, 0, s39
	s_add_u32 s7, s7, s52
	s_addc_u32 s38, s38, 0
	;; [unrolled: 2-line block ×3, first 2 shown]
	s_add_u32 s38, s7, s6
	v_cmp_eq_u64_e64 s[6:7], 2, v[18:19]
	s_addc_u32 s39, s39, 0
	s_and_b64 s[52:53], vcc, s[6:7]
	v_cmp_eq_u64_e64 s[6:7], 2, v[8:9]
	v_cndmask_b32_e64 v5, 0, 1, s[52:53]
	s_and_b64 s[56:57], s[14:15], s[6:7]
	v_cmp_eq_u64_e64 s[6:7], 2, v[10:11]
	s_and_b64 s[58:59], s[16:17], s[6:7]
	v_cmp_eq_u64_e64 s[6:7], 2, v[12:13]
	s_and_b64 s[60:61], s[18:19], s[6:7]
	v_cmp_ne_u32_e64 s[6:7], 0, v5
	v_cndmask_b32_e64 v5, 0, 1, s[56:57]
	s_bcnt1_i32_b64 s51, s[6:7]
	v_cmp_ne_u32_e64 s[6:7], 0, v5
	v_cndmask_b32_e64 v5, 0, 1, s[58:59]
	s_bcnt1_i32_b64 s52, s[6:7]
	;; [unrolled: 3-line block ×3, first 2 shown]
	v_cmp_ne_u32_e64 s[6:7], 0, v5
	s_bcnt1_i32_b64 s6, s[6:7]
	s_add_u32 s7, s51, s36
	s_addc_u32 s36, 0, s37
	s_add_u32 s7, s7, s52
	s_addc_u32 s36, s36, 0
	;; [unrolled: 2-line block ×3, first 2 shown]
	s_add_u32 s36, s7, s6
	v_cmp_eq_u64_e64 s[6:7], 3, v[18:19]
	s_addc_u32 s37, s37, 0
	s_and_b64 s[6:7], vcc, s[6:7]
	v_cmp_eq_u64_e32 vcc, 3, v[8:9]
	v_cndmask_b32_e64 v5, 0, 1, s[6:7]
	s_and_b64 s[14:15], s[14:15], vcc
	v_cmp_eq_u64_e32 vcc, 3, v[10:11]
	v_mov_b32_e32 v8, s44
	s_and_b64 s[16:17], s[16:17], vcc
	v_cmp_eq_u64_e32 vcc, 3, v[12:13]
	v_mov_b32_e32 v10, s38
	s_and_b64 s[18:19], s[18:19], vcc
	v_cmp_ne_u32_e32 vcc, 0, v5
	v_cndmask_b32_e64 v5, 0, 1, s[14:15]
	s_bcnt1_i32_b64 s6, vcc
	v_cmp_ne_u32_e32 vcc, 0, v5
	v_cndmask_b32_e64 v5, 0, 1, s[16:17]
	s_bcnt1_i32_b64 s7, vcc
	;; [unrolled: 3-line block ×3, first 2 shown]
	v_cmp_ne_u32_e32 vcc, 0, v5
	s_bcnt1_i32_b64 s15, vcc
	v_add_co_u32_e32 v44, vcc, s50, v44
	v_addc_co_u32_e32 v45, vcc, 0, v45, vcc
	v_add_co_u32_e32 v42, vcc, s5, v42
	v_mov_b32_e32 v5, s4
	s_add_u32 s6, s6, s12
	v_addc_co_u32_e32 v43, vcc, v43, v5, vcc
	s_addc_u32 s12, 0, s13
	v_add_co_u32_e32 v40, vcc, s5, v40
	s_add_u32 s6, s6, s7
	v_addc_co_u32_e32 v41, vcc, v41, v5, vcc
	s_addc_u32 s7, s12, 0
	v_add_co_u32_e32 v38, vcc, s5, v38
	;; [unrolled: 4-line block ×3, first 2 shown]
	s_add_u32 s12, s6, s15
	v_addc_co_u32_e32 v4, vcc, v4, v5, vcc
	s_addc_u32 s13, s7, 0
	v_cmp_le_u64_e32 vcc, s[8:9], v[44:45]
	v_mov_b32_e32 v12, s36
	v_mov_b32_e32 v15, s13
	s_or_b64 s[20:21], vcc, s[20:21]
	v_mov_b32_e32 v9, s45
	v_mov_b32_e32 v11, s39
	;; [unrolled: 1-line block ×4, first 2 shown]
	s_andn2_b64 exec, exec, s[20:21]
	s_cbranch_execnz .LBB165_64
; %bb.65:                               ;   in Loop: Header=BB165_31 Depth=1
	s_or_b64 exec, exec, s[20:21]
.LBB165_66:                             ;   in Loop: Header=BB165_31 Depth=1
	s_or_b64 exec, exec, s[10:11]
	v_mov_b32_e32 v4, s9
	v_add_co_u32_e32 v3, vcc, s8, v0
	v_addc_co_u32_e32 v4, vcc, 0, v4, vcc
	v_cmp_gt_u64_e32 vcc, s[24:25], v[3:4]
	s_and_saveexec_b64 s[4:5], vcc
	s_cbranch_execz .LBB165_72
; %bb.67:                               ;   in Loop: Header=BB165_31 Depth=1
	v_mul_lo_u32 v5, v4, s22
	v_mul_lo_u32 v18, v3, s23
	v_mad_u64_u32 v[38:39], s[6:7], v3, s22, 0
	s_mov_b64 s[8:9], 0
	v_add3_u32 v39, v39, v18, v5
	v_lshlrev_b64 v[38:39], 3, v[38:39]
	v_mov_b32_e32 v5, s63
	v_add_co_u32_e32 v38, vcc, s62, v38
	v_addc_co_u32_e32 v39, vcc, v5, v39, vcc
	global_load_dwordx2 v[40:41], v[38:39], off
	s_branch .LBB165_69
.LBB165_68:                             ;   in Loop: Header=BB165_69 Depth=2
	s_or_b64 exec, exec, s[10:11]
	s_waitcnt vmcnt(0)
	v_xor_b32_e32 v41, 0x80000000, v41
	v_and_b32_e32 v43, v41, v35
	v_and_b32_e32 v42, v40, v34
	v_lshrrev_b64 v[40:41], s1, v[40:41]
	s_and_b64 s[6:7], exec, vcc
	v_and_b32_e32 v18, 3, v40
	s_or_b64 s[8:9], s[6:7], s[8:9]
	v_cmp_eq_u64_e32 vcc, v[42:43], v[30:31]
	v_cmp_eq_u64_e64 s[6:7], 0, v[18:19]
	v_mov_b32_e32 v41, v39
	s_and_b64 s[6:7], vcc, s[6:7]
	v_cndmask_b32_e64 v5, 0, 1, s[6:7]
	v_cmp_ne_u32_e64 s[6:7], 0, v5
	s_bcnt1_i32_b64 s6, s[6:7]
	v_add_co_u32_e64 v8, s[6:7], s6, v8
	v_addc_co_u32_e64 v9, s[6:7], 0, v9, s[6:7]
	v_cmp_eq_u64_e64 s[6:7], 1, v[18:19]
	v_mov_b32_e32 v40, v38
	s_and_b64 s[6:7], vcc, s[6:7]
	v_cndmask_b32_e64 v5, 0, 1, s[6:7]
	v_cmp_ne_u32_e64 s[6:7], 0, v5
	s_bcnt1_i32_b64 s6, s[6:7]
	v_add_co_u32_e64 v10, s[6:7], s6, v10
	v_addc_co_u32_e64 v11, s[6:7], 0, v11, s[6:7]
	v_cmp_eq_u64_e64 s[6:7], 2, v[18:19]
	s_and_b64 s[6:7], vcc, s[6:7]
	v_cndmask_b32_e64 v5, 0, 1, s[6:7]
	v_cmp_ne_u32_e64 s[6:7], 0, v5
	s_bcnt1_i32_b64 s6, s[6:7]
	v_add_co_u32_e64 v12, s[6:7], s6, v12
	v_addc_co_u32_e64 v13, s[6:7], 0, v13, s[6:7]
	v_cmp_eq_u64_e64 s[6:7], 3, v[18:19]
	s_and_b64 s[6:7], vcc, s[6:7]
	v_cndmask_b32_e64 v5, 0, 1, s[6:7]
	v_cmp_ne_u32_e32 vcc, 0, v5
	s_bcnt1_i32_b64 s6, vcc
	v_add_co_u32_e32 v14, vcc, s6, v14
	v_addc_co_u32_e32 v15, vcc, 0, v15, vcc
	s_andn2_b64 exec, exec, s[8:9]
	s_cbranch_execz .LBB165_71
.LBB165_69:                             ;   Parent Loop BB165_31 Depth=1
                                        ; =>  This Inner Loop Header: Depth=2
	v_add_co_u32_e32 v3, vcc, s3, v3
	v_addc_co_u32_e32 v4, vcc, 0, v4, vcc
	v_cmp_gt_u64_e64 s[6:7], s[24:25], v[3:4]
	v_cmp_le_u64_e32 vcc, s[24:25], v[3:4]
	v_mov_b32_e32 v38, 0
	v_mov_b32_e32 v39, 0
	s_and_saveexec_b64 s[10:11], s[6:7]
	s_cbranch_execz .LBB165_68
; %bb.70:                               ;   in Loop: Header=BB165_69 Depth=2
	v_mul_lo_u32 v5, v4, s22
	v_mul_lo_u32 v18, v3, s23
	v_mad_u64_u32 v[38:39], s[6:7], v3, s22, 0
	v_add3_u32 v39, v39, v18, v5
	v_lshlrev_b64 v[38:39], 3, v[38:39]
	v_mov_b32_e32 v5, s63
	v_add_co_u32_e64 v38, s[6:7], s62, v38
	v_addc_co_u32_e64 v39, s[6:7], v5, v39, s[6:7]
	global_load_dwordx2 v[38:39], v[38:39], off
	s_branch .LBB165_68
.LBB165_71:                             ;   in Loop: Header=BB165_31 Depth=1
	s_or_b64 exec, exec, s[8:9]
.LBB165_72:                             ;   in Loop: Header=BB165_31 Depth=1
	s_or_b64 exec, exec, s[4:5]
	s_mov_b64 s[4:5], 0
.LBB165_73:                             ;   in Loop: Header=BB165_31 Depth=1
	s_and_b64 vcc, exec, s[4:5]
	s_cbranch_vccz .LBB165_83
; %bb.74:                               ;   in Loop: Header=BB165_31 Depth=1
	v_readlane_b32 s4, v59, 31
	v_readlane_b32 s5, v59, 32
	v_mov_b32_e32 v8, 0
	v_mov_b32_e32 v10, 0
	;; [unrolled: 1-line block ×5, first 2 shown]
	global_load_ushort v5, v19, s[4:5]
	v_mov_b32_e32 v11, 0
	v_mov_b32_e32 v13, 0
	;; [unrolled: 1-line block ×3, first 2 shown]
	s_waitcnt vmcnt(0)
	v_readfirstlane_b32 s3, v5
	s_and_b32 s4, 0xffff, s3
	s_lshl_b32 s3, s4, 2
	v_cvt_f32_u32_e32 v3, s3
	s_sub_i32 s5, 0, s3
	v_rcp_iflag_f32_e32 v3, v3
	v_mul_f32_e32 v3, 0x4f7ffffe, v3
	v_cvt_u32_f32_e32 v3, v3
	v_readfirstlane_b32 s6, v3
	s_mul_i32 s5, s5, s6
	s_mul_hi_u32 s5, s6, s5
	s_add_i32 s6, s6, s5
	s_mul_hi_u32 s5, s2, s6
	s_mul_i32 s6, s5, s3
	s_sub_i32 s6, s2, s6
	s_add_i32 s7, s5, 1
	s_sub_i32 s8, s6, s3
	s_cmp_ge_u32 s6, s3
	s_cselect_b32 s5, s7, s5
	s_cselect_b32 s6, s8, s6
	s_add_i32 s7, s5, 1
	s_cmp_ge_u32 s6, s3
	s_cselect_b32 s5, s7, s5
	s_mul_hi_u32 s9, s4, s5
	s_mul_i32 s8, s4, s5
	s_lshl_b64 s[10:11], s[8:9], 2
	v_cmp_gt_u64_e32 vcc, s[10:11], v[20:21]
	s_and_saveexec_b64 s[12:13], vcc
	s_cbranch_execz .LBB165_78
; %bb.75:                               ;   in Loop: Header=BB165_31 Depth=1
	v_mov_b32_e32 v3, v20
	s_lshl_b32 s5, s4, 5
	s_mov_b64 s[20:21], 0
	v_mov_b32_e32 v38, v52
	s_mov_b64 s[36:37], 0
	s_mov_b64 s[38:39], 0
	s_mov_b64 s[44:45], 0
	s_mov_b64 s[50:51], 0
	v_mov_b32_e32 v4, v21
.LBB165_76:                             ;   Parent Loop BB165_31 Depth=1
                                        ; =>  This Inner Loop Header: Depth=2
	ds_read_b128 v[12:15], v38
	ds_read_b128 v[8:11], v38 offset:16
	v_add_u32_e32 v38, s5, v38
	s_waitcnt lgkmcnt(1)
	v_xor_b32_e32 v13, 0x80000000, v13
	v_and_b32_e32 v40, v13, v35
	v_and_b32_e32 v39, v12, v34
	v_lshrrev_b64 v[12:13], s1, v[12:13]
	v_xor_b32_e32 v15, 0x80000000, v15
	v_and_b32_e32 v18, 3, v12
	v_lshrrev_b64 v[12:13], s1, v[14:15]
	s_waitcnt lgkmcnt(0)
	v_xor_b32_e32 v9, 0x80000000, v9
	v_cmp_eq_u64_e32 vcc, v[39:40], v[30:31]
	v_and_b32_e32 v40, v15, v35
	v_and_b32_e32 v39, v14, v34
	v_cmp_eq_u64_e64 s[6:7], 0, v[18:19]
	v_cmp_eq_u64_e64 s[14:15], v[39:40], v[30:31]
	v_and_b32_e32 v40, v9, v35
	v_and_b32_e32 v39, v8, v34
	;; [unrolled: 1-line block ×3, first 2 shown]
	v_mov_b32_e32 v13, v19
	v_lshrrev_b64 v[8:9], s1, v[8:9]
	v_xor_b32_e32 v11, 0x80000000, v11
	s_and_b64 s[52:53], vcc, s[6:7]
	v_cmp_eq_u64_e64 s[6:7], 0, v[12:13]
	v_cmp_eq_u64_e64 s[16:17], v[39:40], v[30:31]
	v_and_b32_e32 v40, v11, v35
	v_and_b32_e32 v39, v10, v34
	;; [unrolled: 1-line block ×3, first 2 shown]
	v_mov_b32_e32 v9, v19
	v_lshrrev_b64 v[10:11], s1, v[10:11]
	s_and_b64 s[56:57], s[14:15], s[6:7]
	v_cmp_eq_u64_e64 s[6:7], 0, v[8:9]
	v_and_b32_e32 v10, 3, v10
	v_mov_b32_e32 v11, v19
	v_cmp_eq_u64_e64 s[18:19], v[39:40], v[30:31]
	s_and_b64 s[58:59], s[16:17], s[6:7]
	v_cmp_eq_u64_e64 s[6:7], 0, v[10:11]
	v_cndmask_b32_e64 v14, 0, 1, s[52:53]
	s_and_b64 s[60:61], s[18:19], s[6:7]
	v_cmp_ne_u32_e64 s[6:7], 0, v14
	v_cndmask_b32_e64 v14, 0, 1, s[56:57]
	s_bcnt1_i32_b64 s9, s[6:7]
	v_cmp_ne_u32_e64 s[6:7], 0, v14
	v_cndmask_b32_e64 v14, 0, 1, s[58:59]
	s_bcnt1_i32_b64 s52, s[6:7]
	;; [unrolled: 3-line block ×3, first 2 shown]
	v_cmp_ne_u32_e64 s[6:7], 0, v14
	s_bcnt1_i32_b64 s6, s[6:7]
	s_add_u32 s7, s9, s50
	s_addc_u32 s9, 0, s51
	s_add_u32 s7, s7, s52
	s_addc_u32 s9, s9, 0
	;; [unrolled: 2-line block ×3, first 2 shown]
	s_add_u32 s50, s7, s6
	v_cmp_eq_u64_e64 s[6:7], 1, v[18:19]
	s_addc_u32 s51, s9, 0
	s_and_b64 s[52:53], vcc, s[6:7]
	v_cmp_eq_u64_e64 s[6:7], 1, v[12:13]
	v_cndmask_b32_e64 v14, 0, 1, s[52:53]
	s_and_b64 s[56:57], s[14:15], s[6:7]
	v_cmp_eq_u64_e64 s[6:7], 1, v[8:9]
	s_and_b64 s[58:59], s[16:17], s[6:7]
	v_cmp_eq_u64_e64 s[6:7], 1, v[10:11]
	s_and_b64 s[60:61], s[18:19], s[6:7]
	v_cmp_ne_u32_e64 s[6:7], 0, v14
	v_cndmask_b32_e64 v14, 0, 1, s[56:57]
	s_bcnt1_i32_b64 s9, s[6:7]
	v_cmp_ne_u32_e64 s[6:7], 0, v14
	v_cndmask_b32_e64 v14, 0, 1, s[58:59]
	s_bcnt1_i32_b64 s52, s[6:7]
	;; [unrolled: 3-line block ×3, first 2 shown]
	v_cmp_ne_u32_e64 s[6:7], 0, v14
	s_bcnt1_i32_b64 s6, s[6:7]
	s_add_u32 s7, s9, s44
	s_addc_u32 s9, 0, s45
	s_add_u32 s7, s7, s52
	s_addc_u32 s9, s9, 0
	;; [unrolled: 2-line block ×3, first 2 shown]
	s_add_u32 s44, s7, s6
	v_cmp_eq_u64_e64 s[6:7], 2, v[18:19]
	s_addc_u32 s45, s9, 0
	s_and_b64 s[52:53], vcc, s[6:7]
	v_cmp_eq_u64_e64 s[6:7], 2, v[12:13]
	v_cndmask_b32_e64 v14, 0, 1, s[52:53]
	s_and_b64 s[56:57], s[14:15], s[6:7]
	v_cmp_eq_u64_e64 s[6:7], 2, v[8:9]
	s_and_b64 s[58:59], s[16:17], s[6:7]
	v_cmp_eq_u64_e64 s[6:7], 2, v[10:11]
	s_and_b64 s[60:61], s[18:19], s[6:7]
	v_cmp_ne_u32_e64 s[6:7], 0, v14
	v_cndmask_b32_e64 v14, 0, 1, s[56:57]
	s_bcnt1_i32_b64 s9, s[6:7]
	v_cmp_ne_u32_e64 s[6:7], 0, v14
	v_cndmask_b32_e64 v14, 0, 1, s[58:59]
	s_bcnt1_i32_b64 s52, s[6:7]
	;; [unrolled: 3-line block ×3, first 2 shown]
	v_cmp_ne_u32_e64 s[6:7], 0, v14
	s_bcnt1_i32_b64 s6, s[6:7]
	s_add_u32 s7, s9, s38
	s_addc_u32 s9, 0, s39
	s_add_u32 s7, s7, s52
	s_addc_u32 s9, s9, 0
	;; [unrolled: 2-line block ×3, first 2 shown]
	s_add_u32 s38, s7, s6
	v_cmp_eq_u64_e64 s[6:7], 3, v[18:19]
	s_addc_u32 s39, s9, 0
	s_and_b64 s[6:7], vcc, s[6:7]
	v_cmp_eq_u64_e32 vcc, 3, v[12:13]
	v_mov_b32_e32 v12, s38
	s_and_b64 s[14:15], s[14:15], vcc
	v_cmp_eq_u64_e32 vcc, 3, v[8:9]
	v_cndmask_b32_e64 v8, 0, 1, s[6:7]
	s_and_b64 s[16:17], s[16:17], vcc
	v_cmp_eq_u64_e32 vcc, 3, v[10:11]
	v_mov_b32_e32 v10, s44
	s_and_b64 s[18:19], s[18:19], vcc
	v_cmp_ne_u32_e32 vcc, 0, v8
	v_cndmask_b32_e64 v8, 0, 1, s[14:15]
	s_bcnt1_i32_b64 s6, vcc
	v_cmp_ne_u32_e32 vcc, 0, v8
	v_cndmask_b32_e64 v8, 0, 1, s[16:17]
	s_bcnt1_i32_b64 s7, vcc
	;; [unrolled: 3-line block ×3, first 2 shown]
	v_cmp_ne_u32_e32 vcc, 0, v8
	s_bcnt1_i32_b64 s14, vcc
	s_add_u32 s6, s6, s36
	s_addc_u32 s15, 0, s37
	s_add_u32 s6, s6, s7
	s_addc_u32 s7, s15, 0
	s_add_u32 s6, s6, s9
	v_add_co_u32_e32 v3, vcc, s3, v3
	s_addc_u32 s7, s7, 0
	v_addc_co_u32_e32 v4, vcc, 0, v4, vcc
	s_add_u32 s36, s6, s14
	v_cmp_le_u64_e32 vcc, s[10:11], v[3:4]
	s_addc_u32 s37, s7, 0
	v_mov_b32_e32 v8, s50
	v_mov_b32_e32 v14, s36
	s_or_b64 s[20:21], vcc, s[20:21]
	v_mov_b32_e32 v9, s51
	v_mov_b32_e32 v11, s45
	;; [unrolled: 1-line block ×4, first 2 shown]
	s_andn2_b64 exec, exec, s[20:21]
	s_cbranch_execnz .LBB165_76
; %bb.77:                               ;   in Loop: Header=BB165_31 Depth=1
	s_or_b64 exec, exec, s[20:21]
.LBB165_78:                             ;   in Loop: Header=BB165_31 Depth=1
	s_or_b64 exec, exec, s[12:13]
	v_mov_b32_e32 v4, s11
	v_add_co_u32_e32 v3, vcc, s10, v0
	s_and_b32 s54, s2, 0x7fffffff
	v_addc_co_u32_e32 v4, vcc, 0, v4, vcc
	v_cmp_gt_u64_e32 vcc, s[54:55], v[3:4]
	s_and_saveexec_b64 s[2:3], vcc
	s_cbranch_execz .LBB165_82
; %bb.79:                               ;   in Loop: Header=BB165_31 Depth=1
	v_lshl_add_u32 v38, s8, 5, v50
	s_lshl_b32 s8, s4, 3
	s_mov_b64 s[4:5], 0
.LBB165_80:                             ;   Parent Loop BB165_31 Depth=1
                                        ; =>  This Inner Loop Header: Depth=2
	ds_read_b64 v[39:40], v38
	v_add_u32_e32 v38, s8, v38
	s_waitcnt lgkmcnt(0)
	v_xor_b32_e32 v40, 0x80000000, v40
	v_and_b32_e32 v42, v40, v35
	v_and_b32_e32 v41, v39, v34
	v_lshrrev_b64 v[39:40], s1, v[39:40]
	v_cmp_eq_u64_e32 vcc, v[41:42], v[30:31]
	v_and_b32_e32 v18, 3, v39
	v_cmp_eq_u64_e64 s[6:7], 0, v[18:19]
	s_and_b64 s[6:7], vcc, s[6:7]
	v_cndmask_b32_e64 v39, 0, 1, s[6:7]
	v_cmp_ne_u32_e64 s[6:7], 0, v39
	s_bcnt1_i32_b64 s6, s[6:7]
	v_add_co_u32_e64 v8, s[6:7], s6, v8
	v_addc_co_u32_e64 v9, s[6:7], 0, v9, s[6:7]
	v_cmp_eq_u64_e64 s[6:7], 1, v[18:19]
	s_and_b64 s[6:7], vcc, s[6:7]
	v_cndmask_b32_e64 v39, 0, 1, s[6:7]
	v_cmp_ne_u32_e64 s[6:7], 0, v39
	s_bcnt1_i32_b64 s6, s[6:7]
	v_add_co_u32_e64 v10, s[6:7], s6, v10
	v_addc_co_u32_e64 v11, s[6:7], 0, v11, s[6:7]
	v_cmp_eq_u64_e64 s[6:7], 2, v[18:19]
	s_and_b64 s[6:7], vcc, s[6:7]
	v_cndmask_b32_e64 v39, 0, 1, s[6:7]
	v_cmp_ne_u32_e64 s[6:7], 0, v39
	s_bcnt1_i32_b64 s6, s[6:7]
	v_add_co_u32_e64 v12, s[6:7], s6, v12
	v_addc_co_u32_e64 v13, s[6:7], 0, v13, s[6:7]
	v_cmp_eq_u64_e64 s[6:7], 3, v[18:19]
	s_and_b64 s[6:7], vcc, s[6:7]
	v_cndmask_b32_e64 v18, 0, 1, s[6:7]
	v_cmp_ne_u32_e32 vcc, 0, v18
	s_bcnt1_i32_b64 s6, vcc
	v_add_co_u32_e32 v14, vcc, s6, v14
	v_addc_co_u32_e32 v15, vcc, 0, v15, vcc
	v_add_co_u32_sdwa v3, vcc, v3, v5 dst_sel:DWORD dst_unused:UNUSED_PAD src0_sel:DWORD src1_sel:WORD_0
	v_addc_co_u32_e32 v4, vcc, 0, v4, vcc
	v_cmp_le_u64_e32 vcc, s[54:55], v[3:4]
	s_or_b64 s[4:5], vcc, s[4:5]
	s_andn2_b64 exec, exec, s[4:5]
	s_cbranch_execnz .LBB165_80
; %bb.81:                               ;   in Loop: Header=BB165_31 Depth=1
	s_or_b64 exec, exec, s[4:5]
.LBB165_82:                             ;   in Loop: Header=BB165_31 Depth=1
	s_or_b64 exec, exec, s[2:3]
.LBB165_83:                             ;   in Loop: Header=BB165_31 Depth=1
	v_readlane_b32 s2, v59, 47
	s_lshl_b32 s4, s2, 6
	s_and_saveexec_b64 s[2:3], s[72:73]
	s_cbranch_execz .LBB165_85
; %bb.84:                               ;   in Loop: Header=BB165_31 Depth=1
	v_lshl_add_u32 v3, s4, 3, v51
	ds_write_b128 v3, v[8:11]
	ds_write_b128 v3, v[12:15] offset:16
.LBB165_85:                             ;   in Loop: Header=BB165_31 Depth=1
	s_or_b64 exec, exec, s[2:3]
	s_waitcnt lgkmcnt(0)
	s_barrier
	s_mov_b64 s[2:3], exec
	v_readlane_b32 s6, v59, 16
	v_readlane_b32 s7, v59, 17
	s_and_b64 s[6:7], s[2:3], s[6:7]
	s_mov_b64 exec, s[6:7]
	s_cbranch_execz .LBB165_97
; %bb.86:                               ;   in Loop: Header=BB165_31 Depth=1
	v_readlane_b32 s6, v59, 24
	v_mov_b32_e32 v3, 0
	v_readlane_b32 s7, v59, 25
	v_mov_b32_e32 v4, 0
	s_andn2_b64 vcc, exec, s[6:7]
	s_cbranch_vccnz .LBB165_96
; %bb.87:                               ;   in Loop: Header=BB165_31 Depth=1
	v_readlane_b32 s6, v59, 33
	v_readlane_b32 s7, v59, 34
	s_andn2_b64 vcc, exec, s[6:7]
	s_cbranch_vccnz .LBB165_92
; %bb.88:                               ;   in Loop: Header=BB165_31 Depth=1
	v_readlane_b32 s5, v59, 47
	v_mov_b32_e32 v3, 0
	v_lshl_add_u32 v5, s5, 9, v53
	v_mov_b32_e32 v4, 0
	s_mov_b32 s5, 0
.LBB165_89:                             ;   Parent Loop BB165_31 Depth=1
                                        ; =>  This Inner Loop Header: Depth=2
	ds_read2_b64 v[8:11], v5 offset1:4
	s_add_i32 s5, s5, 8
	s_cmp_eq_u32 s0, s5
	s_waitcnt lgkmcnt(0)
	v_add_co_u32_e32 v3, vcc, v8, v3
	v_addc_co_u32_e32 v4, vcc, v9, v4, vcc
	v_add_co_u32_e32 v3, vcc, v10, v3
	v_addc_co_u32_e32 v4, vcc, v11, v4, vcc
	ds_read2_b64 v[8:11], v5 offset0:8 offset1:12
	s_waitcnt lgkmcnt(0)
	v_add_co_u32_e32 v3, vcc, v8, v3
	v_addc_co_u32_e32 v4, vcc, v9, v4, vcc
	v_add_co_u32_e32 v3, vcc, v10, v3
	v_addc_co_u32_e32 v4, vcc, v11, v4, vcc
	ds_read2_b64 v[8:11], v5 offset0:16 offset1:20
	s_waitcnt lgkmcnt(0)
	v_add_co_u32_e32 v3, vcc, v8, v3
	v_addc_co_u32_e32 v4, vcc, v9, v4, vcc
	v_add_co_u32_e32 v3, vcc, v10, v3
	v_addc_co_u32_e32 v4, vcc, v11, v4, vcc
	ds_read2_b64 v[8:11], v5 offset0:24 offset1:28
	v_add_u32_e32 v5, 0x100, v5
	s_waitcnt lgkmcnt(0)
	v_add_co_u32_e32 v3, vcc, v8, v3
	v_addc_co_u32_e32 v4, vcc, v9, v4, vcc
	v_add_co_u32_e32 v3, vcc, v10, v3
	v_addc_co_u32_e32 v4, vcc, v11, v4, vcc
	s_cbranch_scc0 .LBB165_89
; %bb.90:                               ;   in Loop: Header=BB165_31 Depth=1
	s_mov_b32 s5, s0
	s_branch .LBB165_93
.LBB165_91:                             ;   in Loop: Header=BB165_31 Depth=1
                                        ; implicit-def: $sgpr4_sgpr5
	s_branch .LBB165_61
.LBB165_92:                             ;   in Loop: Header=BB165_31 Depth=1
	v_mov_b32_e32 v3, 0
	v_mov_b32_e32 v4, 0
	s_mov_b32 s5, 0
.LBB165_93:                             ;   in Loop: Header=BB165_31 Depth=1
	v_readlane_b32 s6, v59, 36
	v_readlane_b32 s7, v59, 37
	s_andn2_b64 vcc, exec, s[6:7]
	s_cbranch_vccnz .LBB165_96
; %bb.94:                               ;   in Loop: Header=BB165_31 Depth=1
	v_readlane_b32 s6, v59, 47
	s_lshl_b32 s6, s6, 9
	s_lshl_b32 s5, s5, 5
	s_add_i32 s6, s6, s5
	v_add_u32_e32 v5, s6, v53
	v_readlane_b32 s5, v59, 35
.LBB165_95:                             ;   Parent Loop BB165_31 Depth=1
                                        ; =>  This Inner Loop Header: Depth=2
	ds_read_b64 v[8:9], v5
	s_add_i32 s5, s5, -1
	v_add_u32_e32 v5, 32, v5
	s_cmp_lg_u32 s5, 0
	s_waitcnt lgkmcnt(0)
	v_add_co_u32_e32 v3, vcc, v8, v3
	v_addc_co_u32_e32 v4, vcc, v9, v4, vcc
	s_cbranch_scc1 .LBB165_95
.LBB165_96:                             ;   in Loop: Header=BB165_31 Depth=1
	v_add_lshl_u32 v5, s4, v49, 3
	ds_write_b64 v5, v[3:4] offset:3072
.LBB165_97:                             ;   in Loop: Header=BB165_31 Depth=1
	s_or_b64 exec, exec, s[2:3]
	s_lshl_b32 s2, s4, 3
	v_mov_b32_e32 v3, s2
	s_waitcnt lgkmcnt(0)
	s_barrier
	ds_read_b128 v[8:11], v3 offset:3072
	ds_read_b128 v[12:15], v3 offset:3088
	v_readlane_b32 s4, v59, 14
	s_lshl_b64 s[18:19], 3, s1
	v_cmp_eq_u64_e64 s[14:15], 1, v[36:37]
	v_readlane_b32 s5, v59, 15
	s_waitcnt lgkmcnt(1)
	v_readfirstlane_b32 s17, v9
	v_readfirstlane_b32 s16, v8
	;; [unrolled: 1-line block ×4, first 2 shown]
	s_waitcnt lgkmcnt(0)
	v_readfirstlane_b32 s3, v13
	v_readfirstlane_b32 s2, v12
	;; [unrolled: 1-line block ×4, first 2 shown]
	s_not_b64 s[50:51], s[18:19]
	s_mov_b64 s[20:21], -1
	s_mov_b64 s[52:53], 0
	s_andn2_b64 vcc, exec, s[4:5]
	s_mov_b64 s[38:39], 0
	s_mov_b64 s[36:37], 0
                                        ; implicit-def: $sgpr66_sgpr67
                                        ; implicit-def: $sgpr68_sgpr69
                                        ; implicit-def: $vgpr38_vgpr39
                                        ; implicit-def: $vgpr44
                                        ; implicit-def: $vgpr12_vgpr13
                                        ; implicit-def: $vgpr14_vgpr15
                                        ; implicit-def: $vgpr10_vgpr11
	s_cbranch_vccnz .LBB165_292
; %bb.98:                               ;   in Loop: Header=BB165_31 Depth=1
	s_cmp_eq_u64 s[16:17], 1
	s_cselect_b64 s[4:5], -1, 0
	v_mov_b32_e32 v12, v30
	v_mov_b32_e32 v14, v34
	v_mov_b32_e32 v11, v7
	s_and_b64 s[4:5], s[4:5], s[14:15]
	s_mov_b64 s[10:11], -1
	v_mov_b32_e32 v13, v31
	v_mov_b32_e32 v15, v35
	;; [unrolled: 1-line block ×3, first 2 shown]
                                        ; implicit-def: $sgpr68_sgpr69
                                        ; implicit-def: $sgpr66_sgpr67
	s_and_saveexec_b64 s[6:7], s[4:5]
	s_cbranch_execz .LBB165_133
; %bb.99:                               ;   in Loop: Header=BB165_31 Depth=1
	ds_read_b64 v[3:4], v19 offset:5120
	s_waitcnt lgkmcnt(0)
	s_barrier
	v_readfirstlane_b32 s10, v3
	v_readfirstlane_b32 s11, v4
	s_mov_b64 s[8:9], exec
	v_readlane_b32 s12, v59, 22
	v_readlane_b32 s13, v59, 23
	s_and_b64 s[12:13], s[8:9], s[12:13]
	s_mov_b64 exec, s[12:13]
; %bb.100:                              ;   in Loop: Header=BB165_31 Depth=1
	v_mov_b32_e32 v18, v19
	ds_write_b64 v54, v[18:19]
; %bb.101:                              ;   in Loop: Header=BB165_31 Depth=1
	s_or_b64 exec, exec, s[8:9]
	v_and_b32_e32 v13, s51, v31
	v_and_b32_e32 v12, s50, v30
	v_or_b32_e32 v15, s19, v35
	v_or_b32_e32 v14, s18, v34
	s_mov_b64 s[66:67], -1
	s_mov_b64 s[68:69], 0
	s_cmp_eq_u64 s[10:11], 0
	s_mov_b64 s[8:9], 0
	s_mov_b64 s[12:13], -1
	s_waitcnt lgkmcnt(0)
	s_barrier
                                        ; implicit-def: $vgpr10_vgpr11
	s_cbranch_scc1 .LBB165_118
; %bb.102:                              ;   in Loop: Header=BB165_31 Depth=1
	v_readlane_b32 s8, v59, 26
	s_add_u32 s36, s10, s8
	v_readlane_b32 s8, v59, 28
	s_addc_u32 s9, s11, s8
	s_mov_b32 s8, s55
	s_cmp_lg_u64 s[8:9], 0
	s_cbranch_scc0 .LBB165_159
; %bb.103:                              ;   in Loop: Header=BB165_31 Depth=1
	v_cvt_f32_u32_e32 v3, s33
	s_sub_u32 s8, 0, s33
	s_subb_u32 s20, 0, 0
	v_mac_f32_e32 v3, 0, v55
	v_rcp_f32_e32 v3, v3
	v_mul_f32_e32 v3, 0x5f7ffffc, v3
	v_mul_f32_e32 v4, 0x2f800000, v3
	v_trunc_f32_e32 v4, v4
	v_mac_f32_e32 v3, 0xcf800000, v4
	v_cvt_u32_f32_e32 v4, v4
	v_cvt_u32_f32_e32 v3, v3
	v_readfirstlane_b32 s21, v4
	v_readfirstlane_b32 s12, v3
	s_mul_i32 s13, s8, s21
	s_mul_hi_u32 s38, s8, s12
	s_mul_i32 s37, s20, s12
	s_add_i32 s13, s38, s13
	s_mul_i32 s39, s8, s12
	s_add_i32 s13, s13, s37
	s_mul_hi_u32 s38, s12, s39
	s_mul_i32 s54, s12, s13
	s_mul_hi_u32 s37, s12, s13
	s_add_u32 s38, s38, s54
	s_addc_u32 s37, 0, s37
	s_mul_hi_u32 s56, s21, s39
	s_mul_i32 s39, s21, s39
	s_add_u32 s38, s38, s39
	s_mul_hi_u32 s54, s21, s13
	s_addc_u32 s37, s37, s56
	s_addc_u32 s38, s54, 0
	s_mul_i32 s13, s21, s13
	s_add_u32 s13, s37, s13
	s_addc_u32 s37, 0, s38
	s_add_u32 s38, s12, s13
	s_cselect_b64 s[12:13], -1, 0
	s_cmp_lg_u64 s[12:13], 0
	s_addc_u32 s21, s21, s37
	s_mul_i32 s12, s8, s21
	s_mul_hi_u32 s13, s8, s38
	s_add_i32 s12, s13, s12
	s_mul_i32 s20, s20, s38
	s_add_i32 s12, s12, s20
	s_mul_i32 s8, s8, s38
	s_mul_hi_u32 s20, s21, s8
	s_mul_i32 s37, s21, s8
	s_mul_i32 s54, s38, s12
	s_mul_hi_u32 s8, s38, s8
	s_mul_hi_u32 s39, s38, s12
	s_add_u32 s8, s8, s54
	s_addc_u32 s39, 0, s39
	s_add_u32 s8, s8, s37
	s_mul_hi_u32 s13, s21, s12
	s_addc_u32 s8, s39, s20
	s_addc_u32 s13, s13, 0
	s_mul_i32 s12, s21, s12
	s_add_u32 s8, s8, s12
	s_addc_u32 s20, 0, s13
	s_add_u32 s8, s38, s8
	s_cselect_b64 s[12:13], -1, 0
	s_cmp_lg_u64 s[12:13], 0
	s_addc_u32 s12, s21, s20
	s_mul_i32 s20, s36, s12
	s_mul_hi_u32 s21, s36, s8
	s_mul_hi_u32 s13, s36, s12
	s_add_u32 s20, s21, s20
	s_addc_u32 s13, 0, s13
	s_mul_hi_u32 s37, s9, s8
	s_mul_i32 s8, s9, s8
	s_add_u32 s8, s20, s8
	s_mul_hi_u32 s21, s9, s12
	s_addc_u32 s8, s13, s37
	s_addc_u32 s13, s21, 0
	s_mul_i32 s12, s9, s12
	s_add_u32 s8, s8, s12
	s_addc_u32 s12, 0, s13
	s_mul_i32 s12, s33, s12
	s_mul_hi_u32 s13, s33, s8
	s_add_i32 s20, s13, s12
	s_mul_i32 s8, s33, s8
	s_sub_u32 s8, s36, s8
	s_cselect_b64 s[12:13], -1, 0
	s_cmp_lg_u64 s[12:13], 0
	s_subb_u32 s20, s9, s20
	s_sub_u32 s21, s8, s33
	s_cselect_b64 s[12:13], -1, 0
	s_cmp_lg_u64 s[12:13], 0
	s_subb_u32 s37, s20, 0
	;; [unrolled: 4-line block ×3, first 2 shown]
	s_cmp_ge_u32 s21, s33
	s_cselect_b32 s13, -1, 0
	s_cmp_eq_u32 s37, 0
	s_cselect_b32 s13, s13, -1
	s_cmp_lg_u32 s13, 0
	s_cselect_b32 s12, s12, s37
	s_cselect_b32 s21, s38, s21
	s_cmp_ge_u32 s8, s33
	s_cselect_b32 s13, -1, 0
	s_cmp_eq_u32 s20, 0
	s_cselect_b32 s13, s13, -1
	s_cmp_lg_u32 s13, 0
	s_cselect_b32 s13, s12, s20
	s_cselect_b32 s12, s21, s8
	s_cbranch_execnz .LBB165_105
.LBB165_104:                            ;   in Loop: Header=BB165_31 Depth=1
	v_cvt_f32_u32_e32 v3, s33
	s_sub_i32 s8, 0, s33
	v_rcp_iflag_f32_e32 v3, v3
	v_mul_f32_e32 v3, 0x4f7ffffe, v3
	v_cvt_u32_f32_e32 v3, v3
	v_readfirstlane_b32 s12, v3
	s_mul_i32 s8, s8, s12
	s_mul_hi_u32 s8, s12, s8
	s_add_i32 s12, s12, s8
	s_mul_hi_u32 s8, s36, s12
	s_mul_i32 s8, s8, s33
	s_sub_i32 s8, s36, s8
	s_sub_i32 s12, s8, s33
	s_cmp_ge_u32 s8, s33
	s_cselect_b32 s8, s12, s8
	s_sub_i32 s12, s8, s33
	s_cmp_ge_u32 s8, s33
	s_cselect_b32 s54, s12, s8
	s_mov_b64 s[12:13], s[54:55]
.LBB165_105:                            ;   in Loop: Header=BB165_31 Depth=1
	s_sub_u32 s36, s36, s12
	s_subb_u32 s37, s9, s13
	v_cmp_gt_u64_e32 vcc, s[36:37], v[0:1]
	s_mov_b64 s[12:13], 0
	s_mov_b64 s[8:9], 0
                                        ; implicit-def: $vgpr10_vgpr11
	s_and_saveexec_b64 s[20:21], vcc
	s_cbranch_execz .LBB165_117
; %bb.106:                              ;   in Loop: Header=BB165_31 Depth=1
	v_mov_b32_e32 v39, v1
	v_mov_b32_e32 v18, v50
	;; [unrolled: 1-line block ×3, first 2 shown]
                                        ; implicit-def: $sgpr38_sgpr39
	s_branch .LBB165_109
.LBB165_107:                            ;   in Loop: Header=BB165_109 Depth=2
	s_or_b64 exec, exec, s[56:57]
	s_waitcnt lgkmcnt(0)
	s_barrier
	ds_read_b128 v[8:11], v19 offset:3072
	s_mov_b64 s[56:57], -1
	s_mov_b64 s[58:59], -1
	s_waitcnt lgkmcnt(0)
	s_barrier
	v_cmp_ne_u64_e32 vcc, 0, v[8:9]
	s_cbranch_vccz .LBB165_112
.LBB165_108:                            ;   in Loop: Header=BB165_109 Depth=2
	s_and_b64 s[56:57], exec, s[56:57]
	s_or_b64 s[8:9], s[56:57], s[8:9]
	s_andn2_b64 s[38:39], s[38:39], exec
	s_and_b64 s[56:57], s[58:59], exec
	s_or_b64 s[38:39], s[38:39], s[56:57]
	s_andn2_b64 exec, exec, s[8:9]
	s_cbranch_execz .LBB165_116
.LBB165_109:                            ;   Parent Loop BB165_31 Depth=1
                                        ; =>  This Inner Loop Header: Depth=2
	v_cmp_gt_u64_e32 vcc, s[10:11], v[38:39]
	s_and_saveexec_b64 s[56:57], vcc
	s_cbranch_execz .LBB165_107
; %bb.110:                              ;   in Loop: Header=BB165_109 Depth=2
	ds_read_b64 v[4:5], v18
	s_waitcnt lgkmcnt(0)
	v_xor_b32_e32 v3, 0x80000000, v5
	v_and_b32_e32 v9, v3, v15
	v_and_b32_e32 v8, v4, v14
	v_cmp_eq_u64_e32 vcc, v[8:9], v[12:13]
	s_and_b64 exec, exec, vcc
	s_cbranch_execz .LBB165_107
; %bb.111:                              ;   in Loop: Header=BB165_109 Depth=2
	v_mov_b32_e32 v3, v19
	ds_write_b128 v19, v[2:5] offset:3072
	s_branch .LBB165_107
.LBB165_112:                            ;   in Loop: Header=BB165_109 Depth=2
	v_add_co_u32_e32 v38, vcc, s33, v38
	v_addc_co_u32_e32 v39, vcc, 0, v39, vcc
	v_cmp_le_u64_e32 vcc, s[36:37], v[38:39]
	v_readlane_b32 s54, v59, 42
	v_add_u32_e32 v18, s54, v18
	s_mov_b64 s[58:59], 0
	s_orn2_b64 s[56:57], vcc, exec
	s_branch .LBB165_108
.LBB165_113:                            ;   in Loop: Header=BB165_31 Depth=1
	s_or_b64 exec, exec, s[4:5]
	s_waitcnt lgkmcnt(0)
	s_barrier
	s_mov_b64 s[4:5], exec
	v_readlane_b32 s6, v59, 8
	v_readlane_b32 s7, v59, 9
	s_and_b64 s[6:7], s[4:5], s[6:7]
	s_mov_b64 exec, s[6:7]
	s_cbranch_execz .LBB165_115
; %bb.114:                              ;   in Loop: Header=BB165_31 Depth=1
	ds_read_b32 v3, v19 offset:5144
	s_waitcnt lgkmcnt(0)
	v_ashrrev_i32_e32 v4, 31, v3
	ds_write_b64 v19, v[3:4] offset:5120
.LBB165_115:                            ;   in Loop: Header=BB165_31 Depth=1
	s_or_b64 exec, exec, s[4:5]
	s_waitcnt lgkmcnt(0)
	s_barrier
	s_mov_b64 s[4:5], -1
	s_and_b64 vcc, exec, s[2:3]
	s_cbranch_vccnz .LBB165_47
	s_branch .LBB165_56
.LBB165_116:                            ;   in Loop: Header=BB165_31 Depth=1
	s_or_b64 exec, exec, s[8:9]
	s_and_b64 s[8:9], s[38:39], exec
.LBB165_117:                            ;   in Loop: Header=BB165_31 Depth=1
	s_or_b64 exec, exec, s[20:21]
.LBB165_118:                            ;   in Loop: Header=BB165_31 Depth=1
	s_and_b64 vcc, exec, s[12:13]
	s_cbranch_vccz .LBB165_132
; %bb.119:                              ;   in Loop: Header=BB165_31 Depth=1
	v_readlane_b32 s56, v59, 29
	v_readlane_b32 s57, v59, 30
	s_mov_b32 s56, s55
	s_cmp_lg_u64 s[56:57], 0
	v_writelane_b32 v59, s56, 29
	v_writelane_b32 v59, s57, 30
	s_cbranch_scc0 .LBB165_160
; %bb.120:                              ;   in Loop: Header=BB165_31 Depth=1
	v_cvt_f32_u32_e32 v3, s33
	s_sub_u32 s12, 0, s33
	s_subb_u32 s13, 0, 0
	v_mac_f32_e32 v3, 0, v55
	v_rcp_f32_e32 v3, v3
	v_mul_f32_e32 v3, 0x5f7ffffc, v3
	v_mul_f32_e32 v4, 0x2f800000, v3
	v_trunc_f32_e32 v4, v4
	v_mac_f32_e32 v3, 0xcf800000, v4
	v_cvt_u32_f32_e32 v4, v4
	v_cvt_u32_f32_e32 v3, v3
	v_readfirstlane_b32 s20, v4
	v_readfirstlane_b32 s10, v3
	s_mul_i32 s11, s12, s20
	s_mul_hi_u32 s36, s12, s10
	s_mul_i32 s21, s13, s10
	s_add_i32 s11, s36, s11
	s_mul_i32 s37, s12, s10
	s_add_i32 s11, s11, s21
	s_mul_hi_u32 s36, s10, s37
	s_mul_i32 s38, s10, s11
	s_mul_hi_u32 s21, s10, s11
	s_add_u32 s36, s36, s38
	s_addc_u32 s21, 0, s21
	s_mul_hi_u32 s39, s20, s37
	s_mul_i32 s37, s20, s37
	s_add_u32 s36, s36, s37
	s_mul_hi_u32 s38, s20, s11
	s_addc_u32 s21, s21, s39
	s_addc_u32 s36, s38, 0
	s_mul_i32 s11, s20, s11
	s_add_u32 s11, s21, s11
	s_addc_u32 s21, 0, s36
	s_add_u32 s36, s10, s11
	s_cselect_b64 s[10:11], -1, 0
	s_cmp_lg_u64 s[10:11], 0
	s_addc_u32 s20, s20, s21
	s_mul_i32 s10, s12, s20
	s_mul_hi_u32 s11, s12, s36
	s_add_i32 s10, s11, s10
	s_mul_i32 s13, s13, s36
	s_add_i32 s10, s10, s13
	s_mul_i32 s12, s12, s36
	s_mul_hi_u32 s13, s20, s12
	s_mul_i32 s21, s20, s12
	s_mul_i32 s38, s36, s10
	s_mul_hi_u32 s12, s36, s12
	s_mul_hi_u32 s37, s36, s10
	s_add_u32 s12, s12, s38
	s_addc_u32 s37, 0, s37
	s_add_u32 s12, s12, s21
	s_mul_hi_u32 s11, s20, s10
	s_addc_u32 s12, s37, s13
	s_addc_u32 s11, s11, 0
	s_mul_i32 s10, s20, s10
	s_add_u32 s10, s12, s10
	s_addc_u32 s12, 0, s11
	s_add_u32 s13, s36, s10
	s_cselect_b64 s[10:11], -1, 0
	s_cmp_lg_u64 s[10:11], 0
	s_addc_u32 s10, s20, s12
	v_readlane_b32 s36, v59, 27
	s_mul_i32 s12, s36, s10
	s_mul_hi_u32 s20, s36, s13
	s_mul_hi_u32 s11, s36, s10
	s_add_u32 s12, s20, s12
	s_addc_u32 s11, 0, s11
	s_mul_hi_u32 s21, s57, s13
	s_mul_i32 s13, s57, s13
	s_add_u32 s12, s12, s13
	s_mul_hi_u32 s20, s57, s10
	s_addc_u32 s11, s11, s21
	s_addc_u32 s12, s20, 0
	s_mul_i32 s10, s57, s10
	s_add_u32 s10, s11, s10
	s_addc_u32 s11, 0, s12
	s_mul_i32 s11, s33, s11
	s_mul_hi_u32 s12, s33, s10
	s_add_i32 s12, s12, s11
	s_mul_i32 s10, s33, s10
	s_sub_u32 s13, s36, s10
	s_cselect_b64 s[10:11], -1, 0
	s_cmp_lg_u64 s[10:11], 0
	s_subb_u32 s12, s57, s12
	s_sub_u32 s20, s13, s33
	s_cselect_b64 s[10:11], -1, 0
	s_cmp_lg_u64 s[10:11], 0
	s_subb_u32 s21, s12, 0
	;; [unrolled: 4-line block ×3, first 2 shown]
	s_cmp_ge_u32 s20, s33
	s_cselect_b32 s11, -1, 0
	s_cmp_eq_u32 s21, 0
	s_cselect_b32 s11, s11, -1
	s_cmp_lg_u32 s11, 0
	s_cselect_b32 s10, s10, s21
	s_cselect_b32 s20, s36, s20
	s_cmp_ge_u32 s13, s33
	s_cselect_b32 s11, -1, 0
	s_cmp_eq_u32 s12, 0
	s_cselect_b32 s11, s11, -1
	s_cmp_lg_u32 s11, 0
	s_cselect_b32 s11, s10, s12
	s_cselect_b32 s10, s20, s13
	s_cbranch_execnz .LBB165_122
.LBB165_121:                            ;   in Loop: Header=BB165_31 Depth=1
	v_cvt_f32_u32_e32 v3, s33
	s_sub_i32 s10, 0, s33
	v_readlane_b32 s12, v59, 27
	v_rcp_iflag_f32_e32 v3, v3
	v_mul_f32_e32 v3, 0x4f7ffffe, v3
	v_cvt_u32_f32_e32 v3, v3
	v_readfirstlane_b32 s11, v3
	s_mul_i32 s10, s10, s11
	s_mul_hi_u32 s10, s11, s10
	s_add_i32 s11, s11, s10
	s_mul_hi_u32 s10, s12, s11
	s_mul_i32 s10, s10, s33
	s_sub_i32 s10, s12, s10
	s_sub_i32 s11, s10, s33
	s_cmp_ge_u32 s10, s33
	s_cselect_b32 s10, s11, s10
	s_sub_i32 s11, s10, s33
	s_cmp_ge_u32 s10, s33
	s_cselect_b32 s54, s11, s10
	s_mov_b64 s[10:11], s[54:55]
.LBB165_122:                            ;   in Loop: Header=BB165_31 Depth=1
	v_readlane_b32 s12, v59, 27
	v_readlane_b32 s20, v59, 29
	s_sub_u32 s12, s12, s10
	v_readlane_b32 s21, v59, 30
	s_subb_u32 s13, s21, s11
	v_cmp_gt_u64_e32 vcc, s[12:13], v[0:1]
                                        ; implicit-def: $vgpr10_vgpr11
	s_and_saveexec_b64 s[10:11], vcc
	s_cbranch_execz .LBB165_131
; %bb.123:                              ;   in Loop: Header=BB165_31 Depth=1
	v_mov_b32_e32 v39, v33
	v_mov_b32_e32 v41, v1
	s_mov_b64 s[36:37], 0
	v_mov_b32_e32 v38, v32
	v_mov_b32_e32 v40, v0
                                        ; implicit-def: $sgpr20_sgpr21
	s_branch .LBB165_126
.LBB165_124:                            ;   in Loop: Header=BB165_126 Depth=2
	s_or_b64 exec, exec, s[38:39]
	s_waitcnt lgkmcnt(0)
	s_barrier
	ds_read_b128 v[8:11], v19 offset:3072
	s_mov_b64 s[38:39], -1
	s_mov_b64 s[56:57], -1
	s_waitcnt lgkmcnt(0)
	s_barrier
	v_cmp_ne_u64_e32 vcc, 0, v[8:9]
	s_cbranch_vccz .LBB165_129
.LBB165_125:                            ;   in Loop: Header=BB165_126 Depth=2
	s_and_b64 s[38:39], exec, s[38:39]
	s_or_b64 s[36:37], s[38:39], s[36:37]
	s_andn2_b64 s[20:21], s[20:21], exec
	s_and_b64 s[38:39], s[56:57], exec
	s_or_b64 s[20:21], s[20:21], s[38:39]
	s_andn2_b64 exec, exec, s[36:37]
	s_cbranch_execz .LBB165_130
.LBB165_126:                            ;   Parent Loop BB165_31 Depth=1
                                        ; =>  This Inner Loop Header: Depth=2
	v_cmp_gt_u64_e32 vcc, s[24:25], v[40:41]
	s_and_saveexec_b64 s[38:39], vcc
	s_cbranch_execz .LBB165_124
; %bb.127:                              ;   in Loop: Header=BB165_126 Depth=2
	global_load_dwordx2 v[4:5], v[38:39], off
	s_waitcnt vmcnt(0)
	v_xor_b32_e32 v3, 0x80000000, v5
	v_and_b32_e32 v9, v3, v15
	v_and_b32_e32 v8, v4, v14
	v_cmp_eq_u64_e32 vcc, v[8:9], v[12:13]
	s_and_b64 exec, exec, vcc
	s_cbranch_execz .LBB165_124
; %bb.128:                              ;   in Loop: Header=BB165_126 Depth=2
	v_mov_b32_e32 v3, v19
	ds_write_b128 v19, v[2:5] offset:3072
	s_branch .LBB165_124
.LBB165_129:                            ;   in Loop: Header=BB165_126 Depth=2
	v_add_co_u32_e32 v40, vcc, s33, v40
	v_addc_co_u32_e32 v41, vcc, 0, v41, vcc
	v_mov_b32_e32 v3, s31
	v_add_co_u32_e32 v38, vcc, s30, v38
	v_addc_co_u32_e32 v39, vcc, v39, v3, vcc
	v_cmp_le_u64_e32 vcc, s[12:13], v[40:41]
	s_mov_b64 s[56:57], 0
	s_orn2_b64 s[38:39], vcc, exec
	s_branch .LBB165_125
.LBB165_130:                            ;   in Loop: Header=BB165_31 Depth=1
	s_or_b64 exec, exec, s[36:37]
	s_andn2_b64 s[8:9], s[8:9], exec
	s_and_b64 s[12:13], s[20:21], exec
	s_or_b64 s[8:9], s[8:9], s[12:13]
.LBB165_131:                            ;   in Loop: Header=BB165_31 Depth=1
	s_or_b64 exec, exec, s[10:11]
	s_mov_b64 s[66:67], 0
	s_mov_b64 s[68:69], -1
.LBB165_132:                            ;   in Loop: Header=BB165_31 Depth=1
	s_orn2_b64 s[10:11], s[8:9], exec
.LBB165_133:                            ;   in Loop: Header=BB165_31 Depth=1
	s_or_b64 exec, exec, s[6:7]
	s_mov_b64 s[20:21], 0
	s_mov_b64 s[38:39], 0
	;; [unrolled: 1-line block ×3, first 2 shown]
                                        ; implicit-def: $vgpr38_vgpr39
                                        ; implicit-def: $vgpr44
	s_and_saveexec_b64 s[8:9], s[10:11]
	s_cbranch_execz .LBB165_291
; %bb.134:                              ;   in Loop: Header=BB165_31 Depth=1
	v_mov_b32_e32 v38, 1
	s_xor_b64 s[10:11], s[4:5], -1
	v_mov_b32_e32 v44, 1
	v_mov_b32_e32 v39, 0
	s_mov_b64 s[6:7], 0
	s_and_saveexec_b64 s[4:5], s[10:11]
	s_cbranch_execz .LBB165_143
; %bb.135:                              ;   in Loop: Header=BB165_31 Depth=1
	v_cmp_ge_u64_e32 vcc, s[16:17], v[36:37]
	s_and_saveexec_b64 s[6:7], vcc
	s_xor_b64 s[6:7], exec, s[6:7]
	s_cbranch_execz .LBB165_140
; %bb.136:                              ;   in Loop: Header=BB165_31 Depth=1
	ds_read_b64 v[3:4], v19 offset:5120
	v_and_b32_e32 v13, s51, v13
	v_and_b32_e32 v12, s50, v12
	v_or_b32_e32 v15, s19, v15
	v_or_b32_e32 v14, s18, v14
	s_waitcnt lgkmcnt(0)
	v_cmp_ne_u64_e32 vcc, 0, v[3:4]
	s_cbranch_vccnz .LBB165_140
; %bb.137:                              ;   in Loop: Header=BB165_31 Depth=1
	s_mov_b64 s[10:11], exec
	v_readlane_b32 s12, v59, 8
	v_readlane_b32 s13, v59, 9
	s_and_b64 s[12:13], s[10:11], s[12:13]
	s_mov_b64 exec, s[12:13]
; %bb.138:                              ;   in Loop: Header=BB165_31 Depth=1
	v_mov_b32_e32 v3, s16
	v_mov_b32_e32 v4, s17
	ds_write_b64 v19, v[3:4] offset:5128
; %bb.139:                              ;   in Loop: Header=BB165_31 Depth=1
	s_or_b64 exec, exec, s[10:11]
	s_waitcnt lgkmcnt(0)
	s_barrier
.LBB165_140:                            ;   in Loop: Header=BB165_31 Depth=1
	s_or_saveexec_b64 s[6:7], s[6:7]
	v_mov_b32_e32 v39, v37
	s_mov_b64 s[10:11], 0
	v_mov_b32_e32 v44, 8
	v_mov_b32_e32 v38, v36
	s_xor_b64 exec, exec, s[6:7]
; %bb.141:                              ;   in Loop: Header=BB165_31 Depth=1
	v_subrev_co_u32_e32 v38, vcc, s16, v36
	v_mov_b32_e32 v3, s17
	v_subb_co_u32_e32 v39, vcc, v37, v3, vcc
	v_mov_b32_e32 v44, 0
	s_mov_b64 s[10:11], exec
; %bb.142:                              ;   in Loop: Header=BB165_31 Depth=1
	s_or_b64 exec, exec, s[6:7]
	s_and_b64 s[6:7], s[10:11], exec
.LBB165_143:                            ;   in Loop: Header=BB165_31 Depth=1
	s_or_b64 exec, exec, s[4:5]
	s_mov_b64 s[4:5], -1
                                        ; implicit-def: $sgpr36_sgpr37
                                        ; implicit-def: $sgpr38_sgpr39
	s_and_saveexec_b64 s[10:11], s[6:7]
	s_xor_b64 s[60:61], exec, s[10:11]
	s_cbranch_execz .LBB165_288
; %bb.144:                              ;   in Loop: Header=BB165_31 Depth=1
	s_cmp_eq_u64 s[44:45], 1
	v_cmp_eq_u64_e32 vcc, 1, v[38:39]
	s_cselect_b64 s[4:5], -1, 0
	v_writelane_b32 v59, s60, 54
	s_and_b64 s[4:5], s[4:5], vcc
	s_mov_b64 s[12:13], -1
	v_writelane_b32 v59, s61, 55
                                        ; implicit-def: $sgpr38_sgpr39
                                        ; implicit-def: $sgpr36_sgpr37
	s_and_saveexec_b64 s[10:11], s[4:5]
	s_cbranch_execz .LBB165_178
; %bb.145:                              ;   in Loop: Header=BB165_31 Depth=1
	ds_read_b64 v[3:4], v19 offset:5120
	s_waitcnt lgkmcnt(0)
	s_barrier
	v_readfirstlane_b32 s60, v3
	v_readfirstlane_b32 s61, v4
	s_mov_b64 s[6:7], exec
	v_readlane_b32 s12, v59, 22
	v_readlane_b32 s13, v59, 23
	s_and_b64 s[12:13], s[6:7], s[12:13]
	s_mov_b64 exec, s[12:13]
; %bb.146:                              ;   in Loop: Header=BB165_31 Depth=1
	v_mov_b32_e32 v18, v19
	ds_write_b64 v54, v[18:19]
; %bb.147:                              ;   in Loop: Header=BB165_31 Depth=1
	s_or_b64 exec, exec, s[6:7]
	s_lshl_b64 s[6:7], 1, s1
	v_and_b32_e32 v3, s51, v13
	v_and_b32_e32 v4, s50, v12
	v_or_b32_e32 v13, s7, v3
	v_or_b32_e32 v12, s6, v4
	;; [unrolled: 1-line block ×4, first 2 shown]
	s_mov_b64 s[36:37], -1
	s_mov_b64 s[38:39], 0
	s_cmp_eq_u64 s[60:61], 0
	s_mov_b64 s[12:13], 0
	s_mov_b64 s[56:57], -1
	s_waitcnt lgkmcnt(0)
	s_barrier
                                        ; implicit-def: $vgpr10_vgpr11
	s_cbranch_scc1 .LBB165_163
; %bb.148:                              ;   in Loop: Header=BB165_31 Depth=1
	v_readlane_b32 s6, v59, 26
	s_add_u32 s58, s60, s6
	v_readlane_b32 s6, v59, 28
	s_addc_u32 s13, s61, s6
	s_mov_b32 s12, s55
	s_cmp_lg_u64 s[12:13], 0
	s_cbranch_scc0 .LBB165_204
; %bb.149:                              ;   in Loop: Header=BB165_31 Depth=1
	v_cvt_f32_u32_e32 v3, s33
	s_sub_u32 s12, 0, s33
	s_subb_u32 s54, 0, 0
	v_mac_f32_e32 v3, 0, v55
	v_rcp_f32_e32 v3, v3
	v_mul_f32_e32 v3, 0x5f7ffffc, v3
	v_mul_f32_e32 v4, 0x2f800000, v3
	v_trunc_f32_e32 v4, v4
	v_mac_f32_e32 v3, 0xcf800000, v4
	v_cvt_u32_f32_e32 v4, v4
	v_cvt_u32_f32_e32 v3, v3
	v_readfirstlane_b32 s56, v4
	v_readfirstlane_b32 s6, v3
	s_mul_i32 s7, s12, s56
	s_mul_hi_u32 s59, s12, s6
	s_mul_i32 s57, s54, s6
	s_add_i32 s7, s59, s7
	s_mul_i32 s64, s12, s6
	s_add_i32 s7, s7, s57
	s_mul_hi_u32 s59, s6, s64
	s_mul_i32 s65, s6, s7
	s_mul_hi_u32 s57, s6, s7
	s_add_u32 s59, s59, s65
	s_addc_u32 s57, 0, s57
	s_mul_hi_u32 s72, s56, s64
	s_mul_i32 s64, s56, s64
	s_add_u32 s59, s59, s64
	s_mul_hi_u32 s65, s56, s7
	s_addc_u32 s57, s57, s72
	s_addc_u32 s59, s65, 0
	s_mul_i32 s7, s56, s7
	s_add_u32 s7, s57, s7
	s_addc_u32 s57, 0, s59
	s_add_u32 s59, s6, s7
	s_cselect_b64 s[6:7], -1, 0
	s_cmp_lg_u64 s[6:7], 0
	s_addc_u32 s56, s56, s57
	s_mul_i32 s6, s12, s56
	s_mul_hi_u32 s7, s12, s59
	s_add_i32 s6, s7, s6
	s_mul_i32 s54, s54, s59
	s_add_i32 s6, s6, s54
	s_mul_i32 s12, s12, s59
	s_mul_hi_u32 s54, s56, s12
	s_mul_i32 s57, s56, s12
	s_mul_i32 s65, s59, s6
	s_mul_hi_u32 s12, s59, s12
	s_mul_hi_u32 s64, s59, s6
	s_add_u32 s12, s12, s65
	s_addc_u32 s64, 0, s64
	s_add_u32 s12, s12, s57
	s_mul_hi_u32 s7, s56, s6
	s_addc_u32 s12, s64, s54
	s_addc_u32 s7, s7, 0
	s_mul_i32 s6, s56, s6
	s_add_u32 s6, s12, s6
	s_addc_u32 s12, 0, s7
	s_add_u32 s54, s59, s6
	s_cselect_b64 s[6:7], -1, 0
	s_cmp_lg_u64 s[6:7], 0
	s_addc_u32 s6, s56, s12
	s_mul_i32 s12, s58, s6
	s_mul_hi_u32 s56, s58, s54
	s_mul_hi_u32 s7, s58, s6
	s_add_u32 s12, s56, s12
	s_addc_u32 s7, 0, s7
	s_mul_hi_u32 s57, s13, s54
	s_mul_i32 s54, s13, s54
	s_add_u32 s12, s12, s54
	s_mul_hi_u32 s56, s13, s6
	s_addc_u32 s7, s7, s57
	s_addc_u32 s12, s56, 0
	s_mul_i32 s6, s13, s6
	s_add_u32 s6, s7, s6
	s_addc_u32 s7, 0, s12
	s_mul_i32 s7, s33, s7
	s_mul_hi_u32 s12, s33, s6
	s_add_i32 s12, s12, s7
	s_mul_i32 s6, s33, s6
	s_sub_u32 s54, s58, s6
	s_cselect_b64 s[6:7], -1, 0
	s_cmp_lg_u64 s[6:7], 0
	s_subb_u32 s12, s13, s12
	s_sub_u32 s56, s54, s33
	s_cselect_b64 s[6:7], -1, 0
	s_cmp_lg_u64 s[6:7], 0
	s_subb_u32 s57, s12, 0
	;; [unrolled: 4-line block ×3, first 2 shown]
	s_cmp_ge_u32 s56, s33
	s_cselect_b32 s7, -1, 0
	s_cmp_eq_u32 s57, 0
	s_cselect_b32 s7, s7, -1
	s_cmp_lg_u32 s7, 0
	s_cselect_b32 s6, s6, s57
	s_cselect_b32 s7, s59, s56
	s_cmp_ge_u32 s54, s33
	s_cselect_b32 s56, -1, 0
	s_cmp_eq_u32 s12, 0
	s_cselect_b32 s56, s56, -1
	s_cmp_lg_u32 s56, 0
	s_cselect_b32 s57, s6, s12
	s_cselect_b32 s56, s7, s54
	s_cbranch_execnz .LBB165_151
.LBB165_150:                            ;   in Loop: Header=BB165_31 Depth=1
	v_cvt_f32_u32_e32 v3, s33
	s_sub_i32 s6, 0, s33
	v_rcp_iflag_f32_e32 v3, v3
	v_mul_f32_e32 v3, 0x4f7ffffe, v3
	v_cvt_u32_f32_e32 v3, v3
	v_readfirstlane_b32 s7, v3
	s_mul_i32 s6, s6, s7
	s_mul_hi_u32 s6, s7, s6
	s_add_i32 s7, s7, s6
	s_mul_hi_u32 s6, s58, s7
	s_mul_i32 s6, s6, s33
	s_sub_i32 s6, s58, s6
	s_sub_i32 s7, s6, s33
	s_cmp_ge_u32 s6, s33
	s_cselect_b32 s6, s7, s6
	s_sub_i32 s7, s6, s33
	s_cmp_ge_u32 s6, s33
	s_cselect_b32 s54, s7, s6
	s_mov_b64 s[56:57], s[54:55]
.LBB165_151:                            ;   in Loop: Header=BB165_31 Depth=1
	s_sub_u32 s64, s58, s56
	s_subb_u32 s65, s13, s57
	v_cmp_gt_u64_e32 vcc, s[64:65], v[0:1]
	s_mov_b64 s[56:57], 0
	s_mov_b64 s[12:13], 0
                                        ; implicit-def: $vgpr10_vgpr11
	s_and_saveexec_b64 s[58:59], vcc
	s_cbranch_execz .LBB165_162
; %bb.152:                              ;   in Loop: Header=BB165_31 Depth=1
	v_mov_b32_e32 v41, v1
	v_mov_b32_e32 v18, v50
	;; [unrolled: 1-line block ×3, first 2 shown]
                                        ; implicit-def: $sgpr74_sgpr75
	s_branch .LBB165_155
.LBB165_153:                            ;   in Loop: Header=BB165_155 Depth=2
	s_or_b64 exec, exec, s[72:73]
	s_waitcnt lgkmcnt(0)
	s_barrier
	ds_read_b128 v[8:11], v19 offset:3072
	s_mov_b64 s[72:73], -1
	s_mov_b64 s[6:7], -1
	s_waitcnt lgkmcnt(0)
	s_barrier
	v_cmp_ne_u64_e32 vcc, 0, v[8:9]
	s_cbranch_vccz .LBB165_158
.LBB165_154:                            ;   in Loop: Header=BB165_155 Depth=2
	s_and_b64 s[72:73], exec, s[72:73]
	s_or_b64 s[12:13], s[72:73], s[12:13]
	s_andn2_b64 s[72:73], s[74:75], exec
	s_and_b64 s[6:7], s[6:7], exec
	s_or_b64 s[74:75], s[72:73], s[6:7]
	s_andn2_b64 exec, exec, s[12:13]
	s_cbranch_execz .LBB165_161
.LBB165_155:                            ;   Parent Loop BB165_31 Depth=1
                                        ; =>  This Inner Loop Header: Depth=2
	v_cmp_gt_u64_e32 vcc, s[60:61], v[40:41]
	s_and_saveexec_b64 s[72:73], vcc
	s_cbranch_execz .LBB165_153
; %bb.156:                              ;   in Loop: Header=BB165_155 Depth=2
	ds_read_b64 v[4:5], v18
	s_waitcnt lgkmcnt(0)
	v_xor_b32_e32 v3, 0x80000000, v5
	v_and_b32_e32 v9, v3, v15
	v_and_b32_e32 v8, v4, v14
	v_cmp_eq_u64_e32 vcc, v[8:9], v[12:13]
	s_and_b64 exec, exec, vcc
	s_cbranch_execz .LBB165_153
; %bb.157:                              ;   in Loop: Header=BB165_155 Depth=2
	v_mov_b32_e32 v3, v19
	ds_write_b128 v19, v[2:5] offset:3072
	s_branch .LBB165_153
.LBB165_158:                            ;   in Loop: Header=BB165_155 Depth=2
	v_add_co_u32_e32 v40, vcc, s33, v40
	v_addc_co_u32_e32 v41, vcc, 0, v41, vcc
	v_cmp_le_u64_e32 vcc, s[64:65], v[40:41]
	v_readlane_b32 s6, v59, 42
	v_add_u32_e32 v18, s6, v18
	s_mov_b64 s[6:7], 0
	s_orn2_b64 s[72:73], vcc, exec
	s_branch .LBB165_154
.LBB165_159:                            ;   in Loop: Header=BB165_31 Depth=1
                                        ; implicit-def: $sgpr12_sgpr13
	s_andn2_b64 vcc, exec, s[20:21]
	s_cbranch_vccz .LBB165_104
	s_branch .LBB165_105
.LBB165_160:                            ;   in Loop: Header=BB165_31 Depth=1
                                        ; implicit-def: $sgpr10_sgpr11
	s_branch .LBB165_121
.LBB165_161:                            ;   in Loop: Header=BB165_31 Depth=1
	s_or_b64 exec, exec, s[12:13]
	s_and_b64 s[12:13], s[74:75], exec
.LBB165_162:                            ;   in Loop: Header=BB165_31 Depth=1
	s_or_b64 exec, exec, s[58:59]
	v_readlane_b32 s72, v59, 48
	v_readlane_b32 s73, v59, 49
.LBB165_163:                            ;   in Loop: Header=BB165_31 Depth=1
	s_and_b64 vcc, exec, s[56:57]
	s_cbranch_vccz .LBB165_177
; %bb.164:                              ;   in Loop: Header=BB165_31 Depth=1
	v_readlane_b32 s58, v59, 29
	v_readlane_b32 s59, v59, 30
	s_mov_b32 s58, s55
	s_cmp_lg_u64 s[58:59], 0
	v_writelane_b32 v59, s58, 29
	v_writelane_b32 v59, s59, 30
	s_cbranch_scc0 .LBB165_205
; %bb.165:                              ;   in Loop: Header=BB165_31 Depth=1
	v_cvt_f32_u32_e32 v3, s33
	s_sub_u32 s36, 0, s33
	s_subb_u32 s37, 0, 0
	v_mac_f32_e32 v3, 0, v55
	v_rcp_f32_e32 v3, v3
	v_mul_f32_e32 v3, 0x5f7ffffc, v3
	v_mul_f32_e32 v4, 0x2f800000, v3
	v_trunc_f32_e32 v4, v4
	v_mac_f32_e32 v3, 0xcf800000, v4
	v_cvt_u32_f32_e32 v4, v4
	v_cvt_u32_f32_e32 v3, v3
	v_readfirstlane_b32 s38, v4
	v_readfirstlane_b32 s6, v3
	s_mul_i32 s7, s36, s38
	s_mul_hi_u32 s54, s36, s6
	s_mul_i32 s39, s37, s6
	s_add_i32 s7, s54, s7
	s_mul_i32 s56, s36, s6
	s_add_i32 s7, s7, s39
	s_mul_hi_u32 s54, s6, s56
	s_mul_i32 s57, s6, s7
	s_mul_hi_u32 s39, s6, s7
	s_add_u32 s54, s54, s57
	s_addc_u32 s39, 0, s39
	s_mul_hi_u32 s58, s38, s56
	s_mul_i32 s56, s38, s56
	s_add_u32 s54, s54, s56
	s_mul_hi_u32 s57, s38, s7
	s_addc_u32 s39, s39, s58
	s_addc_u32 s54, s57, 0
	s_mul_i32 s7, s38, s7
	s_add_u32 s7, s39, s7
	s_addc_u32 s39, 0, s54
	s_add_u32 s54, s6, s7
	s_cselect_b64 s[6:7], -1, 0
	s_cmp_lg_u64 s[6:7], 0
	s_addc_u32 s38, s38, s39
	s_mul_i32 s6, s36, s38
	s_mul_hi_u32 s7, s36, s54
	s_add_i32 s6, s7, s6
	s_mul_i32 s37, s37, s54
	s_add_i32 s6, s6, s37
	s_mul_i32 s36, s36, s54
	s_mul_hi_u32 s37, s38, s36
	s_mul_i32 s39, s38, s36
	s_mul_i32 s57, s54, s6
	s_mul_hi_u32 s36, s54, s36
	s_mul_hi_u32 s56, s54, s6
	s_add_u32 s36, s36, s57
	s_addc_u32 s56, 0, s56
	s_add_u32 s36, s36, s39
	s_mul_hi_u32 s7, s38, s6
	s_addc_u32 s36, s56, s37
	s_addc_u32 s7, s7, 0
	s_mul_i32 s6, s38, s6
	s_add_u32 s6, s36, s6
	s_addc_u32 s36, 0, s7
	s_add_u32 s37, s54, s6
	s_cselect_b64 s[6:7], -1, 0
	s_cmp_lg_u64 s[6:7], 0
	s_addc_u32 s6, s38, s36
	v_readlane_b32 s54, v59, 27
	s_mul_i32 s36, s54, s6
	s_mul_hi_u32 s38, s54, s37
	s_mul_hi_u32 s7, s54, s6
	s_add_u32 s36, s38, s36
	s_addc_u32 s7, 0, s7
	s_mul_hi_u32 s39, s59, s37
	s_mul_i32 s37, s59, s37
	s_add_u32 s36, s36, s37
	s_mul_hi_u32 s38, s59, s6
	s_addc_u32 s7, s7, s39
	s_addc_u32 s36, s38, 0
	s_mul_i32 s6, s59, s6
	s_add_u32 s6, s7, s6
	s_addc_u32 s7, 0, s36
	s_mul_i32 s7, s33, s7
	s_mul_hi_u32 s36, s33, s6
	s_add_i32 s36, s36, s7
	s_mul_i32 s6, s33, s6
	s_sub_u32 s38, s54, s6
	s_cselect_b64 s[6:7], -1, 0
	s_cmp_lg_u64 s[6:7], 0
	s_subb_u32 s36, s59, s36
	s_sub_u32 s37, s38, s33
	s_cselect_b64 s[6:7], -1, 0
	s_cmp_lg_u64 s[6:7], 0
	s_subb_u32 s39, s36, 0
	;; [unrolled: 4-line block ×3, first 2 shown]
	s_cmp_ge_u32 s37, s33
	s_cselect_b32 s7, -1, 0
	s_cmp_eq_u32 s39, 0
	s_cselect_b32 s7, s7, -1
	s_cmp_lg_u32 s7, 0
	s_cselect_b32 s6, s6, s39
	s_cselect_b32 s7, s54, s37
	s_cmp_ge_u32 s38, s33
	s_cselect_b32 s37, -1, 0
	s_cmp_eq_u32 s36, 0
	s_cselect_b32 s37, s37, -1
	s_cmp_lg_u32 s37, 0
	s_cselect_b32 s37, s6, s36
	s_cselect_b32 s36, s7, s38
	s_cbranch_execnz .LBB165_167
.LBB165_166:                            ;   in Loop: Header=BB165_31 Depth=1
	v_cvt_f32_u32_e32 v3, s33
	s_sub_i32 s6, 0, s33
	v_readlane_b32 s36, v59, 27
	v_rcp_iflag_f32_e32 v3, v3
	v_mul_f32_e32 v3, 0x4f7ffffe, v3
	v_cvt_u32_f32_e32 v3, v3
	v_readfirstlane_b32 s7, v3
	s_mul_i32 s6, s6, s7
	s_mul_hi_u32 s6, s7, s6
	s_add_i32 s7, s7, s6
	s_mul_hi_u32 s6, s36, s7
	s_mul_i32 s6, s6, s33
	s_sub_i32 s6, s36, s6
	s_sub_i32 s7, s6, s33
	s_cmp_ge_u32 s6, s33
	s_cselect_b32 s6, s7, s6
	s_sub_i32 s7, s6, s33
	s_cmp_ge_u32 s6, s33
	s_cselect_b32 s54, s7, s6
	s_mov_b64 s[36:37], s[54:55]
.LBB165_167:                            ;   in Loop: Header=BB165_31 Depth=1
	v_readlane_b32 s6, v59, 27
	s_sub_u32 s38, s6, s36
	v_readlane_b32 s6, v59, 29
	v_readlane_b32 s7, v59, 30
	s_subb_u32 s39, s7, s37
	v_cmp_gt_u64_e32 vcc, s[38:39], v[0:1]
                                        ; implicit-def: $vgpr10_vgpr11
	s_and_saveexec_b64 s[36:37], vcc
	s_cbranch_execz .LBB165_176
; %bb.168:                              ;   in Loop: Header=BB165_31 Depth=1
	v_mov_b32_e32 v41, v33
	v_mov_b32_e32 v43, v1
	s_mov_b64 s[56:57], 0
	v_mov_b32_e32 v40, v32
	v_mov_b32_e32 v42, v0
                                        ; implicit-def: $sgpr58_sgpr59
	s_branch .LBB165_171
.LBB165_169:                            ;   in Loop: Header=BB165_171 Depth=2
	s_or_b64 exec, exec, s[60:61]
	s_waitcnt lgkmcnt(0)
	s_barrier
	ds_read_b128 v[8:11], v19 offset:3072
	s_mov_b64 s[6:7], -1
	s_mov_b64 s[60:61], -1
	s_waitcnt lgkmcnt(0)
	s_barrier
	v_cmp_eq_u64_e32 vcc, 0, v[8:9]
	s_cbranch_vccnz .LBB165_174
.LBB165_170:                            ;   in Loop: Header=BB165_171 Depth=2
	s_and_b64 s[6:7], exec, s[6:7]
	s_or_b64 s[56:57], s[6:7], s[56:57]
	s_andn2_b64 s[6:7], s[58:59], exec
	s_and_b64 s[58:59], s[60:61], exec
	s_or_b64 s[58:59], s[6:7], s[58:59]
	s_andn2_b64 exec, exec, s[56:57]
	s_cbranch_execz .LBB165_175
.LBB165_171:                            ;   Parent Loop BB165_31 Depth=1
                                        ; =>  This Inner Loop Header: Depth=2
	v_cmp_gt_u64_e32 vcc, s[24:25], v[42:43]
	s_and_saveexec_b64 s[60:61], vcc
	s_cbranch_execz .LBB165_169
; %bb.172:                              ;   in Loop: Header=BB165_171 Depth=2
	global_load_dwordx2 v[4:5], v[40:41], off
	s_waitcnt vmcnt(0)
	v_xor_b32_e32 v3, 0x80000000, v5
	v_and_b32_e32 v9, v3, v15
	v_and_b32_e32 v8, v4, v14
	v_cmp_eq_u64_e32 vcc, v[8:9], v[12:13]
	s_and_b64 exec, exec, vcc
	s_cbranch_execz .LBB165_169
; %bb.173:                              ;   in Loop: Header=BB165_171 Depth=2
	v_mov_b32_e32 v3, v19
	ds_write_b128 v19, v[2:5] offset:3072
	s_branch .LBB165_169
.LBB165_174:                            ;   in Loop: Header=BB165_171 Depth=2
	v_add_co_u32_e32 v42, vcc, s33, v42
	v_addc_co_u32_e32 v43, vcc, 0, v43, vcc
	v_mov_b32_e32 v3, s31
	v_add_co_u32_e32 v40, vcc, s30, v40
	v_addc_co_u32_e32 v41, vcc, v41, v3, vcc
	v_cmp_le_u64_e32 vcc, s[38:39], v[42:43]
	s_mov_b64 s[60:61], 0
	s_orn2_b64 s[6:7], vcc, exec
	s_branch .LBB165_170
.LBB165_175:                            ;   in Loop: Header=BB165_31 Depth=1
	s_or_b64 exec, exec, s[56:57]
	s_andn2_b64 s[6:7], s[12:13], exec
	s_and_b64 s[12:13], s[58:59], exec
	s_or_b64 s[12:13], s[6:7], s[12:13]
.LBB165_176:                            ;   in Loop: Header=BB165_31 Depth=1
	s_or_b64 exec, exec, s[36:37]
	s_mov_b64 s[36:37], 0
	s_mov_b64 s[38:39], -1
.LBB165_177:                            ;   in Loop: Header=BB165_31 Depth=1
	s_orn2_b64 s[12:13], s[12:13], exec
.LBB165_178:                            ;   in Loop: Header=BB165_31 Depth=1
	s_or_b64 exec, exec, s[10:11]
	s_mov_b64 s[56:57], 0
	s_and_saveexec_b64 s[10:11], s[12:13]
	v_readlane_b32 s60, v59, 54
	v_readlane_b32 s61, v59, 55
	s_cbranch_execz .LBB165_287
; %bb.179:                              ;   in Loop: Header=BB165_31 Depth=1
	v_mov_b32_e32 v40, 1
	s_xor_b64 s[6:7], s[4:5], -1
	v_mov_b32_e32 v44, 1
	v_mov_b32_e32 v41, 0
	s_mov_b64 s[12:13], 0
	s_and_saveexec_b64 s[4:5], s[6:7]
	s_cbranch_execz .LBB165_188
; %bb.180:                              ;   in Loop: Header=BB165_31 Depth=1
	v_cmp_ge_u64_e32 vcc, s[44:45], v[38:39]
	s_and_saveexec_b64 s[6:7], vcc
	s_xor_b64 s[12:13], exec, s[6:7]
	s_cbranch_execz .LBB165_185
; %bb.181:                              ;   in Loop: Header=BB165_31 Depth=1
	s_lshl_b64 s[6:7], 1, s1
	v_and_b32_e32 v3, s51, v13
	v_and_b32_e32 v4, s50, v12
	v_or_b32_e32 v13, s7, v3
	v_or_b32_e32 v12, s6, v4
	ds_read_b64 v[3:4], v19 offset:5120
	v_or_b32_e32 v15, s19, v15
	v_or_b32_e32 v14, s18, v14
	s_waitcnt lgkmcnt(0)
	v_cmp_ne_u64_e32 vcc, 0, v[3:4]
	s_cbranch_vccnz .LBB165_185
; %bb.182:                              ;   in Loop: Header=BB165_31 Depth=1
	s_mov_b64 s[6:7], exec
	v_readlane_b32 s56, v59, 8
	v_readlane_b32 s57, v59, 9
	s_and_b64 s[56:57], s[6:7], s[56:57]
	s_mov_b64 exec, s[56:57]
; %bb.183:                              ;   in Loop: Header=BB165_31 Depth=1
	v_mov_b32_e32 v3, s44
	v_mov_b32_e32 v4, s45
	ds_write_b64 v19, v[3:4] offset:5128
; %bb.184:                              ;   in Loop: Header=BB165_31 Depth=1
	s_or_b64 exec, exec, s[6:7]
	s_waitcnt lgkmcnt(0)
	s_barrier
.LBB165_185:                            ;   in Loop: Header=BB165_31 Depth=1
	s_or_saveexec_b64 s[12:13], s[12:13]
	s_mov_b64 s[56:57], 0
	v_mov_b32_e32 v44, 8
	s_xor_b64 exec, exec, s[12:13]
; %bb.186:                              ;   in Loop: Header=BB165_31 Depth=1
	v_subrev_co_u32_e32 v38, vcc, s44, v38
	v_mov_b32_e32 v3, s45
	v_subb_co_u32_e32 v39, vcc, v39, v3, vcc
	v_mov_b32_e32 v44, 0
	s_mov_b64 s[56:57], exec
; %bb.187:                              ;   in Loop: Header=BB165_31 Depth=1
	s_or_b64 exec, exec, s[12:13]
	v_mov_b32_e32 v41, v39
	v_readlane_b32 s60, v59, 54
	s_and_b64 s[12:13], s[56:57], exec
	v_mov_b32_e32 v40, v38
	v_readlane_b32 s61, v59, 55
.LBB165_188:                            ;   in Loop: Header=BB165_31 Depth=1
	s_or_b64 exec, exec, s[4:5]
	s_mov_b64 s[4:5], -1
                                        ; implicit-def: $sgpr6_sgpr7
                                        ; kill: killed $sgpr6_sgpr7
                                        ; implicit-def: $sgpr6_sgpr7
                                        ; kill: killed $sgpr6_sgpr7
	s_and_saveexec_b64 s[64:65], s[12:13]
	s_cbranch_execz .LBB165_286
; %bb.189:                              ;   in Loop: Header=BB165_31 Depth=1
	s_cmp_eq_u64 s[2:3], 1
	v_cmp_eq_u64_e32 vcc, 1, v[40:41]
	s_cselect_b64 s[4:5], -1, 0
	v_writelane_b32 v59, s64, 56
	s_and_b64 s[6:7], s[4:5], vcc
	s_mov_b64 s[12:13], -1
                                        ; implicit-def: $sgpr4_sgpr5
	v_writelane_b32 v59, s65, 57
                                        ; kill: killed $sgpr4_sgpr5
                                        ; implicit-def: $sgpr4_sgpr5
                                        ; kill: killed $sgpr4_sgpr5
	s_mov_b64 s[4:5], exec
	v_writelane_b32 v59, s6, 60
	v_writelane_b32 v59, s7, 61
	s_and_b64 s[6:7], s[4:5], s[6:7]
	s_mov_b64 exec, s[6:7]
	s_cbranch_execz .LBB165_223
; %bb.190:                              ;   in Loop: Header=BB165_31 Depth=1
	ds_read_b64 v[3:4], v19 offset:5120
	s_waitcnt lgkmcnt(0)
	s_barrier
	v_readfirstlane_b32 s56, v3
	v_readfirstlane_b32 s57, v4
	s_mov_b64 s[6:7], exec
	v_readlane_b32 s12, v59, 22
	v_readlane_b32 s13, v59, 23
	s_and_b64 s[12:13], s[6:7], s[12:13]
	s_mov_b64 exec, s[12:13]
; %bb.191:                              ;   in Loop: Header=BB165_31 Depth=1
	v_mov_b32_e32 v18, v19
	ds_write_b64 v54, v[18:19]
; %bb.192:                              ;   in Loop: Header=BB165_31 Depth=1
	s_or_b64 exec, exec, s[6:7]
	s_lshl_b64 s[6:7], 2, s1
	v_and_b32_e32 v3, s51, v13
	v_and_b32_e32 v4, s50, v12
	v_or_b32_e32 v13, s7, v3
	v_or_b32_e32 v12, s6, v4
	s_mov_b64 s[6:7], -1
	v_writelane_b32 v59, s6, 52
	v_writelane_b32 v59, s7, 53
	s_mov_b64 s[6:7], 0
	v_or_b32_e32 v15, s19, v15
	v_or_b32_e32 v14, s18, v14
	v_writelane_b32 v59, s6, 58
	s_cmp_eq_u64 s[56:57], 0
	s_mov_b64 s[74:75], 0
	s_mov_b64 s[58:59], -1
	s_waitcnt lgkmcnt(0)
	s_barrier
	v_writelane_b32 v59, s7, 59
                                        ; implicit-def: $vgpr10_vgpr11
	s_cbranch_scc1 .LBB165_208
; %bb.193:                              ;   in Loop: Header=BB165_31 Depth=1
	v_readlane_b32 s6, v59, 26
	s_add_u32 s58, s56, s6
	v_readlane_b32 s6, v59, 28
	s_addc_u32 s75, s57, s6
	s_mov_b32 s74, s55
	s_cmp_lg_u64 s[74:75], 0
	s_cbranch_scc0 .LBB165_240
; %bb.194:                              ;   in Loop: Header=BB165_31 Depth=1
	v_cvt_f32_u32_e32 v3, s33
	s_sub_u32 s12, 0, s33
	s_subb_u32 s13, 0, 0
	v_mac_f32_e32 v3, 0, v55
	v_rcp_f32_e32 v3, v3
	v_mul_f32_e32 v3, 0x5f7ffffc, v3
	v_mul_f32_e32 v4, 0x2f800000, v3
	v_trunc_f32_e32 v4, v4
	v_mac_f32_e32 v3, 0xcf800000, v4
	v_cvt_u32_f32_e32 v4, v4
	v_cvt_u32_f32_e32 v3, v3
	v_readfirstlane_b32 s54, v4
	v_readfirstlane_b32 s6, v3
	s_mul_i32 s7, s12, s54
	s_mul_hi_u32 s60, s12, s6
	s_mul_i32 s59, s13, s6
	s_add_i32 s7, s60, s7
	s_mul_i32 s61, s12, s6
	s_add_i32 s7, s7, s59
	s_mul_hi_u32 s60, s6, s61
	s_mul_i32 s64, s6, s7
	s_mul_hi_u32 s59, s6, s7
	s_add_u32 s60, s60, s64
	s_addc_u32 s59, 0, s59
	s_mul_hi_u32 s65, s54, s61
	s_mul_i32 s61, s54, s61
	s_add_u32 s60, s60, s61
	s_mul_hi_u32 s64, s54, s7
	s_addc_u32 s59, s59, s65
	s_addc_u32 s60, s64, 0
	s_mul_i32 s7, s54, s7
	s_add_u32 s7, s59, s7
	s_addc_u32 s59, 0, s60
	s_add_u32 s60, s6, s7
	s_cselect_b64 s[6:7], -1, 0
	s_cmp_lg_u64 s[6:7], 0
	s_addc_u32 s54, s54, s59
	s_mul_i32 s6, s12, s54
	s_mul_hi_u32 s7, s12, s60
	s_add_i32 s6, s7, s6
	s_mul_i32 s13, s13, s60
	s_add_i32 s6, s6, s13
	s_mul_i32 s12, s12, s60
	s_mul_hi_u32 s13, s54, s12
	s_mul_i32 s59, s54, s12
	s_mul_i32 s64, s60, s6
	s_mul_hi_u32 s12, s60, s12
	s_mul_hi_u32 s61, s60, s6
	s_add_u32 s12, s12, s64
	s_addc_u32 s61, 0, s61
	s_add_u32 s12, s12, s59
	s_mul_hi_u32 s7, s54, s6
	s_addc_u32 s12, s61, s13
	s_addc_u32 s7, s7, 0
	s_mul_i32 s6, s54, s6
	s_add_u32 s6, s12, s6
	s_addc_u32 s12, 0, s7
	s_add_u32 s13, s60, s6
	s_cselect_b64 s[6:7], -1, 0
	s_cmp_lg_u64 s[6:7], 0
	s_addc_u32 s6, s54, s12
	s_mul_i32 s12, s58, s6
	s_mul_hi_u32 s54, s58, s13
	s_mul_hi_u32 s7, s58, s6
	s_add_u32 s12, s54, s12
	s_addc_u32 s7, 0, s7
	s_mul_hi_u32 s59, s75, s13
	s_mul_i32 s13, s75, s13
	s_add_u32 s12, s12, s13
	s_mul_hi_u32 s54, s75, s6
	s_addc_u32 s7, s7, s59
	s_addc_u32 s12, s54, 0
	s_mul_i32 s6, s75, s6
	s_add_u32 s6, s7, s6
	s_addc_u32 s7, 0, s12
	s_mul_i32 s7, s33, s7
	s_mul_hi_u32 s12, s33, s6
	s_add_i32 s12, s12, s7
	s_mul_i32 s6, s33, s6
	s_sub_u32 s54, s58, s6
	s_cselect_b64 s[6:7], -1, 0
	s_cmp_lg_u64 s[6:7], 0
	s_subb_u32 s12, s75, s12
	s_sub_u32 s13, s54, s33
	s_cselect_b64 s[6:7], -1, 0
	s_cmp_lg_u64 s[6:7], 0
	s_subb_u32 s59, s12, 0
	;; [unrolled: 4-line block ×3, first 2 shown]
	s_cmp_ge_u32 s13, s33
	s_cselect_b32 s7, -1, 0
	s_cmp_eq_u32 s59, 0
	s_cselect_b32 s7, s7, -1
	s_cmp_lg_u32 s7, 0
	s_cselect_b32 s6, s6, s59
	s_cselect_b32 s7, s60, s13
	s_cmp_ge_u32 s54, s33
	s_cselect_b32 s13, -1, 0
	s_cmp_eq_u32 s12, 0
	s_cselect_b32 s13, s13, -1
	s_cmp_lg_u32 s13, 0
	s_cselect_b32 s13, s6, s12
	s_cselect_b32 s12, s7, s54
	s_cbranch_execnz .LBB165_196
.LBB165_195:                            ;   in Loop: Header=BB165_31 Depth=1
	v_cvt_f32_u32_e32 v3, s33
	s_sub_i32 s6, 0, s33
	v_rcp_iflag_f32_e32 v3, v3
	v_mul_f32_e32 v3, 0x4f7ffffe, v3
	v_cvt_u32_f32_e32 v3, v3
	v_readfirstlane_b32 s7, v3
	s_mul_i32 s6, s6, s7
	s_mul_hi_u32 s6, s7, s6
	s_add_i32 s7, s7, s6
	s_mul_hi_u32 s6, s58, s7
	s_mul_i32 s6, s6, s33
	s_sub_i32 s6, s58, s6
	s_sub_i32 s7, s6, s33
	s_cmp_ge_u32 s6, s33
	s_cselect_b32 s6, s7, s6
	s_sub_i32 s7, s6, s33
	s_cmp_ge_u32 s6, s33
	s_cselect_b32 s54, s7, s6
	s_mov_b64 s[12:13], s[54:55]
.LBB165_196:                            ;   in Loop: Header=BB165_31 Depth=1
	s_sub_u32 s60, s58, s12
	s_subb_u32 s61, s75, s13
	v_cmp_gt_u64_e32 vcc, s[60:61], v[0:1]
	s_mov_b64 s[58:59], 0
	s_mov_b64 s[74:75], 0
                                        ; implicit-def: $vgpr10_vgpr11
	s_and_saveexec_b64 s[64:65], vcc
	s_cbranch_execz .LBB165_207
; %bb.197:                              ;   in Loop: Header=BB165_31 Depth=1
	v_mov_b32_e32 v39, v1
	v_mov_b32_e32 v18, v50
	;; [unrolled: 1-line block ×3, first 2 shown]
                                        ; implicit-def: $sgpr12_sgpr13
	s_branch .LBB165_200
.LBB165_198:                            ;   in Loop: Header=BB165_200 Depth=2
	s_or_b64 exec, exec, s[72:73]
	s_waitcnt lgkmcnt(0)
	s_barrier
	ds_read_b128 v[8:11], v19 offset:3072
	s_mov_b64 s[6:7], -1
	s_mov_b64 s[72:73], -1
	s_waitcnt lgkmcnt(0)
	s_barrier
	v_cmp_ne_u64_e32 vcc, 0, v[8:9]
	s_cbranch_vccz .LBB165_203
.LBB165_199:                            ;   in Loop: Header=BB165_200 Depth=2
	s_and_b64 s[6:7], exec, s[6:7]
	s_or_b64 s[74:75], s[6:7], s[74:75]
	s_andn2_b64 s[6:7], s[12:13], exec
	s_and_b64 s[12:13], s[72:73], exec
	s_or_b64 s[12:13], s[6:7], s[12:13]
	s_andn2_b64 exec, exec, s[74:75]
	s_cbranch_execz .LBB165_206
.LBB165_200:                            ;   Parent Loop BB165_31 Depth=1
                                        ; =>  This Inner Loop Header: Depth=2
	v_cmp_gt_u64_e32 vcc, s[56:57], v[38:39]
	s_and_saveexec_b64 s[72:73], vcc
	s_cbranch_execz .LBB165_198
; %bb.201:                              ;   in Loop: Header=BB165_200 Depth=2
	ds_read_b64 v[4:5], v18
	s_waitcnt lgkmcnt(0)
	v_xor_b32_e32 v3, 0x80000000, v5
	v_and_b32_e32 v9, v3, v15
	v_and_b32_e32 v8, v4, v14
	v_cmp_eq_u64_e32 vcc, v[8:9], v[12:13]
	s_and_b64 exec, exec, vcc
	s_cbranch_execz .LBB165_198
; %bb.202:                              ;   in Loop: Header=BB165_200 Depth=2
	v_mov_b32_e32 v3, v19
	ds_write_b128 v19, v[2:5] offset:3072
	s_branch .LBB165_198
.LBB165_203:                            ;   in Loop: Header=BB165_200 Depth=2
	v_add_co_u32_e32 v38, vcc, s33, v38
	v_addc_co_u32_e32 v39, vcc, 0, v39, vcc
	v_cmp_le_u64_e32 vcc, s[60:61], v[38:39]
	v_readlane_b32 s6, v59, 42
	v_add_u32_e32 v18, s6, v18
	s_mov_b64 s[72:73], 0
	s_orn2_b64 s[6:7], vcc, exec
	s_branch .LBB165_199
.LBB165_204:                            ;   in Loop: Header=BB165_31 Depth=1
                                        ; implicit-def: $sgpr56_sgpr57
	s_branch .LBB165_150
.LBB165_205:                            ;   in Loop: Header=BB165_31 Depth=1
                                        ; implicit-def: $sgpr36_sgpr37
	s_branch .LBB165_166
.LBB165_206:                            ;   in Loop: Header=BB165_31 Depth=1
	s_or_b64 exec, exec, s[74:75]
	v_readlane_b32 s72, v59, 48
	s_and_b64 s[74:75], s[12:13], exec
	v_readlane_b32 s73, v59, 49
.LBB165_207:                            ;   in Loop: Header=BB165_31 Depth=1
	s_or_b64 exec, exec, s[64:65]
.LBB165_208:                            ;   in Loop: Header=BB165_31 Depth=1
	s_and_b64 vcc, exec, s[58:59]
	s_cbranch_vccz .LBB165_222
; %bb.209:                              ;   in Loop: Header=BB165_31 Depth=1
	v_readlane_b32 s60, v59, 29
	v_readlane_b32 s61, v59, 30
	s_mov_b32 s60, s55
	s_cmp_lg_u64 s[60:61], 0
	v_writelane_b32 v59, s60, 29
	v_writelane_b32 v59, s61, 30
	s_cbranch_scc0 .LBB165_241
; %bb.210:                              ;   in Loop: Header=BB165_31 Depth=1
	v_cvt_f32_u32_e32 v3, s33
	s_sub_u32 s12, 0, s33
	s_subb_u32 s13, 0, 0
	v_mac_f32_e32 v3, 0, v55
	v_rcp_f32_e32 v3, v3
	v_mul_f32_e32 v3, 0x5f7ffffc, v3
	v_mul_f32_e32 v4, 0x2f800000, v3
	v_trunc_f32_e32 v4, v4
	v_mac_f32_e32 v3, 0xcf800000, v4
	v_cvt_u32_f32_e32 v4, v4
	v_cvt_u32_f32_e32 v3, v3
	v_readfirstlane_b32 s54, v4
	v_readfirstlane_b32 s6, v3
	s_mul_i32 s7, s12, s54
	s_mul_hi_u32 s57, s12, s6
	s_mul_i32 s56, s13, s6
	s_add_i32 s7, s57, s7
	s_mul_i32 s58, s12, s6
	s_add_i32 s7, s7, s56
	s_mul_hi_u32 s57, s6, s58
	s_mul_i32 s59, s6, s7
	s_mul_hi_u32 s56, s6, s7
	s_add_u32 s57, s57, s59
	s_addc_u32 s56, 0, s56
	s_mul_hi_u32 s60, s54, s58
	s_mul_i32 s58, s54, s58
	s_add_u32 s57, s57, s58
	s_mul_hi_u32 s59, s54, s7
	s_addc_u32 s56, s56, s60
	s_addc_u32 s57, s59, 0
	s_mul_i32 s7, s54, s7
	s_add_u32 s7, s56, s7
	s_addc_u32 s56, 0, s57
	s_add_u32 s57, s6, s7
	s_cselect_b64 s[6:7], -1, 0
	s_cmp_lg_u64 s[6:7], 0
	s_addc_u32 s54, s54, s56
	s_mul_i32 s6, s12, s54
	s_mul_hi_u32 s7, s12, s57
	s_add_i32 s6, s7, s6
	s_mul_i32 s13, s13, s57
	s_add_i32 s6, s6, s13
	s_mul_i32 s12, s12, s57
	s_mul_hi_u32 s13, s54, s12
	s_mul_i32 s56, s54, s12
	s_mul_i32 s59, s57, s6
	s_mul_hi_u32 s12, s57, s12
	s_mul_hi_u32 s58, s57, s6
	s_add_u32 s12, s12, s59
	s_addc_u32 s58, 0, s58
	s_add_u32 s12, s12, s56
	s_mul_hi_u32 s7, s54, s6
	s_addc_u32 s12, s58, s13
	s_addc_u32 s7, s7, 0
	s_mul_i32 s6, s54, s6
	s_add_u32 s6, s12, s6
	s_addc_u32 s12, 0, s7
	s_add_u32 s13, s57, s6
	s_cselect_b64 s[6:7], -1, 0
	s_cmp_lg_u64 s[6:7], 0
	s_addc_u32 s6, s54, s12
	v_readlane_b32 s57, v59, 27
	s_mul_i32 s12, s57, s6
	s_mul_hi_u32 s54, s57, s13
	s_mul_hi_u32 s7, s57, s6
	s_add_u32 s12, s54, s12
	s_addc_u32 s7, 0, s7
	s_mul_hi_u32 s56, s61, s13
	s_mul_i32 s13, s61, s13
	s_add_u32 s12, s12, s13
	s_mul_hi_u32 s54, s61, s6
	s_addc_u32 s7, s7, s56
	s_addc_u32 s12, s54, 0
	s_mul_i32 s6, s61, s6
	s_add_u32 s6, s7, s6
	s_addc_u32 s7, 0, s12
	s_mul_i32 s7, s33, s7
	s_mul_hi_u32 s12, s33, s6
	s_add_i32 s12, s12, s7
	s_mul_i32 s6, s33, s6
	s_sub_u32 s54, s57, s6
	s_cselect_b64 s[6:7], -1, 0
	s_cmp_lg_u64 s[6:7], 0
	s_subb_u32 s12, s61, s12
	s_sub_u32 s13, s54, s33
	s_cselect_b64 s[6:7], -1, 0
	s_cmp_lg_u64 s[6:7], 0
	s_subb_u32 s56, s12, 0
	s_sub_u32 s57, s13, s33
	s_cselect_b64 s[6:7], -1, 0
	s_cmp_lg_u64 s[6:7], 0
	s_subb_u32 s6, s56, 0
	s_cmp_ge_u32 s13, s33
	s_cselect_b32 s7, -1, 0
	s_cmp_eq_u32 s56, 0
	s_cselect_b32 s7, s7, -1
	s_cmp_lg_u32 s7, 0
	s_cselect_b32 s6, s6, s56
	s_cselect_b32 s7, s57, s13
	s_cmp_ge_u32 s54, s33
	s_cselect_b32 s13, -1, 0
	s_cmp_eq_u32 s12, 0
	s_cselect_b32 s13, s13, -1
	s_cmp_lg_u32 s13, 0
	s_cselect_b32 s13, s6, s12
	s_cselect_b32 s12, s7, s54
	s_cbranch_execnz .LBB165_212
.LBB165_211:                            ;   in Loop: Header=BB165_31 Depth=1
	v_cvt_f32_u32_e32 v3, s33
	s_sub_i32 s6, 0, s33
	v_readlane_b32 s12, v59, 27
	v_rcp_iflag_f32_e32 v3, v3
	v_mul_f32_e32 v3, 0x4f7ffffe, v3
	v_cvt_u32_f32_e32 v3, v3
	v_readfirstlane_b32 s7, v3
	s_mul_i32 s6, s6, s7
	s_mul_hi_u32 s6, s7, s6
	s_add_i32 s7, s7, s6
	s_mul_hi_u32 s6, s12, s7
	s_mul_i32 s6, s6, s33
	s_sub_i32 s6, s12, s6
	s_sub_i32 s7, s6, s33
	s_cmp_ge_u32 s6, s33
	s_cselect_b32 s6, s7, s6
	s_sub_i32 s7, s6, s33
	s_cmp_ge_u32 s6, s33
	s_cselect_b32 s54, s7, s6
	s_mov_b64 s[12:13], s[54:55]
.LBB165_212:                            ;   in Loop: Header=BB165_31 Depth=1
	v_readlane_b32 s6, v59, 27
	s_sub_u32 s58, s6, s12
	v_readlane_b32 s6, v59, 29
	v_readlane_b32 s7, v59, 30
	s_subb_u32 s59, s7, s13
	v_cmp_gt_u64_e32 vcc, s[58:59], v[0:1]
                                        ; implicit-def: $vgpr10_vgpr11
	s_and_saveexec_b64 s[56:57], vcc
	s_cbranch_execz .LBB165_221
; %bb.213:                              ;   in Loop: Header=BB165_31 Depth=1
	v_mov_b32_e32 v39, v33
	v_mov_b32_e32 v43, v1
	s_mov_b64 s[60:61], 0
	v_mov_b32_e32 v38, v32
	v_mov_b32_e32 v42, v0
                                        ; implicit-def: $sgpr64_sgpr65
	s_branch .LBB165_216
.LBB165_214:                            ;   in Loop: Header=BB165_216 Depth=2
	s_or_b64 exec, exec, s[12:13]
	s_waitcnt lgkmcnt(0)
	s_barrier
	ds_read_b128 v[8:11], v19 offset:3072
	s_mov_b64 s[6:7], -1
	s_mov_b64 s[12:13], -1
	s_waitcnt lgkmcnt(0)
	s_barrier
	v_cmp_eq_u64_e32 vcc, 0, v[8:9]
	s_cbranch_vccnz .LBB165_219
.LBB165_215:                            ;   in Loop: Header=BB165_216 Depth=2
	s_and_b64 s[6:7], exec, s[6:7]
	s_or_b64 s[60:61], s[6:7], s[60:61]
	s_andn2_b64 s[6:7], s[64:65], exec
	s_and_b64 s[12:13], s[12:13], exec
	s_or_b64 s[64:65], s[6:7], s[12:13]
	s_andn2_b64 exec, exec, s[60:61]
	s_cbranch_execz .LBB165_220
.LBB165_216:                            ;   Parent Loop BB165_31 Depth=1
                                        ; =>  This Inner Loop Header: Depth=2
	v_cmp_gt_u64_e32 vcc, s[24:25], v[42:43]
	s_and_saveexec_b64 s[12:13], vcc
	s_cbranch_execz .LBB165_214
; %bb.217:                              ;   in Loop: Header=BB165_216 Depth=2
	global_load_dwordx2 v[4:5], v[38:39], off
	s_waitcnt vmcnt(0)
	v_xor_b32_e32 v3, 0x80000000, v5
	v_and_b32_e32 v9, v3, v15
	v_and_b32_e32 v8, v4, v14
	v_cmp_eq_u64_e32 vcc, v[8:9], v[12:13]
	s_and_b64 exec, exec, vcc
	s_cbranch_execz .LBB165_214
; %bb.218:                              ;   in Loop: Header=BB165_216 Depth=2
	v_mov_b32_e32 v3, v19
	ds_write_b128 v19, v[2:5] offset:3072
	s_branch .LBB165_214
.LBB165_219:                            ;   in Loop: Header=BB165_216 Depth=2
	v_add_co_u32_e32 v42, vcc, s33, v42
	v_addc_co_u32_e32 v43, vcc, 0, v43, vcc
	v_mov_b32_e32 v3, s31
	v_add_co_u32_e32 v38, vcc, s30, v38
	v_addc_co_u32_e32 v39, vcc, v39, v3, vcc
	v_cmp_le_u64_e32 vcc, s[58:59], v[42:43]
	s_mov_b64 s[12:13], 0
	s_orn2_b64 s[6:7], vcc, exec
	s_branch .LBB165_215
.LBB165_220:                            ;   in Loop: Header=BB165_31 Depth=1
	s_or_b64 exec, exec, s[60:61]
	s_andn2_b64 s[6:7], s[74:75], exec
	s_and_b64 s[12:13], s[64:65], exec
	s_or_b64 s[74:75], s[6:7], s[12:13]
.LBB165_221:                            ;   in Loop: Header=BB165_31 Depth=1
	s_or_b64 exec, exec, s[56:57]
	s_mov_b64 s[6:7], 0
	v_writelane_b32 v59, s6, 52
	v_writelane_b32 v59, s7, 53
	s_mov_b64 s[6:7], -1
	v_writelane_b32 v59, s6, 58
	v_writelane_b32 v59, s7, 59
.LBB165_222:                            ;   in Loop: Header=BB165_31 Depth=1
	s_orn2_b64 s[12:13], s[74:75], exec
.LBB165_223:                            ;   in Loop: Header=BB165_31 Depth=1
	s_or_b64 exec, exec, s[4:5]
	s_mov_b64 s[56:57], 0
	s_and_saveexec_b64 s[4:5], s[12:13]
	v_readlane_b32 s60, v59, 54
	v_readlane_b32 s64, v59, 56
	;; [unrolled: 1-line block ×4, first 2 shown]
	s_cbranch_execz .LBB165_285
; %bb.224:                              ;   in Loop: Header=BB165_31 Depth=1
	v_readlane_b32 s6, v59, 60
	v_readlane_b32 s7, v59, 61
	v_mov_b32_e32 v38, 1
	s_xor_b64 s[6:7], s[6:7], -1
	v_mov_b32_e32 v44, 1
	v_mov_b32_e32 v39, 0
	s_and_saveexec_b64 s[12:13], s[6:7]
	s_cbranch_execz .LBB165_233
; %bb.225:                              ;   in Loop: Header=BB165_31 Depth=1
	v_cmp_ge_u64_e32 vcc, s[2:3], v[40:41]
	s_and_saveexec_b64 s[6:7], vcc
	s_xor_b64 s[56:57], exec, s[6:7]
	s_cbranch_execz .LBB165_230
; %bb.226:                              ;   in Loop: Header=BB165_31 Depth=1
	s_lshl_b64 s[6:7], 2, s1
	v_and_b32_e32 v3, s51, v13
	v_and_b32_e32 v4, s50, v12
	v_or_b32_e32 v13, s7, v3
	v_or_b32_e32 v12, s6, v4
	ds_read_b64 v[3:4], v19 offset:5120
	v_or_b32_e32 v15, s19, v15
	v_or_b32_e32 v14, s18, v14
	s_waitcnt lgkmcnt(0)
	v_cmp_ne_u64_e32 vcc, 0, v[3:4]
	s_cbranch_vccnz .LBB165_230
; %bb.227:                              ;   in Loop: Header=BB165_31 Depth=1
	s_mov_b64 s[6:7], exec
	v_readlane_b32 s58, v59, 8
	v_readlane_b32 s59, v59, 9
	s_and_b64 s[58:59], s[6:7], s[58:59]
	s_mov_b64 exec, s[58:59]
; %bb.228:                              ;   in Loop: Header=BB165_31 Depth=1
	v_mov_b32_e32 v4, s3
	v_mov_b32_e32 v3, s2
	ds_write_b64 v19, v[3:4] offset:5128
; %bb.229:                              ;   in Loop: Header=BB165_31 Depth=1
	s_or_b64 exec, exec, s[6:7]
	s_waitcnt lgkmcnt(0)
	s_barrier
.LBB165_230:                            ;   in Loop: Header=BB165_31 Depth=1
	s_or_saveexec_b64 s[56:57], s[56:57]
	s_mov_b64 s[58:59], 0
	v_mov_b32_e32 v44, 8
	s_xor_b64 exec, exec, s[56:57]
; %bb.231:                              ;   in Loop: Header=BB165_31 Depth=1
	v_subrev_co_u32_e32 v40, vcc, s2, v40
	v_mov_b32_e32 v3, s3
	v_subb_co_u32_e32 v41, vcc, v41, v3, vcc
	v_mov_b32_e32 v44, 0
	s_mov_b64 s[58:59], exec
; %bb.232:                              ;   in Loop: Header=BB165_31 Depth=1
	s_or_b64 exec, exec, s[56:57]
	v_mov_b32_e32 v38, v40
	v_readlane_b32 s60, v59, 54
	v_readlane_b32 s64, v59, 56
	s_and_b64 s[56:57], s[58:59], exec
	v_mov_b32_e32 v39, v41
	v_readlane_b32 s61, v59, 55
	v_readlane_b32 s65, v59, 57
.LBB165_233:                            ;   in Loop: Header=BB165_31 Depth=1
	s_or_b64 exec, exec, s[12:13]
	s_mov_b64 s[12:13], -1
                                        ; implicit-def: $sgpr6_sgpr7
                                        ; kill: killed $sgpr6_sgpr7
                                        ; implicit-def: $sgpr6_sgpr7
                                        ; kill: killed $sgpr6_sgpr7
	s_and_saveexec_b64 s[74:75], s[56:57]
                                        ; implicit-def: $vgpr58 : SGPR spill to VGPR lane
	s_cbranch_execz .LBB165_284
; %bb.234:                              ;   in Loop: Header=BB165_31 Depth=1
	s_cmp_eq_u64 s[70:71], 1
	v_cmp_eq_u64_e32 vcc, 1, v[38:39]
	v_writelane_b32 v59, s74, 62
	s_cselect_b64 s[6:7], -1, 0
                                        ; implicit-def: $sgpr56_sgpr57
	v_writelane_b32 v59, s75, 63
	s_and_b64 s[6:7], s[6:7], vcc
                                        ; kill: killed $sgpr56_sgpr57
                                        ; implicit-def: $sgpr56_sgpr57
                                        ; kill: killed $sgpr56_sgpr57
	s_mov_b64 s[56:57], exec
	v_writelane_b32 v58, s6, 0
	v_writelane_b32 v58, s7, 1
	;; [unrolled: 1-line block ×3, first 2 shown]
	s_and_b64 s[6:7], s[56:57], s[6:7]
	v_writelane_b32 v58, s57, 3
	s_mov_b64 exec, s[6:7]
	s_cbranch_execz .LBB165_272
; %bb.235:                              ;   in Loop: Header=BB165_31 Depth=1
	ds_read_b64 v[3:4], v19 offset:5120
	s_waitcnt lgkmcnt(0)
	s_barrier
	v_readfirstlane_b32 s56, v3
	v_readfirstlane_b32 s57, v4
	s_mov_b64 s[6:7], exec
	v_readlane_b32 s12, v59, 22
	v_readlane_b32 s13, v59, 23
	s_and_b64 s[12:13], s[6:7], s[12:13]
	s_mov_b64 exec, s[12:13]
; %bb.236:                              ;   in Loop: Header=BB165_31 Depth=1
	v_mov_b32_e32 v18, v19
	ds_write_b64 v54, v[18:19]
; %bb.237:                              ;   in Loop: Header=BB165_31 Depth=1
	s_or_b64 exec, exec, s[6:7]
	s_mov_b64 s[6:7], -1
	v_writelane_b32 v59, s6, 60
	v_writelane_b32 v59, s7, 61
	s_mov_b64 s[6:7], 0
	v_or_b32_e32 v13, s19, v13
	v_or_b32_e32 v12, s18, v12
	;; [unrolled: 1-line block ×4, first 2 shown]
	v_writelane_b32 v58, s6, 4
	s_cmp_eq_u64 s[56:57], 0
	s_mov_b64 s[74:75], 0
	s_mov_b64 s[58:59], -1
	s_waitcnt lgkmcnt(0)
	s_barrier
	v_writelane_b32 v58, s7, 5
                                        ; implicit-def: $vgpr10_vgpr11
	s_cbranch_scc1 .LBB165_255
; %bb.238:                              ;   in Loop: Header=BB165_31 Depth=1
	v_readlane_b32 s6, v59, 26
	s_add_u32 s58, s56, s6
	v_readlane_b32 s6, v59, 28
	s_addc_u32 s75, s57, s6
	s_mov_b32 s74, s55
	s_cmp_lg_u64 s[74:75], 0
	s_cbranch_scc0 .LBB165_242
; %bb.239:                              ;   in Loop: Header=BB165_31 Depth=1
	v_cvt_f32_u32_e32 v3, s33
	s_sub_u32 s12, 0, s33
	s_subb_u32 s13, 0, 0
	v_mac_f32_e32 v3, 0, v55
	v_rcp_f32_e32 v3, v3
	v_mul_f32_e32 v3, 0x5f7ffffc, v3
	v_mul_f32_e32 v4, 0x2f800000, v3
	v_trunc_f32_e32 v4, v4
	v_mac_f32_e32 v3, 0xcf800000, v4
	v_cvt_u32_f32_e32 v4, v4
	v_cvt_u32_f32_e32 v3, v3
	v_readfirstlane_b32 s54, v4
	v_readfirstlane_b32 s6, v3
	s_mul_i32 s7, s12, s54
	s_mul_hi_u32 s60, s12, s6
	s_mul_i32 s59, s13, s6
	s_add_i32 s7, s60, s7
	s_mul_i32 s61, s12, s6
	s_add_i32 s7, s7, s59
	s_mul_hi_u32 s60, s6, s61
	s_mul_i32 s64, s6, s7
	s_mul_hi_u32 s59, s6, s7
	s_add_u32 s60, s60, s64
	s_addc_u32 s59, 0, s59
	s_mul_hi_u32 s65, s54, s61
	s_mul_i32 s61, s54, s61
	s_add_u32 s60, s60, s61
	s_mul_hi_u32 s64, s54, s7
	s_addc_u32 s59, s59, s65
	s_addc_u32 s60, s64, 0
	s_mul_i32 s7, s54, s7
	s_add_u32 s7, s59, s7
	s_addc_u32 s59, 0, s60
	s_add_u32 s60, s6, s7
	s_cselect_b64 s[6:7], -1, 0
	s_cmp_lg_u64 s[6:7], 0
	s_addc_u32 s54, s54, s59
	s_mul_i32 s6, s12, s54
	s_mul_hi_u32 s7, s12, s60
	s_add_i32 s6, s7, s6
	s_mul_i32 s13, s13, s60
	s_add_i32 s6, s6, s13
	s_mul_i32 s12, s12, s60
	s_mul_hi_u32 s13, s54, s12
	s_mul_i32 s59, s54, s12
	s_mul_i32 s64, s60, s6
	s_mul_hi_u32 s12, s60, s12
	s_mul_hi_u32 s61, s60, s6
	s_add_u32 s12, s12, s64
	s_addc_u32 s61, 0, s61
	s_add_u32 s12, s12, s59
	s_mul_hi_u32 s7, s54, s6
	s_addc_u32 s12, s61, s13
	s_addc_u32 s7, s7, 0
	s_mul_i32 s6, s54, s6
	s_add_u32 s6, s12, s6
	s_addc_u32 s12, 0, s7
	s_add_u32 s13, s60, s6
	s_cselect_b64 s[6:7], -1, 0
	s_cmp_lg_u64 s[6:7], 0
	s_addc_u32 s6, s54, s12
	s_mul_i32 s12, s58, s6
	s_mul_hi_u32 s54, s58, s13
	s_mul_hi_u32 s7, s58, s6
	s_add_u32 s12, s54, s12
	s_addc_u32 s7, 0, s7
	s_mul_hi_u32 s59, s75, s13
	s_mul_i32 s13, s75, s13
	s_add_u32 s12, s12, s13
	s_mul_hi_u32 s54, s75, s6
	s_addc_u32 s7, s7, s59
	s_addc_u32 s12, s54, 0
	s_mul_i32 s6, s75, s6
	s_add_u32 s6, s7, s6
	s_addc_u32 s7, 0, s12
	s_mul_i32 s7, s33, s7
	s_mul_hi_u32 s12, s33, s6
	s_add_i32 s12, s12, s7
	s_mul_i32 s6, s33, s6
	s_sub_u32 s54, s58, s6
	s_cselect_b64 s[6:7], -1, 0
	s_cmp_lg_u64 s[6:7], 0
	s_subb_u32 s12, s75, s12
	s_sub_u32 s13, s54, s33
	s_cselect_b64 s[6:7], -1, 0
	s_cmp_lg_u64 s[6:7], 0
	s_subb_u32 s59, s12, 0
	;; [unrolled: 4-line block ×3, first 2 shown]
	s_cmp_ge_u32 s13, s33
	s_cselect_b32 s7, -1, 0
	s_cmp_eq_u32 s59, 0
	s_cselect_b32 s7, s7, -1
	s_cmp_lg_u32 s7, 0
	s_cselect_b32 s6, s6, s59
	s_cselect_b32 s7, s60, s13
	s_cmp_ge_u32 s54, s33
	s_cselect_b32 s13, -1, 0
	s_cmp_eq_u32 s12, 0
	s_cselect_b32 s13, s13, -1
	s_cmp_lg_u32 s13, 0
	s_cselect_b32 s13, s6, s12
	s_cselect_b32 s12, s7, s54
	s_mov_b64 s[6:7], 0
	s_branch .LBB165_243
.LBB165_240:                            ;   in Loop: Header=BB165_31 Depth=1
                                        ; implicit-def: $sgpr12_sgpr13
	s_branch .LBB165_195
.LBB165_241:                            ;   in Loop: Header=BB165_31 Depth=1
                                        ; implicit-def: $sgpr12_sgpr13
	s_branch .LBB165_211
.LBB165_242:                            ;   in Loop: Header=BB165_31 Depth=1
	s_mov_b64 s[6:7], -1
                                        ; implicit-def: $sgpr12_sgpr13
.LBB165_243:                            ;   in Loop: Header=BB165_31 Depth=1
	s_andn2_b64 vcc, exec, s[6:7]
	s_cbranch_vccnz .LBB165_245
; %bb.244:                              ;   in Loop: Header=BB165_31 Depth=1
	v_cvt_f32_u32_e32 v3, s33
	s_sub_i32 s6, 0, s33
	v_rcp_iflag_f32_e32 v3, v3
	v_mul_f32_e32 v3, 0x4f7ffffe, v3
	v_cvt_u32_f32_e32 v3, v3
	v_readfirstlane_b32 s7, v3
	s_mul_i32 s6, s6, s7
	s_mul_hi_u32 s6, s7, s6
	s_add_i32 s7, s7, s6
	s_mul_hi_u32 s6, s58, s7
	s_mul_i32 s6, s6, s33
	s_sub_i32 s6, s58, s6
	s_sub_i32 s7, s6, s33
	s_cmp_ge_u32 s6, s33
	s_cselect_b32 s6, s7, s6
	s_sub_i32 s7, s6, s33
	s_cmp_ge_u32 s6, s33
	s_cselect_b32 s54, s7, s6
	s_mov_b64 s[12:13], s[54:55]
.LBB165_245:                            ;   in Loop: Header=BB165_31 Depth=1
	s_sub_u32 s60, s58, s12
	s_subb_u32 s61, s75, s13
	v_cmp_gt_u64_e32 vcc, s[60:61], v[0:1]
	s_mov_b64 s[58:59], 0
	s_mov_b64 s[74:75], 0
                                        ; implicit-def: $vgpr10_vgpr11
	s_and_saveexec_b64 s[64:65], vcc
	s_cbranch_execz .LBB165_254
; %bb.246:                              ;   in Loop: Header=BB165_31 Depth=1
	v_mov_b32_e32 v41, v1
	v_mov_b32_e32 v18, v50
	;; [unrolled: 1-line block ×3, first 2 shown]
                                        ; implicit-def: $sgpr12_sgpr13
	s_branch .LBB165_249
.LBB165_247:                            ;   in Loop: Header=BB165_249 Depth=2
	s_or_b64 exec, exec, s[72:73]
	s_waitcnt lgkmcnt(0)
	s_barrier
	ds_read_b128 v[8:11], v19 offset:3072
	s_mov_b64 s[6:7], -1
	s_mov_b64 s[72:73], -1
	s_waitcnt lgkmcnt(0)
	s_barrier
	v_cmp_ne_u64_e32 vcc, 0, v[8:9]
	s_cbranch_vccz .LBB165_252
.LBB165_248:                            ;   in Loop: Header=BB165_249 Depth=2
	s_and_b64 s[6:7], exec, s[6:7]
	s_or_b64 s[74:75], s[6:7], s[74:75]
	s_andn2_b64 s[6:7], s[12:13], exec
	s_and_b64 s[12:13], s[72:73], exec
	s_or_b64 s[12:13], s[6:7], s[12:13]
	s_andn2_b64 exec, exec, s[74:75]
	s_cbranch_execz .LBB165_253
.LBB165_249:                            ;   Parent Loop BB165_31 Depth=1
                                        ; =>  This Inner Loop Header: Depth=2
	v_cmp_gt_u64_e32 vcc, s[56:57], v[40:41]
	s_and_saveexec_b64 s[72:73], vcc
	s_cbranch_execz .LBB165_247
; %bb.250:                              ;   in Loop: Header=BB165_249 Depth=2
	ds_read_b64 v[4:5], v18
	s_waitcnt lgkmcnt(0)
	v_xor_b32_e32 v3, 0x80000000, v5
	v_and_b32_e32 v9, v3, v15
	v_and_b32_e32 v8, v4, v14
	v_cmp_eq_u64_e32 vcc, v[8:9], v[12:13]
	s_and_b64 exec, exec, vcc
	s_cbranch_execz .LBB165_247
; %bb.251:                              ;   in Loop: Header=BB165_249 Depth=2
	v_mov_b32_e32 v3, v19
	ds_write_b128 v19, v[2:5] offset:3072
	s_branch .LBB165_247
.LBB165_252:                            ;   in Loop: Header=BB165_249 Depth=2
	v_add_co_u32_e32 v40, vcc, s33, v40
	v_addc_co_u32_e32 v41, vcc, 0, v41, vcc
	v_cmp_le_u64_e32 vcc, s[60:61], v[40:41]
	v_readlane_b32 s6, v59, 42
	v_add_u32_e32 v18, s6, v18
	s_mov_b64 s[72:73], 0
	s_orn2_b64 s[6:7], vcc, exec
	s_branch .LBB165_248
.LBB165_253:                            ;   in Loop: Header=BB165_31 Depth=1
	s_or_b64 exec, exec, s[74:75]
	v_readlane_b32 s72, v59, 48
	s_and_b64 s[74:75], s[12:13], exec
	v_readlane_b32 s73, v59, 49
.LBB165_254:                            ;   in Loop: Header=BB165_31 Depth=1
	s_or_b64 exec, exec, s[64:65]
.LBB165_255:                            ;   in Loop: Header=BB165_31 Depth=1
	s_and_b64 vcc, exec, s[58:59]
	s_cbranch_vccz .LBB165_271
; %bb.256:                              ;   in Loop: Header=BB165_31 Depth=1
	v_readlane_b32 s60, v59, 29
	v_readlane_b32 s61, v59, 30
	s_mov_b32 s60, s55
	s_cmp_lg_u64 s[60:61], 0
	v_writelane_b32 v59, s60, 29
	v_writelane_b32 v59, s61, 30
	s_cbranch_scc0 .LBB165_258
; %bb.257:                              ;   in Loop: Header=BB165_31 Depth=1
	v_cvt_f32_u32_e32 v3, s33
	s_sub_u32 s12, 0, s33
	s_subb_u32 s13, 0, 0
	v_mac_f32_e32 v3, 0, v55
	v_rcp_f32_e32 v3, v3
	v_mul_f32_e32 v3, 0x5f7ffffc, v3
	v_mul_f32_e32 v4, 0x2f800000, v3
	v_trunc_f32_e32 v4, v4
	v_mac_f32_e32 v3, 0xcf800000, v4
	v_cvt_u32_f32_e32 v4, v4
	v_cvt_u32_f32_e32 v3, v3
	v_readfirstlane_b32 s54, v4
	v_readfirstlane_b32 s6, v3
	s_mul_i32 s7, s12, s54
	s_mul_hi_u32 s57, s12, s6
	s_mul_i32 s56, s13, s6
	s_add_i32 s7, s57, s7
	s_mul_i32 s58, s12, s6
	s_add_i32 s7, s7, s56
	s_mul_hi_u32 s57, s6, s58
	s_mul_i32 s59, s6, s7
	s_mul_hi_u32 s56, s6, s7
	s_add_u32 s57, s57, s59
	s_addc_u32 s56, 0, s56
	s_mul_hi_u32 s60, s54, s58
	s_mul_i32 s58, s54, s58
	s_add_u32 s57, s57, s58
	s_mul_hi_u32 s59, s54, s7
	s_addc_u32 s56, s56, s60
	s_addc_u32 s57, s59, 0
	s_mul_i32 s7, s54, s7
	s_add_u32 s7, s56, s7
	s_addc_u32 s56, 0, s57
	s_add_u32 s57, s6, s7
	s_cselect_b64 s[6:7], -1, 0
	s_cmp_lg_u64 s[6:7], 0
	s_addc_u32 s54, s54, s56
	s_mul_i32 s6, s12, s54
	s_mul_hi_u32 s7, s12, s57
	s_add_i32 s6, s7, s6
	s_mul_i32 s13, s13, s57
	s_add_i32 s6, s6, s13
	s_mul_i32 s12, s12, s57
	s_mul_hi_u32 s13, s54, s12
	s_mul_i32 s56, s54, s12
	s_mul_i32 s59, s57, s6
	s_mul_hi_u32 s12, s57, s12
	s_mul_hi_u32 s58, s57, s6
	s_add_u32 s12, s12, s59
	s_addc_u32 s58, 0, s58
	s_add_u32 s12, s12, s56
	s_mul_hi_u32 s7, s54, s6
	s_addc_u32 s12, s58, s13
	s_addc_u32 s7, s7, 0
	s_mul_i32 s6, s54, s6
	s_add_u32 s6, s12, s6
	s_addc_u32 s12, 0, s7
	s_add_u32 s13, s57, s6
	s_cselect_b64 s[6:7], -1, 0
	s_cmp_lg_u64 s[6:7], 0
	s_addc_u32 s6, s54, s12
	v_readlane_b32 s57, v59, 27
	s_mul_i32 s12, s57, s6
	s_mul_hi_u32 s54, s57, s13
	s_mul_hi_u32 s7, s57, s6
	s_add_u32 s12, s54, s12
	s_addc_u32 s7, 0, s7
	s_mul_hi_u32 s56, s61, s13
	s_mul_i32 s13, s61, s13
	s_add_u32 s12, s12, s13
	s_mul_hi_u32 s54, s61, s6
	s_addc_u32 s7, s7, s56
	s_addc_u32 s12, s54, 0
	s_mul_i32 s6, s61, s6
	s_add_u32 s6, s7, s6
	s_addc_u32 s7, 0, s12
	s_mul_i32 s7, s33, s7
	s_mul_hi_u32 s12, s33, s6
	s_add_i32 s12, s12, s7
	s_mul_i32 s6, s33, s6
	s_sub_u32 s54, s57, s6
	s_cselect_b64 s[6:7], -1, 0
	s_cmp_lg_u64 s[6:7], 0
	s_subb_u32 s12, s61, s12
	s_sub_u32 s13, s54, s33
	s_cselect_b64 s[6:7], -1, 0
	s_cmp_lg_u64 s[6:7], 0
	s_subb_u32 s56, s12, 0
	;; [unrolled: 4-line block ×3, first 2 shown]
	s_cmp_ge_u32 s13, s33
	s_cselect_b32 s7, -1, 0
	s_cmp_eq_u32 s56, 0
	s_cselect_b32 s7, s7, -1
	s_cmp_lg_u32 s7, 0
	s_cselect_b32 s6, s6, s56
	s_cselect_b32 s7, s57, s13
	s_cmp_ge_u32 s54, s33
	s_cselect_b32 s13, -1, 0
	s_cmp_eq_u32 s12, 0
	s_cselect_b32 s13, s13, -1
	s_cmp_lg_u32 s13, 0
	s_cselect_b32 s13, s6, s12
	s_cselect_b32 s12, s7, s54
	s_mov_b64 s[6:7], 0
	s_branch .LBB165_259
.LBB165_258:                            ;   in Loop: Header=BB165_31 Depth=1
	s_mov_b64 s[6:7], -1
                                        ; implicit-def: $sgpr12_sgpr13
.LBB165_259:                            ;   in Loop: Header=BB165_31 Depth=1
	s_andn2_b64 vcc, exec, s[6:7]
	s_cbranch_vccnz .LBB165_261
; %bb.260:                              ;   in Loop: Header=BB165_31 Depth=1
	v_cvt_f32_u32_e32 v3, s33
	s_sub_i32 s6, 0, s33
	v_readlane_b32 s12, v59, 27
	v_rcp_iflag_f32_e32 v3, v3
	v_mul_f32_e32 v3, 0x4f7ffffe, v3
	v_cvt_u32_f32_e32 v3, v3
	v_readfirstlane_b32 s7, v3
	s_mul_i32 s6, s6, s7
	s_mul_hi_u32 s6, s7, s6
	s_add_i32 s7, s7, s6
	s_mul_hi_u32 s6, s12, s7
	s_mul_i32 s6, s6, s33
	s_sub_i32 s6, s12, s6
	s_sub_i32 s7, s6, s33
	s_cmp_ge_u32 s6, s33
	s_cselect_b32 s6, s7, s6
	s_sub_i32 s7, s6, s33
	s_cmp_ge_u32 s6, s33
	s_cselect_b32 s54, s7, s6
	s_mov_b64 s[12:13], s[54:55]
.LBB165_261:                            ;   in Loop: Header=BB165_31 Depth=1
	v_readlane_b32 s6, v59, 27
	s_sub_u32 s56, s6, s12
	v_readlane_b32 s6, v59, 29
	v_readlane_b32 s7, v59, 30
	s_subb_u32 s57, s7, s13
	v_cmp_gt_u64_e32 vcc, s[56:57], v[0:1]
                                        ; implicit-def: $vgpr10_vgpr11
	s_and_saveexec_b64 s[12:13], vcc
	s_cbranch_execz .LBB165_270
; %bb.262:                              ;   in Loop: Header=BB165_31 Depth=1
	v_mov_b32_e32 v41, v33
	v_mov_b32_e32 v43, v1
	s_mov_b64 s[58:59], 0
	v_mov_b32_e32 v40, v32
	v_mov_b32_e32 v42, v0
                                        ; implicit-def: $sgpr60_sgpr61
	s_branch .LBB165_265
.LBB165_263:                            ;   in Loop: Header=BB165_265 Depth=2
	s_or_b64 exec, exec, s[64:65]
	s_waitcnt lgkmcnt(0)
	s_barrier
	ds_read_b128 v[8:11], v19 offset:3072
	s_mov_b64 s[6:7], -1
	s_mov_b64 s[64:65], -1
	s_waitcnt lgkmcnt(0)
	s_barrier
	v_cmp_eq_u64_e32 vcc, 0, v[8:9]
	s_cbranch_vccnz .LBB165_268
.LBB165_264:                            ;   in Loop: Header=BB165_265 Depth=2
	s_and_b64 s[6:7], exec, s[6:7]
	s_or_b64 s[58:59], s[6:7], s[58:59]
	s_andn2_b64 s[6:7], s[60:61], exec
	s_and_b64 s[60:61], s[64:65], exec
	s_or_b64 s[60:61], s[6:7], s[60:61]
	s_andn2_b64 exec, exec, s[58:59]
	s_cbranch_execz .LBB165_269
.LBB165_265:                            ;   Parent Loop BB165_31 Depth=1
                                        ; =>  This Inner Loop Header: Depth=2
	v_cmp_gt_u64_e32 vcc, s[24:25], v[42:43]
	s_and_saveexec_b64 s[64:65], vcc
	s_cbranch_execz .LBB165_263
; %bb.266:                              ;   in Loop: Header=BB165_265 Depth=2
	global_load_dwordx2 v[4:5], v[40:41], off
	s_waitcnt vmcnt(0)
	v_xor_b32_e32 v3, 0x80000000, v5
	v_and_b32_e32 v9, v3, v15
	v_and_b32_e32 v8, v4, v14
	v_cmp_eq_u64_e32 vcc, v[8:9], v[12:13]
	s_and_b64 exec, exec, vcc
	s_cbranch_execz .LBB165_263
; %bb.267:                              ;   in Loop: Header=BB165_265 Depth=2
	v_mov_b32_e32 v3, v19
	ds_write_b128 v19, v[2:5] offset:3072
	s_branch .LBB165_263
.LBB165_268:                            ;   in Loop: Header=BB165_265 Depth=2
	v_add_co_u32_e32 v42, vcc, s33, v42
	v_addc_co_u32_e32 v43, vcc, 0, v43, vcc
	v_mov_b32_e32 v3, s31
	v_add_co_u32_e32 v40, vcc, s30, v40
	v_addc_co_u32_e32 v41, vcc, v41, v3, vcc
	v_cmp_le_u64_e32 vcc, s[56:57], v[42:43]
	s_mov_b64 s[64:65], 0
	s_orn2_b64 s[6:7], vcc, exec
	s_branch .LBB165_264
.LBB165_269:                            ;   in Loop: Header=BB165_31 Depth=1
	s_or_b64 exec, exec, s[58:59]
	s_andn2_b64 s[6:7], s[74:75], exec
	s_and_b64 s[56:57], s[60:61], exec
	s_or_b64 s[74:75], s[6:7], s[56:57]
.LBB165_270:                            ;   in Loop: Header=BB165_31 Depth=1
	s_or_b64 exec, exec, s[12:13]
	s_mov_b64 s[6:7], 0
	v_writelane_b32 v59, s6, 60
	v_writelane_b32 v59, s7, 61
	s_mov_b64 s[6:7], -1
	v_writelane_b32 v58, s6, 4
	v_writelane_b32 v58, s7, 5
.LBB165_271:                            ;   in Loop: Header=BB165_31 Depth=1
	s_orn2_b64 s[12:13], s[74:75], exec
.LBB165_272:                            ;   in Loop: Header=BB165_31 Depth=1
	v_readlane_b32 s6, v58, 2
	v_readlane_b32 s7, v58, 3
	s_or_b64 exec, exec, s[6:7]
	s_mov_b64 s[58:59], 0
	s_and_saveexec_b64 s[56:57], s[12:13]
	v_readlane_b32 s60, v59, 54
	v_readlane_b32 s64, v59, 56
	;; [unrolled: 1-line block ×6, first 2 shown]
	s_cbranch_execz .LBB165_283
; %bb.273:                              ;   in Loop: Header=BB165_31 Depth=1
	v_readlane_b32 s6, v58, 0
	v_readlane_b32 s7, v58, 1
	v_mov_b32_e32 v3, 1
	s_xor_b64 s[6:7], s[6:7], -1
	v_mov_b32_e32 v4, 0
	v_mov_b32_e32 v44, 1
	s_and_saveexec_b64 s[58:59], s[6:7]
	s_cbranch_execz .LBB165_282
; %bb.274:                              ;   in Loop: Header=BB165_31 Depth=1
	v_cmp_ge_u64_e32 vcc, s[70:71], v[38:39]
	s_and_saveexec_b64 s[6:7], vcc
	s_xor_b64 s[12:13], exec, s[6:7]
	s_cbranch_execz .LBB165_279
; %bb.275:                              ;   in Loop: Header=BB165_31 Depth=1
	ds_read_b64 v[3:4], v19 offset:5120
	v_or_b32_e32 v13, s19, v13
	v_or_b32_e32 v12, s18, v12
	;; [unrolled: 1-line block ×4, first 2 shown]
	s_waitcnt lgkmcnt(0)
	v_cmp_ne_u64_e32 vcc, 0, v[3:4]
	s_cbranch_vccnz .LBB165_279
; %bb.276:                              ;   in Loop: Header=BB165_31 Depth=1
	s_mov_b64 s[6:7], exec
	v_readlane_b32 s60, v59, 8
	v_readlane_b32 s61, v59, 9
	s_and_b64 s[60:61], s[6:7], s[60:61]
	s_mov_b64 exec, s[60:61]
; %bb.277:                              ;   in Loop: Header=BB165_31 Depth=1
	v_mov_b32_e32 v3, s70
	v_mov_b32_e32 v4, s71
	ds_write_b64 v19, v[3:4] offset:5128
; %bb.278:                              ;   in Loop: Header=BB165_31 Depth=1
	s_or_b64 exec, exec, s[6:7]
	s_waitcnt lgkmcnt(0)
	s_barrier
.LBB165_279:                            ;   in Loop: Header=BB165_31 Depth=1
	s_andn2_saveexec_b64 s[12:13], s[12:13]
; %bb.280:                              ;   in Loop: Header=BB165_31 Depth=1
	v_mov_b32_e32 v3, s71
	v_subrev_co_u32_e32 v38, vcc, s70, v38
	v_subb_co_u32_e32 v39, vcc, v39, v3, vcc
; %bb.281:                              ;   in Loop: Header=BB165_31 Depth=1
	s_or_b64 exec, exec, s[12:13]
	v_mov_b32_e32 v3, v38
	v_readlane_b32 s60, v59, 54
	v_readlane_b32 s64, v59, 56
	;; [unrolled: 1-line block ×3, first 2 shown]
	v_mov_b32_e32 v44, 8
	v_mov_b32_e32 v4, v39
	v_readlane_b32 s61, v59, 55
	v_readlane_b32 s65, v59, 57
	;; [unrolled: 1-line block ×3, first 2 shown]
.LBB165_282:                            ;   in Loop: Header=BB165_31 Depth=1
	s_or_b64 exec, exec, s[58:59]
	v_mov_b32_e32 v39, v4
	s_mov_b64 s[58:59], exec
	v_mov_b32_e32 v38, v3
.LBB165_283:                            ;   in Loop: Header=BB165_31 Depth=1
	s_or_b64 exec, exec, s[56:57]
	s_orn2_b64 s[12:13], s[58:59], exec
.LBB165_284:                            ;   in Loop: Header=BB165_31 Depth=1
	s_or_b64 exec, exec, s[74:75]
	v_readlane_b32 s6, v59, 58
	v_readlane_b32 s56, v58, 4
	;; [unrolled: 1-line block ×4, first 2 shown]
	s_andn2_b64 s[6:7], s[6:7], exec
	s_and_b64 s[56:57], s[56:57], exec
	s_or_b64 s[6:7], s[6:7], s[56:57]
	v_writelane_b32 v59, s6, 58
	v_writelane_b32 v59, s7, 59
	v_readlane_b32 s6, v59, 52
	v_readlane_b32 s56, v59, 60
	;; [unrolled: 1-line block ×4, first 2 shown]
	s_andn2_b64 s[6:7], s[6:7], exec
	s_and_b64 s[56:57], s[56:57], exec
	s_or_b64 s[6:7], s[6:7], s[56:57]
	v_mov_b32_e32 v41, v39
	v_writelane_b32 v59, s6, 52
	s_and_b64 s[56:57], s[12:13], exec
	v_mov_b32_e32 v40, v38
	v_writelane_b32 v59, s7, 53
.LBB165_285:                            ;   in Loop: Header=BB165_31 Depth=1
	s_or_b64 exec, exec, s[4:5]
	s_orn2_b64 s[4:5], s[56:57], exec
.LBB165_286:                            ;   in Loop: Header=BB165_31 Depth=1
	s_or_b64 exec, exec, s[64:65]
	v_readlane_b32 s12, v59, 58
	v_readlane_b32 s13, v59, 59
	s_andn2_b64 s[6:7], s[38:39], exec
	s_and_b64 s[12:13], s[12:13], exec
	s_or_b64 s[38:39], s[6:7], s[12:13]
	v_readlane_b32 s12, v59, 52
	v_readlane_b32 s13, v59, 53
	s_andn2_b64 s[6:7], s[36:37], exec
	s_and_b64 s[12:13], s[12:13], exec
	v_mov_b32_e32 v38, v40
	s_or_b64 s[36:37], s[6:7], s[12:13]
	s_and_b64 s[56:57], s[4:5], exec
	v_mov_b32_e32 v39, v41
.LBB165_287:                            ;   in Loop: Header=BB165_31 Depth=1
	s_or_b64 exec, exec, s[10:11]
	s_orn2_b64 s[4:5], s[56:57], exec
.LBB165_288:                            ;   in Loop: Header=BB165_31 Depth=1
	s_or_b64 exec, exec, s[60:61]
	s_mov_b64 s[6:7], 0
	s_mov_b64 s[10:11], 0
	s_and_saveexec_b64 s[12:13], s[4:5]
	s_xor_b64 s[4:5], exec, s[12:13]
; %bb.289:                              ;   in Loop: Header=BB165_31 Depth=1
	v_cmp_eq_u32_e32 vcc, 8, v44
	v_cmp_ne_u32_e64 s[6:7], 8, v44
	s_and_b64 s[10:11], s[6:7], exec
	s_and_b64 s[6:7], vcc, exec
; %bb.290:                              ;   in Loop: Header=BB165_31 Depth=1
	s_or_b64 exec, exec, s[4:5]
	s_andn2_b64 s[4:5], s[68:69], exec
	s_and_b64 s[12:13], s[38:39], exec
	s_or_b64 s[68:69], s[4:5], s[12:13]
	s_andn2_b64 s[4:5], s[66:67], exec
	s_and_b64 s[12:13], s[36:37], exec
	s_or_b64 s[66:67], s[4:5], s[12:13]
	s_and_b64 s[36:37], s[10:11], exec
	s_and_b64 s[38:39], s[6:7], exec
.LBB165_291:                            ;   in Loop: Header=BB165_31 Depth=1
	s_or_b64 exec, exec, s[8:9]
.LBB165_292:                            ;   in Loop: Header=BB165_31 Depth=1
	s_and_b64 vcc, exec, s[20:21]
	s_cbranch_vccz .LBB165_308
; %bb.293:                              ;   in Loop: Header=BB165_31 Depth=1
	s_cmp_eq_u64 s[70:71], 1
	s_cselect_b64 s[4:5], -1, 0
	s_and_b64 s[4:5], s[4:5], s[14:15]
	s_mov_b64 s[8:9], -1
                                        ; implicit-def: $sgpr14_sgpr15
                                        ; implicit-def: $sgpr52_sgpr53
	s_and_saveexec_b64 s[6:7], s[4:5]
	s_cbranch_execz .LBB165_326
; %bb.294:                              ;   in Loop: Header=BB165_31 Depth=1
	ds_read_b64 v[3:4], v19 offset:5120
	s_waitcnt lgkmcnt(0)
	s_barrier
	v_readfirstlane_b32 s10, v3
	v_readfirstlane_b32 s11, v4
	s_mov_b64 s[8:9], exec
	v_readlane_b32 s12, v59, 22
	v_readlane_b32 s13, v59, 23
	s_and_b64 s[12:13], s[8:9], s[12:13]
	s_mov_b64 exec, s[12:13]
; %bb.295:                              ;   in Loop: Header=BB165_31 Depth=1
	v_mov_b32_e32 v18, v19
	ds_write_b64 v54, v[18:19]
; %bb.296:                              ;   in Loop: Header=BB165_31 Depth=1
	s_or_b64 exec, exec, s[8:9]
	v_or_b32_e32 v31, s19, v31
	v_or_b32_e32 v30, s18, v30
	;; [unrolled: 1-line block ×4, first 2 shown]
	s_mov_b64 s[52:53], -1
	s_mov_b64 s[14:15], 0
	s_cmp_eq_u64 s[10:11], 0
	s_mov_b64 s[8:9], 0
	s_mov_b64 s[12:13], -1
	s_waitcnt lgkmcnt(0)
	s_barrier
                                        ; implicit-def: $vgpr6_vgpr7
	s_cbranch_scc1 .LBB165_311
; %bb.297:                              ;   in Loop: Header=BB165_31 Depth=1
	v_readlane_b32 s8, v59, 26
	s_add_u32 s56, s10, s8
	v_readlane_b32 s8, v59, 28
	s_addc_u32 s9, s11, s8
	s_mov_b32 s8, s55
	s_cmp_lg_u64 s[8:9], 0
	s_cbranch_scc0 .LBB165_352
; %bb.298:                              ;   in Loop: Header=BB165_31 Depth=1
	v_cvt_f32_u32_e32 v3, s33
	s_sub_u32 s8, 0, s33
	s_subb_u32 s20, 0, 0
	v_mac_f32_e32 v3, 0, v55
	v_rcp_f32_e32 v3, v3
	v_mul_f32_e32 v3, 0x5f7ffffc, v3
	v_mul_f32_e32 v4, 0x2f800000, v3
	v_trunc_f32_e32 v4, v4
	v_mac_f32_e32 v3, 0xcf800000, v4
	v_cvt_u32_f32_e32 v4, v4
	v_cvt_u32_f32_e32 v3, v3
	v_readfirstlane_b32 s21, v4
	v_readfirstlane_b32 s12, v3
	s_mul_i32 s13, s8, s21
	s_mul_hi_u32 s57, s8, s12
	s_mul_i32 s54, s20, s12
	s_add_i32 s13, s57, s13
	s_mul_i32 s58, s8, s12
	s_add_i32 s13, s13, s54
	s_mul_hi_u32 s57, s12, s58
	s_mul_i32 s59, s12, s13
	s_mul_hi_u32 s54, s12, s13
	s_add_u32 s57, s57, s59
	s_addc_u32 s54, 0, s54
	s_mul_hi_u32 s60, s21, s58
	s_mul_i32 s58, s21, s58
	s_add_u32 s57, s57, s58
	s_mul_hi_u32 s59, s21, s13
	s_addc_u32 s54, s54, s60
	s_addc_u32 s57, s59, 0
	s_mul_i32 s13, s21, s13
	s_add_u32 s13, s54, s13
	s_addc_u32 s54, 0, s57
	s_add_u32 s57, s12, s13
	s_cselect_b64 s[12:13], -1, 0
	s_cmp_lg_u64 s[12:13], 0
	s_addc_u32 s21, s21, s54
	s_mul_i32 s12, s8, s21
	s_mul_hi_u32 s13, s8, s57
	s_add_i32 s12, s13, s12
	s_mul_i32 s20, s20, s57
	s_add_i32 s12, s12, s20
	s_mul_i32 s8, s8, s57
	s_mul_hi_u32 s20, s21, s8
	s_mul_i32 s54, s21, s8
	s_mul_i32 s59, s57, s12
	s_mul_hi_u32 s8, s57, s8
	s_mul_hi_u32 s58, s57, s12
	s_add_u32 s8, s8, s59
	s_addc_u32 s58, 0, s58
	s_add_u32 s8, s8, s54
	s_mul_hi_u32 s13, s21, s12
	s_addc_u32 s8, s58, s20
	s_addc_u32 s13, s13, 0
	s_mul_i32 s12, s21, s12
	s_add_u32 s8, s8, s12
	s_addc_u32 s20, 0, s13
	s_add_u32 s8, s57, s8
	s_cselect_b64 s[12:13], -1, 0
	s_cmp_lg_u64 s[12:13], 0
	s_addc_u32 s12, s21, s20
	s_mul_i32 s20, s56, s12
	s_mul_hi_u32 s21, s56, s8
	s_mul_hi_u32 s13, s56, s12
	s_add_u32 s20, s21, s20
	s_addc_u32 s13, 0, s13
	s_mul_hi_u32 s54, s9, s8
	s_mul_i32 s8, s9, s8
	s_add_u32 s8, s20, s8
	s_mul_hi_u32 s21, s9, s12
	s_addc_u32 s8, s13, s54
	s_addc_u32 s13, s21, 0
	s_mul_i32 s12, s9, s12
	s_add_u32 s8, s8, s12
	s_addc_u32 s12, 0, s13
	s_mul_i32 s12, s33, s12
	s_mul_hi_u32 s13, s33, s8
	s_add_i32 s20, s13, s12
	s_mul_i32 s8, s33, s8
	s_sub_u32 s8, s56, s8
	s_cselect_b64 s[12:13], -1, 0
	s_cmp_lg_u64 s[12:13], 0
	s_subb_u32 s20, s9, s20
	s_sub_u32 s21, s8, s33
	s_cselect_b64 s[12:13], -1, 0
	s_cmp_lg_u64 s[12:13], 0
	s_subb_u32 s54, s20, 0
	;; [unrolled: 4-line block ×3, first 2 shown]
	s_cmp_ge_u32 s21, s33
	s_cselect_b32 s13, -1, 0
	s_cmp_eq_u32 s54, 0
	s_cselect_b32 s13, s13, -1
	s_cmp_lg_u32 s13, 0
	s_cselect_b32 s12, s12, s54
	s_cselect_b32 s21, s57, s21
	s_cmp_ge_u32 s8, s33
	s_cselect_b32 s13, -1, 0
	s_cmp_eq_u32 s20, 0
	s_cselect_b32 s13, s13, -1
	s_cmp_lg_u32 s13, 0
	s_cselect_b32 s13, s12, s20
	s_cselect_b32 s12, s21, s8
	s_cbranch_execnz .LBB165_300
.LBB165_299:                            ;   in Loop: Header=BB165_31 Depth=1
	v_cvt_f32_u32_e32 v3, s33
	s_sub_i32 s8, 0, s33
	v_rcp_iflag_f32_e32 v3, v3
	v_mul_f32_e32 v3, 0x4f7ffffe, v3
	v_cvt_u32_f32_e32 v3, v3
	v_readfirstlane_b32 s12, v3
	s_mul_i32 s8, s8, s12
	s_mul_hi_u32 s8, s12, s8
	s_add_i32 s12, s12, s8
	s_mul_hi_u32 s8, s56, s12
	s_mul_i32 s8, s8, s33
	s_sub_i32 s8, s56, s8
	s_sub_i32 s12, s8, s33
	s_cmp_ge_u32 s8, s33
	s_cselect_b32 s8, s12, s8
	s_sub_i32 s12, s8, s33
	s_cmp_ge_u32 s8, s33
	s_cselect_b32 s54, s12, s8
	s_mov_b64 s[12:13], s[54:55]
.LBB165_300:                            ;   in Loop: Header=BB165_31 Depth=1
	s_sub_u32 s56, s56, s12
	s_subb_u32 s57, s9, s13
	v_cmp_gt_u64_e32 vcc, s[56:57], v[0:1]
	s_mov_b64 s[12:13], 0
	s_mov_b64 s[8:9], 0
                                        ; implicit-def: $vgpr6_vgpr7
	s_and_saveexec_b64 s[20:21], vcc
	s_cbranch_execz .LBB165_310
; %bb.301:                              ;   in Loop: Header=BB165_31 Depth=1
	v_mov_b32_e32 v9, v1
	v_mov_b32_e32 v10, v50
	;; [unrolled: 1-line block ×3, first 2 shown]
                                        ; implicit-def: $sgpr58_sgpr59
	s_branch .LBB165_304
.LBB165_302:                            ;   in Loop: Header=BB165_304 Depth=2
	s_or_b64 exec, exec, s[60:61]
	s_waitcnt lgkmcnt(0)
	s_barrier
	ds_read_b128 v[4:7], v19 offset:3072
	s_mov_b64 s[60:61], -1
	s_mov_b64 s[64:65], -1
	s_waitcnt lgkmcnt(0)
	s_barrier
	v_cmp_ne_u64_e32 vcc, 0, v[4:5]
	s_cbranch_vccz .LBB165_307
.LBB165_303:                            ;   in Loop: Header=BB165_304 Depth=2
	s_and_b64 s[60:61], exec, s[60:61]
	s_or_b64 s[8:9], s[60:61], s[8:9]
	s_andn2_b64 s[58:59], s[58:59], exec
	s_and_b64 s[60:61], s[64:65], exec
	s_or_b64 s[58:59], s[58:59], s[60:61]
	s_andn2_b64 exec, exec, s[8:9]
	s_cbranch_execz .LBB165_309
.LBB165_304:                            ;   Parent Loop BB165_31 Depth=1
                                        ; =>  This Inner Loop Header: Depth=2
	v_cmp_gt_u64_e32 vcc, s[10:11], v[8:9]
	s_and_saveexec_b64 s[60:61], vcc
	s_cbranch_execz .LBB165_302
; %bb.305:                              ;   in Loop: Header=BB165_304 Depth=2
	ds_read_b64 v[4:5], v10
	s_waitcnt lgkmcnt(0)
	v_xor_b32_e32 v3, 0x80000000, v5
	v_and_b32_e32 v7, v3, v35
	v_and_b32_e32 v6, v4, v34
	v_cmp_eq_u64_e32 vcc, v[6:7], v[30:31]
	s_and_b64 exec, exec, vcc
	s_cbranch_execz .LBB165_302
; %bb.306:                              ;   in Loop: Header=BB165_304 Depth=2
	v_mov_b32_e32 v3, v19
	ds_write_b128 v19, v[2:5] offset:3072
	s_branch .LBB165_302
.LBB165_307:                            ;   in Loop: Header=BB165_304 Depth=2
	v_add_co_u32_e32 v8, vcc, s33, v8
	v_addc_co_u32_e32 v9, vcc, 0, v9, vcc
	v_cmp_le_u64_e32 vcc, s[56:57], v[8:9]
	v_readlane_b32 s54, v59, 42
	v_add_u32_e32 v10, s54, v10
	s_mov_b64 s[64:65], 0
	s_orn2_b64 s[60:61], vcc, exec
	s_branch .LBB165_303
.LBB165_308:                            ;   in Loop: Header=BB165_31 Depth=1
	v_mov_b32_e32 v31, v13
	v_mov_b32_e32 v35, v15
	;; [unrolled: 1-line block ×3, first 2 shown]
	s_mov_b64 s[14:15], 0
	v_mov_b32_e32 v30, v12
	v_mov_b32_e32 v34, v14
	;; [unrolled: 1-line block ×3, first 2 shown]
	s_and_saveexec_b64 s[2:3], s[38:39]
	s_cbranch_execnz .LBB165_485
	s_branch .LBB165_486
.LBB165_309:                            ;   in Loop: Header=BB165_31 Depth=1
	s_or_b64 exec, exec, s[8:9]
	s_and_b64 s[8:9], s[58:59], exec
.LBB165_310:                            ;   in Loop: Header=BB165_31 Depth=1
	s_or_b64 exec, exec, s[20:21]
.LBB165_311:                            ;   in Loop: Header=BB165_31 Depth=1
	s_and_b64 vcc, exec, s[12:13]
	s_cbranch_vccz .LBB165_325
; %bb.312:                              ;   in Loop: Header=BB165_31 Depth=1
	v_readlane_b32 s56, v59, 29
	v_readlane_b32 s57, v59, 30
	s_mov_b32 s56, s55
	s_cmp_lg_u64 s[56:57], 0
	v_writelane_b32 v59, s56, 29
	v_writelane_b32 v59, s57, 30
	s_cbranch_scc0 .LBB165_353
; %bb.313:                              ;   in Loop: Header=BB165_31 Depth=1
	v_cvt_f32_u32_e32 v3, s33
	s_sub_u32 s12, 0, s33
	s_subb_u32 s13, 0, 0
	v_mac_f32_e32 v3, 0, v55
	v_rcp_f32_e32 v3, v3
	v_mul_f32_e32 v3, 0x5f7ffffc, v3
	v_mul_f32_e32 v4, 0x2f800000, v3
	v_trunc_f32_e32 v4, v4
	v_mac_f32_e32 v3, 0xcf800000, v4
	v_cvt_u32_f32_e32 v4, v4
	v_cvt_u32_f32_e32 v3, v3
	v_readfirstlane_b32 s14, v4
	v_readfirstlane_b32 s10, v3
	s_mul_i32 s11, s12, s14
	s_mul_hi_u32 s20, s12, s10
	s_mul_i32 s15, s13, s10
	s_add_i32 s11, s20, s11
	s_mul_i32 s21, s12, s10
	s_add_i32 s11, s11, s15
	s_mul_hi_u32 s20, s10, s21
	s_mul_i32 s52, s10, s11
	s_mul_hi_u32 s15, s10, s11
	s_add_u32 s20, s20, s52
	s_addc_u32 s15, 0, s15
	s_mul_hi_u32 s53, s14, s21
	s_mul_i32 s21, s14, s21
	s_add_u32 s20, s20, s21
	s_mul_hi_u32 s52, s14, s11
	s_addc_u32 s15, s15, s53
	s_addc_u32 s20, s52, 0
	s_mul_i32 s11, s14, s11
	s_add_u32 s11, s15, s11
	s_addc_u32 s15, 0, s20
	s_add_u32 s20, s10, s11
	s_cselect_b64 s[10:11], -1, 0
	s_cmp_lg_u64 s[10:11], 0
	s_addc_u32 s14, s14, s15
	s_mul_i32 s10, s12, s14
	s_mul_hi_u32 s11, s12, s20
	s_add_i32 s10, s11, s10
	s_mul_i32 s13, s13, s20
	s_add_i32 s10, s10, s13
	s_mul_i32 s12, s12, s20
	s_mul_hi_u32 s13, s14, s12
	s_mul_i32 s15, s14, s12
	s_mul_i32 s52, s20, s10
	s_mul_hi_u32 s12, s20, s12
	s_mul_hi_u32 s21, s20, s10
	s_add_u32 s12, s12, s52
	s_addc_u32 s21, 0, s21
	s_add_u32 s12, s12, s15
	s_mul_hi_u32 s11, s14, s10
	s_addc_u32 s12, s21, s13
	s_addc_u32 s11, s11, 0
	s_mul_i32 s10, s14, s10
	s_add_u32 s10, s12, s10
	s_addc_u32 s12, 0, s11
	s_add_u32 s13, s20, s10
	s_cselect_b64 s[10:11], -1, 0
	s_cmp_lg_u64 s[10:11], 0
	s_addc_u32 s10, s14, s12
	v_readlane_b32 s20, v59, 27
	s_mul_i32 s12, s20, s10
	s_mul_hi_u32 s14, s20, s13
	s_mul_hi_u32 s11, s20, s10
	s_add_u32 s12, s14, s12
	s_addc_u32 s11, 0, s11
	s_mul_hi_u32 s15, s57, s13
	s_mul_i32 s13, s57, s13
	s_add_u32 s12, s12, s13
	s_mul_hi_u32 s14, s57, s10
	s_addc_u32 s11, s11, s15
	s_addc_u32 s12, s14, 0
	s_mul_i32 s10, s57, s10
	s_add_u32 s10, s11, s10
	s_addc_u32 s11, 0, s12
	s_mul_i32 s11, s33, s11
	s_mul_hi_u32 s12, s33, s10
	s_add_i32 s12, s12, s11
	s_mul_i32 s10, s33, s10
	s_sub_u32 s13, s20, s10
	s_cselect_b64 s[10:11], -1, 0
	s_cmp_lg_u64 s[10:11], 0
	s_subb_u32 s12, s57, s12
	s_sub_u32 s14, s13, s33
	s_cselect_b64 s[10:11], -1, 0
	s_cmp_lg_u64 s[10:11], 0
	s_subb_u32 s15, s12, 0
	;; [unrolled: 4-line block ×3, first 2 shown]
	s_cmp_ge_u32 s14, s33
	s_cselect_b32 s11, -1, 0
	s_cmp_eq_u32 s15, 0
	s_cselect_b32 s11, s11, -1
	s_cmp_lg_u32 s11, 0
	s_cselect_b32 s10, s10, s15
	s_cselect_b32 s14, s20, s14
	s_cmp_ge_u32 s13, s33
	s_cselect_b32 s11, -1, 0
	s_cmp_eq_u32 s12, 0
	s_cselect_b32 s11, s11, -1
	s_cmp_lg_u32 s11, 0
	s_cselect_b32 s11, s10, s12
	s_cselect_b32 s10, s14, s13
	s_cbranch_execnz .LBB165_315
.LBB165_314:                            ;   in Loop: Header=BB165_31 Depth=1
	v_cvt_f32_u32_e32 v3, s33
	s_sub_i32 s10, 0, s33
	v_readlane_b32 s12, v59, 27
	v_rcp_iflag_f32_e32 v3, v3
	v_mul_f32_e32 v3, 0x4f7ffffe, v3
	v_cvt_u32_f32_e32 v3, v3
	v_readfirstlane_b32 s11, v3
	s_mul_i32 s10, s10, s11
	s_mul_hi_u32 s10, s11, s10
	s_add_i32 s11, s11, s10
	s_mul_hi_u32 s10, s12, s11
	s_mul_i32 s10, s10, s33
	s_sub_i32 s10, s12, s10
	s_sub_i32 s11, s10, s33
	s_cmp_ge_u32 s10, s33
	s_cselect_b32 s10, s11, s10
	s_sub_i32 s11, s10, s33
	s_cmp_ge_u32 s10, s33
	s_cselect_b32 s54, s11, s10
	s_mov_b64 s[10:11], s[54:55]
.LBB165_315:                            ;   in Loop: Header=BB165_31 Depth=1
	v_readlane_b32 s12, v59, 27
	v_readlane_b32 s14, v59, 29
	s_sub_u32 s12, s12, s10
	v_readlane_b32 s15, v59, 30
	s_subb_u32 s13, s15, s11
	v_cmp_gt_u64_e32 vcc, s[12:13], v[0:1]
                                        ; implicit-def: $vgpr6_vgpr7
	s_and_saveexec_b64 s[10:11], vcc
	s_cbranch_execz .LBB165_324
; %bb.316:                              ;   in Loop: Header=BB165_31 Depth=1
	v_mov_b32_e32 v8, v32
	v_mov_b32_e32 v11, v1
	s_mov_b64 s[20:21], 0
	v_mov_b32_e32 v9, v33
	v_mov_b32_e32 v10, v0
                                        ; implicit-def: $sgpr14_sgpr15
	s_branch .LBB165_319
.LBB165_317:                            ;   in Loop: Header=BB165_319 Depth=2
	s_or_b64 exec, exec, s[52:53]
	s_waitcnt lgkmcnt(0)
	s_barrier
	ds_read_b128 v[4:7], v19 offset:3072
	s_mov_b64 s[52:53], -1
	s_mov_b64 s[56:57], -1
	s_waitcnt lgkmcnt(0)
	s_barrier
	v_cmp_ne_u64_e32 vcc, 0, v[4:5]
	s_cbranch_vccz .LBB165_322
.LBB165_318:                            ;   in Loop: Header=BB165_319 Depth=2
	s_and_b64 s[52:53], exec, s[52:53]
	s_or_b64 s[20:21], s[52:53], s[20:21]
	s_andn2_b64 s[14:15], s[14:15], exec
	s_and_b64 s[52:53], s[56:57], exec
	s_or_b64 s[14:15], s[14:15], s[52:53]
	s_andn2_b64 exec, exec, s[20:21]
	s_cbranch_execz .LBB165_323
.LBB165_319:                            ;   Parent Loop BB165_31 Depth=1
                                        ; =>  This Inner Loop Header: Depth=2
	v_cmp_gt_u64_e32 vcc, s[24:25], v[10:11]
	s_and_saveexec_b64 s[52:53], vcc
	s_cbranch_execz .LBB165_317
; %bb.320:                              ;   in Loop: Header=BB165_319 Depth=2
	global_load_dwordx2 v[4:5], v[8:9], off
	s_waitcnt vmcnt(0)
	v_xor_b32_e32 v3, 0x80000000, v5
	v_and_b32_e32 v7, v3, v35
	v_and_b32_e32 v6, v4, v34
	v_cmp_eq_u64_e32 vcc, v[6:7], v[30:31]
	s_and_b64 exec, exec, vcc
	s_cbranch_execz .LBB165_317
; %bb.321:                              ;   in Loop: Header=BB165_319 Depth=2
	v_mov_b32_e32 v3, v19
	ds_write_b128 v19, v[2:5] offset:3072
	s_branch .LBB165_317
.LBB165_322:                            ;   in Loop: Header=BB165_319 Depth=2
	v_add_co_u32_e32 v10, vcc, s33, v10
	v_addc_co_u32_e32 v11, vcc, 0, v11, vcc
	v_mov_b32_e32 v3, s31
	v_add_co_u32_e32 v8, vcc, s30, v8
	v_addc_co_u32_e32 v9, vcc, v9, v3, vcc
	v_cmp_le_u64_e32 vcc, s[12:13], v[10:11]
	s_mov_b64 s[56:57], 0
	s_orn2_b64 s[52:53], vcc, exec
	s_branch .LBB165_318
.LBB165_323:                            ;   in Loop: Header=BB165_31 Depth=1
	s_or_b64 exec, exec, s[20:21]
	s_andn2_b64 s[8:9], s[8:9], exec
	s_and_b64 s[12:13], s[14:15], exec
	s_or_b64 s[8:9], s[8:9], s[12:13]
.LBB165_324:                            ;   in Loop: Header=BB165_31 Depth=1
	s_or_b64 exec, exec, s[10:11]
	s_mov_b64 s[52:53], 0
	s_mov_b64 s[14:15], -1
.LBB165_325:                            ;   in Loop: Header=BB165_31 Depth=1
	s_orn2_b64 s[8:9], s[8:9], exec
.LBB165_326:                            ;   in Loop: Header=BB165_31 Depth=1
	s_or_b64 exec, exec, s[6:7]
                                        ; implicit-def: $vgpr38_vgpr39
                                        ; implicit-def: $vgpr44
	s_and_saveexec_b64 s[20:21], s[8:9]
	s_cbranch_execz .LBB165_484
; %bb.327:                              ;   in Loop: Header=BB165_31 Depth=1
	v_mov_b32_e32 v38, 1
	s_xor_b64 s[8:9], s[4:5], -1
	v_mov_b32_e32 v44, 1
	v_mov_b32_e32 v39, 0
	s_mov_b64 s[6:7], 0
	s_and_saveexec_b64 s[4:5], s[8:9]
	s_cbranch_execz .LBB165_336
; %bb.328:                              ;   in Loop: Header=BB165_31 Depth=1
	v_cmp_ge_u64_e32 vcc, s[70:71], v[36:37]
	s_and_saveexec_b64 s[6:7], vcc
	s_xor_b64 s[6:7], exec, s[6:7]
	s_cbranch_execz .LBB165_333
; %bb.329:                              ;   in Loop: Header=BB165_31 Depth=1
	ds_read_b64 v[3:4], v19 offset:5120
	v_or_b32_e32 v31, s19, v31
	v_or_b32_e32 v30, s18, v30
	;; [unrolled: 1-line block ×4, first 2 shown]
	s_waitcnt lgkmcnt(0)
	v_cmp_ne_u64_e32 vcc, 0, v[3:4]
	s_cbranch_vccnz .LBB165_333
; %bb.330:                              ;   in Loop: Header=BB165_31 Depth=1
	s_mov_b64 s[8:9], exec
	v_readlane_b32 s10, v59, 8
	v_readlane_b32 s11, v59, 9
	s_and_b64 s[10:11], s[8:9], s[10:11]
	s_mov_b64 exec, s[10:11]
; %bb.331:                              ;   in Loop: Header=BB165_31 Depth=1
	v_mov_b32_e32 v3, s70
	v_mov_b32_e32 v4, s71
	ds_write_b64 v19, v[3:4] offset:5128
; %bb.332:                              ;   in Loop: Header=BB165_31 Depth=1
	s_or_b64 exec, exec, s[8:9]
	s_waitcnt lgkmcnt(0)
	s_barrier
.LBB165_333:                            ;   in Loop: Header=BB165_31 Depth=1
	s_or_saveexec_b64 s[6:7], s[6:7]
	s_mov_b64 s[8:9], 0
	v_mov_b32_e32 v44, 5
	s_xor_b64 exec, exec, s[6:7]
; %bb.334:                              ;   in Loop: Header=BB165_31 Depth=1
	v_subrev_co_u32_e32 v36, vcc, s70, v36
	v_mov_b32_e32 v3, s71
	v_subb_co_u32_e32 v37, vcc, v37, v3, vcc
	v_mov_b32_e32 v44, 0
	s_mov_b64 s[8:9], exec
; %bb.335:                              ;   in Loop: Header=BB165_31 Depth=1
	s_or_b64 exec, exec, s[6:7]
	v_mov_b32_e32 v39, v37
	s_and_b64 s[6:7], s[8:9], exec
	v_mov_b32_e32 v38, v36
.LBB165_336:                            ;   in Loop: Header=BB165_31 Depth=1
	s_or_b64 exec, exec, s[4:5]
	s_mov_b64 s[4:5], -1
                                        ; implicit-def: $sgpr8_sgpr9
                                        ; implicit-def: $sgpr66_sgpr67
	s_and_saveexec_b64 s[10:11], s[6:7]
	s_xor_b64 s[6:7], exec, s[10:11]
	s_cbranch_execz .LBB165_481
; %bb.337:                              ;   in Loop: Header=BB165_31 Depth=1
	s_cmp_eq_u64 s[2:3], 1
	v_cmp_eq_u64_e32 vcc, 1, v[38:39]
	s_cselect_b64 s[4:5], -1, 0
	s_and_b64 s[4:5], s[4:5], vcc
	s_mov_b64 s[12:13], -1
                                        ; implicit-def: $sgpr66_sgpr67
                                        ; implicit-def: $sgpr8_sgpr9
	s_and_saveexec_b64 s[10:11], s[4:5]
	s_cbranch_execz .LBB165_371
; %bb.338:                              ;   in Loop: Header=BB165_31 Depth=1
	ds_read_b64 v[3:4], v19 offset:5120
	s_waitcnt lgkmcnt(0)
	s_barrier
	v_readfirstlane_b32 s60, v3
	v_readfirstlane_b32 s61, v4
	s_mov_b64 s[8:9], exec
	v_readlane_b32 s12, v59, 22
	v_readlane_b32 s13, v59, 23
	s_and_b64 s[12:13], s[8:9], s[12:13]
	s_mov_b64 exec, s[12:13]
; %bb.339:                              ;   in Loop: Header=BB165_31 Depth=1
	v_mov_b32_e32 v18, v19
	ds_write_b64 v54, v[18:19]
; %bb.340:                              ;   in Loop: Header=BB165_31 Depth=1
	s_or_b64 exec, exec, s[8:9]
	s_lshl_b64 s[8:9], 2, s1
	v_and_b32_e32 v3, s51, v31
	v_and_b32_e32 v4, s50, v30
	v_or_b32_e32 v31, s9, v3
	v_or_b32_e32 v30, s8, v4
	;; [unrolled: 1-line block ×4, first 2 shown]
	s_mov_b64 s[8:9], -1
	s_mov_b64 s[66:67], 0
	s_cmp_eq_u64 s[60:61], 0
	s_mov_b64 s[12:13], 0
	s_mov_b64 s[56:57], -1
	s_waitcnt lgkmcnt(0)
	s_barrier
                                        ; implicit-def: $vgpr6_vgpr7
	s_cbranch_scc1 .LBB165_356
; %bb.341:                              ;   in Loop: Header=BB165_31 Depth=1
	v_readlane_b32 s12, v59, 26
	s_add_u32 s64, s60, s12
	v_readlane_b32 s12, v59, 28
	s_addc_u32 s13, s61, s12
	s_mov_b32 s12, s55
	s_cmp_lg_u64 s[12:13], 0
	s_cbranch_scc0 .LBB165_397
; %bb.342:                              ;   in Loop: Header=BB165_31 Depth=1
	v_cvt_f32_u32_e32 v3, s33
	s_sub_u32 s12, 0, s33
	s_subb_u32 s54, 0, 0
	v_mac_f32_e32 v3, 0, v55
	v_rcp_f32_e32 v3, v3
	v_mul_f32_e32 v3, 0x5f7ffffc, v3
	v_mul_f32_e32 v4, 0x2f800000, v3
	v_trunc_f32_e32 v4, v4
	v_mac_f32_e32 v3, 0xcf800000, v4
	v_cvt_u32_f32_e32 v4, v4
	v_cvt_u32_f32_e32 v3, v3
	v_readfirstlane_b32 s58, v4
	v_readfirstlane_b32 s56, v3
	s_mul_i32 s57, s12, s58
	s_mul_hi_u32 s65, s12, s56
	s_mul_i32 s59, s54, s56
	s_add_i32 s57, s65, s57
	s_mul_i32 s68, s12, s56
	s_add_i32 s57, s57, s59
	s_mul_hi_u32 s65, s56, s68
	s_mul_i32 s69, s56, s57
	s_mul_hi_u32 s59, s56, s57
	s_add_u32 s65, s65, s69
	s_addc_u32 s59, 0, s59
	s_mul_hi_u32 s70, s58, s68
	s_mul_i32 s68, s58, s68
	s_add_u32 s65, s65, s68
	s_mul_hi_u32 s69, s58, s57
	s_addc_u32 s59, s59, s70
	s_addc_u32 s65, s69, 0
	s_mul_i32 s57, s58, s57
	s_add_u32 s57, s59, s57
	s_addc_u32 s59, 0, s65
	s_add_u32 s65, s56, s57
	s_cselect_b64 s[56:57], -1, 0
	s_cmp_lg_u64 s[56:57], 0
	s_addc_u32 s58, s58, s59
	s_mul_i32 s56, s12, s58
	s_mul_hi_u32 s57, s12, s65
	s_add_i32 s56, s57, s56
	s_mul_i32 s54, s54, s65
	s_add_i32 s56, s56, s54
	s_mul_i32 s12, s12, s65
	s_mul_hi_u32 s57, s58, s12
	s_mul_i32 s59, s58, s12
	s_mul_i32 s69, s65, s56
	s_mul_hi_u32 s12, s65, s12
	s_mul_hi_u32 s68, s65, s56
	s_add_u32 s12, s12, s69
	s_addc_u32 s68, 0, s68
	s_add_u32 s12, s12, s59
	s_mul_hi_u32 s54, s58, s56
	s_addc_u32 s12, s68, s57
	s_addc_u32 s54, s54, 0
	s_mul_i32 s56, s58, s56
	s_add_u32 s12, s12, s56
	s_addc_u32 s54, 0, s54
	s_add_u32 s12, s65, s12
	s_cselect_b64 s[56:57], -1, 0
	s_cmp_lg_u64 s[56:57], 0
	s_addc_u32 s54, s58, s54
	s_mul_i32 s57, s64, s54
	s_mul_hi_u32 s58, s64, s12
	s_mul_hi_u32 s56, s64, s54
	s_add_u32 s57, s58, s57
	s_addc_u32 s56, 0, s56
	s_mul_hi_u32 s59, s13, s12
	s_mul_i32 s12, s13, s12
	s_add_u32 s12, s57, s12
	s_mul_hi_u32 s58, s13, s54
	s_addc_u32 s12, s56, s59
	s_addc_u32 s56, s58, 0
	s_mul_i32 s54, s13, s54
	s_add_u32 s12, s12, s54
	s_addc_u32 s54, 0, s56
	s_mul_i32 s54, s33, s54
	s_mul_hi_u32 s56, s33, s12
	s_add_i32 s54, s56, s54
	s_mul_i32 s12, s33, s12
	s_sub_u32 s12, s64, s12
	s_cselect_b64 s[56:57], -1, 0
	s_cmp_lg_u64 s[56:57], 0
	s_subb_u32 s54, s13, s54
	s_sub_u32 s58, s12, s33
	s_cselect_b64 s[56:57], -1, 0
	s_cmp_lg_u64 s[56:57], 0
	s_subb_u32 s59, s54, 0
	;; [unrolled: 4-line block ×3, first 2 shown]
	s_cmp_ge_u32 s58, s33
	s_cselect_b32 s57, -1, 0
	s_cmp_eq_u32 s59, 0
	s_cselect_b32 s57, s57, -1
	s_cmp_lg_u32 s57, 0
	s_cselect_b32 s56, s56, s59
	s_cselect_b32 s58, s65, s58
	s_cmp_ge_u32 s12, s33
	s_cselect_b32 s57, -1, 0
	s_cmp_eq_u32 s54, 0
	s_cselect_b32 s57, s57, -1
	s_cmp_lg_u32 s57, 0
	s_cselect_b32 s57, s56, s54
	s_cselect_b32 s56, s58, s12
	s_cbranch_execnz .LBB165_344
.LBB165_343:                            ;   in Loop: Header=BB165_31 Depth=1
	v_cvt_f32_u32_e32 v3, s33
	s_sub_i32 s12, 0, s33
	v_rcp_iflag_f32_e32 v3, v3
	v_mul_f32_e32 v3, 0x4f7ffffe, v3
	v_cvt_u32_f32_e32 v3, v3
	v_readfirstlane_b32 s54, v3
	s_mul_i32 s12, s12, s54
	s_mul_hi_u32 s12, s54, s12
	s_add_i32 s54, s54, s12
	s_mul_hi_u32 s12, s64, s54
	s_mul_i32 s12, s12, s33
	s_sub_i32 s12, s64, s12
	s_sub_i32 s54, s12, s33
	s_cmp_ge_u32 s12, s33
	s_cselect_b32 s12, s54, s12
	s_sub_i32 s54, s12, s33
	s_cmp_ge_u32 s12, s33
	s_cselect_b32 s54, s54, s12
	s_mov_b64 s[56:57], s[54:55]
.LBB165_344:                            ;   in Loop: Header=BB165_31 Depth=1
	s_sub_u32 s64, s64, s56
	s_subb_u32 s65, s13, s57
	v_cmp_gt_u64_e32 vcc, s[64:65], v[0:1]
	s_mov_b64 s[56:57], 0
	s_mov_b64 s[12:13], 0
                                        ; implicit-def: $vgpr6_vgpr7
	s_and_saveexec_b64 s[58:59], vcc
	s_cbranch_execz .LBB165_355
; %bb.345:                              ;   in Loop: Header=BB165_31 Depth=1
	v_mov_b32_e32 v9, v1
	v_mov_b32_e32 v10, v50
	;; [unrolled: 1-line block ×3, first 2 shown]
                                        ; implicit-def: $sgpr68_sgpr69
	s_branch .LBB165_348
.LBB165_346:                            ;   in Loop: Header=BB165_348 Depth=2
	s_or_b64 exec, exec, s[70:71]
	s_waitcnt lgkmcnt(0)
	s_barrier
	ds_read_b128 v[4:7], v19 offset:3072
	s_mov_b64 s[70:71], -1
	s_mov_b64 s[72:73], -1
	s_waitcnt lgkmcnt(0)
	s_barrier
	v_cmp_ne_u64_e32 vcc, 0, v[4:5]
	s_cbranch_vccz .LBB165_351
.LBB165_347:                            ;   in Loop: Header=BB165_348 Depth=2
	s_and_b64 s[70:71], exec, s[70:71]
	s_or_b64 s[12:13], s[70:71], s[12:13]
	s_andn2_b64 s[68:69], s[68:69], exec
	s_and_b64 s[70:71], s[72:73], exec
	s_or_b64 s[68:69], s[68:69], s[70:71]
	s_andn2_b64 exec, exec, s[12:13]
	s_cbranch_execz .LBB165_354
.LBB165_348:                            ;   Parent Loop BB165_31 Depth=1
                                        ; =>  This Inner Loop Header: Depth=2
	v_cmp_gt_u64_e32 vcc, s[60:61], v[8:9]
	s_and_saveexec_b64 s[70:71], vcc
	s_cbranch_execz .LBB165_346
; %bb.349:                              ;   in Loop: Header=BB165_348 Depth=2
	ds_read_b64 v[4:5], v10
	s_waitcnt lgkmcnt(0)
	v_xor_b32_e32 v3, 0x80000000, v5
	v_and_b32_e32 v7, v3, v35
	v_and_b32_e32 v6, v4, v34
	v_cmp_eq_u64_e32 vcc, v[6:7], v[30:31]
	s_and_b64 exec, exec, vcc
	s_cbranch_execz .LBB165_346
; %bb.350:                              ;   in Loop: Header=BB165_348 Depth=2
	v_mov_b32_e32 v3, v19
	ds_write_b128 v19, v[2:5] offset:3072
	s_branch .LBB165_346
.LBB165_351:                            ;   in Loop: Header=BB165_348 Depth=2
	v_add_co_u32_e32 v8, vcc, s33, v8
	v_addc_co_u32_e32 v9, vcc, 0, v9, vcc
	v_cmp_le_u64_e32 vcc, s[64:65], v[8:9]
	v_readlane_b32 s54, v59, 42
	v_add_u32_e32 v10, s54, v10
	s_mov_b64 s[72:73], 0
	s_orn2_b64 s[70:71], vcc, exec
	s_branch .LBB165_347
.LBB165_352:                            ;   in Loop: Header=BB165_31 Depth=1
                                        ; implicit-def: $sgpr12_sgpr13
	s_branch .LBB165_299
.LBB165_353:                            ;   in Loop: Header=BB165_31 Depth=1
                                        ; implicit-def: $sgpr10_sgpr11
	s_branch .LBB165_314
.LBB165_354:                            ;   in Loop: Header=BB165_31 Depth=1
	s_or_b64 exec, exec, s[12:13]
	v_readlane_b32 s72, v59, 48
	s_and_b64 s[12:13], s[68:69], exec
	v_readlane_b32 s73, v59, 49
.LBB165_355:                            ;   in Loop: Header=BB165_31 Depth=1
	s_or_b64 exec, exec, s[58:59]
.LBB165_356:                            ;   in Loop: Header=BB165_31 Depth=1
	s_and_b64 vcc, exec, s[56:57]
	s_cbranch_vccz .LBB165_370
; %bb.357:                              ;   in Loop: Header=BB165_31 Depth=1
	v_readlane_b32 s64, v59, 29
	v_readlane_b32 s65, v59, 30
	s_mov_b32 s64, s55
	s_cmp_lg_u64 s[64:65], 0
	v_writelane_b32 v59, s64, 29
	v_writelane_b32 v59, s65, 30
	s_cbranch_scc0 .LBB165_398
; %bb.358:                              ;   in Loop: Header=BB165_31 Depth=1
	v_cvt_f32_u32_e32 v3, s33
	s_sub_u32 s54, 0, s33
	s_subb_u32 s56, 0, 0
	v_mac_f32_e32 v3, 0, v55
	v_rcp_f32_e32 v3, v3
	v_mul_f32_e32 v3, 0x5f7ffffc, v3
	v_mul_f32_e32 v4, 0x2f800000, v3
	v_trunc_f32_e32 v4, v4
	v_mac_f32_e32 v3, 0xcf800000, v4
	v_cvt_u32_f32_e32 v4, v4
	v_cvt_u32_f32_e32 v3, v3
	v_readfirstlane_b32 s57, v4
	v_readfirstlane_b32 s8, v3
	s_mul_i32 s9, s54, s57
	s_mul_hi_u32 s59, s54, s8
	s_mul_i32 s58, s56, s8
	s_add_i32 s9, s59, s9
	s_mul_i32 s60, s54, s8
	s_add_i32 s9, s9, s58
	s_mul_hi_u32 s59, s8, s60
	s_mul_i32 s61, s8, s9
	s_mul_hi_u32 s58, s8, s9
	s_add_u32 s59, s59, s61
	s_addc_u32 s58, 0, s58
	s_mul_hi_u32 s64, s57, s60
	s_mul_i32 s60, s57, s60
	s_add_u32 s59, s59, s60
	s_mul_hi_u32 s61, s57, s9
	s_addc_u32 s58, s58, s64
	s_addc_u32 s59, s61, 0
	s_mul_i32 s9, s57, s9
	s_add_u32 s9, s58, s9
	s_addc_u32 s58, 0, s59
	s_add_u32 s59, s8, s9
	s_cselect_b64 s[8:9], -1, 0
	s_cmp_lg_u64 s[8:9], 0
	s_addc_u32 s57, s57, s58
	s_mul_i32 s8, s54, s57
	s_mul_hi_u32 s9, s54, s59
	s_add_i32 s8, s9, s8
	s_mul_i32 s56, s56, s59
	s_add_i32 s8, s8, s56
	s_mul_i32 s54, s54, s59
	s_mul_hi_u32 s56, s57, s54
	s_mul_i32 s58, s57, s54
	s_mul_i32 s61, s59, s8
	s_mul_hi_u32 s54, s59, s54
	s_mul_hi_u32 s60, s59, s8
	s_add_u32 s54, s54, s61
	s_addc_u32 s60, 0, s60
	s_add_u32 s54, s54, s58
	s_mul_hi_u32 s9, s57, s8
	s_addc_u32 s54, s60, s56
	s_addc_u32 s9, s9, 0
	s_mul_i32 s8, s57, s8
	s_add_u32 s8, s54, s8
	s_addc_u32 s54, 0, s9
	s_add_u32 s56, s59, s8
	s_cselect_b64 s[8:9], -1, 0
	s_cmp_lg_u64 s[8:9], 0
	s_addc_u32 s8, s57, s54
	v_readlane_b32 s59, v59, 27
	s_mul_i32 s54, s59, s8
	s_mul_hi_u32 s57, s59, s56
	s_mul_hi_u32 s9, s59, s8
	s_add_u32 s54, s57, s54
	s_addc_u32 s9, 0, s9
	s_mul_hi_u32 s58, s65, s56
	s_mul_i32 s56, s65, s56
	s_add_u32 s54, s54, s56
	s_mul_hi_u32 s57, s65, s8
	s_addc_u32 s9, s9, s58
	s_addc_u32 s54, s57, 0
	s_mul_i32 s8, s65, s8
	s_add_u32 s8, s9, s8
	s_addc_u32 s9, 0, s54
	s_mul_i32 s9, s33, s9
	s_mul_hi_u32 s54, s33, s8
	s_add_i32 s54, s54, s9
	s_mul_i32 s8, s33, s8
	s_sub_u32 s56, s59, s8
	s_cselect_b64 s[8:9], -1, 0
	s_cmp_lg_u64 s[8:9], 0
	s_subb_u32 s54, s65, s54
	s_sub_u32 s57, s56, s33
	s_cselect_b64 s[8:9], -1, 0
	s_cmp_lg_u64 s[8:9], 0
	s_subb_u32 s58, s54, 0
	;; [unrolled: 4-line block ×3, first 2 shown]
	s_cmp_ge_u32 s57, s33
	s_cselect_b32 s9, -1, 0
	s_cmp_eq_u32 s58, 0
	s_cselect_b32 s9, s9, -1
	s_cmp_lg_u32 s9, 0
	s_cselect_b32 s8, s8, s58
	s_cselect_b32 s57, s59, s57
	s_cmp_ge_u32 s56, s33
	s_cselect_b32 s9, -1, 0
	s_cmp_eq_u32 s54, 0
	s_cselect_b32 s9, s9, -1
	s_cmp_lg_u32 s9, 0
	s_cselect_b32 s9, s8, s54
	s_cselect_b32 s8, s57, s56
	s_cbranch_execnz .LBB165_360
.LBB165_359:                            ;   in Loop: Header=BB165_31 Depth=1
	v_cvt_f32_u32_e32 v3, s33
	s_sub_i32 s8, 0, s33
	v_readlane_b32 s54, v59, 27
	v_rcp_iflag_f32_e32 v3, v3
	v_mul_f32_e32 v3, 0x4f7ffffe, v3
	v_cvt_u32_f32_e32 v3, v3
	v_readfirstlane_b32 s9, v3
	s_mul_i32 s8, s8, s9
	s_mul_hi_u32 s8, s9, s8
	s_add_i32 s9, s9, s8
	s_mul_hi_u32 s8, s54, s9
	s_mul_i32 s8, s8, s33
	s_sub_i32 s8, s54, s8
	s_sub_i32 s9, s8, s33
	s_cmp_ge_u32 s8, s33
	s_cselect_b32 s8, s9, s8
	s_sub_i32 s9, s8, s33
	s_cmp_ge_u32 s8, s33
	s_cselect_b32 s54, s9, s8
	s_mov_b64 s[8:9], s[54:55]
.LBB165_360:                            ;   in Loop: Header=BB165_31 Depth=1
	v_readlane_b32 s54, v59, 27
	v_readlane_b32 s58, v59, 29
	s_sub_u32 s56, s54, s8
	v_readlane_b32 s59, v59, 30
	s_subb_u32 s57, s59, s9
	v_cmp_gt_u64_e32 vcc, s[56:57], v[0:1]
                                        ; implicit-def: $vgpr6_vgpr7
	s_and_saveexec_b64 s[8:9], vcc
	s_cbranch_execz .LBB165_369
; %bb.361:                              ;   in Loop: Header=BB165_31 Depth=1
	v_mov_b32_e32 v8, v32
	v_mov_b32_e32 v11, v1
	s_mov_b64 s[58:59], 0
	v_mov_b32_e32 v9, v33
	v_mov_b32_e32 v10, v0
                                        ; implicit-def: $sgpr60_sgpr61
	s_branch .LBB165_364
.LBB165_362:                            ;   in Loop: Header=BB165_364 Depth=2
	s_or_b64 exec, exec, s[64:65]
	s_waitcnt lgkmcnt(0)
	s_barrier
	ds_read_b128 v[4:7], v19 offset:3072
	s_mov_b64 s[64:65], -1
	s_mov_b64 s[66:67], -1
	s_waitcnt lgkmcnt(0)
	s_barrier
	v_cmp_eq_u64_e32 vcc, 0, v[4:5]
	s_cbranch_vccnz .LBB165_367
.LBB165_363:                            ;   in Loop: Header=BB165_364 Depth=2
	s_and_b64 s[64:65], exec, s[64:65]
	s_or_b64 s[58:59], s[64:65], s[58:59]
	s_andn2_b64 s[60:61], s[60:61], exec
	s_and_b64 s[64:65], s[66:67], exec
	s_or_b64 s[60:61], s[60:61], s[64:65]
	s_andn2_b64 exec, exec, s[58:59]
	s_cbranch_execz .LBB165_368
.LBB165_364:                            ;   Parent Loop BB165_31 Depth=1
                                        ; =>  This Inner Loop Header: Depth=2
	v_cmp_gt_u64_e32 vcc, s[24:25], v[10:11]
	s_and_saveexec_b64 s[64:65], vcc
	s_cbranch_execz .LBB165_362
; %bb.365:                              ;   in Loop: Header=BB165_364 Depth=2
	global_load_dwordx2 v[4:5], v[8:9], off
	s_waitcnt vmcnt(0)
	v_xor_b32_e32 v3, 0x80000000, v5
	v_and_b32_e32 v7, v3, v35
	v_and_b32_e32 v6, v4, v34
	v_cmp_eq_u64_e32 vcc, v[6:7], v[30:31]
	s_and_b64 exec, exec, vcc
	s_cbranch_execz .LBB165_362
; %bb.366:                              ;   in Loop: Header=BB165_364 Depth=2
	v_mov_b32_e32 v3, v19
	ds_write_b128 v19, v[2:5] offset:3072
	s_branch .LBB165_362
.LBB165_367:                            ;   in Loop: Header=BB165_364 Depth=2
	v_add_co_u32_e32 v10, vcc, s33, v10
	v_addc_co_u32_e32 v11, vcc, 0, v11, vcc
	v_mov_b32_e32 v3, s31
	v_add_co_u32_e32 v8, vcc, s30, v8
	v_addc_co_u32_e32 v9, vcc, v9, v3, vcc
	v_cmp_le_u64_e32 vcc, s[56:57], v[10:11]
	s_mov_b64 s[66:67], 0
	s_orn2_b64 s[64:65], vcc, exec
	s_branch .LBB165_363
.LBB165_368:                            ;   in Loop: Header=BB165_31 Depth=1
	s_or_b64 exec, exec, s[58:59]
	s_andn2_b64 s[12:13], s[12:13], exec
	s_and_b64 s[56:57], s[60:61], exec
	s_or_b64 s[12:13], s[12:13], s[56:57]
.LBB165_369:                            ;   in Loop: Header=BB165_31 Depth=1
	s_or_b64 exec, exec, s[8:9]
	s_mov_b64 s[8:9], 0
	s_mov_b64 s[66:67], -1
.LBB165_370:                            ;   in Loop: Header=BB165_31 Depth=1
	s_orn2_b64 s[12:13], s[12:13], exec
.LBB165_371:                            ;   in Loop: Header=BB165_31 Depth=1
	s_or_b64 exec, exec, s[10:11]
	s_mov_b64 s[10:11], 0
	s_and_saveexec_b64 s[68:69], s[12:13]
	s_cbranch_execz .LBB165_480
; %bb.372:                              ;   in Loop: Header=BB165_31 Depth=1
	v_mov_b32_e32 v8, 1
	s_xor_b64 s[12:13], s[4:5], -1
	v_mov_b32_e32 v44, 1
	v_mov_b32_e32 v9, 0
	s_and_saveexec_b64 s[4:5], s[12:13]
	s_cbranch_execz .LBB165_381
; %bb.373:                              ;   in Loop: Header=BB165_31 Depth=1
	v_cmp_ge_u64_e32 vcc, s[2:3], v[38:39]
	s_and_saveexec_b64 s[10:11], vcc
	s_xor_b64 s[10:11], exec, s[10:11]
	s_cbranch_execz .LBB165_378
; %bb.374:                              ;   in Loop: Header=BB165_31 Depth=1
	s_lshl_b64 s[12:13], 2, s1
	v_and_b32_e32 v3, s51, v31
	v_and_b32_e32 v4, s50, v30
	v_or_b32_e32 v31, s13, v3
	v_or_b32_e32 v30, s12, v4
	ds_read_b64 v[3:4], v19 offset:5120
	v_or_b32_e32 v35, s19, v35
	v_or_b32_e32 v34, s18, v34
	s_waitcnt lgkmcnt(0)
	v_cmp_ne_u64_e32 vcc, 0, v[3:4]
	s_cbranch_vccnz .LBB165_378
; %bb.375:                              ;   in Loop: Header=BB165_31 Depth=1
	s_mov_b64 s[12:13], exec
	v_readlane_b32 s56, v59, 8
	v_readlane_b32 s57, v59, 9
	s_and_b64 s[56:57], s[12:13], s[56:57]
	s_mov_b64 exec, s[56:57]
; %bb.376:                              ;   in Loop: Header=BB165_31 Depth=1
	v_mov_b32_e32 v4, s3
	v_mov_b32_e32 v3, s2
	ds_write_b64 v19, v[3:4] offset:5128
; %bb.377:                              ;   in Loop: Header=BB165_31 Depth=1
	s_or_b64 exec, exec, s[12:13]
	s_waitcnt lgkmcnt(0)
	s_barrier
.LBB165_378:                            ;   in Loop: Header=BB165_31 Depth=1
	s_or_saveexec_b64 s[10:11], s[10:11]
	s_mov_b64 s[12:13], 0
	v_mov_b32_e32 v44, 5
	s_xor_b64 exec, exec, s[10:11]
; %bb.379:                              ;   in Loop: Header=BB165_31 Depth=1
	v_subrev_co_u32_e32 v38, vcc, s2, v38
	v_mov_b32_e32 v3, s3
	v_subb_co_u32_e32 v39, vcc, v39, v3, vcc
	v_mov_b32_e32 v44, 0
	s_mov_b64 s[12:13], exec
; %bb.380:                              ;   in Loop: Header=BB165_31 Depth=1
	s_or_b64 exec, exec, s[10:11]
	v_mov_b32_e32 v8, v38
	s_and_b64 s[10:11], s[12:13], exec
	v_mov_b32_e32 v9, v39
.LBB165_381:                            ;   in Loop: Header=BB165_31 Depth=1
	s_or_b64 exec, exec, s[4:5]
	s_mov_b64 s[4:5], -1
                                        ; implicit-def: $sgpr2_sgpr3
                                        ; kill: killed $sgpr2_sgpr3
                                        ; implicit-def: $sgpr2_sgpr3
                                        ; kill: killed $sgpr2_sgpr3
	s_and_saveexec_b64 s[2:3], s[10:11]
	s_cbranch_execz .LBB165_479
; %bb.382:                              ;   in Loop: Header=BB165_31 Depth=1
	s_cmp_eq_u64 s[44:45], 1
	v_cmp_eq_u64_e32 vcc, 1, v[8:9]
	s_cselect_b64 s[4:5], -1, 0
	s_and_b64 s[4:5], s[4:5], vcc
	s_mov_b64 s[10:11], -1
                                        ; implicit-def: $sgpr12_sgpr13
                                        ; kill: killed $sgpr12_sgpr13
                                        ; implicit-def: $sgpr12_sgpr13
                                        ; kill: killed $sgpr12_sgpr13
	s_and_saveexec_b64 s[60:61], s[4:5]
	s_cbranch_execz .LBB165_416
; %bb.383:                              ;   in Loop: Header=BB165_31 Depth=1
	ds_read_b64 v[3:4], v19 offset:5120
	s_waitcnt lgkmcnt(0)
	s_barrier
	v_readfirstlane_b32 s74, v3
	v_readfirstlane_b32 s75, v4
	s_mov_b64 s[10:11], exec
	v_readlane_b32 s12, v59, 22
	v_readlane_b32 s13, v59, 23
	s_and_b64 s[12:13], s[10:11], s[12:13]
	s_mov_b64 exec, s[12:13]
; %bb.384:                              ;   in Loop: Header=BB165_31 Depth=1
	v_mov_b32_e32 v18, v19
	ds_write_b64 v54, v[18:19]
; %bb.385:                              ;   in Loop: Header=BB165_31 Depth=1
	s_or_b64 exec, exec, s[10:11]
	s_lshl_b64 s[10:11], 1, s1
	v_and_b32_e32 v3, s51, v31
	v_and_b32_e32 v4, s50, v30
	v_or_b32_e32 v31, s11, v3
	v_or_b32_e32 v30, s10, v4
	s_mov_b64 s[10:11], -1
	v_writelane_b32 v59, s10, 54
	v_writelane_b32 v59, s11, 55
	s_mov_b64 s[10:11], 0
	v_or_b32_e32 v35, s19, v35
	v_or_b32_e32 v34, s18, v34
	v_writelane_b32 v59, s10, 52
	s_cmp_eq_u64 s[74:75], 0
	s_mov_b64 s[70:71], 0
	s_mov_b64 s[56:57], -1
	s_waitcnt lgkmcnt(0)
	s_barrier
	v_writelane_b32 v59, s11, 53
                                        ; implicit-def: $vgpr6_vgpr7
	s_cbranch_scc1 .LBB165_401
; %bb.386:                              ;   in Loop: Header=BB165_31 Depth=1
	v_readlane_b32 s10, v59, 26
	s_add_u32 s58, s74, s10
	v_readlane_b32 s10, v59, 28
	s_addc_u32 s57, s75, s10
	s_mov_b32 s56, s55
	s_cmp_lg_u64 s[56:57], 0
	s_cbranch_scc0 .LBB165_433
; %bb.387:                              ;   in Loop: Header=BB165_31 Depth=1
	v_cvt_f32_u32_e32 v3, s33
	s_sub_u32 s12, 0, s33
	s_subb_u32 s13, 0, 0
	v_mac_f32_e32 v3, 0, v55
	v_rcp_f32_e32 v3, v3
	v_mul_f32_e32 v3, 0x5f7ffffc, v3
	v_mul_f32_e32 v4, 0x2f800000, v3
	v_trunc_f32_e32 v4, v4
	v_mac_f32_e32 v3, 0xcf800000, v4
	v_cvt_u32_f32_e32 v4, v4
	v_cvt_u32_f32_e32 v3, v3
	v_readfirstlane_b32 s54, v4
	v_readfirstlane_b32 s10, v3
	s_mul_i32 s11, s12, s54
	s_mul_hi_u32 s59, s12, s10
	s_mul_i32 s56, s13, s10
	s_add_i32 s11, s59, s11
	s_mul_i32 s64, s12, s10
	s_add_i32 s11, s11, s56
	s_mul_hi_u32 s59, s10, s64
	s_mul_i32 s65, s10, s11
	s_mul_hi_u32 s56, s10, s11
	s_add_u32 s59, s59, s65
	s_addc_u32 s56, 0, s56
	s_mul_hi_u32 s70, s54, s64
	s_mul_i32 s64, s54, s64
	s_add_u32 s59, s59, s64
	s_mul_hi_u32 s65, s54, s11
	s_addc_u32 s56, s56, s70
	s_addc_u32 s59, s65, 0
	s_mul_i32 s11, s54, s11
	s_add_u32 s11, s56, s11
	s_addc_u32 s56, 0, s59
	s_add_u32 s59, s10, s11
	s_cselect_b64 s[10:11], -1, 0
	s_cmp_lg_u64 s[10:11], 0
	s_addc_u32 s54, s54, s56
	s_mul_i32 s10, s12, s54
	s_mul_hi_u32 s11, s12, s59
	s_add_i32 s10, s11, s10
	s_mul_i32 s13, s13, s59
	s_add_i32 s10, s10, s13
	s_mul_i32 s12, s12, s59
	s_mul_hi_u32 s13, s54, s12
	s_mul_i32 s56, s54, s12
	s_mul_i32 s65, s59, s10
	s_mul_hi_u32 s12, s59, s12
	s_mul_hi_u32 s64, s59, s10
	s_add_u32 s12, s12, s65
	s_addc_u32 s64, 0, s64
	s_add_u32 s12, s12, s56
	s_mul_hi_u32 s11, s54, s10
	s_addc_u32 s12, s64, s13
	s_addc_u32 s11, s11, 0
	s_mul_i32 s10, s54, s10
	s_add_u32 s10, s12, s10
	s_addc_u32 s12, 0, s11
	s_add_u32 s13, s59, s10
	s_cselect_b64 s[10:11], -1, 0
	s_cmp_lg_u64 s[10:11], 0
	s_addc_u32 s10, s54, s12
	s_mul_i32 s12, s58, s10
	s_mul_hi_u32 s54, s58, s13
	s_mul_hi_u32 s11, s58, s10
	s_add_u32 s12, s54, s12
	s_addc_u32 s11, 0, s11
	s_mul_hi_u32 s56, s57, s13
	s_mul_i32 s13, s57, s13
	s_add_u32 s12, s12, s13
	s_mul_hi_u32 s54, s57, s10
	s_addc_u32 s11, s11, s56
	s_addc_u32 s12, s54, 0
	s_mul_i32 s10, s57, s10
	s_add_u32 s10, s11, s10
	s_addc_u32 s11, 0, s12
	s_mul_i32 s11, s33, s11
	s_mul_hi_u32 s12, s33, s10
	s_add_i32 s12, s12, s11
	s_mul_i32 s10, s33, s10
	s_sub_u32 s13, s58, s10
	s_cselect_b64 s[10:11], -1, 0
	s_cmp_lg_u64 s[10:11], 0
	s_subb_u32 s12, s57, s12
	s_sub_u32 s54, s13, s33
	s_cselect_b64 s[10:11], -1, 0
	s_cmp_lg_u64 s[10:11], 0
	s_subb_u32 s56, s12, 0
	;; [unrolled: 4-line block ×3, first 2 shown]
	s_cmp_ge_u32 s54, s33
	s_cselect_b32 s11, -1, 0
	s_cmp_eq_u32 s56, 0
	s_cselect_b32 s11, s11, -1
	s_cmp_lg_u32 s11, 0
	s_cselect_b32 s10, s10, s56
	s_cselect_b32 s54, s59, s54
	s_cmp_ge_u32 s13, s33
	s_cselect_b32 s11, -1, 0
	s_cmp_eq_u32 s12, 0
	s_cselect_b32 s11, s11, -1
	s_cmp_lg_u32 s11, 0
	s_cselect_b32 s11, s10, s12
	s_cselect_b32 s10, s54, s13
	s_cbranch_execnz .LBB165_389
.LBB165_388:                            ;   in Loop: Header=BB165_31 Depth=1
	v_cvt_f32_u32_e32 v3, s33
	s_sub_i32 s10, 0, s33
	v_rcp_iflag_f32_e32 v3, v3
	v_mul_f32_e32 v3, 0x4f7ffffe, v3
	v_cvt_u32_f32_e32 v3, v3
	v_readfirstlane_b32 s11, v3
	s_mul_i32 s10, s10, s11
	s_mul_hi_u32 s10, s11, s10
	s_add_i32 s11, s11, s10
	s_mul_hi_u32 s10, s58, s11
	s_mul_i32 s10, s10, s33
	s_sub_i32 s10, s58, s10
	s_sub_i32 s11, s10, s33
	s_cmp_ge_u32 s10, s33
	s_cselect_b32 s10, s11, s10
	s_sub_i32 s11, s10, s33
	s_cmp_ge_u32 s10, s33
	s_cselect_b32 s54, s11, s10
	s_mov_b64 s[10:11], s[54:55]
.LBB165_389:                            ;   in Loop: Header=BB165_31 Depth=1
	s_sub_u32 s64, s58, s10
	s_subb_u32 s65, s57, s11
	v_cmp_gt_u64_e32 vcc, s[64:65], v[0:1]
	s_mov_b64 s[56:57], 0
	s_mov_b64 s[70:71], 0
                                        ; implicit-def: $vgpr6_vgpr7
	s_and_saveexec_b64 s[58:59], vcc
	s_cbranch_execz .LBB165_400
; %bb.390:                              ;   in Loop: Header=BB165_31 Depth=1
	v_mov_b32_e32 v11, v1
	v_mov_b32_e32 v12, v50
	;; [unrolled: 1-line block ×3, first 2 shown]
                                        ; implicit-def: $sgpr10_sgpr11
	s_branch .LBB165_393
.LBB165_391:                            ;   in Loop: Header=BB165_393 Depth=2
	s_or_b64 exec, exec, s[12:13]
	s_waitcnt lgkmcnt(0)
	s_barrier
	ds_read_b128 v[4:7], v19 offset:3072
	s_mov_b64 s[12:13], -1
	s_mov_b64 s[72:73], -1
	s_waitcnt lgkmcnt(0)
	s_barrier
	v_cmp_ne_u64_e32 vcc, 0, v[4:5]
	s_cbranch_vccz .LBB165_396
.LBB165_392:                            ;   in Loop: Header=BB165_393 Depth=2
	s_and_b64 s[12:13], exec, s[12:13]
	s_or_b64 s[70:71], s[12:13], s[70:71]
	s_andn2_b64 s[10:11], s[10:11], exec
	s_and_b64 s[12:13], s[72:73], exec
	s_or_b64 s[10:11], s[10:11], s[12:13]
	s_andn2_b64 exec, exec, s[70:71]
	s_cbranch_execz .LBB165_399
.LBB165_393:                            ;   Parent Loop BB165_31 Depth=1
                                        ; =>  This Inner Loop Header: Depth=2
	v_cmp_gt_u64_e32 vcc, s[74:75], v[10:11]
	s_and_saveexec_b64 s[12:13], vcc
	s_cbranch_execz .LBB165_391
; %bb.394:                              ;   in Loop: Header=BB165_393 Depth=2
	ds_read_b64 v[4:5], v12
	s_waitcnt lgkmcnt(0)
	v_xor_b32_e32 v3, 0x80000000, v5
	v_and_b32_e32 v7, v3, v35
	v_and_b32_e32 v6, v4, v34
	v_cmp_eq_u64_e32 vcc, v[6:7], v[30:31]
	s_and_b64 exec, exec, vcc
	s_cbranch_execz .LBB165_391
; %bb.395:                              ;   in Loop: Header=BB165_393 Depth=2
	v_mov_b32_e32 v3, v19
	ds_write_b128 v19, v[2:5] offset:3072
	s_branch .LBB165_391
.LBB165_396:                            ;   in Loop: Header=BB165_393 Depth=2
	v_add_co_u32_e32 v10, vcc, s33, v10
	v_addc_co_u32_e32 v11, vcc, 0, v11, vcc
	v_cmp_le_u64_e32 vcc, s[64:65], v[10:11]
	v_readlane_b32 s12, v59, 42
	v_add_u32_e32 v12, s12, v12
	s_mov_b64 s[72:73], 0
	s_orn2_b64 s[12:13], vcc, exec
	s_branch .LBB165_392
.LBB165_397:                            ;   in Loop: Header=BB165_31 Depth=1
                                        ; implicit-def: $sgpr56_sgpr57
	s_branch .LBB165_343
.LBB165_398:                            ;   in Loop: Header=BB165_31 Depth=1
                                        ; implicit-def: $sgpr8_sgpr9
	s_branch .LBB165_359
.LBB165_399:                            ;   in Loop: Header=BB165_31 Depth=1
	s_or_b64 exec, exec, s[70:71]
	v_readlane_b32 s72, v59, 48
	s_and_b64 s[70:71], s[10:11], exec
	v_readlane_b32 s73, v59, 49
.LBB165_400:                            ;   in Loop: Header=BB165_31 Depth=1
	s_or_b64 exec, exec, s[58:59]
.LBB165_401:                            ;   in Loop: Header=BB165_31 Depth=1
	s_and_b64 vcc, exec, s[56:57]
	s_cbranch_vccz .LBB165_415
; %bb.402:                              ;   in Loop: Header=BB165_31 Depth=1
	v_readlane_b32 s64, v59, 29
	v_readlane_b32 s65, v59, 30
	s_mov_b32 s64, s55
	s_cmp_lg_u64 s[64:65], 0
	v_writelane_b32 v59, s64, 29
	v_writelane_b32 v59, s65, 30
	s_cbranch_scc0 .LBB165_434
; %bb.403:                              ;   in Loop: Header=BB165_31 Depth=1
	v_cvt_f32_u32_e32 v3, s33
	s_sub_u32 s12, 0, s33
	s_subb_u32 s13, 0, 0
	v_mac_f32_e32 v3, 0, v55
	v_rcp_f32_e32 v3, v3
	v_mul_f32_e32 v3, 0x5f7ffffc, v3
	v_mul_f32_e32 v4, 0x2f800000, v3
	v_trunc_f32_e32 v4, v4
	v_mac_f32_e32 v3, 0xcf800000, v4
	v_cvt_u32_f32_e32 v4, v4
	v_cvt_u32_f32_e32 v3, v3
	v_readfirstlane_b32 s54, v4
	v_readfirstlane_b32 s10, v3
	s_mul_i32 s11, s12, s54
	s_mul_hi_u32 s57, s12, s10
	s_mul_i32 s56, s13, s10
	s_add_i32 s11, s57, s11
	s_mul_i32 s58, s12, s10
	s_add_i32 s11, s11, s56
	s_mul_hi_u32 s57, s10, s58
	s_mul_i32 s59, s10, s11
	s_mul_hi_u32 s56, s10, s11
	s_add_u32 s57, s57, s59
	s_addc_u32 s56, 0, s56
	s_mul_hi_u32 s64, s54, s58
	s_mul_i32 s58, s54, s58
	s_add_u32 s57, s57, s58
	s_mul_hi_u32 s59, s54, s11
	s_addc_u32 s56, s56, s64
	s_addc_u32 s57, s59, 0
	s_mul_i32 s11, s54, s11
	s_add_u32 s11, s56, s11
	s_addc_u32 s56, 0, s57
	s_add_u32 s57, s10, s11
	s_cselect_b64 s[10:11], -1, 0
	s_cmp_lg_u64 s[10:11], 0
	s_addc_u32 s54, s54, s56
	s_mul_i32 s10, s12, s54
	s_mul_hi_u32 s11, s12, s57
	s_add_i32 s10, s11, s10
	s_mul_i32 s13, s13, s57
	s_add_i32 s10, s10, s13
	s_mul_i32 s12, s12, s57
	s_mul_hi_u32 s13, s54, s12
	s_mul_i32 s56, s54, s12
	s_mul_i32 s59, s57, s10
	s_mul_hi_u32 s12, s57, s12
	s_mul_hi_u32 s58, s57, s10
	s_add_u32 s12, s12, s59
	s_addc_u32 s58, 0, s58
	s_add_u32 s12, s12, s56
	s_mul_hi_u32 s11, s54, s10
	s_addc_u32 s12, s58, s13
	s_addc_u32 s11, s11, 0
	s_mul_i32 s10, s54, s10
	s_add_u32 s10, s12, s10
	s_addc_u32 s12, 0, s11
	s_add_u32 s13, s57, s10
	s_cselect_b64 s[10:11], -1, 0
	s_cmp_lg_u64 s[10:11], 0
	s_addc_u32 s10, s54, s12
	v_readlane_b32 s57, v59, 27
	s_mul_i32 s12, s57, s10
	s_mul_hi_u32 s54, s57, s13
	s_mul_hi_u32 s11, s57, s10
	s_add_u32 s12, s54, s12
	s_addc_u32 s11, 0, s11
	s_mul_hi_u32 s56, s65, s13
	s_mul_i32 s13, s65, s13
	s_add_u32 s12, s12, s13
	s_mul_hi_u32 s54, s65, s10
	s_addc_u32 s11, s11, s56
	s_addc_u32 s12, s54, 0
	s_mul_i32 s10, s65, s10
	s_add_u32 s10, s11, s10
	s_addc_u32 s11, 0, s12
	s_mul_i32 s11, s33, s11
	s_mul_hi_u32 s12, s33, s10
	s_add_i32 s12, s12, s11
	s_mul_i32 s10, s33, s10
	s_sub_u32 s13, s57, s10
	s_cselect_b64 s[10:11], -1, 0
	s_cmp_lg_u64 s[10:11], 0
	s_subb_u32 s12, s65, s12
	s_sub_u32 s54, s13, s33
	s_cselect_b64 s[10:11], -1, 0
	s_cmp_lg_u64 s[10:11], 0
	s_subb_u32 s56, s12, 0
	;; [unrolled: 4-line block ×3, first 2 shown]
	s_cmp_ge_u32 s54, s33
	s_cselect_b32 s11, -1, 0
	s_cmp_eq_u32 s56, 0
	s_cselect_b32 s11, s11, -1
	s_cmp_lg_u32 s11, 0
	s_cselect_b32 s10, s10, s56
	s_cselect_b32 s54, s57, s54
	s_cmp_ge_u32 s13, s33
	s_cselect_b32 s11, -1, 0
	s_cmp_eq_u32 s12, 0
	s_cselect_b32 s11, s11, -1
	s_cmp_lg_u32 s11, 0
	s_cselect_b32 s11, s10, s12
	s_cselect_b32 s10, s54, s13
	s_cbranch_execnz .LBB165_405
.LBB165_404:                            ;   in Loop: Header=BB165_31 Depth=1
	v_cvt_f32_u32_e32 v3, s33
	s_sub_i32 s10, 0, s33
	v_readlane_b32 s12, v59, 27
	v_rcp_iflag_f32_e32 v3, v3
	v_mul_f32_e32 v3, 0x4f7ffffe, v3
	v_cvt_u32_f32_e32 v3, v3
	v_readfirstlane_b32 s11, v3
	s_mul_i32 s10, s10, s11
	s_mul_hi_u32 s10, s11, s10
	s_add_i32 s11, s11, s10
	s_mul_hi_u32 s10, s12, s11
	s_mul_i32 s10, s10, s33
	s_sub_i32 s10, s12, s10
	s_sub_i32 s11, s10, s33
	s_cmp_ge_u32 s10, s33
	s_cselect_b32 s10, s11, s10
	s_sub_i32 s11, s10, s33
	s_cmp_ge_u32 s10, s33
	s_cselect_b32 s54, s11, s10
	s_mov_b64 s[10:11], s[54:55]
.LBB165_405:                            ;   in Loop: Header=BB165_31 Depth=1
	v_readlane_b32 s12, v59, 27
	v_readlane_b32 s56, v59, 29
	s_sub_u32 s12, s12, s10
	v_readlane_b32 s57, v59, 30
	s_subb_u32 s13, s57, s11
	v_cmp_gt_u64_e32 vcc, s[12:13], v[0:1]
                                        ; implicit-def: $vgpr6_vgpr7
	s_and_saveexec_b64 s[10:11], vcc
	s_cbranch_execz .LBB165_414
; %bb.406:                              ;   in Loop: Header=BB165_31 Depth=1
	v_mov_b32_e32 v10, v32
	v_mov_b32_e32 v13, v1
	s_mov_b64 s[56:57], 0
	v_mov_b32_e32 v11, v33
	v_mov_b32_e32 v12, v0
                                        ; implicit-def: $sgpr58_sgpr59
	s_branch .LBB165_409
.LBB165_407:                            ;   in Loop: Header=BB165_409 Depth=2
	s_or_b64 exec, exec, s[64:65]
	s_waitcnt lgkmcnt(0)
	s_barrier
	ds_read_b128 v[4:7], v19 offset:3072
	s_mov_b64 s[64:65], -1
	s_mov_b64 s[72:73], -1
	s_waitcnt lgkmcnt(0)
	s_barrier
	v_cmp_eq_u64_e32 vcc, 0, v[4:5]
	s_cbranch_vccnz .LBB165_412
.LBB165_408:                            ;   in Loop: Header=BB165_409 Depth=2
	s_and_b64 s[64:65], exec, s[64:65]
	s_or_b64 s[56:57], s[64:65], s[56:57]
	s_andn2_b64 s[58:59], s[58:59], exec
	s_and_b64 s[64:65], s[72:73], exec
	s_or_b64 s[58:59], s[58:59], s[64:65]
	s_andn2_b64 exec, exec, s[56:57]
	s_cbranch_execz .LBB165_413
.LBB165_409:                            ;   Parent Loop BB165_31 Depth=1
                                        ; =>  This Inner Loop Header: Depth=2
	v_cmp_gt_u64_e32 vcc, s[24:25], v[12:13]
	s_and_saveexec_b64 s[64:65], vcc
	s_cbranch_execz .LBB165_407
; %bb.410:                              ;   in Loop: Header=BB165_409 Depth=2
	global_load_dwordx2 v[4:5], v[10:11], off
	s_waitcnt vmcnt(0)
	v_xor_b32_e32 v3, 0x80000000, v5
	v_and_b32_e32 v7, v3, v35
	v_and_b32_e32 v6, v4, v34
	v_cmp_eq_u64_e32 vcc, v[6:7], v[30:31]
	s_and_b64 exec, exec, vcc
	s_cbranch_execz .LBB165_407
; %bb.411:                              ;   in Loop: Header=BB165_409 Depth=2
	v_mov_b32_e32 v3, v19
	ds_write_b128 v19, v[2:5] offset:3072
	s_branch .LBB165_407
.LBB165_412:                            ;   in Loop: Header=BB165_409 Depth=2
	v_add_co_u32_e32 v12, vcc, s33, v12
	v_addc_co_u32_e32 v13, vcc, 0, v13, vcc
	v_mov_b32_e32 v3, s31
	v_add_co_u32_e32 v10, vcc, s30, v10
	v_addc_co_u32_e32 v11, vcc, v11, v3, vcc
	v_cmp_le_u64_e32 vcc, s[12:13], v[12:13]
	s_mov_b64 s[72:73], 0
	s_orn2_b64 s[64:65], vcc, exec
	s_branch .LBB165_408
.LBB165_413:                            ;   in Loop: Header=BB165_31 Depth=1
	s_or_b64 exec, exec, s[56:57]
	s_andn2_b64 s[12:13], s[70:71], exec
	s_and_b64 s[56:57], s[58:59], exec
	v_readlane_b32 s72, v59, 48
	s_or_b64 s[70:71], s[12:13], s[56:57]
	v_readlane_b32 s73, v59, 49
.LBB165_414:                            ;   in Loop: Header=BB165_31 Depth=1
	s_or_b64 exec, exec, s[10:11]
	s_mov_b64 s[10:11], 0
	v_writelane_b32 v59, s10, 54
	v_writelane_b32 v59, s11, 55
	s_mov_b64 s[10:11], -1
	v_writelane_b32 v59, s10, 52
	v_writelane_b32 v59, s11, 53
.LBB165_415:                            ;   in Loop: Header=BB165_31 Depth=1
	s_orn2_b64 s[10:11], s[70:71], exec
.LBB165_416:                            ;   in Loop: Header=BB165_31 Depth=1
	s_or_b64 exec, exec, s[60:61]
	s_mov_b64 s[56:57], 0
	s_and_saveexec_b64 s[60:61], s[10:11]
	s_cbranch_execz .LBB165_478
; %bb.417:                              ;   in Loop: Header=BB165_31 Depth=1
	v_mov_b32_e32 v10, 1
	s_xor_b64 s[10:11], s[4:5], -1
	v_mov_b32_e32 v44, 1
	v_mov_b32_e32 v11, 0
	s_and_saveexec_b64 s[4:5], s[10:11]
	s_cbranch_execz .LBB165_426
; %bb.418:                              ;   in Loop: Header=BB165_31 Depth=1
	v_cmp_ge_u64_e32 vcc, s[44:45], v[8:9]
	s_and_saveexec_b64 s[10:11], vcc
	s_xor_b64 s[56:57], exec, s[10:11]
	s_cbranch_execz .LBB165_423
; %bb.419:                              ;   in Loop: Header=BB165_31 Depth=1
	s_lshl_b64 s[10:11], 1, s1
	v_and_b32_e32 v3, s51, v31
	v_and_b32_e32 v4, s50, v30
	v_or_b32_e32 v31, s11, v3
	v_or_b32_e32 v30, s10, v4
	ds_read_b64 v[3:4], v19 offset:5120
	v_or_b32_e32 v35, s19, v35
	v_or_b32_e32 v34, s18, v34
	s_waitcnt lgkmcnt(0)
	v_cmp_ne_u64_e32 vcc, 0, v[3:4]
	s_cbranch_vccnz .LBB165_423
; %bb.420:                              ;   in Loop: Header=BB165_31 Depth=1
	s_mov_b64 s[10:11], exec
	v_readlane_b32 s12, v59, 8
	v_readlane_b32 s13, v59, 9
	s_and_b64 s[12:13], s[10:11], s[12:13]
	s_mov_b64 exec, s[12:13]
; %bb.421:                              ;   in Loop: Header=BB165_31 Depth=1
	v_mov_b32_e32 v3, s44
	v_mov_b32_e32 v4, s45
	ds_write_b64 v19, v[3:4] offset:5128
; %bb.422:                              ;   in Loop: Header=BB165_31 Depth=1
	s_or_b64 exec, exec, s[10:11]
	s_waitcnt lgkmcnt(0)
	s_barrier
.LBB165_423:                            ;   in Loop: Header=BB165_31 Depth=1
	s_or_saveexec_b64 s[10:11], s[56:57]
	s_mov_b64 s[56:57], 0
	v_mov_b32_e32 v44, 5
	s_xor_b64 exec, exec, s[10:11]
; %bb.424:                              ;   in Loop: Header=BB165_31 Depth=1
	v_subrev_co_u32_e32 v8, vcc, s44, v8
	v_mov_b32_e32 v3, s45
	v_subb_co_u32_e32 v9, vcc, v9, v3, vcc
	v_mov_b32_e32 v44, 0
	s_mov_b64 s[56:57], exec
; %bb.425:                              ;   in Loop: Header=BB165_31 Depth=1
	s_or_b64 exec, exec, s[10:11]
	v_mov_b32_e32 v11, v9
	s_and_b64 s[56:57], s[56:57], exec
	v_mov_b32_e32 v10, v8
.LBB165_426:                            ;   in Loop: Header=BB165_31 Depth=1
	s_or_b64 exec, exec, s[4:5]
	s_mov_b64 s[10:11], -1
                                        ; implicit-def: $sgpr44_sgpr45
                                        ; implicit-def: $sgpr64_sgpr65
	s_and_saveexec_b64 s[4:5], s[56:57]
	s_cbranch_execz .LBB165_477
; %bb.427:                              ;   in Loop: Header=BB165_31 Depth=1
	s_cmp_eq_u64 s[16:17], 1
	v_cmp_eq_u64_e32 vcc, 1, v[10:11]
	s_cselect_b64 s[10:11], -1, 0
	s_and_b64 s[12:13], s[10:11], vcc
	s_mov_b64 s[10:11], -1
                                        ; implicit-def: $sgpr44_sgpr45
                                        ; implicit-def: $sgpr64_sgpr65
	s_mov_b64 s[56:57], exec
	v_writelane_b32 v59, s12, 56
	v_writelane_b32 v59, s13, 57
	;; [unrolled: 1-line block ×3, first 2 shown]
	s_and_b64 s[12:13], s[56:57], s[12:13]
	v_writelane_b32 v59, s57, 59
	s_mov_b64 exec, s[12:13]
	s_cbranch_execz .LBB165_465
; %bb.428:                              ;   in Loop: Header=BB165_31 Depth=1
	ds_read_b64 v[3:4], v19 offset:5120
	s_waitcnt lgkmcnt(0)
	s_barrier
	v_readfirstlane_b32 s56, v3
	v_readfirstlane_b32 s57, v4
	s_mov_b64 s[10:11], exec
	v_readlane_b32 s12, v59, 22
	v_readlane_b32 s13, v59, 23
	s_and_b64 s[12:13], s[10:11], s[12:13]
	s_mov_b64 exec, s[12:13]
; %bb.429:                              ;   in Loop: Header=BB165_31 Depth=1
	v_mov_b32_e32 v18, v19
	ds_write_b64 v54, v[18:19]
; %bb.430:                              ;   in Loop: Header=BB165_31 Depth=1
	s_or_b64 exec, exec, s[10:11]
	v_and_b32_e32 v31, s51, v31
	v_and_b32_e32 v30, s50, v30
	v_or_b32_e32 v35, s19, v35
	v_or_b32_e32 v34, s18, v34
	s_mov_b64 s[64:65], -1
	s_mov_b64 s[44:45], 0
	s_cmp_eq_u64 s[56:57], 0
	s_mov_b64 s[74:75], 0
	s_mov_b64 s[70:71], -1
	s_waitcnt lgkmcnt(0)
	s_barrier
                                        ; implicit-def: $vgpr6_vgpr7
	s_cbranch_scc1 .LBB165_448
; %bb.431:                              ;   in Loop: Header=BB165_31 Depth=1
	v_readlane_b32 s10, v59, 26
	s_add_u32 s58, s56, s10
	v_readlane_b32 s10, v59, 28
	s_addc_u32 s71, s57, s10
	s_mov_b32 s70, s55
	s_cmp_lg_u64 s[70:71], 0
	s_cbranch_scc0 .LBB165_435
; %bb.432:                              ;   in Loop: Header=BB165_31 Depth=1
	v_cvt_f32_u32_e32 v3, s33
	s_sub_u32 s12, 0, s33
	s_subb_u32 s13, 0, 0
	v_mac_f32_e32 v3, 0, v55
	v_rcp_f32_e32 v3, v3
	v_mul_f32_e32 v3, 0x5f7ffffc, v3
	v_mul_f32_e32 v4, 0x2f800000, v3
	v_trunc_f32_e32 v4, v4
	v_mac_f32_e32 v3, 0xcf800000, v4
	v_cvt_u32_f32_e32 v4, v4
	v_cvt_u32_f32_e32 v3, v3
	v_readfirstlane_b32 s54, v4
	v_readfirstlane_b32 s10, v3
	s_mul_i32 s11, s12, s54
	s_mul_hi_u32 s64, s12, s10
	s_mul_i32 s59, s13, s10
	s_add_i32 s11, s64, s11
	s_mul_i32 s65, s12, s10
	s_add_i32 s11, s11, s59
	s_mul_hi_u32 s64, s10, s65
	s_mul_i32 s70, s10, s11
	s_mul_hi_u32 s59, s10, s11
	s_add_u32 s64, s64, s70
	s_addc_u32 s59, 0, s59
	s_mul_hi_u32 s72, s54, s65
	s_mul_i32 s65, s54, s65
	s_add_u32 s64, s64, s65
	s_mul_hi_u32 s70, s54, s11
	s_addc_u32 s59, s59, s72
	s_addc_u32 s64, s70, 0
	s_mul_i32 s11, s54, s11
	s_add_u32 s11, s59, s11
	s_addc_u32 s59, 0, s64
	s_add_u32 s64, s10, s11
	s_cselect_b64 s[10:11], -1, 0
	s_cmp_lg_u64 s[10:11], 0
	s_addc_u32 s54, s54, s59
	s_mul_i32 s10, s12, s54
	s_mul_hi_u32 s11, s12, s64
	s_add_i32 s10, s11, s10
	s_mul_i32 s13, s13, s64
	s_add_i32 s10, s10, s13
	s_mul_i32 s12, s12, s64
	s_mul_hi_u32 s13, s54, s12
	s_mul_i32 s59, s54, s12
	s_mul_i32 s70, s64, s10
	s_mul_hi_u32 s12, s64, s12
	s_mul_hi_u32 s65, s64, s10
	s_add_u32 s12, s12, s70
	s_addc_u32 s65, 0, s65
	s_add_u32 s12, s12, s59
	s_mul_hi_u32 s11, s54, s10
	s_addc_u32 s12, s65, s13
	s_addc_u32 s11, s11, 0
	s_mul_i32 s10, s54, s10
	s_add_u32 s10, s12, s10
	s_addc_u32 s12, 0, s11
	s_add_u32 s13, s64, s10
	s_cselect_b64 s[10:11], -1, 0
	s_cmp_lg_u64 s[10:11], 0
	s_addc_u32 s10, s54, s12
	s_mul_i32 s12, s58, s10
	s_mul_hi_u32 s54, s58, s13
	s_mul_hi_u32 s11, s58, s10
	s_add_u32 s12, s54, s12
	s_addc_u32 s11, 0, s11
	s_mul_hi_u32 s59, s71, s13
	s_mul_i32 s13, s71, s13
	s_add_u32 s12, s12, s13
	s_mul_hi_u32 s54, s71, s10
	s_addc_u32 s11, s11, s59
	s_addc_u32 s12, s54, 0
	s_mul_i32 s10, s71, s10
	s_add_u32 s10, s11, s10
	s_addc_u32 s11, 0, s12
	s_mul_i32 s11, s33, s11
	s_mul_hi_u32 s12, s33, s10
	s_add_i32 s12, s12, s11
	s_mul_i32 s10, s33, s10
	s_sub_u32 s13, s58, s10
	s_cselect_b64 s[10:11], -1, 0
	s_cmp_lg_u64 s[10:11], 0
	s_subb_u32 s12, s71, s12
	s_sub_u32 s54, s13, s33
	s_cselect_b64 s[10:11], -1, 0
	s_cmp_lg_u64 s[10:11], 0
	s_subb_u32 s59, s12, 0
	;; [unrolled: 4-line block ×3, first 2 shown]
	s_cmp_ge_u32 s54, s33
	s_cselect_b32 s11, -1, 0
	s_cmp_eq_u32 s59, 0
	s_cselect_b32 s11, s11, -1
	s_cmp_lg_u32 s11, 0
	s_cselect_b32 s10, s10, s59
	s_cselect_b32 s54, s64, s54
	s_cmp_ge_u32 s13, s33
	s_cselect_b32 s11, -1, 0
	s_cmp_eq_u32 s12, 0
	s_cselect_b32 s11, s11, -1
	s_cmp_lg_u32 s11, 0
	s_cselect_b32 s11, s10, s12
	s_cselect_b32 s10, s54, s13
	s_mov_b64 s[12:13], 0
	s_branch .LBB165_436
.LBB165_433:                            ;   in Loop: Header=BB165_31 Depth=1
                                        ; implicit-def: $sgpr10_sgpr11
	s_branch .LBB165_388
.LBB165_434:                            ;   in Loop: Header=BB165_31 Depth=1
                                        ; implicit-def: $sgpr10_sgpr11
	s_branch .LBB165_404
.LBB165_435:                            ;   in Loop: Header=BB165_31 Depth=1
	s_mov_b64 s[12:13], -1
                                        ; implicit-def: $sgpr10_sgpr11
.LBB165_436:                            ;   in Loop: Header=BB165_31 Depth=1
	s_andn2_b64 vcc, exec, s[12:13]
	s_cbranch_vccnz .LBB165_438
; %bb.437:                              ;   in Loop: Header=BB165_31 Depth=1
	v_cvt_f32_u32_e32 v3, s33
	s_sub_i32 s10, 0, s33
	v_rcp_iflag_f32_e32 v3, v3
	v_mul_f32_e32 v3, 0x4f7ffffe, v3
	v_cvt_u32_f32_e32 v3, v3
	v_readfirstlane_b32 s11, v3
	s_mul_i32 s10, s10, s11
	s_mul_hi_u32 s10, s11, s10
	s_add_i32 s11, s11, s10
	s_mul_hi_u32 s10, s58, s11
	s_mul_i32 s10, s10, s33
	s_sub_i32 s10, s58, s10
	s_sub_i32 s11, s10, s33
	s_cmp_ge_u32 s10, s33
	s_cselect_b32 s10, s11, s10
	s_sub_i32 s11, s10, s33
	s_cmp_ge_u32 s10, s33
	s_cselect_b32 s54, s11, s10
	s_mov_b64 s[10:11], s[54:55]
.LBB165_438:                            ;   in Loop: Header=BB165_31 Depth=1
	s_sub_u32 s64, s58, s10
	s_subb_u32 s65, s71, s11
	v_cmp_gt_u64_e32 vcc, s[64:65], v[0:1]
	s_mov_b64 s[70:71], 0
                                        ; implicit-def: $vgpr6_vgpr7
	s_and_saveexec_b64 s[58:59], vcc
	s_cbranch_execz .LBB165_447
; %bb.439:                              ;   in Loop: Header=BB165_31 Depth=1
	v_mov_b32_e32 v9, v1
	v_mov_b32_e32 v12, v50
	;; [unrolled: 1-line block ×3, first 2 shown]
                                        ; implicit-def: $sgpr10_sgpr11
	s_branch .LBB165_442
.LBB165_440:                            ;   in Loop: Header=BB165_442 Depth=2
	s_or_b64 exec, exec, s[12:13]
	s_waitcnt lgkmcnt(0)
	s_barrier
	ds_read_b128 v[4:7], v19 offset:3072
	s_mov_b64 s[12:13], -1
	s_mov_b64 s[72:73], -1
	s_waitcnt lgkmcnt(0)
	s_barrier
	v_cmp_ne_u64_e32 vcc, 0, v[4:5]
	s_cbranch_vccz .LBB165_445
.LBB165_441:                            ;   in Loop: Header=BB165_442 Depth=2
	s_and_b64 s[12:13], exec, s[12:13]
	s_or_b64 s[74:75], s[12:13], s[74:75]
	s_andn2_b64 s[10:11], s[10:11], exec
	s_and_b64 s[12:13], s[72:73], exec
	s_or_b64 s[10:11], s[10:11], s[12:13]
	s_andn2_b64 exec, exec, s[74:75]
	s_cbranch_execz .LBB165_446
.LBB165_442:                            ;   Parent Loop BB165_31 Depth=1
                                        ; =>  This Inner Loop Header: Depth=2
	v_cmp_gt_u64_e32 vcc, s[56:57], v[8:9]
	s_and_saveexec_b64 s[12:13], vcc
	s_cbranch_execz .LBB165_440
; %bb.443:                              ;   in Loop: Header=BB165_442 Depth=2
	ds_read_b64 v[4:5], v12
	s_waitcnt lgkmcnt(0)
	v_xor_b32_e32 v3, 0x80000000, v5
	v_and_b32_e32 v7, v3, v35
	v_and_b32_e32 v6, v4, v34
	v_cmp_eq_u64_e32 vcc, v[6:7], v[30:31]
	s_and_b64 exec, exec, vcc
	s_cbranch_execz .LBB165_440
; %bb.444:                              ;   in Loop: Header=BB165_442 Depth=2
	v_mov_b32_e32 v3, v19
	ds_write_b128 v19, v[2:5] offset:3072
	s_branch .LBB165_440
.LBB165_445:                            ;   in Loop: Header=BB165_442 Depth=2
	v_add_co_u32_e32 v8, vcc, s33, v8
	v_addc_co_u32_e32 v9, vcc, 0, v9, vcc
	v_cmp_le_u64_e32 vcc, s[64:65], v[8:9]
	v_readlane_b32 s12, v59, 42
	v_add_u32_e32 v12, s12, v12
	s_mov_b64 s[72:73], 0
	s_orn2_b64 s[12:13], vcc, exec
	s_branch .LBB165_441
.LBB165_446:                            ;   in Loop: Header=BB165_31 Depth=1
	s_or_b64 exec, exec, s[74:75]
	s_and_b64 s[74:75], s[10:11], exec
.LBB165_447:                            ;   in Loop: Header=BB165_31 Depth=1
	s_or_b64 exec, exec, s[58:59]
	v_readlane_b32 s72, v59, 48
	v_readlane_b32 s73, v59, 49
	s_mov_b64 s[64:65], -1
.LBB165_448:                            ;   in Loop: Header=BB165_31 Depth=1
	s_and_b64 vcc, exec, s[70:71]
	s_cbranch_vccz .LBB165_464
; %bb.449:                              ;   in Loop: Header=BB165_31 Depth=1
	v_readlane_b32 s58, v59, 29
	v_readlane_b32 s59, v59, 30
	s_mov_b32 s58, s55
	s_cmp_lg_u64 s[58:59], 0
	v_writelane_b32 v59, s58, 29
	v_writelane_b32 v59, s59, 30
	s_cbranch_scc0 .LBB165_451
; %bb.450:                              ;   in Loop: Header=BB165_31 Depth=1
	v_cvt_f32_u32_e32 v3, s33
	s_sub_u32 s12, 0, s33
	s_subb_u32 s13, 0, 0
	v_mac_f32_e32 v3, 0, v55
	v_rcp_f32_e32 v3, v3
	v_mul_f32_e32 v3, 0x5f7ffffc, v3
	v_mul_f32_e32 v4, 0x2f800000, v3
	v_trunc_f32_e32 v4, v4
	v_mac_f32_e32 v3, 0xcf800000, v4
	v_cvt_u32_f32_e32 v4, v4
	v_cvt_u32_f32_e32 v3, v3
	v_readfirstlane_b32 s44, v4
	v_readfirstlane_b32 s10, v3
	s_mul_i32 s11, s12, s44
	s_mul_hi_u32 s54, s12, s10
	s_mul_i32 s45, s13, s10
	s_add_i32 s11, s54, s11
	s_mul_i32 s56, s12, s10
	s_add_i32 s11, s11, s45
	s_mul_hi_u32 s54, s10, s56
	s_mul_i32 s57, s10, s11
	s_mul_hi_u32 s45, s10, s11
	s_add_u32 s54, s54, s57
	s_addc_u32 s45, 0, s45
	s_mul_hi_u32 s58, s44, s56
	s_mul_i32 s56, s44, s56
	s_add_u32 s54, s54, s56
	s_mul_hi_u32 s57, s44, s11
	s_addc_u32 s45, s45, s58
	s_addc_u32 s54, s57, 0
	s_mul_i32 s11, s44, s11
	s_add_u32 s11, s45, s11
	s_addc_u32 s45, 0, s54
	s_add_u32 s54, s10, s11
	s_cselect_b64 s[10:11], -1, 0
	s_cmp_lg_u64 s[10:11], 0
	s_addc_u32 s44, s44, s45
	s_mul_i32 s10, s12, s44
	s_mul_hi_u32 s11, s12, s54
	s_add_i32 s10, s11, s10
	s_mul_i32 s13, s13, s54
	s_add_i32 s10, s10, s13
	s_mul_i32 s12, s12, s54
	s_mul_hi_u32 s13, s44, s12
	s_mul_i32 s45, s44, s12
	s_mul_i32 s57, s54, s10
	s_mul_hi_u32 s12, s54, s12
	s_mul_hi_u32 s56, s54, s10
	s_add_u32 s12, s12, s57
	s_addc_u32 s56, 0, s56
	s_add_u32 s12, s12, s45
	s_mul_hi_u32 s11, s44, s10
	s_addc_u32 s12, s56, s13
	s_addc_u32 s11, s11, 0
	s_mul_i32 s10, s44, s10
	s_add_u32 s10, s12, s10
	s_addc_u32 s12, 0, s11
	s_add_u32 s13, s54, s10
	s_cselect_b64 s[10:11], -1, 0
	s_cmp_lg_u64 s[10:11], 0
	s_addc_u32 s10, s44, s12
	v_readlane_b32 s54, v59, 27
	s_mul_i32 s12, s54, s10
	s_mul_hi_u32 s44, s54, s13
	s_mul_hi_u32 s11, s54, s10
	s_add_u32 s12, s44, s12
	s_addc_u32 s11, 0, s11
	s_mul_hi_u32 s45, s59, s13
	s_mul_i32 s13, s59, s13
	s_add_u32 s12, s12, s13
	s_mul_hi_u32 s44, s59, s10
	s_addc_u32 s11, s11, s45
	s_addc_u32 s12, s44, 0
	s_mul_i32 s10, s59, s10
	s_add_u32 s10, s11, s10
	s_addc_u32 s11, 0, s12
	s_mul_i32 s11, s33, s11
	s_mul_hi_u32 s12, s33, s10
	s_add_i32 s12, s12, s11
	s_mul_i32 s10, s33, s10
	s_sub_u32 s13, s54, s10
	s_cselect_b64 s[10:11], -1, 0
	s_cmp_lg_u64 s[10:11], 0
	s_subb_u32 s12, s59, s12
	s_sub_u32 s44, s13, s33
	s_cselect_b64 s[10:11], -1, 0
	s_cmp_lg_u64 s[10:11], 0
	s_subb_u32 s45, s12, 0
	;; [unrolled: 4-line block ×3, first 2 shown]
	s_cmp_ge_u32 s44, s33
	s_cselect_b32 s11, -1, 0
	s_cmp_eq_u32 s45, 0
	s_cselect_b32 s11, s11, -1
	s_cmp_lg_u32 s11, 0
	s_cselect_b32 s10, s10, s45
	s_cselect_b32 s44, s54, s44
	s_cmp_ge_u32 s13, s33
	s_cselect_b32 s11, -1, 0
	s_cmp_eq_u32 s12, 0
	s_cselect_b32 s11, s11, -1
	s_cmp_lg_u32 s11, 0
	s_cselect_b32 s11, s10, s12
	s_cselect_b32 s10, s44, s13
	s_mov_b64 s[12:13], 0
	s_branch .LBB165_452
.LBB165_451:                            ;   in Loop: Header=BB165_31 Depth=1
	s_mov_b64 s[12:13], -1
                                        ; implicit-def: $sgpr10_sgpr11
.LBB165_452:                            ;   in Loop: Header=BB165_31 Depth=1
	s_andn2_b64 vcc, exec, s[12:13]
	s_cbranch_vccnz .LBB165_454
; %bb.453:                              ;   in Loop: Header=BB165_31 Depth=1
	v_cvt_f32_u32_e32 v3, s33
	s_sub_i32 s10, 0, s33
	v_readlane_b32 s12, v59, 27
	v_rcp_iflag_f32_e32 v3, v3
	v_mul_f32_e32 v3, 0x4f7ffffe, v3
	v_cvt_u32_f32_e32 v3, v3
	v_readfirstlane_b32 s11, v3
	s_mul_i32 s10, s10, s11
	s_mul_hi_u32 s10, s11, s10
	s_add_i32 s11, s11, s10
	s_mul_hi_u32 s10, s12, s11
	s_mul_i32 s10, s10, s33
	s_sub_i32 s10, s12, s10
	s_sub_i32 s11, s10, s33
	s_cmp_ge_u32 s10, s33
	s_cselect_b32 s10, s11, s10
	s_sub_i32 s11, s10, s33
	s_cmp_ge_u32 s10, s33
	s_cselect_b32 s54, s11, s10
	s_mov_b64 s[10:11], s[54:55]
.LBB165_454:                            ;   in Loop: Header=BB165_31 Depth=1
	v_readlane_b32 s12, v59, 27
	s_sub_u32 s56, s12, s10
	v_readlane_b32 s12, v59, 29
	v_readlane_b32 s13, v59, 30
	s_subb_u32 s57, s13, s11
	v_cmp_gt_u64_e32 vcc, s[56:57], v[0:1]
                                        ; implicit-def: $vgpr6_vgpr7
	s_and_saveexec_b64 s[44:45], vcc
	s_cbranch_execz .LBB165_463
; %bb.455:                              ;   in Loop: Header=BB165_31 Depth=1
	v_mov_b32_e32 v8, v32
	v_mov_b32_e32 v13, v1
	s_mov_b64 s[58:59], 0
	v_mov_b32_e32 v9, v33
	v_mov_b32_e32 v12, v0
                                        ; implicit-def: $sgpr64_sgpr65
	s_branch .LBB165_458
.LBB165_456:                            ;   in Loop: Header=BB165_458 Depth=2
	s_or_b64 exec, exec, s[10:11]
	s_waitcnt lgkmcnt(0)
	s_barrier
	ds_read_b128 v[4:7], v19 offset:3072
	s_mov_b64 s[10:11], -1
	s_mov_b64 s[12:13], -1
	s_waitcnt lgkmcnt(0)
	s_barrier
	v_cmp_eq_u64_e32 vcc, 0, v[4:5]
	s_cbranch_vccnz .LBB165_461
.LBB165_457:                            ;   in Loop: Header=BB165_458 Depth=2
	s_and_b64 s[10:11], exec, s[10:11]
	s_or_b64 s[58:59], s[10:11], s[58:59]
	s_andn2_b64 s[10:11], s[64:65], exec
	s_and_b64 s[12:13], s[12:13], exec
	s_or_b64 s[64:65], s[10:11], s[12:13]
	s_andn2_b64 exec, exec, s[58:59]
	s_cbranch_execz .LBB165_462
.LBB165_458:                            ;   Parent Loop BB165_31 Depth=1
                                        ; =>  This Inner Loop Header: Depth=2
	v_cmp_gt_u64_e32 vcc, s[24:25], v[12:13]
	s_and_saveexec_b64 s[10:11], vcc
	s_cbranch_execz .LBB165_456
; %bb.459:                              ;   in Loop: Header=BB165_458 Depth=2
	global_load_dwordx2 v[4:5], v[8:9], off
	s_waitcnt vmcnt(0)
	v_xor_b32_e32 v3, 0x80000000, v5
	v_and_b32_e32 v7, v3, v35
	v_and_b32_e32 v6, v4, v34
	v_cmp_eq_u64_e32 vcc, v[6:7], v[30:31]
	s_and_b64 exec, exec, vcc
	s_cbranch_execz .LBB165_456
; %bb.460:                              ;   in Loop: Header=BB165_458 Depth=2
	v_mov_b32_e32 v3, v19
	ds_write_b128 v19, v[2:5] offset:3072
	s_branch .LBB165_456
.LBB165_461:                            ;   in Loop: Header=BB165_458 Depth=2
	v_add_co_u32_e32 v12, vcc, s33, v12
	v_addc_co_u32_e32 v13, vcc, 0, v13, vcc
	v_mov_b32_e32 v3, s31
	v_add_co_u32_e32 v8, vcc, s30, v8
	v_addc_co_u32_e32 v9, vcc, v9, v3, vcc
	v_cmp_le_u64_e32 vcc, s[56:57], v[12:13]
	s_mov_b64 s[12:13], 0
	s_orn2_b64 s[10:11], vcc, exec
	s_branch .LBB165_457
.LBB165_462:                            ;   in Loop: Header=BB165_31 Depth=1
	s_or_b64 exec, exec, s[58:59]
	s_andn2_b64 s[10:11], s[74:75], exec
	s_and_b64 s[12:13], s[64:65], exec
	s_or_b64 s[74:75], s[10:11], s[12:13]
.LBB165_463:                            ;   in Loop: Header=BB165_31 Depth=1
	s_or_b64 exec, exec, s[44:45]
	s_mov_b64 s[64:65], 0
	s_mov_b64 s[44:45], -1
.LBB165_464:                            ;   in Loop: Header=BB165_31 Depth=1
	s_orn2_b64 s[10:11], s[74:75], exec
.LBB165_465:                            ;   in Loop: Header=BB165_31 Depth=1
	v_readlane_b32 s12, v59, 58
	v_readlane_b32 s13, v59, 59
	s_or_b64 exec, exec, s[12:13]
	s_mov_b64 s[12:13], 0
	s_and_saveexec_b64 s[56:57], s[10:11]
	s_cbranch_execz .LBB165_476
; %bb.466:                              ;   in Loop: Header=BB165_31 Depth=1
	v_readlane_b32 s10, v59, 56
	v_readlane_b32 s11, v59, 57
	v_mov_b32_e32 v3, 1
	s_xor_b64 s[10:11], s[10:11], -1
	v_mov_b32_e32 v4, 0
	v_mov_b32_e32 v44, 1
	s_and_saveexec_b64 s[58:59], s[10:11]
	s_cbranch_execz .LBB165_475
; %bb.467:                              ;   in Loop: Header=BB165_31 Depth=1
	v_cmp_ge_u64_e32 vcc, s[16:17], v[10:11]
	s_and_saveexec_b64 s[10:11], vcc
	s_xor_b64 s[10:11], exec, s[10:11]
	s_cbranch_execz .LBB165_472
; %bb.468:                              ;   in Loop: Header=BB165_31 Depth=1
	ds_read_b64 v[3:4], v19 offset:5120
	v_and_b32_e32 v31, s51, v31
	v_and_b32_e32 v30, s50, v30
	v_or_b32_e32 v35, s19, v35
	v_or_b32_e32 v34, s18, v34
	s_waitcnt lgkmcnt(0)
	v_cmp_ne_u64_e32 vcc, 0, v[3:4]
	s_cbranch_vccnz .LBB165_472
; %bb.469:                              ;   in Loop: Header=BB165_31 Depth=1
	s_mov_b64 s[12:13], exec
	v_readlane_b32 s18, v59, 8
	v_readlane_b32 s19, v59, 9
	s_and_b64 s[18:19], s[12:13], s[18:19]
	s_mov_b64 exec, s[18:19]
; %bb.470:                              ;   in Loop: Header=BB165_31 Depth=1
	v_mov_b32_e32 v3, s16
	v_mov_b32_e32 v4, s17
	ds_write_b64 v19, v[3:4] offset:5128
; %bb.471:                              ;   in Loop: Header=BB165_31 Depth=1
	s_or_b64 exec, exec, s[12:13]
	s_waitcnt lgkmcnt(0)
	s_barrier
.LBB165_472:                            ;   in Loop: Header=BB165_31 Depth=1
	s_andn2_saveexec_b64 s[10:11], s[10:11]
; %bb.473:                              ;   in Loop: Header=BB165_31 Depth=1
	v_mov_b32_e32 v3, s17
	v_subrev_co_u32_e32 v10, vcc, s16, v10
	v_subb_co_u32_e32 v11, vcc, v11, v3, vcc
; %bb.474:                              ;   in Loop: Header=BB165_31 Depth=1
	s_or_b64 exec, exec, s[10:11]
	v_mov_b32_e32 v3, v10
	v_mov_b32_e32 v44, 5
	;; [unrolled: 1-line block ×3, first 2 shown]
.LBB165_475:                            ;   in Loop: Header=BB165_31 Depth=1
	s_or_b64 exec, exec, s[58:59]
	v_mov_b32_e32 v11, v4
	s_mov_b64 s[12:13], exec
	v_mov_b32_e32 v10, v3
.LBB165_476:                            ;   in Loop: Header=BB165_31 Depth=1
	s_or_b64 exec, exec, s[56:57]
	s_orn2_b64 s[10:11], s[12:13], exec
.LBB165_477:                            ;   in Loop: Header=BB165_31 Depth=1
	s_or_b64 exec, exec, s[4:5]
	v_readlane_b32 s4, v59, 52
	v_readlane_b32 s5, v59, 53
	s_andn2_b64 s[4:5], s[4:5], exec
	s_and_b64 s[12:13], s[44:45], exec
	s_or_b64 s[4:5], s[4:5], s[12:13]
	v_writelane_b32 v59, s4, 52
	v_writelane_b32 v59, s5, 53
	v_readlane_b32 s4, v59, 54
	v_readlane_b32 s5, v59, 55
	s_andn2_b64 s[4:5], s[4:5], exec
	s_and_b64 s[12:13], s[64:65], exec
	s_or_b64 s[4:5], s[4:5], s[12:13]
	v_mov_b32_e32 v8, v10
	v_writelane_b32 v59, s4, 54
	s_and_b64 s[56:57], s[10:11], exec
	v_mov_b32_e32 v9, v11
	v_writelane_b32 v59, s5, 55
.LBB165_478:                            ;   in Loop: Header=BB165_31 Depth=1
	s_or_b64 exec, exec, s[60:61]
	s_orn2_b64 s[4:5], s[56:57], exec
.LBB165_479:                            ;   in Loop: Header=BB165_31 Depth=1
	s_or_b64 exec, exec, s[2:3]
	v_readlane_b32 s10, v59, 52
	v_readlane_b32 s11, v59, 53
	s_andn2_b64 s[2:3], s[66:67], exec
	s_and_b64 s[10:11], s[10:11], exec
	s_or_b64 s[66:67], s[2:3], s[10:11]
	s_andn2_b64 s[2:3], s[8:9], exec
	v_readlane_b32 s8, v59, 54
	v_readlane_b32 s9, v59, 55
	s_and_b64 s[8:9], s[8:9], exec
	v_mov_b32_e32 v39, v9
	s_or_b64 s[8:9], s[2:3], s[8:9]
	s_and_b64 s[10:11], s[4:5], exec
	v_mov_b32_e32 v38, v8
.LBB165_480:                            ;   in Loop: Header=BB165_31 Depth=1
	s_or_b64 exec, exec, s[68:69]
	s_orn2_b64 s[4:5], s[10:11], exec
.LBB165_481:                            ;   in Loop: Header=BB165_31 Depth=1
	s_or_b64 exec, exec, s[6:7]
	s_mov_b64 s[2:3], s[38:39]
	s_mov_b64 s[6:7], s[36:37]
	s_and_saveexec_b64 s[10:11], s[4:5]
; %bb.482:                              ;   in Loop: Header=BB165_31 Depth=1
	v_cmp_ne_u32_e64 s[6:7], 5, v44
	v_cmp_eq_u32_e32 vcc, 5, v44
	s_andn2_b64 s[2:3], s[36:37], exec
	s_and_b64 s[4:5], s[6:7], exec
	s_or_b64 s[6:7], s[2:3], s[4:5]
	s_andn2_b64 s[2:3], s[38:39], exec
	s_and_b64 s[4:5], vcc, exec
	s_or_b64 s[2:3], s[2:3], s[4:5]
; %bb.483:                              ;   in Loop: Header=BB165_31 Depth=1
	s_or_b64 exec, exec, s[10:11]
	s_andn2_b64 s[4:5], s[14:15], exec
	s_and_b64 s[10:11], s[66:67], exec
	s_or_b64 s[14:15], s[4:5], s[10:11]
	s_andn2_b64 s[4:5], s[52:53], exec
	s_and_b64 s[8:9], s[8:9], exec
	s_or_b64 s[52:53], s[4:5], s[8:9]
	;; [unrolled: 3-line block ×4, first 2 shown]
.LBB165_484:                            ;   in Loop: Header=BB165_31 Depth=1
	s_or_b64 exec, exec, s[20:21]
	s_mov_b64 s[66:67], 0
	s_mov_b64 s[68:69], 0
	s_and_saveexec_b64 s[2:3], s[38:39]
.LBB165_485:                            ;   in Loop: Header=BB165_31 Depth=1
	v_mov_b32_e32 v44, 0
	s_or_b64 s[36:37], s[36:37], exec
.LBB165_486:                            ;   in Loop: Header=BB165_31 Depth=1
	s_or_b64 exec, exec, s[2:3]
	s_andn2_b64 s[2:3], s[94:95], exec
	s_and_b64 s[6:7], s[14:15], exec
	s_or_b64 s[94:95], s[2:3], s[6:7]
	s_andn2_b64 s[2:3], s[92:93], exec
	s_and_b64 s[6:7], s[52:53], exec
	s_or_b64 s[92:93], s[2:3], s[6:7]
	;; [unrolled: 3-line block ×3, first 2 shown]
	s_andn2_b64 s[2:3], s[88:89], exec
	s_and_b64 s[6:7], s[66:67], exec
	v_mov_b32_e32 v36, v38
	s_mov_b64 s[4:5], -1
	s_andn2_b64 s[48:49], s[48:49], exec
	s_or_b64 s[88:89], s[2:3], s[6:7]
	v_mov_b32_e32 v37, v39
	s_and_saveexec_b64 s[2:3], s[36:37]
	v_readlane_b32 s36, v59, 50
	s_xor_b64 s[2:3], exec, s[2:3]
	v_readlane_b32 s37, v59, 51
	s_cbranch_execz .LBB165_30
; %bb.487:                              ;   in Loop: Header=BB165_31 Depth=1
	v_cmp_eq_u32_e32 vcc, 0, v44
	s_mov_b64 s[6:7], -1
	s_and_saveexec_b64 s[8:9], vcc
	s_cbranch_execz .LBB165_29
; %bb.488:                              ;   in Loop: Header=BB165_31 Depth=1
	v_readlane_b32 s4, v59, 47
	s_xor_b32 s4, s4, 1
	s_add_i32 s10, s1, -2
	s_cmp_eq_u32 s1, 0
	v_writelane_b32 v59, s4, 47
	s_cselect_b64 s[4:5], -1, 0
	s_xor_b64 s[6:7], exec, -1
	s_orn2_b64 s[4:5], s[4:5], exec
	s_mov_b32 s1, s10
	s_branch .LBB165_29
.LBB165_489:
	s_or_b64 exec, exec, s[76:77]
	s_xor_b64 s[4:5], s[86:87], -1
	s_xor_b64 s[12:13], s[84:85], -1
	;; [unrolled: 1-line block ×5, first 2 shown]
	s_mov_b64 s[6:7], 0
	s_and_saveexec_b64 s[8:9], s[0:1]
	s_xor_b64 s[8:9], exec, s[8:9]
	s_cbranch_execnz .LBB165_494
; %bb.490:
	s_andn2_saveexec_b64 s[0:1], s[8:9]
	s_cbranch_execnz .LBB165_513
.LBB165_491:
	s_or_b64 exec, exec, s[0:1]
	s_and_saveexec_b64 s[0:1], s[6:7]
.LBB165_492:
	; divergent unreachable
.LBB165_493:
	s_endpgm
.LBB165_494:
	s_and_saveexec_b64 s[0:1], s[10:11]
	s_xor_b64 s[10:11], exec, s[0:1]
	s_cbranch_execz .LBB165_511
; %bb.495:
	s_and_saveexec_b64 s[0:1], s[12:13]
	s_xor_b64 s[12:13], exec, s[0:1]
	s_cbranch_execz .LBB165_509
; %bb.496:
	;; [unrolled: 4-line block ×3, first 2 shown]
	s_and_saveexec_b64 s[0:1], s[2:3]
	s_xor_b64 s[2:3], exec, s[0:1]
; %bb.498:
	v_xor_b32_e32 v31, 0x80000000, v31
	v_mov_b32_e32 v6, v30
	v_mov_b32_e32 v7, v31
; %bb.499:
	s_or_b64 exec, exec, s[2:3]
	s_mov_b64 s[2:3], exec
	v_readlane_b32 s0, v59, 8
	v_readlane_b32 s1, v59, 9
	;; [unrolled: 1-line block ×4, first 2 shown]
	s_and_b64 s[0:1], s[2:3], s[0:1]
	v_readlane_b32 s53, v59, 44
	v_readlane_b32 s55, v59, 13
	s_mov_b64 exec, s[0:1]
; %bb.500:
	v_mov_b32_e32 v2, 0
	v_mov_b32_e32 v3, v2
	ds_write_b64 v2, v[2:3] offset:5136
; %bb.501:
	s_or_b64 exec, exec, s[2:3]
	v_mov_b32_e32 v2, 0
	v_mov_b32_e32 v3, 0
	s_waitcnt lgkmcnt(0)
	s_barrier
	s_mov_b64 s[2:3], exec
	v_readlane_b32 s0, v59, 20
	v_readlane_b32 s1, v59, 21
	s_and_b64 s[0:1], s[2:3], s[0:1]
	s_mov_b64 exec, s[0:1]
	s_cbranch_execz .LBB165_503
; %bb.502:
	global_load_dwordx2 v[2:3], v[16:17], off
.LBB165_503:
	s_or_b64 exec, exec, s[2:3]
	s_add_u32 s0, s24, 63
	v_readlane_b32 s2, v59, 0
	s_addc_u32 s17, s25, 0
	s_and_b32 s16, s0, 0xffffffc0
	v_readlane_b32 s3, v59, 1
	s_mul_i32 s0, s2, s35
	s_mul_hi_u32 s1, s2, s34
	s_add_i32 s0, s1, s0
	s_mul_i32 s1, s3, s34
	v_readlane_b32 s4, v59, 2
	s_add_i32 s1, s0, s1
	s_mul_i32 s0, s2, s34
	v_readlane_b32 s5, v59, 3
	s_mul_i32 s2, s4, s47
	s_mul_hi_u32 s3, s4, s46
	s_add_i32 s2, s3, s2
	s_mul_i32 s3, s5, s46
	s_add_i32 s3, s2, s3
	s_mul_i32 s2, s4, s46
	s_lshl_b64 s[0:1], s[0:1], 3
	v_readlane_b32 s4, v59, 4
	v_readlane_b32 s5, v59, 5
	s_add_u32 s4, s4, s0
	s_addc_u32 s5, s5, s1
	s_lshl_b64 s[0:1], s[28:29], 3
	s_add_u32 s0, s4, s0
	s_addc_u32 s1, s5, s1
	s_lshl_b64 s[2:3], s[2:3], 3
	v_readlane_b32 s4, v59, 6
	v_readlane_b32 s5, v59, 7
	s_add_u32 s4, s4, s2
	s_addc_u32 s5, s5, s3
	s_lshl_b64 s[2:3], s[42:43], 3
	s_add_u32 s48, s4, s2
	s_addc_u32 s49, s5, s3
	v_readlane_b32 s2, v59, 10
	v_readlane_b32 s3, v59, 11
	s_load_dwordx2 s[18:19], s[2:3], 0x368
	s_load_dwordx2 s[20:21], s[2:3], 0x510
	v_cmp_gt_u64_e32 vcc, s[16:17], v[0:1]
	s_mov_b64 s[34:35], -1
	s_mov_b64 s[2:3], 0
	s_mov_b64 s[4:5], 0
	s_and_saveexec_b64 s[28:29], vcc
	s_cbranch_execnz .LBB165_514
; %bb.504:
	s_or_b64 exec, exec, s[28:29]
	s_and_saveexec_b64 s[6:7], s[34:35]
	s_cbranch_execnz .LBB165_529
.LBB165_505:
	s_or_b64 exec, exec, s[6:7]
	s_and_saveexec_b64 s[0:1], s[4:5]
	s_xor_b64 s[0:1], exec, s[0:1]
	s_cbranch_execnz .LBB165_552
.LBB165_506:
	s_or_b64 exec, exec, s[0:1]
	s_and_b64 s[6:7], s[2:3], exec
.LBB165_507:
	s_andn2_saveexec_b64 s[0:1], s[14:15]
	s_cbranch_execnz .LBB165_554
.LBB165_508:
	s_or_b64 exec, exec, s[0:1]
	s_and_b64 s[6:7], s[6:7], exec
.LBB165_509:
	s_andn2_saveexec_b64 s[0:1], s[12:13]
	s_cbranch_execnz .LBB165_553
.LBB165_510:
	s_or_b64 exec, exec, s[0:1]
	s_and_b64 s[6:7], s[6:7], exec
.LBB165_511:
	s_andn2_saveexec_b64 s[0:1], s[10:11]
	s_cbranch_execnz .LBB165_548
.LBB165_512:
	s_or_b64 exec, exec, s[0:1]
	s_and_b64 s[6:7], s[6:7], exec
	s_andn2_saveexec_b64 s[0:1], s[8:9]
	s_cbranch_execz .LBB165_491
.LBB165_513:
	s_or_b64 s[6:7], s[6:7], exec
	s_trap 2
	s_or_b64 exec, exec, s[0:1]
	s_and_saveexec_b64 s[0:1], s[6:7]
	s_cbranch_execnz .LBB165_492
	s_branch .LBB165_493
.LBB165_514:
	v_add_u32_e32 v10, s33, v0
	v_mad_u64_u32 v[8:9], s[4:5], s22, v10, 0
	v_xor_b32_e32 v5, 0x80000000, v7
	v_readlane_b32 s6, v59, 45
	v_mov_b32_e32 v4, v9
	v_mad_u64_u32 v[9:10], s[4:5], s23, v10, v[4:5]
	s_add_u32 s4, s52, s40
	s_addc_u32 s5, s53, s41
	v_lshlrev_b64 v[8:9], 3, v[8:9]
	v_readlane_b32 s7, v59, 46
	s_add_u32 s4, s4, s6
	s_addc_u32 s5, s5, s7
	v_mov_b32_e32 v10, s5
	v_add_co_u32_e64 v8, s[4:5], s4, v8
	v_mov_b32_e32 v21, v1
	v_mov_b32_e32 v4, v6
	v_addc_co_u32_e64 v9, s[4:5], v10, v9, s[4:5]
	s_mov_b64 s[34:35], 0
	v_mov_b32_e32 v11, 0
	v_mov_b32_e32 v20, v0
                                        ; implicit-def: $sgpr36_sgpr37
                                        ; implicit-def: $vgpr18_vgpr19
	s_branch .LBB165_516
.LBB165_515:                            ;   in Loop: Header=BB165_516 Depth=1
	s_or_b64 exec, exec, s[38:39]
	s_xor_b64 s[4:5], s[42:43], -1
	s_and_b64 s[6:7], exec, s[6:7]
	s_or_b64 s[34:35], s[6:7], s[34:35]
	s_andn2_b64 s[6:7], s[36:37], exec
	s_and_b64 s[4:5], s[4:5], exec
	v_mov_b32_e32 v2, v14
	v_mov_b32_e32 v21, v13
	s_or_b64 s[36:37], s[6:7], s[4:5]
	v_mov_b32_e32 v3, v15
	v_mov_b32_e32 v20, v12
	s_andn2_b64 exec, exec, s[34:35]
	s_cbranch_execz .LBB165_528
.LBB165_516:                            ; =>This Inner Loop Header: Depth=1
	v_add_co_u32_e64 v12, s[4:5], s33, v20
	v_addc_co_u32_e64 v13, s[4:5], 0, v21, s[4:5]
	v_cmp_gt_u64_e64 s[4:5], s[24:25], v[12:13]
	v_mov_b32_e32 v14, 0
	v_mov_b32_e32 v15, 0
	s_and_saveexec_b64 s[6:7], s[4:5]
	s_cbranch_execz .LBB165_518
; %bb.517:                              ;   in Loop: Header=BB165_516 Depth=1
	global_load_dwordx2 v[14:15], v[8:9], off
.LBB165_518:                            ;   in Loop: Header=BB165_516 Depth=1
	s_or_b64 exec, exec, s[6:7]
	s_waitcnt vmcnt(0)
	v_xor_b32_e32 v23, 0x80000000, v3
	v_mov_b32_e32 v22, v2
	v_cmp_gt_u64_e64 s[6:7], v[22:23], v[4:5]
	v_cmp_gt_u64_e64 s[4:5], s[24:25], v[20:21]
	v_cndmask_b32_e64 v10, 0, 1, s[6:7]
	v_cmp_lt_u64_e64 s[6:7], v[22:23], v[4:5]
	v_cndmask_b32_e64 v22, 0, 1, s[6:7]
	v_cndmask_b32_e64 v10, v22, v10, s[54:55]
	v_and_b32_e32 v10, 1, v10
	v_cmp_eq_u32_e64 s[6:7], 1, v10
	s_and_b64 s[42:43], s[4:5], s[6:7]
	v_cndmask_b32_e64 v10, 0, 1, s[42:43]
	v_cmp_ne_u32_e64 s[4:5], 0, v10
	s_cmp_lg_u64 s[4:5], 0
	s_cselect_b64 s[6:7], -1, 0
	s_and_b64 s[6:7], s[72:73], s[6:7]
	s_and_saveexec_b64 s[38:39], s[6:7]
	s_cbranch_execz .LBB165_522
; %bb.519:                              ;   in Loop: Header=BB165_516 Depth=1
	s_mov_b64 s[46:47], exec
	v_mbcnt_lo_u32_b32 v10, s46, 0
	v_mbcnt_hi_u32_b32 v22, s47, v10
	s_bcnt1_i32_b64 s50, s[4:5]
	v_cmp_eq_u32_e64 s[6:7], 0, v22
                                        ; implicit-def: $vgpr18_vgpr19
	s_and_saveexec_b64 s[44:45], s[6:7]
	s_cbranch_execz .LBB165_521
; %bb.520:                              ;   in Loop: Header=BB165_516 Depth=1
	s_bcnt1_i32_b64 s6, s[46:47]
	s_mul_i32 s6, s50, s6
	v_mov_b32_e32 v10, s6
	s_waitcnt lgkmcnt(0)
	ds_add_rtn_u64 v[18:19], v11, v[10:11] offset:5136
.LBB165_521:                            ;   in Loop: Header=BB165_516 Depth=1
	s_or_b64 exec, exec, s[44:45]
	s_waitcnt lgkmcnt(0)
	v_readfirstlane_b32 s6, v19
	v_readfirstlane_b32 s7, v18
	v_mov_b32_e32 v18, s7
	v_mov_b32_e32 v19, s6
	v_mad_u64_u32 v[18:19], s[6:7], s50, v22, v[18:19]
.LBB165_522:                            ;   in Loop: Header=BB165_516 Depth=1
	s_or_b64 exec, exec, s[38:39]
	s_waitcnt lgkmcnt(0)
	ds_bpermute_b32 v18, v46, v18
	ds_bpermute_b32 v19, v46, v19
	s_mov_b64 s[6:7], -1
	s_mov_b64 s[44:45], -1
	s_and_saveexec_b64 s[38:39], s[42:43]
	s_cbranch_execz .LBB165_526
; %bb.523:                              ;   in Loop: Header=BB165_516 Depth=1
	v_and_b32_e32 v22, s4, v48
	v_and_b32_e32 v10, s5, v47
	v_bcnt_u32_b32 v22, v22, 0
	v_bcnt_u32_b32 v10, v10, v22
	s_waitcnt lgkmcnt(0)
	v_add_co_u32_e64 v22, s[4:5], v18, v10
	v_addc_co_u32_e64 v23, s[4:5], 0, v19, s[4:5]
	v_cmp_gt_u64_e64 s[4:5], s[26:27], v[22:23]
	s_mov_b64 s[42:43], 0
	s_and_saveexec_b64 s[44:45], s[4:5]
; %bb.524:                              ;   in Loop: Header=BB165_516 Depth=1
	v_mul_lo_u32 v10, v23, s18
	v_mul_lo_u32 v26, v22, s19
	v_mad_u64_u32 v[24:25], s[4:5], v22, s18, 0
	v_mul_lo_u32 v27, v23, s20
	v_mul_lo_u32 v28, v22, s21
	v_mad_u64_u32 v[22:23], s[4:5], v22, s20, 0
	v_add3_u32 v25, v25, v26, v10
	v_lshlrev_b64 v[24:25], 3, v[24:25]
	v_mov_b32_e32 v10, s1
	v_add_co_u32_e64 v24, s[4:5], s0, v24
	v_add3_u32 v23, v23, v28, v27
	v_addc_co_u32_e64 v25, s[4:5], v10, v25, s[4:5]
	global_store_dwordx2 v[24:25], v[2:3], off
	v_lshlrev_b64 v[2:3], 3, v[22:23]
	v_mov_b32_e32 v10, s49
	v_add_co_u32_e64 v2, s[4:5], s48, v2
	s_mov_b64 s[42:43], exec
	v_addc_co_u32_e64 v3, s[4:5], v10, v3, s[4:5]
	global_store_dwordx2 v[2:3], v[20:21], off
; %bb.525:                              ;   in Loop: Header=BB165_516 Depth=1
	s_or_b64 exec, exec, s[44:45]
	s_orn2_b64 s[44:45], s[42:43], exec
.LBB165_526:                            ;   in Loop: Header=BB165_516 Depth=1
	s_or_b64 exec, exec, s[38:39]
	s_mov_b64 s[42:43], -1
	s_and_saveexec_b64 s[38:39], s[44:45]
	s_cbranch_execz .LBB165_515
; %bb.527:                              ;   in Loop: Header=BB165_516 Depth=1
	v_mov_b32_e32 v2, s31
	v_add_co_u32_e64 v8, s[4:5], s30, v8
	v_addc_co_u32_e64 v9, s[4:5], v9, v2, s[4:5]
	v_cmp_le_u64_e64 s[4:5], s[16:17], v[12:13]
	s_xor_b64 s[42:43], exec, -1
	s_orn2_b64 s[6:7], s[4:5], exec
	s_branch .LBB165_515
.LBB165_528:
	s_or_b64 exec, exec, s[34:35]
	s_mov_b64 s[4:5], exec
	s_orn2_b64 s[34:35], s[36:37], exec
	s_or_b64 exec, exec, s[28:29]
	s_and_saveexec_b64 s[6:7], s[34:35]
	s_cbranch_execz .LBB165_505
.LBB165_529:
	v_mov_b32_e32 v14, 0
	v_mov_b32_e32 v15, 0
	s_waitcnt vmcnt(0) lgkmcnt(0)
	s_barrier
	s_mov_b64 s[2:3], exec
	v_readlane_b32 s28, v59, 20
	v_readlane_b32 s29, v59, 21
	s_and_b64 s[28:29], s[2:3], s[28:29]
	s_mov_b64 exec, s[28:29]
	s_cbranch_execz .LBB165_531
; %bb.530:
	global_load_dwordx2 v[14:15], v[16:17], off
.LBB165_531:
	s_or_b64 exec, exec, s[2:3]
	s_mov_b64 s[2:3], 0
	s_and_saveexec_b64 s[28:29], vcc
	s_cbranch_execz .LBB165_551
; %bb.532:
	v_add_u32_e32 v4, s33, v0
	v_mad_u64_u32 v[2:3], s[2:3], s22, v4, 0
	s_add_u32 s22, s52, s40
	v_readlane_b32 s34, v59, 45
	v_mad_u64_u32 v[3:4], s[2:3], s23, v4, v[3:4]
	s_addc_u32 s2, s53, s41
	v_readlane_b32 s35, v59, 46
	s_add_u32 s3, s22, s34
	v_lshlrev_b64 v[2:3], 3, v[2:3]
	s_addc_u32 s2, s2, s35
	v_mov_b32_e32 v4, s2
	v_add_co_u32_e32 v2, vcc, s3, v2
	v_addc_co_u32_e32 v3, vcc, v4, v3, vcc
	s_mov_b64 s[22:23], 0
	v_mov_b32_e32 v5, 0
                                        ; implicit-def: $sgpr34_sgpr35
                                        ; implicit-def: $vgpr12_vgpr13
	s_branch .LBB165_535
.LBB165_533:                            ;   in Loop: Header=BB165_535 Depth=1
	s_or_b64 exec, exec, s[38:39]
	s_orn2_b64 s[40:41], s[42:43], exec
	s_orn2_b64 s[38:39], s[36:37], exec
.LBB165_534:                            ;   in Loop: Header=BB165_535 Depth=1
	s_or_b64 exec, exec, s[2:3]
	s_xor_b64 s[2:3], s[40:41], -1
	s_and_b64 s[36:37], exec, s[38:39]
	s_or_b64 s[22:23], s[36:37], s[22:23]
	s_andn2_b64 s[34:35], s[34:35], exec
	s_and_b64 s[2:3], s[2:3], exec
	v_mov_b32_e32 v0, v8
	v_mov_b32_e32 v15, v11
	s_or_b64 s[34:35], s[34:35], s[2:3]
	v_mov_b32_e32 v1, v9
	v_mov_b32_e32 v14, v10
	s_andn2_b64 exec, exec, s[22:23]
	s_cbranch_execz .LBB165_549
.LBB165_535:                            ; =>This Inner Loop Header: Depth=1
	v_add_co_u32_e32 v8, vcc, s33, v0
	v_addc_co_u32_e32 v9, vcc, 0, v1, vcc
	v_cmp_gt_u64_e32 vcc, s[24:25], v[8:9]
	v_mov_b32_e32 v10, 0
	v_mov_b32_e32 v11, 0
	s_and_saveexec_b64 s[2:3], vcc
	s_cbranch_execz .LBB165_537
; %bb.536:                              ;   in Loop: Header=BB165_535 Depth=1
	global_load_dwordx2 v[10:11], v[2:3], off
.LBB165_537:                            ;   in Loop: Header=BB165_535 Depth=1
	s_or_b64 exec, exec, s[2:3]
	v_cmp_gt_u64_e32 vcc, s[24:25], v[0:1]
	s_waitcnt vmcnt(0)
	v_cmp_eq_u64_e64 s[2:3], v[14:15], v[6:7]
	s_and_b64 s[36:37], vcc, s[2:3]
	v_cndmask_b32_e64 v4, 0, 1, s[36:37]
	v_cmp_ne_u32_e32 vcc, 0, v4
	s_cmp_lg_u64 vcc, 0
	s_cselect_b64 s[2:3], -1, 0
	s_and_b64 s[2:3], s[72:73], s[2:3]
	s_and_saveexec_b64 s[38:39], s[2:3]
	s_cbranch_execz .LBB165_541
; %bb.538:                              ;   in Loop: Header=BB165_535 Depth=1
	s_mov_b64 s[42:43], exec
	v_mbcnt_lo_u32_b32 v4, s42, 0
	v_mbcnt_hi_u32_b32 v14, s43, v4
	s_bcnt1_i32_b64 s44, vcc
	v_cmp_eq_u32_e64 s[2:3], 0, v14
                                        ; implicit-def: $vgpr12_vgpr13
	s_and_saveexec_b64 s[40:41], s[2:3]
; %bb.539:                              ;   in Loop: Header=BB165_535 Depth=1
	s_bcnt1_i32_b64 s2, s[42:43]
	s_mul_i32 s2, s44, s2
	v_mov_b32_e32 v4, s2
	ds_add_rtn_u64 v[12:13], v5, v[4:5] offset:5136
; %bb.540:                              ;   in Loop: Header=BB165_535 Depth=1
	s_or_b64 exec, exec, s[40:41]
	s_waitcnt lgkmcnt(0)
	v_readfirstlane_b32 s2, v13
	v_readfirstlane_b32 s3, v12
	v_mov_b32_e32 v12, s3
	v_mov_b32_e32 v13, s2
	v_mad_u64_u32 v[12:13], s[2:3], s44, v14, v[12:13]
.LBB165_541:                            ;   in Loop: Header=BB165_535 Depth=1
	s_or_b64 exec, exec, s[38:39]
	ds_bpermute_b32 v12, v46, v12
	ds_bpermute_b32 v13, v46, v13
	s_cmp_eq_u64 vcc, 0
	s_cselect_b64 s[40:41], -1, 0
	s_mov_b64 s[38:39], -1
	s_waitcnt lgkmcnt(0)
	v_cmp_gt_u64_e64 s[2:3], s[26:27], v[12:13]
	s_or_b64 s[42:43], s[40:41], s[2:3]
	s_mov_b64 s[40:41], -1
	s_and_saveexec_b64 s[2:3], s[42:43]
	s_cbranch_execz .LBB165_534
; %bb.542:                              ;   in Loop: Header=BB165_535 Depth=1
	v_and_b32_e32 v14, vcc_lo, v48
	v_and_b32_e32 v4, vcc_hi, v47
	v_bcnt_u32_b32 v14, v14, 0
	v_bcnt_u32_b32 v4, v4, v14
	v_mov_b32_e32 v15, s27
	v_sub_co_u32_e32 v14, vcc, s26, v12
	v_subb_co_u32_e32 v15, vcc, v15, v13, vcc
	v_cmp_gt_u64_e32 vcc, v[14:15], v[4:5]
	s_mov_b64 s[42:43], -1
	s_and_b64 s[44:45], s[36:37], vcc
	s_mov_b64 s[36:37], -1
	s_and_saveexec_b64 s[38:39], s[44:45]
	s_cbranch_execz .LBB165_546
; %bb.543:                              ;   in Loop: Header=BB165_535 Depth=1
	v_add_co_u32_e32 v14, vcc, v12, v4
	v_addc_co_u32_e32 v15, vcc, 0, v13, vcc
	v_cmp_gt_u64_e32 vcc, s[26:27], v[14:15]
	s_mov_b64 s[40:41], 0
	s_and_saveexec_b64 s[42:43], vcc
; %bb.544:                              ;   in Loop: Header=BB165_535 Depth=1
	v_mul_lo_u32 v4, v15, s18
	v_mul_lo_u32 v18, v14, s19
	v_mad_u64_u32 v[16:17], s[44:45], v14, s18, 0
	v_mul_lo_u32 v19, v15, s20
	v_mul_lo_u32 v20, v14, s21
	v_mad_u64_u32 v[14:15], s[44:45], v14, s20, 0
	v_add3_u32 v17, v17, v18, v4
	v_lshlrev_b64 v[16:17], 3, v[16:17]
	v_add3_u32 v15, v15, v20, v19
	v_mov_b32_e32 v4, s1
	v_add_co_u32_e32 v16, vcc, s0, v16
	v_lshlrev_b64 v[14:15], 3, v[14:15]
	v_addc_co_u32_e32 v17, vcc, v4, v17, vcc
	v_mov_b32_e32 v4, s49
	v_add_co_u32_e32 v14, vcc, s48, v14
	s_mov_b64 s[40:41], exec
	v_addc_co_u32_e32 v15, vcc, v4, v15, vcc
	global_store_dwordx2 v[16:17], v[6:7], off
	global_store_dwordx2 v[14:15], v[0:1], off
; %bb.545:                              ;   in Loop: Header=BB165_535 Depth=1
	s_or_b64 exec, exec, s[42:43]
	s_xor_b64 s[42:43], exec, -1
	s_orn2_b64 s[40:41], s[40:41], exec
.LBB165_546:                            ;   in Loop: Header=BB165_535 Depth=1
	s_or_b64 exec, exec, s[38:39]
	s_and_saveexec_b64 s[38:39], s[40:41]
	s_cbranch_execz .LBB165_533
; %bb.547:                              ;   in Loop: Header=BB165_535 Depth=1
	v_mov_b32_e32 v0, s31
	v_add_co_u32_e32 v2, vcc, s30, v2
	v_addc_co_u32_e32 v3, vcc, v3, v0, vcc
	v_cmp_le_u64_e32 vcc, s[16:17], v[8:9]
	s_or_b64 s[42:43], s[42:43], exec
	s_orn2_b64 s[36:37], vcc, exec
	s_branch .LBB165_533
.LBB165_548:
	s_or_b64 s[6:7], s[6:7], exec
	s_trap 2
	s_branch .LBB165_512
.LBB165_549:
	s_or_b64 exec, exec, s[22:23]
	s_mov_b64 s[0:1], 0
	s_and_saveexec_b64 s[2:3], s[34:35]
	s_xor_b64 s[2:3], exec, s[2:3]
	s_cbranch_execnz .LBB165_555
.LBB165_550:
	s_or_b64 exec, exec, s[2:3]
	s_and_b64 s[2:3], s[0:1], exec
.LBB165_551:
	s_or_b64 exec, exec, s[28:29]
	s_and_b64 s[2:3], s[2:3], exec
	s_andn2_b64 s[4:5], s[4:5], exec
	s_or_b64 exec, exec, s[6:7]
	s_and_saveexec_b64 s[0:1], s[4:5]
	s_xor_b64 s[0:1], exec, s[0:1]
	s_cbranch_execz .LBB165_506
.LBB165_552:
	s_trap 2
	s_or_b64 s[2:3], s[2:3], exec
	s_branch .LBB165_506
.LBB165_553:
	s_or_b64 s[6:7], s[6:7], exec
	s_trap 2
	s_branch .LBB165_510
.LBB165_554:
	s_trap 2
	s_or_b64 s[6:7], s[6:7], exec
	s_branch .LBB165_508
.LBB165_555:
	s_mov_b64 s[0:1], exec
	s_trap 2
	s_branch .LBB165_550
	.section	.rodata,"a",@progbits
	.p2align	6, 0x0
	.amdhsa_kernel _ZN2at6native6sbtopk10gatherTopKIlmLin1ELb0EEEvNS_4cuda6detail10TensorInfoIKT_T0_EES8_S8_bS8_S8_NS5_IS6_S8_EES8_NS5_IlS8_EES8_PS6_
		.amdhsa_group_segment_fixed_size 5152
		.amdhsa_private_segment_fixed_size 0
		.amdhsa_kernarg_size 1568
		.amdhsa_user_sgpr_count 6
		.amdhsa_user_sgpr_private_segment_buffer 1
		.amdhsa_user_sgpr_dispatch_ptr 0
		.amdhsa_user_sgpr_queue_ptr 0
		.amdhsa_user_sgpr_kernarg_segment_ptr 1
		.amdhsa_user_sgpr_dispatch_id 0
		.amdhsa_user_sgpr_flat_scratch_init 0
		.amdhsa_user_sgpr_private_segment_size 0
		.amdhsa_uses_dynamic_stack 0
		.amdhsa_system_sgpr_private_segment_wavefront_offset 0
		.amdhsa_system_sgpr_workgroup_id_x 1
		.amdhsa_system_sgpr_workgroup_id_y 1
		.amdhsa_system_sgpr_workgroup_id_z 1
		.amdhsa_system_sgpr_workgroup_info 0
		.amdhsa_system_vgpr_workitem_id 0
		.amdhsa_next_free_vgpr 60
		.amdhsa_next_free_sgpr 96
		.amdhsa_reserve_vcc 1
		.amdhsa_reserve_flat_scratch 0
		.amdhsa_float_round_mode_32 0
		.amdhsa_float_round_mode_16_64 0
		.amdhsa_float_denorm_mode_32 3
		.amdhsa_float_denorm_mode_16_64 3
		.amdhsa_dx10_clamp 1
		.amdhsa_ieee_mode 1
		.amdhsa_fp16_overflow 0
		.amdhsa_exception_fp_ieee_invalid_op 0
		.amdhsa_exception_fp_denorm_src 0
		.amdhsa_exception_fp_ieee_div_zero 0
		.amdhsa_exception_fp_ieee_overflow 0
		.amdhsa_exception_fp_ieee_underflow 0
		.amdhsa_exception_fp_ieee_inexact 0
		.amdhsa_exception_int_div_zero 0
	.end_amdhsa_kernel
	.section	.text._ZN2at6native6sbtopk10gatherTopKIlmLin1ELb0EEEvNS_4cuda6detail10TensorInfoIKT_T0_EES8_S8_bS8_S8_NS5_IS6_S8_EES8_NS5_IlS8_EES8_PS6_,"axG",@progbits,_ZN2at6native6sbtopk10gatherTopKIlmLin1ELb0EEEvNS_4cuda6detail10TensorInfoIKT_T0_EES8_S8_bS8_S8_NS5_IS6_S8_EES8_NS5_IlS8_EES8_PS6_,comdat
.Lfunc_end165:
	.size	_ZN2at6native6sbtopk10gatherTopKIlmLin1ELb0EEEvNS_4cuda6detail10TensorInfoIKT_T0_EES8_S8_bS8_S8_NS5_IS6_S8_EES8_NS5_IlS8_EES8_PS6_, .Lfunc_end165-_ZN2at6native6sbtopk10gatherTopKIlmLin1ELb0EEEvNS_4cuda6detail10TensorInfoIKT_T0_EES8_S8_bS8_S8_NS5_IS6_S8_EES8_NS5_IlS8_EES8_PS6_
                                        ; -- End function
	.set _ZN2at6native6sbtopk10gatherTopKIlmLin1ELb0EEEvNS_4cuda6detail10TensorInfoIKT_T0_EES8_S8_bS8_S8_NS5_IS6_S8_EES8_NS5_IlS8_EES8_PS6_.num_vgpr, 60
	.set _ZN2at6native6sbtopk10gatherTopKIlmLin1ELb0EEEvNS_4cuda6detail10TensorInfoIKT_T0_EES8_S8_bS8_S8_NS5_IS6_S8_EES8_NS5_IlS8_EES8_PS6_.num_agpr, 0
	.set _ZN2at6native6sbtopk10gatherTopKIlmLin1ELb0EEEvNS_4cuda6detail10TensorInfoIKT_T0_EES8_S8_bS8_S8_NS5_IS6_S8_EES8_NS5_IlS8_EES8_PS6_.numbered_sgpr, 96
	.set _ZN2at6native6sbtopk10gatherTopKIlmLin1ELb0EEEvNS_4cuda6detail10TensorInfoIKT_T0_EES8_S8_bS8_S8_NS5_IS6_S8_EES8_NS5_IlS8_EES8_PS6_.num_named_barrier, 0
	.set _ZN2at6native6sbtopk10gatherTopKIlmLin1ELb0EEEvNS_4cuda6detail10TensorInfoIKT_T0_EES8_S8_bS8_S8_NS5_IS6_S8_EES8_NS5_IlS8_EES8_PS6_.private_seg_size, 0
	.set _ZN2at6native6sbtopk10gatherTopKIlmLin1ELb0EEEvNS_4cuda6detail10TensorInfoIKT_T0_EES8_S8_bS8_S8_NS5_IS6_S8_EES8_NS5_IlS8_EES8_PS6_.uses_vcc, 1
	.set _ZN2at6native6sbtopk10gatherTopKIlmLin1ELb0EEEvNS_4cuda6detail10TensorInfoIKT_T0_EES8_S8_bS8_S8_NS5_IS6_S8_EES8_NS5_IlS8_EES8_PS6_.uses_flat_scratch, 0
	.set _ZN2at6native6sbtopk10gatherTopKIlmLin1ELb0EEEvNS_4cuda6detail10TensorInfoIKT_T0_EES8_S8_bS8_S8_NS5_IS6_S8_EES8_NS5_IlS8_EES8_PS6_.has_dyn_sized_stack, 0
	.set _ZN2at6native6sbtopk10gatherTopKIlmLin1ELb0EEEvNS_4cuda6detail10TensorInfoIKT_T0_EES8_S8_bS8_S8_NS5_IS6_S8_EES8_NS5_IlS8_EES8_PS6_.has_recursion, 0
	.set _ZN2at6native6sbtopk10gatherTopKIlmLin1ELb0EEEvNS_4cuda6detail10TensorInfoIKT_T0_EES8_S8_bS8_S8_NS5_IS6_S8_EES8_NS5_IlS8_EES8_PS6_.has_indirect_call, 0
	.section	.AMDGPU.csdata,"",@progbits
; Kernel info:
; codeLenInByte = 28920
; TotalNumSgprs: 100
; NumVgprs: 60
; ScratchSize: 0
; MemoryBound: 0
; FloatMode: 240
; IeeeMode: 1
; LDSByteSize: 5152 bytes/workgroup (compile time only)
; SGPRBlocks: 12
; VGPRBlocks: 14
; NumSGPRsForWavesPerEU: 100
; NumVGPRsForWavesPerEU: 60
; Occupancy: 4
; WaveLimiterHint : 1
; COMPUTE_PGM_RSRC2:SCRATCH_EN: 0
; COMPUTE_PGM_RSRC2:USER_SGPR: 6
; COMPUTE_PGM_RSRC2:TRAP_HANDLER: 0
; COMPUTE_PGM_RSRC2:TGID_X_EN: 1
; COMPUTE_PGM_RSRC2:TGID_Y_EN: 1
; COMPUTE_PGM_RSRC2:TGID_Z_EN: 1
; COMPUTE_PGM_RSRC2:TIDIG_COMP_CNT: 0
	.section	.text._ZN2at6native6mbtopk23computeBlockDigitCountsIsmjLi1EEEvNS_4cuda6detail10TensorInfoIKT_T0_EEjPjjS8_iijT1_PSB_Ps,"axG",@progbits,_ZN2at6native6mbtopk23computeBlockDigitCountsIsmjLi1EEEvNS_4cuda6detail10TensorInfoIKT_T0_EEjPjjS8_iijT1_PSB_Ps,comdat
	.protected	_ZN2at6native6mbtopk23computeBlockDigitCountsIsmjLi1EEEvNS_4cuda6detail10TensorInfoIKT_T0_EEjPjjS8_iijT1_PSB_Ps ; -- Begin function _ZN2at6native6mbtopk23computeBlockDigitCountsIsmjLi1EEEvNS_4cuda6detail10TensorInfoIKT_T0_EEjPjjS8_iijT1_PSB_Ps
	.globl	_ZN2at6native6mbtopk23computeBlockDigitCountsIsmjLi1EEEvNS_4cuda6detail10TensorInfoIKT_T0_EEjPjjS8_iijT1_PSB_Ps
	.p2align	8
	.type	_ZN2at6native6mbtopk23computeBlockDigitCountsIsmjLi1EEEvNS_4cuda6detail10TensorInfoIKT_T0_EEjPjjS8_iijT1_PSB_Ps,@function
_ZN2at6native6mbtopk23computeBlockDigitCountsIsmjLi1EEEvNS_4cuda6detail10TensorInfoIKT_T0_EEjPjjS8_iijT1_PSB_Ps: ; @_ZN2at6native6mbtopk23computeBlockDigitCountsIsmjLi1EEEvNS_4cuda6detail10TensorInfoIKT_T0_EEjPjjS8_iijT1_PSB_Ps
; %bb.0:
	s_load_dwordx4 s[0:3], s[4:5], 0x1c0
	s_load_dword s9, s[4:5], 0x1b0
	s_load_dwordx2 s[10:11], s[4:5], 0x1e0
	s_mov_b32 s13, 0
	s_waitcnt lgkmcnt(0)
	v_cvt_f32_u32_e32 v1, s2
	s_mul_i32 s8, s11, s8
	s_add_i32 s7, s8, s7
	v_rcp_iflag_f32_e32 v1, v1
	s_mul_i32 s14, s7, s10
	s_sub_i32 s11, 0, s2
	s_add_i32 s14, s14, s6
	v_mul_f32_e32 v1, 0x4f7ffffe, v1
	v_cvt_u32_f32_e32 v1, v1
	v_readfirstlane_b32 s6, v1
	s_mul_i32 s11, s11, s6
	s_mul_hi_u32 s7, s6, s11
	s_add_i32 s6, s6, s7
	s_mul_hi_u32 s6, s14, s6
	s_mul_i32 s7, s6, s2
	s_sub_i32 s7, s14, s7
	s_add_i32 s8, s6, 1
	s_sub_i32 s10, s7, s2
	s_cmp_ge_u32 s7, s2
	s_cselect_b32 s6, s8, s6
	s_cselect_b32 s7, s10, s7
	s_add_i32 s8, s6, 1
	s_cmp_ge_u32 s7, s2
	s_cselect_b32 s12, s8, s6
	s_cmp_ge_u32 s12, s9
	s_cbranch_scc1 .LBB166_21
; %bb.1:
	s_load_dwordx4 s[8:11], s[4:5], 0x1d0
	s_lshl_b64 s[6:7], s[12:13], 2
	s_movk_i32 s13, 0x100
	v_cmp_gt_u32_e32 vcc, s13, v0
	v_lshlrev_b32_e32 v1, 2, v0
	s_waitcnt lgkmcnt(0)
	s_add_u32 s8, s8, s6
	s_addc_u32 s9, s9, s7
	s_and_saveexec_b64 s[6:7], vcc
; %bb.2:
	v_mov_b32_e32 v2, 0
	ds_write_b32 v1, v2
; %bb.3:
	s_or_b64 exec, exec, s[6:7]
	s_load_dword s13, s[4:5], 0x1a0
	s_mul_i32 s6, s12, s2
	s_sub_i32 s6, s14, s6
	s_add_i32 s15, s6, 1
	s_mul_i32 s6, s1, s6
	s_lshl_b32 s16, s6, 8
	s_waitcnt lgkmcnt(0)
	s_sub_i32 s6, s13, s16
	s_add_u32 s6, s6, 0xff
	s_addc_u32 s7, 0, 0
	s_lshr_b64 s[6:7], s[6:7], 8
	s_cmp_lt_u32 s15, s2
	s_cselect_b32 s15, s1, s6
	s_cmp_lt_i32 s15, 1
	s_mov_b32 s1, 0
	s_barrier
	s_cbranch_scc1 .LBB166_19
; %bb.4:
	s_load_dwordx2 s[18:19], s[4:5], 0xd0
	s_load_dwordx2 s[6:7], s[4:5], 0x1b8
	;; [unrolled: 1-line block ×3, first 2 shown]
	s_load_dword s2, s[8:9], 0x0
	v_add_u32_e32 v2, s16, v0
	s_waitcnt lgkmcnt(0)
	s_mul_i32 s4, s19, s12
	s_mul_hi_u32 s5, s18, s12
	s_add_i32 s5, s5, s4
	s_mul_i32 s4, s18, s12
	s_lshl_b64 s[4:5], s[4:5], 1
	s_add_u32 s9, s20, s4
	s_addc_u32 s12, s21, s5
	s_and_b32 s8, s0, 0xff
	s_cmp_eq_u32 s15, 1
	s_cbranch_scc1 .LBB166_14
; %bb.5:
	s_and_b32 s16, s15, 0x7ffffffe
	s_mov_b32 s17, 0
	v_mov_b32_e32 v3, 1
	v_mov_b32_e32 v4, v2
	s_branch .LBB166_7
.LBB166_6:                              ;   in Loop: Header=BB166_7 Depth=1
	s_or_b64 exec, exec, s[4:5]
	s_add_i32 s17, s17, 2
	s_cmp_eq_u32 s16, s17
	v_add_u32_e32 v4, 0x200, v4
	s_cbranch_scc1 .LBB166_13
.LBB166_7:                              ; =>This Inner Loop Header: Depth=1
	v_cmp_gt_u32_e64 s[0:1], s13, v4
	s_and_saveexec_b64 s[4:5], s[0:1]
	s_cbranch_execz .LBB166_10
; %bb.8:                                ;   in Loop: Header=BB166_7 Depth=1
	v_mad_u64_u32 v[5:6], s[0:1], s6, v4, 0
	v_mad_u64_u32 v[6:7], s[0:1], s7, v4, v[6:7]
	v_mov_b32_e32 v7, s12
	v_lshlrev_b64 v[5:6], 1, v[5:6]
	v_add_co_u32_e64 v5, s[0:1], s9, v5
	v_addc_co_u32_e64 v6, s[0:1], v7, v6, s[0:1]
	global_load_sshort v5, v[5:6], off
	s_waitcnt vmcnt(0)
	v_add_u32_e32 v5, 0x8000, v5
	v_xor_b32_e32 v6, s2, v5
	v_and_b32_e32 v6, s3, v6
	v_cmp_eq_u32_e64 s[0:1], 0, v6
	s_and_b64 exec, exec, s[0:1]
; %bb.9:                                ;   in Loop: Header=BB166_7 Depth=1
	v_bfe_u32 v5, v5, s8, 8
	v_lshlrev_b32_e32 v5, 2, v5
	ds_add_u32 v5, v3
.LBB166_10:                             ;   in Loop: Header=BB166_7 Depth=1
	s_or_b64 exec, exec, s[4:5]
	v_add_u32_e32 v5, 0x100, v4
	v_cmp_gt_u32_e64 s[0:1], s13, v5
	s_and_saveexec_b64 s[4:5], s[0:1]
	s_cbranch_execz .LBB166_6
; %bb.11:                               ;   in Loop: Header=BB166_7 Depth=1
	v_mad_u64_u32 v[6:7], s[0:1], s6, v5, 0
	v_mad_u64_u32 v[7:8], s[0:1], s7, v5, v[7:8]
	v_mov_b32_e32 v8, s12
	v_lshlrev_b64 v[5:6], 1, v[6:7]
	v_add_co_u32_e64 v5, s[0:1], s9, v5
	v_addc_co_u32_e64 v6, s[0:1], v8, v6, s[0:1]
	global_load_sshort v5, v[5:6], off
	s_waitcnt vmcnt(0)
	v_add_u32_e32 v5, 0x8000, v5
	v_xor_b32_e32 v6, s2, v5
	v_and_b32_e32 v6, s3, v6
	v_cmp_eq_u32_e64 s[0:1], 0, v6
	s_and_b64 exec, exec, s[0:1]
	s_cbranch_execz .LBB166_6
; %bb.12:                               ;   in Loop: Header=BB166_7 Depth=1
	v_bfe_u32 v5, v5, s8, 8
	v_lshlrev_b32_e32 v5, 2, v5
	ds_add_u32 v5, v3
	s_branch .LBB166_6
.LBB166_13:
	s_lshl_b32 s1, s16, 8
.LBB166_14:
	s_bitcmp0_b32 s15, 0
	s_cbranch_scc1 .LBB166_19
; %bb.15:
	v_add_u32_e32 v2, s1, v2
	v_cmp_gt_u32_e64 s[0:1], s13, v2
	s_and_saveexec_b64 s[4:5], s[0:1]
	s_cbranch_execz .LBB166_18
; %bb.16:
	v_mad_u64_u32 v[3:4], s[0:1], s6, v2, 0
	v_mad_u64_u32 v[4:5], s[0:1], s7, v2, v[4:5]
	v_mov_b32_e32 v5, s12
	v_lshlrev_b64 v[2:3], 1, v[3:4]
	v_add_co_u32_e64 v2, s[0:1], s9, v2
	v_addc_co_u32_e64 v3, s[0:1], v5, v3, s[0:1]
	global_load_sshort v2, v[2:3], off
	s_waitcnt vmcnt(0)
	v_add_u32_e32 v2, 0x8000, v2
	v_xor_b32_e32 v3, s2, v2
	v_and_b32_e32 v3, s3, v3
	v_cmp_eq_u32_e64 s[0:1], 0, v3
	s_and_b64 exec, exec, s[0:1]
; %bb.17:
	v_bfe_u32 v2, v2, s8, 8
	v_lshlrev_b32_e32 v2, 2, v2
	v_mov_b32_e32 v3, 1
	ds_add_u32 v2, v3
.LBB166_18:
	s_or_b64 exec, exec, s[4:5]
.LBB166_19:
	s_waitcnt lgkmcnt(0)
	s_barrier
	s_and_saveexec_b64 s[0:1], vcc
	s_cbranch_execz .LBB166_21
; %bb.20:
	v_lshl_or_b32 v2, s14, 8, v0
	v_mov_b32_e32 v3, 0
	ds_read_b32 v5, v1
	v_lshlrev_b64 v[2:3], 1, v[2:3]
	v_mov_b32_e32 v4, s11
	v_add_co_u32_e32 v0, vcc, s10, v2
	v_addc_co_u32_e32 v1, vcc, v4, v3, vcc
	s_waitcnt lgkmcnt(0)
	global_store_short v[0:1], v5, off
.LBB166_21:
	s_endpgm
	.section	.rodata,"a",@progbits
	.p2align	6, 0x0
	.amdhsa_kernel _ZN2at6native6mbtopk23computeBlockDigitCountsIsmjLi1EEEvNS_4cuda6detail10TensorInfoIKT_T0_EEjPjjS8_iijT1_PSB_Ps
		.amdhsa_group_segment_fixed_size 1024
		.amdhsa_private_segment_fixed_size 0
		.amdhsa_kernarg_size 736
		.amdhsa_user_sgpr_count 6
		.amdhsa_user_sgpr_private_segment_buffer 1
		.amdhsa_user_sgpr_dispatch_ptr 0
		.amdhsa_user_sgpr_queue_ptr 0
		.amdhsa_user_sgpr_kernarg_segment_ptr 1
		.amdhsa_user_sgpr_dispatch_id 0
		.amdhsa_user_sgpr_flat_scratch_init 0
		.amdhsa_user_sgpr_private_segment_size 0
		.amdhsa_uses_dynamic_stack 0
		.amdhsa_system_sgpr_private_segment_wavefront_offset 0
		.amdhsa_system_sgpr_workgroup_id_x 1
		.amdhsa_system_sgpr_workgroup_id_y 1
		.amdhsa_system_sgpr_workgroup_id_z 1
		.amdhsa_system_sgpr_workgroup_info 0
		.amdhsa_system_vgpr_workitem_id 0
		.amdhsa_next_free_vgpr 9
		.amdhsa_next_free_sgpr 22
		.amdhsa_reserve_vcc 1
		.amdhsa_reserve_flat_scratch 0
		.amdhsa_float_round_mode_32 0
		.amdhsa_float_round_mode_16_64 0
		.amdhsa_float_denorm_mode_32 3
		.amdhsa_float_denorm_mode_16_64 3
		.amdhsa_dx10_clamp 1
		.amdhsa_ieee_mode 1
		.amdhsa_fp16_overflow 0
		.amdhsa_exception_fp_ieee_invalid_op 0
		.amdhsa_exception_fp_denorm_src 0
		.amdhsa_exception_fp_ieee_div_zero 0
		.amdhsa_exception_fp_ieee_overflow 0
		.amdhsa_exception_fp_ieee_underflow 0
		.amdhsa_exception_fp_ieee_inexact 0
		.amdhsa_exception_int_div_zero 0
	.end_amdhsa_kernel
	.section	.text._ZN2at6native6mbtopk23computeBlockDigitCountsIsmjLi1EEEvNS_4cuda6detail10TensorInfoIKT_T0_EEjPjjS8_iijT1_PSB_Ps,"axG",@progbits,_ZN2at6native6mbtopk23computeBlockDigitCountsIsmjLi1EEEvNS_4cuda6detail10TensorInfoIKT_T0_EEjPjjS8_iijT1_PSB_Ps,comdat
.Lfunc_end166:
	.size	_ZN2at6native6mbtopk23computeBlockDigitCountsIsmjLi1EEEvNS_4cuda6detail10TensorInfoIKT_T0_EEjPjjS8_iijT1_PSB_Ps, .Lfunc_end166-_ZN2at6native6mbtopk23computeBlockDigitCountsIsmjLi1EEEvNS_4cuda6detail10TensorInfoIKT_T0_EEjPjjS8_iijT1_PSB_Ps
                                        ; -- End function
	.set _ZN2at6native6mbtopk23computeBlockDigitCountsIsmjLi1EEEvNS_4cuda6detail10TensorInfoIKT_T0_EEjPjjS8_iijT1_PSB_Ps.num_vgpr, 9
	.set _ZN2at6native6mbtopk23computeBlockDigitCountsIsmjLi1EEEvNS_4cuda6detail10TensorInfoIKT_T0_EEjPjjS8_iijT1_PSB_Ps.num_agpr, 0
	.set _ZN2at6native6mbtopk23computeBlockDigitCountsIsmjLi1EEEvNS_4cuda6detail10TensorInfoIKT_T0_EEjPjjS8_iijT1_PSB_Ps.numbered_sgpr, 22
	.set _ZN2at6native6mbtopk23computeBlockDigitCountsIsmjLi1EEEvNS_4cuda6detail10TensorInfoIKT_T0_EEjPjjS8_iijT1_PSB_Ps.num_named_barrier, 0
	.set _ZN2at6native6mbtopk23computeBlockDigitCountsIsmjLi1EEEvNS_4cuda6detail10TensorInfoIKT_T0_EEjPjjS8_iijT1_PSB_Ps.private_seg_size, 0
	.set _ZN2at6native6mbtopk23computeBlockDigitCountsIsmjLi1EEEvNS_4cuda6detail10TensorInfoIKT_T0_EEjPjjS8_iijT1_PSB_Ps.uses_vcc, 1
	.set _ZN2at6native6mbtopk23computeBlockDigitCountsIsmjLi1EEEvNS_4cuda6detail10TensorInfoIKT_T0_EEjPjjS8_iijT1_PSB_Ps.uses_flat_scratch, 0
	.set _ZN2at6native6mbtopk23computeBlockDigitCountsIsmjLi1EEEvNS_4cuda6detail10TensorInfoIKT_T0_EEjPjjS8_iijT1_PSB_Ps.has_dyn_sized_stack, 0
	.set _ZN2at6native6mbtopk23computeBlockDigitCountsIsmjLi1EEEvNS_4cuda6detail10TensorInfoIKT_T0_EEjPjjS8_iijT1_PSB_Ps.has_recursion, 0
	.set _ZN2at6native6mbtopk23computeBlockDigitCountsIsmjLi1EEEvNS_4cuda6detail10TensorInfoIKT_T0_EEjPjjS8_iijT1_PSB_Ps.has_indirect_call, 0
	.section	.AMDGPU.csdata,"",@progbits
; Kernel info:
; codeLenInByte = 880
; TotalNumSgprs: 26
; NumVgprs: 9
; ScratchSize: 0
; MemoryBound: 0
; FloatMode: 240
; IeeeMode: 1
; LDSByteSize: 1024 bytes/workgroup (compile time only)
; SGPRBlocks: 3
; VGPRBlocks: 2
; NumSGPRsForWavesPerEU: 26
; NumVGPRsForWavesPerEU: 9
; Occupancy: 10
; WaveLimiterHint : 1
; COMPUTE_PGM_RSRC2:SCRATCH_EN: 0
; COMPUTE_PGM_RSRC2:USER_SGPR: 6
; COMPUTE_PGM_RSRC2:TRAP_HANDLER: 0
; COMPUTE_PGM_RSRC2:TGID_X_EN: 1
; COMPUTE_PGM_RSRC2:TGID_Y_EN: 1
; COMPUTE_PGM_RSRC2:TGID_Z_EN: 1
; COMPUTE_PGM_RSRC2:TIDIG_COMP_CNT: 0
	.section	.text._ZN2at6native6mbtopk10gatherTopKIsmLi1EEEvNS_4cuda6detail10TensorInfoIKT_T0_EES8_S8_bjS8_NS5_IS6_S8_EES8_NS5_IlS8_EES8_jjPS6_PjSD_j,"axG",@progbits,_ZN2at6native6mbtopk10gatherTopKIsmLi1EEEvNS_4cuda6detail10TensorInfoIKT_T0_EES8_S8_bjS8_NS5_IS6_S8_EES8_NS5_IlS8_EES8_jjPS6_PjSD_j,comdat
	.protected	_ZN2at6native6mbtopk10gatherTopKIsmLi1EEEvNS_4cuda6detail10TensorInfoIKT_T0_EES8_S8_bjS8_NS5_IS6_S8_EES8_NS5_IlS8_EES8_jjPS6_PjSD_j ; -- Begin function _ZN2at6native6mbtopk10gatherTopKIsmLi1EEEvNS_4cuda6detail10TensorInfoIKT_T0_EES8_S8_bjS8_NS5_IS6_S8_EES8_NS5_IlS8_EES8_jjPS6_PjSD_j
	.globl	_ZN2at6native6mbtopk10gatherTopKIsmLi1EEEvNS_4cuda6detail10TensorInfoIKT_T0_EES8_S8_bjS8_NS5_IS6_S8_EES8_NS5_IlS8_EES8_jjPS6_PjSD_j
	.p2align	8
	.type	_ZN2at6native6mbtopk10gatherTopKIsmLi1EEEvNS_4cuda6detail10TensorInfoIKT_T0_EES8_S8_bjS8_NS5_IS6_S8_EES8_NS5_IlS8_EES8_jjPS6_PjSD_j,@function
_ZN2at6native6mbtopk10gatherTopKIsmLi1EEEvNS_4cuda6detail10TensorInfoIKT_T0_EES8_S8_bjS8_NS5_IS6_S8_EES8_NS5_IlS8_EES8_jjPS6_PjSD_j: ; @_ZN2at6native6mbtopk10gatherTopKIsmLi1EEEvNS_4cuda6detail10TensorInfoIKT_T0_EES8_S8_bjS8_NS5_IS6_S8_EES8_NS5_IlS8_EES8_jjPS6_PjSD_j
; %bb.0:
	s_load_dwordx2 s[0:1], s[4:5], 0x538
	s_load_dword s2, s[4:5], 0x530
	s_waitcnt lgkmcnt(0)
	s_mul_i32 s1, s1, s8
	s_add_i32 s1, s1, s7
	s_mul_i32 s0, s1, s0
	s_add_i32 s0, s0, s6
	s_cmp_ge_u32 s0, s2
	s_cbranch_scc1 .LBB167_42
; %bb.1:
	s_load_dwordx2 s[20:21], s[4:5], 0x510
	s_load_dwordx4 s[8:11], s[4:5], 0x1a0
	s_mov_b32 s7, 0
	s_waitcnt lgkmcnt(0)
	v_cvt_f32_u32_e32 v1, s21
	s_sub_i32 s2, 0, s21
	s_lshl_b32 s1, s20, 8
	v_rcp_iflag_f32_e32 v1, v1
	v_mul_f32_e32 v1, 0x4f7ffffe, v1
	v_cvt_u32_f32_e32 v1, v1
	v_readfirstlane_b32 s3, v1
	s_mul_i32 s2, s2, s3
	s_mul_hi_u32 s2, s3, s2
	s_add_i32 s3, s3, s2
	s_mul_hi_u32 s2, s0, s3
	s_mul_i32 s3, s2, s21
	s_sub_i32 s3, s0, s3
	s_add_i32 s6, s2, 1
	s_sub_i32 s12, s3, s21
	s_cmp_ge_u32 s3, s21
	s_cselect_b32 s2, s6, s2
	s_cselect_b32 s3, s12, s3
	s_add_i32 s6, s2, 1
	s_cmp_ge_u32 s3, s21
	s_cselect_b32 s6, s6, s2
	s_mul_i32 s24, s6, s21
	s_sub_i32 s40, s0, s24
	s_add_i32 s0, s40, 1
	s_cmp_lt_u32 s0, s21
	s_mul_i32 s33, s40, s1
	s_cbranch_scc1 .LBB167_3
; %bb.2:
	s_sub_u32 s0, s8, s33
	s_subb_u32 s1, s9, 0
	s_add_u32 s0, s0, 0xff
	s_addc_u32 s1, s1, 0
	s_ashr_i32 s2, s1, 31
	s_lshr_b32 s2, s2, 24
	s_add_u32 s0, s0, s2
	s_addc_u32 s1, s1, 0
	s_lshr_b64 s[0:1], s[0:1], 8
	s_mov_b32 s20, s0
.LBB167_3:
	s_load_dwordx4 s[12:15], s[4:5], 0x518
	s_lshl_b64 s[0:1], s[6:7], 1
	v_mov_b32_e32 v1, 0
	v_cmp_eq_u32_e64 s[2:3], 0, v0
	s_waitcnt lgkmcnt(0)
	s_add_u32 s0, s12, s0
	s_addc_u32 s1, s13, s1
	global_load_ushort v8, v1, s[0:1]
	s_load_dwordx2 s[22:23], s[4:5], 0x0
	s_load_dwordx2 s[30:31], s[4:5], 0xd0
	;; [unrolled: 1-line block ×4, first 2 shown]
	v_cmp_ne_u32_e64 s[0:1], 0, v0
	s_and_saveexec_b64 s[12:13], s[2:3]
	s_cbranch_execz .LBB167_19
; %bb.4:
	s_load_dwordx2 s[34:35], s[4:5], 0x528
	s_mov_b32 s25, 0
	s_lshl_b64 s[36:37], s[24:25], 2
	s_add_u32 s16, s14, s36
	s_addc_u32 s17, s15, s37
	s_waitcnt lgkmcnt(0)
	s_add_u32 s18, s34, s36
	s_addc_u32 s19, s35, s37
	s_mov_b32 s24, 0
	s_cmp_lt_u32 s21, 4
	s_cbranch_scc1 .LBB167_16
; %bb.5:
	s_mov_b32 s41, 0
.LBB167_6:                              ; =>This Inner Loop Header: Depth=1
	s_add_u32 s38, s14, s36
	s_addc_u32 s39, s15, s37
	s_load_dwordx4 s[16:19], s[38:39], 0x0
	s_add_u32 s38, s34, s36
	s_addc_u32 s39, s35, s37
	s_cmp_ge_u32 s41, s40
	s_cbranch_scc0 .LBB167_13
; %bb.7:                                ;   in Loop: Header=BB167_6 Depth=1
	s_add_i32 s42, s41, 1
	s_cmp_ge_u32 s42, s40
	s_cbranch_scc0 .LBB167_14
.LBB167_8:                              ;   in Loop: Header=BB167_6 Depth=1
	s_add_i32 s42, s42, 1
	s_cmp_ge_u32 s42, s40
	s_cbranch_scc0 .LBB167_15
.LBB167_9:                              ;   in Loop: Header=BB167_6 Depth=1
	s_add_i32 s42, s42, 1
	s_cmp_ge_u32 s42, s40
	s_cbranch_scc1 .LBB167_11
.LBB167_10:                             ;   in Loop: Header=BB167_6 Depth=1
	s_load_dword s38, s[38:39], 0xc
	s_waitcnt lgkmcnt(0)
	s_add_i32 s25, s25, s19
	s_add_i32 s7, s38, s7
.LBB167_11:                             ;   in Loop: Header=BB167_6 Depth=1
	s_waitcnt lgkmcnt(0)
	s_add_i32 s16, s16, s24
	s_add_i32 s16, s16, s17
	;; [unrolled: 1-line block ×4, first 2 shown]
	s_add_u32 s14, s14, 16
	s_addc_u32 s15, s15, 0
	s_add_u32 s34, s34, 16
	s_addc_u32 s35, s35, 0
	s_add_i32 s39, s42, 4
	s_add_u32 s18, s34, s36
	s_addc_u32 s19, s35, s37
	s_add_u32 s16, s14, s36
	s_addc_u32 s17, s15, s37
	s_add_i32 s38, s42, 1
	s_cmp_ge_u32 s39, s21
	s_cbranch_scc1 .LBB167_17
; %bb.12:                               ;   in Loop: Header=BB167_6 Depth=1
	s_mov_b32 s41, s38
	s_branch .LBB167_6
.LBB167_13:                             ;   in Loop: Header=BB167_6 Depth=1
	s_load_dword s42, s[38:39], 0x0
	s_waitcnt lgkmcnt(0)
	s_add_i32 s25, s16, s25
	s_add_i32 s7, s42, s7
	;; [unrolled: 1-line block ×3, first 2 shown]
	s_cmp_ge_u32 s42, s40
	s_cbranch_scc1 .LBB167_8
.LBB167_14:                             ;   in Loop: Header=BB167_6 Depth=1
	s_load_dword s43, s[38:39], 0x4
	s_waitcnt lgkmcnt(0)
	s_add_i32 s25, s25, s17
	s_add_i32 s7, s43, s7
	;; [unrolled: 1-line block ×3, first 2 shown]
	s_cmp_ge_u32 s42, s40
	s_cbranch_scc1 .LBB167_9
.LBB167_15:                             ;   in Loop: Header=BB167_6 Depth=1
	s_load_dword s43, s[38:39], 0x8
	s_waitcnt lgkmcnt(0)
	s_add_i32 s25, s25, s18
	s_add_i32 s7, s43, s7
	s_add_i32 s42, s42, 1
	s_cmp_ge_u32 s42, s40
	s_cbranch_scc0 .LBB167_10
	s_branch .LBB167_11
.LBB167_16:
	s_mov_b32 s14, 0
	s_cmp_ge_u32 s14, s21
	s_cbranch_scc0 .LBB167_40
	s_branch .LBB167_18
.LBB167_17:
	s_add_i32 s14, s41, 4
	s_cmp_ge_u32 s14, s21
	s_cbranch_scc0 .LBB167_40
.LBB167_18:
	v_mov_b32_e32 v1, s7
	v_mov_b32_e32 v2, s24
	;; [unrolled: 1-line block ×4, first 2 shown]
	ds_write_b96 v4, v[1:3] offset:1056
.LBB167_19:
	s_or_b64 exec, exec, s[12:13]
	s_load_dwordx4 s[12:15], s[4:5], 0x1b8
	s_load_dwordx4 s[16:19], s[4:5], 0x360
	s_cmp_eq_u32 s20, 0
	s_waitcnt vmcnt(0) lgkmcnt(0)
	s_barrier
	s_cbranch_scc1 .LBB167_42
; %bb.20:
	s_mul_i32 s7, s31, s6
	s_mul_hi_u32 s21, s30, s6
	s_add_i32 s25, s21, s7
	s_mul_i32 s7, s29, s6
	s_mul_hi_u32 s21, s28, s6
	v_mov_b32_e32 v5, 0
	s_mul_i32 s24, s30, s6
	s_add_i32 s29, s21, s7
	s_mul_i32 s7, s27, s6
	s_mul_hi_u32 s21, s26, s6
	ds_read_b96 v[1:3], v5 offset:1056
	s_add_i32 s7, s21, s7
	s_lshl_b64 s[24:25], s[24:25], 1
	s_mul_i32 s28, s28, s6
	s_add_u32 s21, s22, s24
	s_addc_u32 s22, s23, s25
	s_lshl_b64 s[24:25], s[28:29], 1
	s_mul_i32 s6, s26, s6
	s_add_u32 s23, s14, s24
	s_addc_u32 s24, s15, s25
	s_lshl_b64 s[6:7], s[6:7], 3
	s_waitcnt lgkmcnt(0)
	v_add_u32_e32 v1, v1, v2
	v_lshrrev_b32_e32 v2, 3, v0
	s_add_u32 s25, s18, s6
	s_load_dword s6, s[4:5], 0x1b0
	s_load_dwordx2 s[14:15], s[4:5], 0x508
	v_and_b32_e32 v2, 28, v2
	v_lshl_add_u32 v10, v0, 2, v2
	v_lshrrev_b32_e32 v2, 1, v0
	v_and_b32_e32 v11, 0x7c, v2
	v_add_u32_e32 v2, -1, v0
	v_lshrrev_b32_e32 v4, 3, v2
	s_addc_u32 s26, s19, s7
	v_and_b32_e32 v4, 0x1ffffffc, v4
	s_mov_b32 s27, 0x8000
	s_waitcnt lgkmcnt(0)
	s_bitcmp1_b32 s6, 0
	v_cmp_gt_u32_e64 s[6:7], 64, v0
	v_lshlrev_b32_e32 v12, 4, v0
	v_lshl_add_u32 v13, v2, 2, v4
	v_add_u32_e32 v4, s33, v0
	v_mbcnt_lo_u32_b32 v0, -1, 0
	v_add_u32_sdwa v9, sext(v8), s27 dst_sel:DWORD dst_unused:UNUSED_PAD src0_sel:WORD_0 src1_sel:DWORD
	s_cselect_b64 s[4:5], -1, 0
	v_mbcnt_hi_u32_b32 v0, -1, v0
                                        ; implicit-def: $vgpr14
	s_branch .LBB167_23
.LBB167_21:                             ;   in Loop: Header=BB167_23 Depth=1
	s_or_b64 exec, exec, s[18:19]
	v_add_u32_e32 v1, v2, v1
.LBB167_22:                             ;   in Loop: Header=BB167_23 Depth=1
	s_add_i32 s20, s20, -1
	v_add_u32_e32 v3, v15, v3
	s_cmp_lg_u32 s20, 0
	v_add_u32_e32 v4, 0x100, v4
	s_cbranch_scc0 .LBB167_42
.LBB167_23:                             ; =>This Inner Loop Header: Depth=1
	v_cmp_gt_u64_e32 vcc, s[8:9], v[4:5]
	v_mov_b32_e32 v2, v5
	v_mov_b32_e32 v6, v5
	s_and_saveexec_b64 s[18:19], vcc
	s_cbranch_execz .LBB167_25
; %bb.24:                               ;   in Loop: Header=BB167_23 Depth=1
	v_mad_u64_u32 v[6:7], s[28:29], s12, v4, 0
	v_mov_b32_e32 v2, v7
	v_mad_u64_u32 v[14:15], s[28:29], s13, v4, v[2:3]
	v_mov_b32_e32 v2, s22
	v_mov_b32_e32 v7, v14
	v_lshlrev_b64 v[6:7], 1, v[6:7]
	v_add_co_u32_e32 v6, vcc, s21, v6
	v_addc_co_u32_e32 v7, vcc, v2, v7, vcc
	global_load_ushort v14, v[6:7], off
	s_waitcnt vmcnt(0)
	v_add_u32_sdwa v2, sext(v14), s27 dst_sel:DWORD dst_unused:UNUSED_PAD src0_sel:WORD_0 src1_sel:DWORD
	v_cmp_gt_u32_e32 vcc, v2, v9
	v_cndmask_b32_e64 v6, 0, 1, vcc
	v_cmp_lt_u32_e32 vcc, v2, v9
	v_cndmask_b32_e64 v2, 0, 1, vcc
	v_cndmask_b32_e64 v2, v2, v6, s[4:5]
	v_cmp_eq_u16_e32 vcc, v14, v8
	v_and_b32_e32 v2, 1, v2
	v_cndmask_b32_e64 v6, 0, 1, vcc
.LBB167_25:                             ;   in Loop: Header=BB167_23 Depth=1
	s_or_b64 exec, exec, s[18:19]
	ds_write_b32 v10, v2
	s_waitcnt vmcnt(0) lgkmcnt(0)
	s_barrier
	s_and_saveexec_b64 s[18:19], s[6:7]
	s_cbranch_execz .LBB167_27
; %bb.26:                               ;   in Loop: Header=BB167_23 Depth=1
	v_add_u32_e32 v7, v11, v12
	ds_read2_b32 v[15:16], v7 offset1:1
	ds_read2_b32 v[17:18], v7 offset0:2 offset1:3
	v_and_b32_e32 v19, 15, v0
	v_cmp_ne_u32_e32 vcc, 0, v19
	s_waitcnt lgkmcnt(1)
	v_add_u32_e32 v16, v16, v15
	s_waitcnt lgkmcnt(0)
	v_add3_u32 v16, v16, v17, v18
	v_bfe_i32 v18, v0, 4, 1
	; wave barrier
	s_nop 0
	v_mov_b32_dpp v17, v16 row_shr:1 row_mask:0xf bank_mask:0xf
	v_cndmask_b32_e32 v17, 0, v17, vcc
	v_add_u32_e32 v16, v17, v16
	v_cmp_lt_u32_e32 vcc, 1, v19
	s_nop 0
	v_mov_b32_dpp v17, v16 row_shr:2 row_mask:0xf bank_mask:0xf
	v_cndmask_b32_e32 v17, 0, v17, vcc
	v_add_u32_e32 v16, v16, v17
	v_cmp_lt_u32_e32 vcc, 3, v19
	;; [unrolled: 5-line block ×4, first 2 shown]
	s_nop 0
	v_mov_b32_dpp v17, v16 row_bcast:15 row_mask:0xf bank_mask:0xf
	v_and_b32_e32 v17, v18, v17
	v_add_u32_e32 v16, v16, v17
	v_and_b32_e32 v18, 64, v0
	s_nop 0
	v_mov_b32_dpp v17, v16 row_bcast:31 row_mask:0xf bank_mask:0xf
	v_cndmask_b32_e32 v17, 0, v17, vcc
	v_add_u32_e32 v16, v16, v17
	v_add_u32_e32 v17, -1, v0
	v_cmp_lt_i32_e32 vcc, v17, v18
	v_cndmask_b32_e32 v17, v17, v0, vcc
	v_lshlrev_b32_e32 v17, 2, v17
	ds_bpermute_b32 v16, v17, v16
	s_waitcnt lgkmcnt(0)
	v_add_u32_e32 v15, v16, v15
	v_cndmask_b32_e64 v17, v15, v2, s[2:3]
	ds_write_b32 v7, v17
	; wave barrier
	ds_read2_b32 v[15:16], v7 offset0:1 offset1:2
	ds_read_b32 v18, v7 offset:12
	s_waitcnt lgkmcnt(1)
	v_add_u32_e32 v15, v15, v17
	v_add_u32_e32 v16, v16, v15
	ds_write2_b32 v7, v15, v16 offset0:1 offset1:2
	s_waitcnt lgkmcnt(1)
	v_add_u32_e32 v15, v18, v16
	ds_write_b32 v7, v15 offset:12
.LBB167_27:                             ;   in Loop: Header=BB167_23 Depth=1
	s_or_b64 exec, exec, s[18:19]
	v_mov_b32_e32 v7, 0
	s_waitcnt lgkmcnt(0)
	s_barrier
	s_and_saveexec_b64 s[18:19], s[0:1]
; %bb.28:                               ;   in Loop: Header=BB167_23 Depth=1
	ds_read_b32 v7, v13
; %bb.29:                               ;   in Loop: Header=BB167_23 Depth=1
	s_or_b64 exec, exec, s[18:19]
	ds_read_b32 v15, v5 offset:1048
	v_cmp_ne_u32_e32 vcc, 0, v2
	s_waitcnt lgkmcnt(0)
	s_barrier
	s_and_saveexec_b64 s[18:19], vcc
	s_cbranch_execz .LBB167_31
; %bb.30:                               ;   in Loop: Header=BB167_23 Depth=1
	v_add_u32_e32 v7, v7, v3
	v_mad_u64_u32 v[16:17], s[28:29], s16, v7, 0
	v_mad_u64_u32 v[18:19], s[28:29], s14, v7, 0
	v_mov_b32_e32 v2, v17
	v_mad_u64_u32 v[20:21], s[28:29], s17, v7, v[2:3]
	v_mov_b32_e32 v2, v19
	v_mov_b32_e32 v21, s24
	;; [unrolled: 1-line block ×3, first 2 shown]
	v_lshlrev_b64 v[16:17], 1, v[16:17]
	v_mad_u64_u32 v[19:20], s[28:29], s15, v7, v[2:3]
	v_add_co_u32_e32 v16, vcc, s23, v16
	v_addc_co_u32_e32 v17, vcc, v21, v17, vcc
	global_store_short v[16:17], v14, off
	v_lshlrev_b64 v[16:17], 3, v[18:19]
	v_mov_b32_e32 v2, s26
	v_add_co_u32_e32 v16, vcc, s25, v16
	v_addc_co_u32_e32 v17, vcc, v2, v17, vcc
	global_store_dwordx2 v[16:17], v[4:5], off
.LBB167_31:                             ;   in Loop: Header=BB167_23 Depth=1
	s_or_b64 exec, exec, s[18:19]
	v_mov_b32_e32 v2, v5
	v_cmp_le_u64_e32 vcc, s[10:11], v[1:2]
	s_cbranch_vccnz .LBB167_22
; %bb.32:                               ;   in Loop: Header=BB167_23 Depth=1
	ds_write_b32 v10, v6
	s_waitcnt vmcnt(0) lgkmcnt(0)
	s_barrier
	s_and_saveexec_b64 s[18:19], s[6:7]
	s_cbranch_execz .LBB167_34
; %bb.33:                               ;   in Loop: Header=BB167_23 Depth=1
	v_add_u32_e32 v2, v11, v12
	ds_read2_b32 v[16:17], v2 offset1:1
	ds_read2_b32 v[18:19], v2 offset0:2 offset1:3
	v_and_b32_e32 v7, 15, v0
	v_cmp_ne_u32_e32 vcc, 0, v7
	s_waitcnt lgkmcnt(1)
	v_add_u32_e32 v17, v17, v16
	s_waitcnt lgkmcnt(0)
	v_add3_u32 v17, v17, v18, v19
	; wave barrier
	s_nop 1
	v_mov_b32_dpp v18, v17 row_shr:1 row_mask:0xf bank_mask:0xf
	v_cndmask_b32_e32 v18, 0, v18, vcc
	v_add_u32_e32 v17, v18, v17
	v_cmp_lt_u32_e32 vcc, 1, v7
	s_nop 0
	v_mov_b32_dpp v18, v17 row_shr:2 row_mask:0xf bank_mask:0xf
	v_cndmask_b32_e32 v18, 0, v18, vcc
	v_add_u32_e32 v17, v17, v18
	v_cmp_lt_u32_e32 vcc, 3, v7
	;; [unrolled: 5-line block ×3, first 2 shown]
	s_nop 0
	v_mov_b32_dpp v18, v17 row_shr:8 row_mask:0xf bank_mask:0xf
	v_cndmask_b32_e32 v7, 0, v18, vcc
	v_add_u32_e32 v7, v17, v7
	v_bfe_i32 v18, v0, 4, 1
	v_cmp_lt_u32_e32 vcc, 31, v0
	v_mov_b32_dpp v17, v7 row_bcast:15 row_mask:0xf bank_mask:0xf
	v_and_b32_e32 v17, v18, v17
	v_add_u32_e32 v7, v7, v17
	v_and_b32_e32 v18, 64, v0
	s_nop 0
	v_mov_b32_dpp v17, v7 row_bcast:31 row_mask:0xf bank_mask:0xf
	v_cndmask_b32_e32 v17, 0, v17, vcc
	v_add_u32_e32 v7, v7, v17
	v_add_u32_e32 v17, -1, v0
	v_cmp_lt_i32_e32 vcc, v17, v18
	v_cndmask_b32_e32 v17, v17, v0, vcc
	v_lshlrev_b32_e32 v17, 2, v17
	ds_bpermute_b32 v7, v17, v7
	s_waitcnt lgkmcnt(0)
	v_add_u32_e32 v7, v7, v16
	v_cndmask_b32_e64 v7, v7, v6, s[2:3]
	ds_write_b32 v2, v7
	; wave barrier
	ds_read2_b32 v[16:17], v2 offset0:1 offset1:2
	ds_read_b32 v18, v2 offset:12
	s_waitcnt lgkmcnt(1)
	v_add_u32_e32 v7, v16, v7
	v_add_u32_e32 v16, v17, v7
	ds_write2_b32 v2, v7, v16 offset0:1 offset1:2
	s_waitcnt lgkmcnt(1)
	v_add_u32_e32 v7, v18, v16
	ds_write_b32 v2, v7 offset:12
.LBB167_34:                             ;   in Loop: Header=BB167_23 Depth=1
	s_or_b64 exec, exec, s[18:19]
	v_mov_b32_e32 v7, 0
	s_waitcnt lgkmcnt(0)
	s_barrier
	s_and_saveexec_b64 s[18:19], s[0:1]
; %bb.35:                               ;   in Loop: Header=BB167_23 Depth=1
	ds_read_b32 v7, v13
; %bb.36:                               ;   in Loop: Header=BB167_23 Depth=1
	s_or_b64 exec, exec, s[18:19]
	ds_read_b32 v2, v5 offset:1048
	v_cmp_ne_u32_e32 vcc, 0, v6
	s_waitcnt lgkmcnt(0)
	s_barrier
	s_and_saveexec_b64 s[18:19], vcc
	s_cbranch_execz .LBB167_21
; %bb.37:                               ;   in Loop: Header=BB167_23 Depth=1
	v_add_u32_e32 v6, v7, v1
	v_mov_b32_e32 v7, v5
	v_cmp_gt_u64_e32 vcc, s[10:11], v[6:7]
	s_and_b64 exec, exec, vcc
	s_cbranch_execz .LBB167_21
; %bb.38:                               ;   in Loop: Header=BB167_23 Depth=1
	v_mad_u64_u32 v[16:17], s[28:29], s16, v6, 0
	v_mad_u64_u32 v[18:19], s[28:29], s14, v6, 0
	v_mov_b32_e32 v7, v17
	v_mad_u64_u32 v[20:21], s[28:29], s17, v6, v[7:8]
	v_mov_b32_e32 v7, v19
	;; [unrolled: 2-line block ×3, first 2 shown]
	v_lshlrev_b64 v[16:17], 1, v[16:17]
	v_mov_b32_e32 v19, v6
	v_mov_b32_e32 v21, s24
	v_add_co_u32_e32 v16, vcc, s23, v16
	v_lshlrev_b64 v[6:7], 3, v[18:19]
	v_addc_co_u32_e32 v17, vcc, v21, v17, vcc
	global_store_short v[16:17], v14, off
	v_mov_b32_e32 v16, s26
	v_add_co_u32_e32 v6, vcc, s25, v6
	v_addc_co_u32_e32 v7, vcc, v16, v7, vcc
	global_store_dwordx2 v[6:7], v[4:5], off
	s_branch .LBB167_21
.LBB167_39:                             ;   in Loop: Header=BB167_40 Depth=1
	s_add_u32 s16, s16, 4
	s_addc_u32 s17, s17, 0
	s_waitcnt lgkmcnt(0)
	s_add_i32 s24, s15, s24
	s_add_u32 s18, s18, 4
	s_addc_u32 s19, s19, 0
	s_add_i32 s14, s14, 1
	s_cmp_lt_u32 s14, s21
	s_cbranch_scc0 .LBB167_18
.LBB167_40:                             ; =>This Inner Loop Header: Depth=1
	s_load_dword s15, s[16:17], 0x0
	s_cmp_ge_u32 s14, s40
	s_cbranch_scc1 .LBB167_39
; %bb.41:                               ;   in Loop: Header=BB167_40 Depth=1
	s_load_dword s34, s[18:19], 0x0
	s_waitcnt lgkmcnt(0)
	s_add_i32 s25, s15, s25
	s_add_i32 s7, s34, s7
	s_branch .LBB167_39
.LBB167_42:
	s_endpgm
	.section	.rodata,"a",@progbits
	.p2align	6, 0x0
	.amdhsa_kernel _ZN2at6native6mbtopk10gatherTopKIsmLi1EEEvNS_4cuda6detail10TensorInfoIKT_T0_EES8_S8_bjS8_NS5_IS6_S8_EES8_NS5_IlS8_EES8_jjPS6_PjSD_j
		.amdhsa_group_segment_fixed_size 1068
		.amdhsa_private_segment_fixed_size 0
		.amdhsa_kernarg_size 1592
		.amdhsa_user_sgpr_count 6
		.amdhsa_user_sgpr_private_segment_buffer 1
		.amdhsa_user_sgpr_dispatch_ptr 0
		.amdhsa_user_sgpr_queue_ptr 0
		.amdhsa_user_sgpr_kernarg_segment_ptr 1
		.amdhsa_user_sgpr_dispatch_id 0
		.amdhsa_user_sgpr_flat_scratch_init 0
		.amdhsa_user_sgpr_private_segment_size 0
		.amdhsa_uses_dynamic_stack 0
		.amdhsa_system_sgpr_private_segment_wavefront_offset 0
		.amdhsa_system_sgpr_workgroup_id_x 1
		.amdhsa_system_sgpr_workgroup_id_y 1
		.amdhsa_system_sgpr_workgroup_id_z 1
		.amdhsa_system_sgpr_workgroup_info 0
		.amdhsa_system_vgpr_workitem_id 0
		.amdhsa_next_free_vgpr 22
		.amdhsa_next_free_sgpr 44
		.amdhsa_reserve_vcc 1
		.amdhsa_reserve_flat_scratch 0
		.amdhsa_float_round_mode_32 0
		.amdhsa_float_round_mode_16_64 0
		.amdhsa_float_denorm_mode_32 3
		.amdhsa_float_denorm_mode_16_64 3
		.amdhsa_dx10_clamp 1
		.amdhsa_ieee_mode 1
		.amdhsa_fp16_overflow 0
		.amdhsa_exception_fp_ieee_invalid_op 0
		.amdhsa_exception_fp_denorm_src 0
		.amdhsa_exception_fp_ieee_div_zero 0
		.amdhsa_exception_fp_ieee_overflow 0
		.amdhsa_exception_fp_ieee_underflow 0
		.amdhsa_exception_fp_ieee_inexact 0
		.amdhsa_exception_int_div_zero 0
	.end_amdhsa_kernel
	.section	.text._ZN2at6native6mbtopk10gatherTopKIsmLi1EEEvNS_4cuda6detail10TensorInfoIKT_T0_EES8_S8_bjS8_NS5_IS6_S8_EES8_NS5_IlS8_EES8_jjPS6_PjSD_j,"axG",@progbits,_ZN2at6native6mbtopk10gatherTopKIsmLi1EEEvNS_4cuda6detail10TensorInfoIKT_T0_EES8_S8_bjS8_NS5_IS6_S8_EES8_NS5_IlS8_EES8_jjPS6_PjSD_j,comdat
.Lfunc_end167:
	.size	_ZN2at6native6mbtopk10gatherTopKIsmLi1EEEvNS_4cuda6detail10TensorInfoIKT_T0_EES8_S8_bjS8_NS5_IS6_S8_EES8_NS5_IlS8_EES8_jjPS6_PjSD_j, .Lfunc_end167-_ZN2at6native6mbtopk10gatherTopKIsmLi1EEEvNS_4cuda6detail10TensorInfoIKT_T0_EES8_S8_bjS8_NS5_IS6_S8_EES8_NS5_IlS8_EES8_jjPS6_PjSD_j
                                        ; -- End function
	.set _ZN2at6native6mbtopk10gatherTopKIsmLi1EEEvNS_4cuda6detail10TensorInfoIKT_T0_EES8_S8_bjS8_NS5_IS6_S8_EES8_NS5_IlS8_EES8_jjPS6_PjSD_j.num_vgpr, 22
	.set _ZN2at6native6mbtopk10gatherTopKIsmLi1EEEvNS_4cuda6detail10TensorInfoIKT_T0_EES8_S8_bjS8_NS5_IS6_S8_EES8_NS5_IlS8_EES8_jjPS6_PjSD_j.num_agpr, 0
	.set _ZN2at6native6mbtopk10gatherTopKIsmLi1EEEvNS_4cuda6detail10TensorInfoIKT_T0_EES8_S8_bjS8_NS5_IS6_S8_EES8_NS5_IlS8_EES8_jjPS6_PjSD_j.numbered_sgpr, 44
	.set _ZN2at6native6mbtopk10gatherTopKIsmLi1EEEvNS_4cuda6detail10TensorInfoIKT_T0_EES8_S8_bjS8_NS5_IS6_S8_EES8_NS5_IlS8_EES8_jjPS6_PjSD_j.num_named_barrier, 0
	.set _ZN2at6native6mbtopk10gatherTopKIsmLi1EEEvNS_4cuda6detail10TensorInfoIKT_T0_EES8_S8_bjS8_NS5_IS6_S8_EES8_NS5_IlS8_EES8_jjPS6_PjSD_j.private_seg_size, 0
	.set _ZN2at6native6mbtopk10gatherTopKIsmLi1EEEvNS_4cuda6detail10TensorInfoIKT_T0_EES8_S8_bjS8_NS5_IS6_S8_EES8_NS5_IlS8_EES8_jjPS6_PjSD_j.uses_vcc, 1
	.set _ZN2at6native6mbtopk10gatherTopKIsmLi1EEEvNS_4cuda6detail10TensorInfoIKT_T0_EES8_S8_bjS8_NS5_IS6_S8_EES8_NS5_IlS8_EES8_jjPS6_PjSD_j.uses_flat_scratch, 0
	.set _ZN2at6native6mbtopk10gatherTopKIsmLi1EEEvNS_4cuda6detail10TensorInfoIKT_T0_EES8_S8_bjS8_NS5_IS6_S8_EES8_NS5_IlS8_EES8_jjPS6_PjSD_j.has_dyn_sized_stack, 0
	.set _ZN2at6native6mbtopk10gatherTopKIsmLi1EEEvNS_4cuda6detail10TensorInfoIKT_T0_EES8_S8_bjS8_NS5_IS6_S8_EES8_NS5_IlS8_EES8_jjPS6_PjSD_j.has_recursion, 0
	.set _ZN2at6native6mbtopk10gatherTopKIsmLi1EEEvNS_4cuda6detail10TensorInfoIKT_T0_EES8_S8_bjS8_NS5_IS6_S8_EES8_NS5_IlS8_EES8_jjPS6_PjSD_j.has_indirect_call, 0
	.section	.AMDGPU.csdata,"",@progbits
; Kernel info:
; codeLenInByte = 2208
; TotalNumSgprs: 48
; NumVgprs: 22
; ScratchSize: 0
; MemoryBound: 0
; FloatMode: 240
; IeeeMode: 1
; LDSByteSize: 1068 bytes/workgroup (compile time only)
; SGPRBlocks: 5
; VGPRBlocks: 5
; NumSGPRsForWavesPerEU: 48
; NumVGPRsForWavesPerEU: 22
; Occupancy: 10
; WaveLimiterHint : 1
; COMPUTE_PGM_RSRC2:SCRATCH_EN: 0
; COMPUTE_PGM_RSRC2:USER_SGPR: 6
; COMPUTE_PGM_RSRC2:TRAP_HANDLER: 0
; COMPUTE_PGM_RSRC2:TGID_X_EN: 1
; COMPUTE_PGM_RSRC2:TGID_Y_EN: 1
; COMPUTE_PGM_RSRC2:TGID_Z_EN: 1
; COMPUTE_PGM_RSRC2:TIDIG_COMP_CNT: 0
	.section	.text._ZN2at6native6sbtopk10gatherTopKIsmLi1ELb0EEEvNS_4cuda6detail10TensorInfoIKT_T0_EES8_S8_bS8_S8_NS5_IS6_S8_EES8_NS5_IlS8_EES8_PS6_,"axG",@progbits,_ZN2at6native6sbtopk10gatherTopKIsmLi1ELb0EEEvNS_4cuda6detail10TensorInfoIKT_T0_EES8_S8_bS8_S8_NS5_IS6_S8_EES8_NS5_IlS8_EES8_PS6_,comdat
	.protected	_ZN2at6native6sbtopk10gatherTopKIsmLi1ELb0EEEvNS_4cuda6detail10TensorInfoIKT_T0_EES8_S8_bS8_S8_NS5_IS6_S8_EES8_NS5_IlS8_EES8_PS6_ ; -- Begin function _ZN2at6native6sbtopk10gatherTopKIsmLi1ELb0EEEvNS_4cuda6detail10TensorInfoIKT_T0_EES8_S8_bS8_S8_NS5_IS6_S8_EES8_NS5_IlS8_EES8_PS6_
	.globl	_ZN2at6native6sbtopk10gatherTopKIsmLi1ELb0EEEvNS_4cuda6detail10TensorInfoIKT_T0_EES8_S8_bS8_S8_NS5_IS6_S8_EES8_NS5_IlS8_EES8_PS6_
	.p2align	8
	.type	_ZN2at6native6sbtopk10gatherTopKIsmLi1ELb0EEEvNS_4cuda6detail10TensorInfoIKT_T0_EES8_S8_bS8_S8_NS5_IS6_S8_EES8_NS5_IlS8_EES8_PS6_,@function
_ZN2at6native6sbtopk10gatherTopKIsmLi1ELb0EEEvNS_4cuda6detail10TensorInfoIKT_T0_EES8_S8_bS8_S8_NS5_IS6_S8_EES8_NS5_IlS8_EES8_PS6_: ; @_ZN2at6native6sbtopk10gatherTopKIsmLi1ELb0EEEvNS_4cuda6detail10TensorInfoIKT_T0_EES8_S8_bS8_S8_NS5_IS6_S8_EES8_NS5_IlS8_EES8_PS6_
; %bb.0:
	s_load_dwordx2 s[12:13], s[4:5], 0x520
	s_load_dwordx4 s[24:27], s[4:5], 0x1b8
	s_add_u32 s2, s4, 0x520
	s_addc_u32 s3, s5, 0
	s_mov_b32 s17, 0
	s_waitcnt lgkmcnt(0)
	s_mul_i32 s0, s13, s8
	s_add_i32 s0, s0, s7
	s_mul_i32 s0, s0, s12
	s_add_i32 s16, s0, s6
	v_mov_b32_e32 v1, s16
	v_mov_b32_e32 v2, s17
	v_cmp_le_u64_e32 vcc, s[24:25], v[1:2]
	s_cbranch_vccnz .LBB168_473
; %bb.1:
	s_load_dwordx2 s[0:1], s[4:5], 0x440
                                        ; implicit-def: $vgpr49 : SGPR spill to VGPR lane
	v_cmp_eq_u32_e64 s[8:9], 0, v0
	s_waitcnt lgkmcnt(0)
	v_writelane_b32 v49, s0, 0
	v_writelane_b32 v49, s1, 1
	s_load_dwordx2 s[0:1], s[4:5], 0x370
	s_waitcnt lgkmcnt(0)
	v_writelane_b32 v49, s0, 2
	v_writelane_b32 v49, s1, 3
	s_load_dwordx2 s[0:1], s[4:5], 0x298
	s_waitcnt lgkmcnt(0)
	v_writelane_b32 v49, s0, 4
	v_writelane_b32 v49, s1, 5
	s_load_dwordx4 s[28:31], s[4:5], 0x1a0
	s_load_dwordx2 s[0:1], s[4:5], 0x1c8
	s_waitcnt lgkmcnt(0)
	v_writelane_b32 v49, s0, 6
	v_writelane_b32 v49, s1, 7
	s_load_dwordx2 s[0:1], s[4:5], 0xd0
	s_load_dwordx2 s[10:11], s[4:5], 0x0
	s_mov_b64 s[14:15], exec
	v_writelane_b32 v49, s8, 8
	v_writelane_b32 v49, s9, 9
	s_and_b64 s[8:9], s[14:15], s[8:9]
	s_mov_b64 exec, s[8:9]
	s_cbranch_execz .LBB168_3
; %bb.2:
	v_mov_b32_e32 v1, 0
	v_mov_b32_e32 v3, s28
	;; [unrolled: 1-line block ×4, first 2 shown]
	ds_write_b32 v1, v1 offset:5144
	ds_write_b128 v1, v[1:4] offset:5120
.LBB168_3:
	s_or_b64 exec, exec, s[14:15]
	v_writelane_b32 v49, s4, 10
	s_waitcnt lgkmcnt(0)
	s_mul_i32 s1, s1, s16
	s_mul_hi_u32 s7, s0, s16
	v_writelane_b32 v49, s5, 11
	s_load_dword s4, s[4:5], 0x1b0
	s_add_i32 s1, s7, s1
	s_mov_b32 s8, s16
	s_mul_i32 s0, s0, s16
	v_writelane_b32 v49, s8, 12
	s_lshl_b64 s[0:1], s[0:1], 1
	v_writelane_b32 v49, s9, 13
	s_add_u32 s50, s10, s0
	v_writelane_b32 v49, s0, 14
	s_addc_u32 s51, s11, s1
	s_waitcnt lgkmcnt(0)
	s_bitcmp1_b32 s4, 0
	v_mbcnt_lo_u32_b32 v1, -1, 0
	v_mad_u64_u32 v[4:5], s[4:5], s26, v0, 0
	v_writelane_b32 v49, s1, 15
	s_cselect_b64 s[0:1], -1, 0
	v_mbcnt_hi_u32_b32 v31, -1, v1
	v_writelane_b32 v49, s0, 16
	v_cmp_gt_u32_e32 vcc, 64, v0
	v_cmp_gt_i32_e64 s[10:11], 4, v31
	v_writelane_b32 v49, s1, 17
	s_and_b64 s[4:5], vcc, s[10:11]
	v_writelane_b32 v49, s4, 18
	v_mov_b32_e32 v3, v5
	v_writelane_b32 v49, s5, 19
	v_mad_u64_u32 v[5:6], s[4:5], s27, v0, v[3:4]
	v_mov_b32_e32 v1, 0x600
	v_mov_b32_e32 v2, 0
	v_lshlrev_b64 v[6:7], 1, v[4:5]
	v_cmp_gt_u64_e64 s[4:5], s[28:29], v[1:2]
	v_mov_b32_e32 v2, s51
	v_add_co_u32_e32 v12, vcc, s50, v6
	v_mov_b32_e32 v3, 0
	v_addc_co_u32_e32 v13, vcc, v2, v7, vcc
	v_lshlrev_b64 v[6:7], v31, -1
	v_add_u32_e32 v2, 2, v0
	v_cmp_gt_u64_e32 vcc, s[28:29], v[2:3]
	v_not_b32_e32 v28, v7
	v_mov_b32_e32 v7, s29
	v_writelane_b32 v49, s4, 20
	v_mov_b32_e32 v1, v3
	v_cndmask_b32_e32 v8, 0, v7, vcc
	v_mov_b32_e32 v7, s28
	v_writelane_b32 v49, s5, 21
	v_cmp_gt_u64_e64 s[4:5], s[28:29], v[0:1]
	v_cndmask_b32_e32 v2, v2, v7, vcc
	v_not_b32_e32 v7, v0
	v_add_co_u32_e32 v7, vcc, v2, v7
	v_writelane_b32 v49, s4, 22
	v_addc_co_u32_e32 v8, vcc, -1, v8, vcc
	v_writelane_b32 v49, s5, 23
	v_cmp_lt_u64_e64 s[4:5], 1, v[7:8]
	v_and_b32_e32 v14, -2, v7
	v_writelane_b32 v49, s4, 24
	v_mov_b32_e32 v15, v8
	v_writelane_b32 v49, s5, 25
	v_cmp_ne_u64_e64 s[4:5], v[7:8], v[14:15]
	v_lshlrev_b32_e32 v32, 3, v0
	v_writelane_b32 v49, s4, 26
	v_or_b32_e32 v7, 6, v32
	v_writelane_b32 v49, s5, 27
	v_mad_u64_u32 v[16:17], s[4:5], s26, v7, 0
	v_or_b32_e32 v9, 4, v32
	v_mad_u64_u32 v[18:19], s[4:5], s26, v9, 0
	v_mov_b32_e32 v2, v17
	v_mad_u64_u32 v[7:8], s[4:5], s27, v7, v[2:3]
	v_mov_b32_e32 v2, v19
	v_mad_u64_u32 v[8:9], s[4:5], s27, v9, v[2:3]
	v_or_b32_e32 v9, 2, v32
	v_mad_u64_u32 v[19:20], s[4:5], s26, v9, 0
	v_not_b32_e32 v29, v6
	v_mov_b32_e32 v33, v7
	v_mov_b32_e32 v2, v20
	v_mad_u64_u32 v[6:7], s[4:5], s27, v9, v[2:3]
	s_barrier
	s_load_dword s4, s[2:3], 0xc
	s_xor_b64 s[52:53], s[0:1], -1
	v_cmp_gt_u32_e64 s[8:9], 2, v0
	v_writelane_b32 v49, s8, 28
	v_writelane_b32 v49, s9, 29
	s_waitcnt lgkmcnt(0)
	s_and_b32 s33, s4, 0xffff
	s_bfe_u32 s4, s4, 0xa0006
	s_cmp_gt_u32 s33, 63
	s_cselect_b64 s[8:9], -1, 0
	v_writelane_b32 v49, s8, 30
	s_add_u32 s5, s33, -1
	v_writelane_b32 v49, s9, 31
	s_addc_u32 s7, 0, -1
	v_writelane_b32 v49, s5, 32
	s_add_u32 s5, s5, s28
	v_writelane_b32 v49, s5, 33
	v_writelane_b32 v49, s7, 34
	s_addc_u32 s5, s7, s29
	v_writelane_b32 v49, s4, 35
	s_cmp_lt_u32 s6, s12
	v_writelane_b32 v49, s5, 36
	s_cselect_b32 s5, 12, 18
	s_add_u32 s2, s2, s5
	s_addc_u32 s3, s3, 0
	v_writelane_b32 v49, s2, 37
	v_writelane_b32 v49, s3, 38
	s_add_i32 s2, s4, -1
	s_bfe_u32 s3, s33, 0x30006
	s_and_b32 s2, s2, 0xffff
	s_cmp_gt_u32 s2, 6
	s_cselect_b64 s[6:7], -1, 0
	v_writelane_b32 v49, s6, 39
	s_and_b32 s68, s4, 0x3f8
	v_writelane_b32 v49, s7, 40
	s_cmp_lg_u32 s3, 0
	v_writelane_b32 v49, s3, 41
	s_cselect_b64 s[2:3], -1, 0
	v_writelane_b32 v49, s2, 42
	v_writelane_b32 v49, s3, 43
	s_mul_i32 s2, s27, s33
	s_mul_hi_u32 s3, s26, s33
	s_add_i32 s3, s3, s2
	s_mul_i32 s2, s26, s33
	s_lshl_b64 s[34:35], s[2:3], 1
	s_mov_b32 s2, 0
	v_writelane_b32 v49, s2, 44
	v_lshlrev_b32_e32 v2, 2, v31
	v_writelane_b32 v49, s52, 45
	v_and_b32_e32 v30, 0x100, v2
	v_lshrrev_b32_e32 v2, 1, v0
	s_mov_b32 s54, s26
	v_writelane_b32 v49, s53, 46
	v_and_b32_e32 v2, 0x1e0, v2
	s_mov_b32 s17, s27
	v_writelane_b32 v49, s54, 47
	v_or_b32_e32 v36, 0xc00, v2
	s_lshl_b64 s[20:21], s[26:27], 1
	v_lshlrev_b64 v[22:23], 3, v[4:5]
	v_mov_b32_e32 v2, 0xc00
	v_lshlrev_b32_e32 v39, 1, v0
	v_mov_b32_e32 v24, s30
	v_writelane_b32 v49, s17, 48
	s_mov_b32 s55, 0
	v_cmp_eq_u32_e64 s[0:1], 0, v31
	v_mov_b32_e32 v34, v8
	v_lshlrev_b32_e32 v20, 2, v0
	v_mov_b32_e32 v21, v3
	v_mov_b32_e32 v35, v6
	s_lshl_b64 s[70:71], s[26:27], 3
	v_lshl_or_b32 v38, v31, 3, v2
	s_lshl_b32 s69, s33, 1
	s_mov_b32 s63, 14
	s_mov_b64 s[72:73], 0
	s_mov_b32 s62, 0x8000
	v_add_u32_e32 v40, 0xc00, v39
	v_mov_b32_e32 v41, 0x4f800000
	v_mov_b32_e32 v42, 0x5040100
	;; [unrolled: 1-line block ×4, first 2 shown]
	v_add_co_u32_e32 v17, vcc, v14, v0
	v_mov_b32_e32 v25, s31
	v_mov_b32_e32 v43, 0
	v_writelane_b32 v49, s20, 49
                                        ; implicit-def: $sgpr74_sgpr75
                                        ; implicit-def: $sgpr76_sgpr77
                                        ; implicit-def: $sgpr78_sgpr79
                                        ; implicit-def: $sgpr82_sgpr83
                                        ; implicit-def: $sgpr80_sgpr81
                                        ; implicit-def: $sgpr84_sgpr85
                                        ; implicit-def: $sgpr86_sgpr87
                                        ; implicit-def: $sgpr88_sgpr89
                                        ; implicit-def: $sgpr90_sgpr91
                                        ; implicit-def: $sgpr92_sgpr93
	v_writelane_b32 v49, s21, 50
	s_branch .LBB168_6
.LBB168_4:                              ;   in Loop: Header=BB168_6 Depth=1
	s_or_b64 exec, exec, s[8:9]
	s_andn2_b64 s[8:9], s[92:93], exec
	s_and_b64 s[6:7], s[6:7], exec
	v_mov_b32_e32 v25, v5
	s_or_b64 s[92:93], s[8:9], s[6:7]
	s_andn2_b64 s[90:91], s[90:91], exec
	s_andn2_b64 s[88:89], s[88:89], exec
	;; [unrolled: 1-line block ×4, first 2 shown]
	s_orn2_b64 s[4:5], s[4:5], exec
	v_mov_b32_e32 v24, v4
.LBB168_5:                              ;   in Loop: Header=BB168_6 Depth=1
	s_or_b64 exec, exec, s[2:3]
	s_and_b64 s[2:3], exec, s[4:5]
	s_or_b64 s[72:73], s[2:3], s[72:73]
	s_andn2_b64 s[2:3], s[80:81], exec
	s_and_b64 s[4:5], s[92:93], exec
	s_or_b64 s[80:81], s[2:3], s[4:5]
	s_andn2_b64 s[2:3], s[82:83], exec
	s_and_b64 s[4:5], s[90:91], exec
	;; [unrolled: 3-line block ×5, first 2 shown]
	s_or_b64 s[74:75], s[2:3], s[4:5]
	s_andn2_b64 exec, exec, s[72:73]
	s_cbranch_execz .LBB168_469
.LBB168_6:                              ; =>This Loop Header: Depth=1
                                        ;     Child Loop BB168_11 Depth 2
                                        ;     Child Loop BB168_25 Depth 2
	;; [unrolled: 1-line block ×25, first 2 shown]
	ds_read_b128 v[4:7], v3 offset:5120
	s_waitcnt lgkmcnt(0)
	v_readfirstlane_b32 s13, v5
	v_readfirstlane_b32 s12, v4
	s_cmp_lg_u64 s[12:13], 0
	s_cbranch_scc1 .LBB168_38
; %bb.7:                                ;   in Loop: Header=BB168_6 Depth=1
	v_readlane_b32 s2, v49, 20
	v_readlane_b32 s3, v49, 21
	s_and_b64 vcc, exec, s[2:3]
	s_cbranch_vccz .LBB168_19
; %bb.8:                                ;   in Loop: Header=BB168_6 Depth=1
	s_mov_b64 s[2:3], 0x601
	v_cmp_gt_u64_e32 vcc, s[2:3], v[6:7]
	s_mov_b64 s[2:3], 0
	s_mov_b64 s[4:5], 0
	s_cbranch_vccz .LBB168_20
; %bb.9:                                ;   in Loop: Header=BB168_6 Depth=1
	v_readlane_b32 s4, v49, 37
	v_readlane_b32 s5, v49, 38
	global_load_ushort v8, v[12:13], off
	s_mov_b64 s[8:9], 0
	s_nop 2
	global_load_ushort v6, v3, s[4:5]
	s_waitcnt vmcnt(0)
	v_and_b32_e32 v2, 0xffff, v6
	v_add_co_u32_e32 v7, vcc, v0, v2
	v_addc_co_u32_e64 v4, s[4:5], 0, 0, vcc
	v_mul_lo_u32 v9, s20, v4
	v_mov_b32_e32 v4, s50
	v_mov_b32_e32 v5, s51
	v_mul_lo_u32 v10, s21, v7
	v_mad_u64_u32 v[4:5], s[4:5], s20, v7, v[4:5]
	v_readfirstlane_b32 s4, v6
	s_and_b32 s4, 0xffff, s4
	s_mul_i32 s5, s21, s4
	s_mul_hi_u32 s6, s20, s4
	v_mov_b32_e32 v7, v1
	v_add3_u32 v5, v10, v5, v9
	s_add_i32 s14, s6, s5
	s_mul_i32 s15, s20, s4
	v_mov_b32_e32 v6, v0
	s_branch .LBB168_11
.LBB168_10:                             ;   in Loop: Header=BB168_11 Depth=2
	s_or_b64 exec, exec, s[4:5]
	v_mov_b32_e32 v8, s14
	v_add_co_u32_e32 v4, vcc, s15, v4
	v_addc_co_u32_e32 v5, vcc, v5, v8, vcc
	s_waitcnt vmcnt(0)
	v_mov_b32_e32 v8, v9
	s_andn2_b64 exec, exec, s[8:9]
	s_cbranch_execz .LBB168_93
.LBB168_11:                             ;   Parent Loop BB168_6 Depth=1
                                        ; =>  This Inner Loop Header: Depth=2
	v_add_co_u32_e32 v6, vcc, v6, v2
	v_addc_co_u32_e32 v7, vcc, 0, v7, vcc
	v_cmp_gt_u64_e64 s[6:7], s[28:29], v[6:7]
	v_cmp_le_u64_e32 vcc, s[28:29], v[6:7]
	s_waitcnt lgkmcnt(0)
	v_mov_b32_e32 v10, 0
	v_mov_b32_e32 v9, 0
	s_and_saveexec_b64 s[4:5], s[6:7]
	s_cbranch_execz .LBB168_13
; %bb.12:                               ;   in Loop: Header=BB168_11 Depth=2
	global_load_ushort v9, v[4:5], off
.LBB168_13:                             ;   in Loop: Header=BB168_11 Depth=2
	s_or_b64 exec, exec, s[4:5]
	v_add_u32_sdwa v11, sext(v8), s62 dst_sel:DWORD dst_unused:UNUSED_PAD src0_sel:WORD_0 src1_sel:DWORD
	v_and_b32_e32 v11, v11, v43
	v_cmp_eq_u32_e64 s[18:19], v11, v37
	s_cmp_lg_u64 s[18:19], 0
	s_cselect_b64 s[4:5], -1, 0
	s_and_b64 s[6:7], s[0:1], s[4:5]
	s_and_saveexec_b64 s[4:5], s[6:7]
	s_cbranch_execz .LBB168_17
; %bb.14:                               ;   in Loop: Header=BB168_11 Depth=2
	s_mov_b64 s[12:13], exec
	v_mbcnt_lo_u32_b32 v10, s12, 0
	v_mbcnt_hi_u32_b32 v10, s13, v10
	s_bcnt1_i32_b64 s16, s[18:19]
	v_cmp_eq_u32_e64 s[6:7], 0, v10
                                        ; implicit-def: $vgpr11
	s_and_saveexec_b64 s[10:11], s[6:7]
; %bb.15:                               ;   in Loop: Header=BB168_11 Depth=2
	s_bcnt1_i32_b64 s6, s[12:13]
	s_mul_i32 s6, s16, s6
	v_mov_b32_e32 v11, s6
	ds_add_rtn_u32 v11, v3, v11 offset:5144
; %bb.16:                               ;   in Loop: Header=BB168_11 Depth=2
	s_or_b64 exec, exec, s[10:11]
	s_waitcnt lgkmcnt(0)
	v_readfirstlane_b32 s6, v11
	v_mov_b32_e32 v11, s6
	v_mad_u32_u24 v10, s16, v10, v11
.LBB168_17:                             ;   in Loop: Header=BB168_11 Depth=2
	s_or_b64 exec, exec, s[4:5]
	ds_bpermute_b32 v10, v30, v10
	s_and_b64 s[4:5], exec, vcc
	s_or_b64 s[8:9], s[4:5], s[8:9]
	s_and_saveexec_b64 s[4:5], s[18:19]
	s_cbranch_execz .LBB168_10
; %bb.18:                               ;   in Loop: Header=BB168_11 Depth=2
	v_and_b32_e32 v26, s18, v29
	v_and_b32_e32 v11, s19, v28
	v_bcnt_u32_b32 v26, v26, 0
	v_bcnt_u32_b32 v11, v11, v26
	v_lshlrev_b32_e32 v11, 1, v11
	s_waitcnt lgkmcnt(0)
	v_lshl_add_u32 v10, v10, 1, v11
	ds_write_b16 v10, v8
	s_branch .LBB168_10
.LBB168_19:                             ;   in Loop: Header=BB168_6 Depth=1
	s_mov_b64 s[2:3], -1
	s_mov_b64 s[4:5], 0
.LBB168_20:                             ;   in Loop: Header=BB168_6 Depth=1
	s_and_b64 vcc, exec, s[2:3]
	s_cbranch_vccz .LBB168_36
.LBB168_21:                             ;   in Loop: Header=BB168_6 Depth=1
	s_mov_b64 s[2:3], exec
	v_readlane_b32 s4, v49, 22
	v_readlane_b32 s5, v49, 23
	s_and_b64 s[4:5], s[2:3], s[4:5]
	s_mov_b64 exec, s[4:5]
	s_cbranch_execz .LBB168_33
; %bb.22:                               ;   in Loop: Header=BB168_6 Depth=1
	v_readlane_b32 s4, v49, 37
	v_readlane_b32 s5, v49, 38
	s_nop 4
	global_load_ushort v2, v3, s[4:5]
	global_load_ushort v11, v[12:13], off
	v_mov_b32_e32 v8, v0
	s_waitcnt vmcnt(1)
	v_readfirstlane_b32 s4, v2
	v_add_u32_sdwa v2, v2, v0 dst_sel:DWORD dst_unused:UNUSED_PAD src0_sel:WORD_0 src1_sel:DWORD
	v_cmp_gt_u64_e32 vcc, s[28:29], v[2:3]
	s_and_saveexec_b64 s[8:9], vcc
	s_cbranch_execz .LBB168_32
; %bb.23:                               ;   in Loop: Header=BB168_6 Depth=1
	s_and_b32 s14, s4, 0xffff
	s_cmp_eq_u32 s14, 1
	v_readlane_b32 s6, v49, 24
                                        ; implicit-def: $vgpr8_vgpr9
	s_cselect_b64 s[4:5], -1, 0
	v_readlane_b32 s7, v49, 25
	v_mov_b32_e32 v10, v1
	v_mov_b32_e32 v5, v3
	s_and_b64 s[10:11], s[6:7], s[4:5]
	s_mov_b64 s[4:5], -1
	v_mov_b32_e32 v9, v0
	v_mov_b32_e32 v4, v2
	s_and_saveexec_b64 s[6:7], s[10:11]
	s_cbranch_execz .LBB168_27
; %bb.24:                               ;   in Loop: Header=BB168_6 Depth=1
	v_add_co_u32_e32 v4, vcc, 1, v2
	v_addc_co_u32_e64 v5, s[4:5], 0, 0, vcc
	v_mov_b32_e32 v8, v14
	v_mov_b32_e32 v7, v5
	s_waitcnt vmcnt(0)
	v_lshlrev_b32_e32 v26, 16, v11
	s_mov_b64 s[10:11], 0
	v_mov_b32_e32 v9, v15
	v_mov_b32_e32 v10, v39
	;; [unrolled: 1-line block ×5, first 2 shown]
.LBB168_25:                             ;   Parent Loop BB168_6 Depth=1
                                        ; =>  This Inner Loop Header: Depth=2
	v_mul_lo_u32 v11, v7, s26
	v_mul_lo_u32 v27, v6, s27
	v_mad_u64_u32 v[45:46], s[4:5], v6, s26, 0
	v_mad_u64_u32 v[47:48], s[4:5], v4, s54, 0
	v_add3_u32 v46, v46, v27, v11
	v_mul_lo_u32 v11, v5, s54
	v_mul_lo_u32 v27, v4, s17
	v_lshlrev_b64 v[45:46], 1, v[45:46]
	s_mov_b32 s4, 0x5040100
	v_add3_u32 v48, v48, v27, v11
	v_lshlrev_b64 v[47:48], 1, v[47:48]
	v_mov_b32_e32 v11, s51
	v_add_co_u32_e32 v47, vcc, s50, v47
	v_addc_co_u32_e32 v48, vcc, v11, v48, vcc
	v_add_co_u32_e32 v45, vcc, s50, v45
	v_addc_co_u32_e32 v46, vcc, v11, v46, vcc
	global_load_ushort v27, v[47:48], off
	global_load_ushort v11, v[45:46], off
	v_add_co_u32_e32 v6, vcc, 2, v6
	v_addc_co_u32_e32 v7, vcc, 0, v7, vcc
	v_add_co_u32_e32 v4, vcc, 2, v4
	v_addc_co_u32_e32 v5, vcc, 0, v5, vcc
	v_add_co_u32_e32 v8, vcc, -2, v8
	v_addc_co_u32_e32 v9, vcc, -1, v9, vcc
	v_cmp_eq_u64_e32 vcc, 0, v[8:9]
	s_or_b64 s[10:11], vcc, s[10:11]
	s_waitcnt vmcnt(1)
	v_alignbit_b32 v26, v27, v26, 16
	s_waitcnt vmcnt(0)
	v_perm_b32 v45, v11, v27, s4
	ds_write_b32 v10, v26
	v_add_u32_e32 v10, 4, v10
	v_mov_b32_e32 v26, v45
	s_andn2_b64 exec, exec, s[10:11]
	s_cbranch_execnz .LBB168_25
; %bb.26:                               ;   in Loop: Header=BB168_6 Depth=1
	s_or_b64 exec, exec, s[10:11]
	v_readlane_b32 s4, v49, 26
	v_add_co_u32_e32 v4, vcc, v2, v14
	v_readlane_b32 s5, v49, 27
	v_addc_co_u32_e32 v5, vcc, 0, v15, vcc
	v_add_co_u32_e32 v8, vcc, -1, v4
	s_orn2_b64 s[4:5], s[4:5], exec
	v_mov_b32_e32 v9, v17
	v_mov_b32_e32 v10, v18
.LBB168_27:                             ;   in Loop: Header=BB168_6 Depth=1
	s_or_b64 exec, exec, s[6:7]
	s_and_saveexec_b64 s[10:11], s[4:5]
	s_cbranch_execz .LBB168_31
; %bb.28:                               ;   in Loop: Header=BB168_6 Depth=1
	v_mov_b32_e32 v6, s50
	v_mov_b32_e32 v7, s51
	v_mad_u64_u32 v[6:7], s[4:5], s20, v4, v[6:7]
	v_mul_lo_u32 v2, s20, v5
	v_mul_lo_u32 v8, s21, v4
	s_mul_i32 s5, s21, s14
	s_mul_hi_u32 s6, s20, s14
	s_mov_b64 s[12:13], 0
	s_sub_u32 s4, 0, s14
	v_add3_u32 v7, v8, v7, v2
	s_add_i32 s5, s6, s5
.LBB168_29:                             ;   Parent Loop BB168_6 Depth=1
                                        ; =>  This Inner Loop Header: Depth=2
	global_load_ushort v2, v[6:7], off
	v_mov_b32_e32 v27, v5
	v_mov_b32_e32 v26, v4
	v_lshlrev_b32_e32 v4, 1, v9
	s_waitcnt vmcnt(1)
	ds_write_b16 v4, v11
	v_add_co_u32_e32 v4, vcc, s14, v26
	v_addc_co_u32_e32 v5, vcc, 0, v27, vcc
	s_mul_i32 s6, s20, s14
	v_add_co_u32_e32 v6, vcc, s6, v6
	v_mov_b32_e32 v8, s5
	v_addc_co_u32_e32 v7, vcc, v7, v8, vcc
	v_cmp_le_u64_e32 vcc, s[28:29], v[4:5]
	v_add_co_u32_e64 v8, s[6:7], s4, v4
	s_or_b64 s[12:13], vcc, s[12:13]
	v_mov_b32_e32 v9, v26
	v_mov_b32_e32 v10, v27
	s_waitcnt vmcnt(0)
	v_mov_b32_e32 v11, v2
	s_andn2_b64 exec, exec, s[12:13]
	s_cbranch_execnz .LBB168_29
; %bb.30:                               ;   in Loop: Header=BB168_6 Depth=1
	s_or_b64 exec, exec, s[12:13]
	v_mov_b32_e32 v11, v2
.LBB168_31:                             ;   in Loop: Header=BB168_6 Depth=1
	s_or_b64 exec, exec, s[10:11]
.LBB168_32:                             ;   in Loop: Header=BB168_6 Depth=1
	s_or_b64 exec, exec, s[8:9]
	v_lshlrev_b32_e32 v2, 1, v8
	s_waitcnt vmcnt(0)
	ds_write_b16 v2, v11
.LBB168_33:                             ;   in Loop: Header=BB168_6 Depth=1
	s_or_b64 exec, exec, s[2:3]
	s_waitcnt lgkmcnt(0)
	s_barrier
	s_mov_b64 s[2:3], exec
	v_readlane_b32 s4, v49, 8
	v_readlane_b32 s5, v49, 9
	s_and_b64 s[4:5], s[2:3], s[4:5]
	s_mov_b64 exec, s[4:5]
; %bb.34:                               ;   in Loop: Header=BB168_6 Depth=1
	v_mov_b32_e32 v4, s28
	v_mov_b32_e32 v5, s29
	ds_write_b64 v3, v[4:5] offset:5120
; %bb.35:                               ;   in Loop: Header=BB168_6 Depth=1
	s_or_b64 exec, exec, s[2:3]
	s_mov_b64 s[4:5], -1
	s_waitcnt lgkmcnt(0)
	s_barrier
.LBB168_36:                             ;   in Loop: Header=BB168_6 Depth=1
	s_mov_b64 s[12:13], 0
	s_and_b64 vcc, exec, s[4:5]
	s_cbranch_vccz .LBB168_38
; %bb.37:                               ;   in Loop: Header=BB168_6 Depth=1
	ds_read_b64 v[4:5], v3 offset:5120
	s_waitcnt lgkmcnt(0)
	v_readfirstlane_b32 s12, v4
.LBB168_38:                             ;   in Loop: Header=BB168_6 Depth=1
	s_cmp_lt_i32 s12, 1
	s_mov_b64 s[2:3], -1
                                        ; implicit-def: $vgpr4_vgpr5
                                        ; implicit-def: $vgpr8_vgpr9
	s_cbranch_scc0 .LBB168_53
; %bb.39:                               ;   in Loop: Header=BB168_6 Depth=1
	v_readlane_b32 s2, v49, 37
	v_readlane_b32 s3, v49, 38
	s_nop 4
	global_load_ushort v2, v3, s[2:3]
	s_mov_b32 s2, s55
	s_waitcnt vmcnt(0)
	v_readfirstlane_b32 s3, v2
	s_and_b32 s10, s3, 0xffff
	s_lshl_b32 s8, s10, 2
	s_mov_b32 s3, s29
	s_cmp_lg_u64 s[2:3], 0
	s_cbranch_scc0 .LBB168_71
; %bb.40:                               ;   in Loop: Header=BB168_6 Depth=1
	v_cvt_f32_u32_e32 v2, s8
	s_sub_u32 s4, 0, s8
	s_subb_u32 s5, 0, 0
	v_mac_f32_e32 v2, 0, v41
	v_rcp_f32_e32 v2, v2
	v_mul_f32_e32 v2, 0x5f7ffffc, v2
	v_mul_f32_e32 v4, 0x2f800000, v2
	v_trunc_f32_e32 v4, v4
	v_mac_f32_e32 v2, 0xcf800000, v4
	v_cvt_u32_f32_e32 v4, v4
	v_cvt_u32_f32_e32 v2, v2
	v_readfirstlane_b32 s6, v4
	v_readfirstlane_b32 s2, v2
	s_mul_i32 s3, s4, s6
	s_mul_hi_u32 s9, s4, s2
	s_mul_i32 s7, s5, s2
	s_add_i32 s3, s9, s3
	s_mul_i32 s11, s4, s2
	s_add_i32 s3, s3, s7
	s_mul_hi_u32 s9, s2, s11
	s_mul_i32 s13, s2, s3
	s_mul_hi_u32 s7, s2, s3
	s_add_u32 s9, s9, s13
	s_addc_u32 s7, 0, s7
	s_mul_hi_u32 s14, s6, s11
	s_mul_i32 s11, s6, s11
	s_add_u32 s9, s9, s11
	s_mul_hi_u32 s13, s6, s3
	s_addc_u32 s7, s7, s14
	s_addc_u32 s9, s13, 0
	s_mul_i32 s3, s6, s3
	s_add_u32 s3, s7, s3
	s_addc_u32 s7, 0, s9
	s_add_u32 s9, s2, s3
	s_cselect_b64 s[2:3], -1, 0
	s_cmp_lg_u64 s[2:3], 0
	s_addc_u32 s6, s6, s7
	s_mul_i32 s2, s4, s6
	s_mul_hi_u32 s3, s4, s9
	s_add_i32 s2, s3, s2
	s_mul_i32 s5, s5, s9
	s_add_i32 s2, s2, s5
	s_mul_i32 s4, s4, s9
	s_mul_hi_u32 s5, s6, s4
	s_mul_i32 s7, s6, s4
	s_mul_i32 s13, s9, s2
	s_mul_hi_u32 s4, s9, s4
	s_mul_hi_u32 s11, s9, s2
	s_add_u32 s4, s4, s13
	s_addc_u32 s11, 0, s11
	s_add_u32 s4, s4, s7
	s_mul_hi_u32 s3, s6, s2
	s_addc_u32 s4, s11, s5
	s_addc_u32 s3, s3, 0
	s_mul_i32 s2, s6, s2
	s_add_u32 s2, s4, s2
	s_addc_u32 s4, 0, s3
	s_add_u32 s5, s9, s2
	s_cselect_b64 s[2:3], -1, 0
	s_cmp_lg_u64 s[2:3], 0
	s_addc_u32 s2, s6, s4
	s_mul_i32 s4, s28, s2
	s_mul_hi_u32 s6, s28, s5
	s_mul_hi_u32 s3, s28, s2
	s_add_u32 s4, s6, s4
	s_addc_u32 s3, 0, s3
	s_mul_hi_u32 s7, s29, s5
	s_mul_i32 s5, s29, s5
	s_add_u32 s4, s4, s5
	s_mul_hi_u32 s6, s29, s2
	s_addc_u32 s3, s3, s7
	s_addc_u32 s4, s6, 0
	s_mul_i32 s2, s29, s2
	s_add_u32 s2, s3, s2
	s_addc_u32 s3, 0, s4
	s_mul_i32 s3, s8, s3
	s_mul_hi_u32 s4, s8, s2
	s_add_i32 s4, s4, s3
	s_mul_i32 s2, s8, s2
	s_sub_u32 s5, s28, s2
	s_cselect_b64 s[2:3], -1, 0
	s_cmp_lg_u64 s[2:3], 0
	s_subb_u32 s4, s29, s4
	s_sub_u32 s6, s5, s8
	s_cselect_b64 s[2:3], -1, 0
	s_cmp_lg_u64 s[2:3], 0
	s_subb_u32 s7, s4, 0
	;; [unrolled: 4-line block ×3, first 2 shown]
	s_cmp_ge_u32 s6, s8
	s_cselect_b32 s3, -1, 0
	s_cmp_eq_u32 s7, 0
	s_cselect_b32 s3, s3, -1
	s_cmp_lg_u32 s3, 0
	s_cselect_b32 s2, s2, s7
	s_cselect_b32 s6, s9, s6
	s_cmp_ge_u32 s5, s8
	s_cselect_b32 s3, -1, 0
	s_cmp_eq_u32 s4, 0
	s_cselect_b32 s3, s3, -1
	s_cmp_lg_u32 s3, 0
	s_cselect_b32 s3, s2, s4
	s_cselect_b32 s2, s6, s5
	s_cbranch_execnz .LBB168_42
.LBB168_41:                             ;   in Loop: Header=BB168_6 Depth=1
	v_cvt_f32_u32_e32 v2, s8
	s_sub_i32 s2, 0, s8
	v_rcp_iflag_f32_e32 v2, v2
	v_mul_f32_e32 v2, 0x4f7ffffe, v2
	v_cvt_u32_f32_e32 v2, v2
	v_readfirstlane_b32 s3, v2
	s_mul_i32 s2, s2, s3
	s_mul_hi_u32 s2, s3, s2
	s_add_i32 s3, s3, s2
	s_mul_hi_u32 s2, s28, s3
	s_mul_i32 s2, s2, s8
	s_sub_i32 s2, s28, s2
	s_sub_i32 s3, s2, s8
	s_cmp_ge_u32 s2, s8
	s_cselect_b32 s2, s3, s2
	s_sub_i32 s3, s2, s8
	s_cmp_ge_u32 s2, s8
	s_cselect_b32 s54, s3, s2
	s_mov_b64 s[2:3], s[54:55]
	v_readlane_b32 s54, v49, 47
.LBB168_42:                             ;   in Loop: Header=BB168_6 Depth=1
	s_sub_u32 s2, s28, s2
	s_subb_u32 s3, s29, s3
	v_cmp_gt_u64_e32 vcc, s[2:3], v[20:21]
	v_mov_b32_e32 v4, 0
	v_mov_b32_e32 v6, 0
	;; [unrolled: 1-line block ×8, first 2 shown]
	s_and_saveexec_b64 s[14:15], vcc
	s_cbranch_execz .LBB168_46
; %bb.43:                               ;   in Loop: Header=BB168_6 Depth=1
	s_mul_i32 s4, s71, s10
	s_mul_hi_u32 s5, s70, s10
	v_mov_b32_e32 v27, v21
	s_add_i32 s4, s5, s4
	s_mov_b64 s[20:21], 0
	s_mov_b64 s[36:37], s[50:51]
	;; [unrolled: 1-line block ×6, first 2 shown]
	v_mov_b32_e32 v26, v20
.LBB168_44:                             ;   Parent Loop BB168_6 Depth=1
                                        ; =>  This Inner Loop Header: Depth=2
	v_add_co_u32_e32 v4, vcc, s36, v22
	v_mov_b32_e32 v2, s37
	v_addc_co_u32_e32 v5, vcc, v2, v23, vcc
	global_load_sshort v6, v[4:5], off
	v_add_co_u32_e32 v4, vcc, s36, v19
	v_addc_co_u32_e32 v5, vcc, v2, v35, vcc
	global_load_sshort v7, v[4:5], off
	v_add_co_u32_e32 v4, vcc, s36, v18
	;; [unrolled: 3-line block ×3, first 2 shown]
	v_addc_co_u32_e32 v5, vcc, v2, v33, vcc
	global_load_sshort v2, v[4:5], off
	s_waitcnt vmcnt(3)
	v_add_u32_e32 v4, 0x8000, v6
	s_waitcnt vmcnt(2)
	v_add_u32_e32 v5, 0x8000, v7
	v_and_b32_e32 v7, v4, v43
	v_bfe_u32 v4, v4, s63, 2
	v_cmp_eq_u32_e32 vcc, v7, v37
	v_and_b32_e32 v7, v5, v43
	s_waitcnt vmcnt(1)
	v_add_u32_e32 v6, 0x8000, v8
	v_bfe_u32 v5, v5, s63, 2
	v_cmp_eq_u32_e64 s[24:25], 0, v4
	v_cmp_eq_u32_e64 s[6:7], v7, v37
	v_and_b32_e32 v7, v6, v43
	s_waitcnt vmcnt(0)
	v_add_u32_e32 v2, 0x8000, v2
	v_bfe_u32 v6, v6, s63, 2
	s_and_b64 s[16:17], vcc, s[24:25]
	v_cmp_eq_u32_e64 s[24:25], 0, v5
	v_cmp_eq_u32_e64 s[18:19], v7, v37
	v_and_b32_e32 v7, v2, v43
	v_bfe_u32 v2, v2, s63, 2
	s_and_b64 s[40:41], s[6:7], s[24:25]
	v_cmp_eq_u32_e64 s[24:25], 0, v6
	v_cmp_eq_u32_e64 s[22:23], v7, v37
	s_and_b64 s[48:49], s[18:19], s[24:25]
	v_cmp_eq_u32_e64 s[24:25], 0, v2
	v_cndmask_b32_e64 v7, 0, 1, s[16:17]
	s_and_b64 s[52:53], s[22:23], s[24:25]
	v_cmp_ne_u32_e64 s[24:25], 0, v7
	v_cndmask_b32_e64 v7, 0, 1, s[40:41]
	s_bcnt1_i32_b64 s5, s[24:25]
	v_cmp_ne_u32_e64 s[24:25], 0, v7
	v_cndmask_b32_e64 v7, 0, 1, s[48:49]
	s_bcnt1_i32_b64 s9, s[24:25]
	;; [unrolled: 3-line block ×3, first 2 shown]
	v_cmp_ne_u32_e64 s[24:25], 0, v7
	s_bcnt1_i32_b64 s13, s[24:25]
	s_add_u32 s5, s5, s46
	s_addc_u32 s16, 0, s47
	s_add_u32 s5, s5, s9
	s_addc_u32 s9, s16, 0
	;; [unrolled: 2-line block ×3, first 2 shown]
	s_add_u32 s46, s5, s13
	v_cmp_eq_u32_e64 s[24:25], 1, v4
	s_addc_u32 s47, s9, 0
	s_and_b64 s[16:17], vcc, s[24:25]
	v_cmp_eq_u32_e64 s[24:25], 1, v5
	s_and_b64 s[40:41], s[6:7], s[24:25]
	v_cmp_eq_u32_e64 s[24:25], 1, v6
	s_and_b64 s[48:49], s[18:19], s[24:25]
	v_cmp_eq_u32_e64 s[24:25], 1, v2
	v_cndmask_b32_e64 v7, 0, 1, s[16:17]
	s_and_b64 s[52:53], s[22:23], s[24:25]
	v_cmp_ne_u32_e64 s[24:25], 0, v7
	v_cndmask_b32_e64 v7, 0, 1, s[40:41]
	s_bcnt1_i32_b64 s5, s[24:25]
	v_cmp_ne_u32_e64 s[24:25], 0, v7
	v_cndmask_b32_e64 v7, 0, 1, s[48:49]
	s_bcnt1_i32_b64 s9, s[24:25]
	;; [unrolled: 3-line block ×3, first 2 shown]
	v_cmp_ne_u32_e64 s[24:25], 0, v7
	s_bcnt1_i32_b64 s13, s[24:25]
	s_add_u32 s5, s5, s44
	s_addc_u32 s16, 0, s45
	s_add_u32 s5, s5, s9
	s_addc_u32 s9, s16, 0
	s_add_u32 s5, s5, s11
	s_addc_u32 s9, s9, 0
	s_add_u32 s44, s5, s13
	v_cmp_eq_u32_e64 s[24:25], 2, v4
	s_addc_u32 s45, s9, 0
	s_and_b64 s[16:17], vcc, s[24:25]
	v_cmp_eq_u32_e64 s[24:25], 2, v5
	s_and_b64 s[40:41], s[6:7], s[24:25]
	v_cmp_eq_u32_e64 s[24:25], 2, v6
	s_and_b64 s[48:49], s[18:19], s[24:25]
	v_cmp_eq_u32_e64 s[24:25], 2, v2
	v_cndmask_b32_e64 v7, 0, 1, s[16:17]
	s_and_b64 s[52:53], s[22:23], s[24:25]
	v_cmp_ne_u32_e64 s[24:25], 0, v7
	v_cndmask_b32_e64 v7, 0, 1, s[40:41]
	s_bcnt1_i32_b64 s5, s[24:25]
	v_cmp_ne_u32_e64 s[24:25], 0, v7
	v_cndmask_b32_e64 v7, 0, 1, s[48:49]
	s_bcnt1_i32_b64 s9, s[24:25]
	;; [unrolled: 3-line block ×3, first 2 shown]
	v_cmp_ne_u32_e64 s[24:25], 0, v7
	s_bcnt1_i32_b64 s13, s[24:25]
	s_add_u32 s5, s5, s42
	s_addc_u32 s16, 0, s43
	s_add_u32 s5, s5, s9
	s_addc_u32 s9, s16, 0
	;; [unrolled: 2-line block ×3, first 2 shown]
	s_add_u32 s42, s5, s13
	v_cmp_eq_u32_e64 s[24:25], 3, v4
	s_addc_u32 s43, s9, 0
	s_and_b64 s[16:17], vcc, s[24:25]
	v_cmp_eq_u32_e32 vcc, 3, v5
	s_and_b64 s[6:7], s[6:7], vcc
	v_cmp_eq_u32_e32 vcc, 3, v6
	s_and_b64 s[18:19], s[18:19], vcc
	v_cmp_eq_u32_e32 vcc, 3, v2
	v_cndmask_b32_e64 v2, 0, 1, s[16:17]
	s_and_b64 s[22:23], s[22:23], vcc
	v_cmp_ne_u32_e32 vcc, 0, v2
	v_cndmask_b32_e64 v2, 0, 1, s[6:7]
	s_bcnt1_i32_b64 s5, vcc
	v_cmp_ne_u32_e32 vcc, 0, v2
	v_cndmask_b32_e64 v2, 0, 1, s[18:19]
	s_bcnt1_i32_b64 s6, vcc
	;; [unrolled: 3-line block ×3, first 2 shown]
	v_cmp_ne_u32_e32 vcc, 0, v2
	s_bcnt1_i32_b64 s9, vcc
	s_add_u32 s5, s5, s38
	s_addc_u32 s11, 0, s39
	s_add_u32 s5, s5, s6
	s_addc_u32 s6, s11, 0
	s_add_u32 s5, s5, s7
	s_addc_u32 s6, s6, 0
	s_add_u32 s38, s5, s9
	v_add_co_u32_e32 v26, vcc, s8, v26
	s_addc_u32 s39, s6, 0
	v_addc_co_u32_e32 v27, vcc, 0, v27, vcc
	s_mul_i32 s5, s70, s10
	s_add_u32 s36, s36, s5
	v_cmp_le_u64_e32 vcc, s[2:3], v[26:27]
	s_addc_u32 s37, s37, s4
	v_mov_b32_e32 v4, s46
	v_mov_b32_e32 v6, s44
	;; [unrolled: 1-line block ×4, first 2 shown]
	s_or_b64 s[20:21], vcc, s[20:21]
	v_mov_b32_e32 v5, s47
	v_mov_b32_e32 v7, s45
	;; [unrolled: 1-line block ×4, first 2 shown]
	s_andn2_b64 exec, exec, s[20:21]
	s_cbranch_execnz .LBB168_44
; %bb.45:                               ;   in Loop: Header=BB168_6 Depth=1
	s_or_b64 exec, exec, s[20:21]
	v_readlane_b32 s52, v49, 45
	v_readlane_b32 s53, v49, 46
.LBB168_46:                             ;   in Loop: Header=BB168_6 Depth=1
	s_or_b64 exec, exec, s[14:15]
	v_mov_b32_e32 v2, s3
	v_add_co_u32_e32 v26, vcc, s2, v0
	v_addc_co_u32_e32 v27, vcc, 0, v2, vcc
	v_cmp_gt_u64_e32 vcc, s[28:29], v[26:27]
	s_and_saveexec_b64 s[2:3], vcc
	s_cbranch_execz .LBB168_52
; %bb.47:                               ;   in Loop: Header=BB168_6 Depth=1
	v_mul_lo_u32 v2, v27, s26
	v_mul_lo_u32 v47, v26, s27
	v_mad_u64_u32 v[45:46], s[4:5], v26, s26, 0
	s_mov_b64 s[8:9], 0
	v_add3_u32 v46, v46, v47, v2
	v_lshlrev_b64 v[45:46], 1, v[45:46]
	v_mov_b32_e32 v2, s51
	v_add_co_u32_e32 v45, vcc, s50, v45
	v_addc_co_u32_e32 v46, vcc, v2, v46, vcc
	global_load_ushort v45, v[45:46], off
	s_branch .LBB168_49
.LBB168_48:                             ;   in Loop: Header=BB168_49 Depth=2
	s_or_b64 exec, exec, s[4:5]
	s_waitcnt vmcnt(0)
	v_add_u32_sdwa v45, sext(v45), s62 dst_sel:DWORD dst_unused:UNUSED_PAD src0_sel:WORD_0 src1_sel:DWORD
	s_and_b64 s[4:5], exec, vcc
	v_and_b32_e32 v46, v45, v43
	v_bfe_u32 v45, v45, s63, 2
	s_or_b64 s[8:9], s[4:5], s[8:9]
	v_cmp_eq_u32_e32 vcc, v46, v37
	v_cmp_eq_u32_e64 s[6:7], 0, v45
	s_and_b64 s[4:5], vcc, s[6:7]
	v_cndmask_b32_e64 v46, 0, 1, s[4:5]
	v_cmp_ne_u32_e64 s[6:7], 0, v46
	s_bcnt1_i32_b64 s4, s[6:7]
	v_add_co_u32_e64 v4, s[6:7], s4, v4
	v_addc_co_u32_e64 v5, s[6:7], 0, v5, s[6:7]
	v_cmp_eq_u32_e64 s[6:7], 1, v45
	s_and_b64 s[4:5], vcc, s[6:7]
	v_cndmask_b32_e64 v46, 0, 1, s[4:5]
	v_cmp_ne_u32_e64 s[6:7], 0, v46
	s_bcnt1_i32_b64 s4, s[6:7]
	v_add_co_u32_e64 v6, s[6:7], s4, v6
	v_addc_co_u32_e64 v7, s[6:7], 0, v7, s[6:7]
	;; [unrolled: 7-line block ×3, first 2 shown]
	v_cmp_eq_u32_e64 s[6:7], 3, v45
	s_and_b64 s[4:5], vcc, s[6:7]
	v_cndmask_b32_e64 v45, 0, 1, s[4:5]
	v_cmp_ne_u32_e32 vcc, 0, v45
	s_bcnt1_i32_b64 s4, vcc
	v_add_co_u32_e32 v10, vcc, s4, v10
	v_addc_co_u32_e32 v11, vcc, 0, v11, vcc
	v_mov_b32_e32 v45, v2
	s_andn2_b64 exec, exec, s[8:9]
	s_cbranch_execz .LBB168_51
.LBB168_49:                             ;   Parent Loop BB168_6 Depth=1
                                        ; =>  This Inner Loop Header: Depth=2
	v_add_co_u32_e32 v26, vcc, s10, v26
	v_addc_co_u32_e32 v27, vcc, 0, v27, vcc
	v_cmp_gt_u64_e64 s[6:7], s[28:29], v[26:27]
	v_cmp_le_u64_e32 vcc, s[28:29], v[26:27]
	v_mov_b32_e32 v2, 0
	s_and_saveexec_b64 s[4:5], s[6:7]
	s_cbranch_execz .LBB168_48
; %bb.50:                               ;   in Loop: Header=BB168_49 Depth=2
	v_mul_lo_u32 v2, v27, s26
	v_mul_lo_u32 v48, v26, s27
	v_mad_u64_u32 v[46:47], s[6:7], v26, s26, 0
	v_add3_u32 v47, v47, v48, v2
	v_lshlrev_b64 v[46:47], 1, v[46:47]
	v_mov_b32_e32 v2, s51
	v_add_co_u32_e64 v46, s[6:7], s50, v46
	v_addc_co_u32_e64 v47, s[6:7], v2, v47, s[6:7]
	global_load_ushort v2, v[46:47], off
	s_branch .LBB168_48
.LBB168_51:                             ;   in Loop: Header=BB168_6 Depth=1
	s_or_b64 exec, exec, s[8:9]
.LBB168_52:                             ;   in Loop: Header=BB168_6 Depth=1
	s_or_b64 exec, exec, s[2:3]
	s_mov_b64 s[2:3], 0
.LBB168_53:                             ;   in Loop: Header=BB168_6 Depth=1
	s_and_b64 vcc, exec, s[2:3]
	s_cbranch_vccz .LBB168_63
; %bb.54:                               ;   in Loop: Header=BB168_6 Depth=1
	v_readlane_b32 s2, v49, 37
	v_readlane_b32 s3, v49, 38
	v_mov_b32_e32 v8, 0
	v_mov_b32_e32 v9, 0
	s_nop 2
	global_load_ushort v2, v3, s[2:3]
	s_waitcnt vmcnt(0)
	v_readfirstlane_b32 s2, v2
	s_and_b32 s4, 0xffff, s2
	s_lshl_b32 s5, s4, 2
	v_cvt_f32_u32_e32 v4, s5
	s_sub_i32 s2, 0, s5
	v_rcp_iflag_f32_e32 v6, v4
	v_mov_b32_e32 v4, 0
	v_mov_b32_e32 v5, 0
	v_mul_f32_e32 v6, 0x4f7ffffe, v6
	v_cvt_u32_f32_e32 v10, v6
	v_mov_b32_e32 v6, 0
	v_mov_b32_e32 v7, 0
	v_readfirstlane_b32 s3, v10
	s_mul_i32 s2, s2, s3
	s_mul_hi_u32 s2, s3, s2
	s_add_i32 s3, s3, s2
	s_mul_hi_u32 s2, s12, s3
	s_mul_i32 s3, s2, s5
	s_sub_i32 s3, s12, s3
	s_add_i32 s6, s2, 1
	s_sub_i32 s7, s3, s5
	s_cmp_ge_u32 s3, s5
	s_cselect_b32 s2, s6, s2
	s_cselect_b32 s3, s7, s3
	s_add_i32 s6, s2, 1
	s_cmp_ge_u32 s3, s5
	s_cselect_b32 s2, s6, s2
	s_mul_hi_u32 s3, s4, s2
	s_mul_i32 s2, s4, s2
	s_lshl_b64 s[14:15], s[2:3], 2
	v_cmp_gt_u64_e32 vcc, s[14:15], v[20:21]
	v_mov_b32_e32 v10, 0
	v_mov_b32_e32 v11, 0
	s_and_saveexec_b64 s[20:21], vcc
	s_cbranch_execz .LBB168_58
; %bb.55:                               ;   in Loop: Header=BB168_6 Depth=1
	v_mov_b32_e32 v27, v21
	s_lshl_b32 s3, s4, 3
	s_mov_b64 s[36:37], 0
	v_mov_b32_e32 v45, v32
	s_mov_b64 s[38:39], 0
	s_mov_b64 s[42:43], 0
	;; [unrolled: 1-line block ×4, first 2 shown]
	v_mov_b32_e32 v26, v20
.LBB168_56:                             ;   Parent Loop BB168_6 Depth=1
                                        ; =>  This Inner Loop Header: Depth=2
	ds_read_b64 v[4:5], v45
	v_add_u32_e32 v45, s3, v45
	s_waitcnt lgkmcnt(0)
	v_add_u32_sdwa v6, sext(v4), s62 dst_sel:DWORD dst_unused:UNUSED_PAD src0_sel:WORD_0 src1_sel:DWORD
	v_add_u32_sdwa v4, sext(v4), s62 dst_sel:DWORD dst_unused:UNUSED_PAD src0_sel:WORD_1 src1_sel:DWORD
	v_and_b32_e32 v8, v6, v43
	v_bfe_u32 v6, v6, s63, 2
	v_add_u32_sdwa v7, sext(v5), s62 dst_sel:DWORD dst_unused:UNUSED_PAD src0_sel:WORD_0 src1_sel:DWORD
	v_cmp_eq_u32_e32 vcc, v8, v37
	v_and_b32_e32 v8, v4, v43
	v_bfe_u32 v4, v4, s63, 2
	v_cmp_eq_u32_e64 s[24:25], 0, v6
	v_add_u32_sdwa v5, sext(v5), s62 dst_sel:DWORD dst_unused:UNUSED_PAD src0_sel:WORD_1 src1_sel:DWORD
	v_cmp_eq_u32_e64 s[6:7], v8, v37
	v_and_b32_e32 v8, v7, v43
	v_bfe_u32 v7, v7, s63, 2
	s_and_b64 s[8:9], vcc, s[24:25]
	v_cmp_eq_u32_e64 s[24:25], 0, v4
	v_cmp_eq_u32_e64 s[18:19], v8, v37
	v_and_b32_e32 v8, v5, v43
	v_bfe_u32 v5, v5, s63, 2
	s_and_b64 s[10:11], s[6:7], s[24:25]
	v_cmp_eq_u32_e64 s[24:25], 0, v7
	v_cmp_eq_u32_e64 s[22:23], v8, v37
	s_and_b64 s[16:17], s[18:19], s[24:25]
	v_cmp_eq_u32_e64 s[24:25], 0, v5
	v_cndmask_b32_e64 v8, 0, 1, s[8:9]
	s_and_b64 s[40:41], s[22:23], s[24:25]
	v_cmp_ne_u32_e64 s[24:25], 0, v8
	v_cndmask_b32_e64 v8, 0, 1, s[10:11]
	s_bcnt1_i32_b64 s8, s[24:25]
	v_cmp_ne_u32_e64 s[24:25], 0, v8
	v_cndmask_b32_e64 v8, 0, 1, s[16:17]
	s_bcnt1_i32_b64 s9, s[24:25]
	;; [unrolled: 3-line block ×3, first 2 shown]
	v_cmp_ne_u32_e64 s[24:25], 0, v8
	s_bcnt1_i32_b64 s11, s[24:25]
	s_add_u32 s8, s8, s46
	s_addc_u32 s13, 0, s47
	s_add_u32 s8, s8, s9
	s_addc_u32 s9, s13, 0
	s_add_u32 s8, s8, s10
	s_addc_u32 s9, s9, 0
	s_add_u32 s46, s8, s11
	v_cmp_eq_u32_e64 s[24:25], 1, v6
	s_addc_u32 s47, s9, 0
	s_and_b64 s[8:9], vcc, s[24:25]
	v_cmp_eq_u32_e64 s[24:25], 1, v4
	s_and_b64 s[10:11], s[6:7], s[24:25]
	v_cmp_eq_u32_e64 s[24:25], 1, v7
	s_and_b64 s[16:17], s[18:19], s[24:25]
	v_cmp_eq_u32_e64 s[24:25], 1, v5
	v_cndmask_b32_e64 v8, 0, 1, s[8:9]
	s_and_b64 s[40:41], s[22:23], s[24:25]
	v_cmp_ne_u32_e64 s[24:25], 0, v8
	v_cndmask_b32_e64 v8, 0, 1, s[10:11]
	s_bcnt1_i32_b64 s8, s[24:25]
	v_cmp_ne_u32_e64 s[24:25], 0, v8
	v_cndmask_b32_e64 v8, 0, 1, s[16:17]
	s_bcnt1_i32_b64 s9, s[24:25]
	;; [unrolled: 3-line block ×3, first 2 shown]
	v_cmp_ne_u32_e64 s[24:25], 0, v8
	s_bcnt1_i32_b64 s11, s[24:25]
	s_add_u32 s8, s8, s44
	s_addc_u32 s13, 0, s45
	s_add_u32 s8, s8, s9
	s_addc_u32 s9, s13, 0
	;; [unrolled: 2-line block ×3, first 2 shown]
	s_add_u32 s44, s8, s11
	v_cmp_eq_u32_e64 s[24:25], 2, v6
	s_addc_u32 s45, s9, 0
	s_and_b64 s[8:9], vcc, s[24:25]
	v_cmp_eq_u32_e64 s[24:25], 2, v4
	s_and_b64 s[10:11], s[6:7], s[24:25]
	v_cmp_eq_u32_e64 s[24:25], 2, v7
	s_and_b64 s[16:17], s[18:19], s[24:25]
	v_cmp_eq_u32_e64 s[24:25], 2, v5
	v_cndmask_b32_e64 v8, 0, 1, s[8:9]
	s_and_b64 s[40:41], s[22:23], s[24:25]
	v_cmp_ne_u32_e64 s[24:25], 0, v8
	v_cndmask_b32_e64 v8, 0, 1, s[10:11]
	s_bcnt1_i32_b64 s8, s[24:25]
	v_cmp_ne_u32_e64 s[24:25], 0, v8
	v_cndmask_b32_e64 v8, 0, 1, s[16:17]
	s_bcnt1_i32_b64 s9, s[24:25]
	;; [unrolled: 3-line block ×3, first 2 shown]
	v_cmp_ne_u32_e64 s[24:25], 0, v8
	s_bcnt1_i32_b64 s11, s[24:25]
	s_add_u32 s8, s8, s42
	s_addc_u32 s13, 0, s43
	s_add_u32 s8, s8, s9
	s_addc_u32 s9, s13, 0
	;; [unrolled: 2-line block ×3, first 2 shown]
	s_add_u32 s42, s8, s11
	v_cmp_eq_u32_e64 s[24:25], 3, v6
	s_addc_u32 s43, s9, 0
	s_and_b64 s[8:9], vcc, s[24:25]
	v_cmp_eq_u32_e32 vcc, 3, v4
	s_and_b64 s[6:7], s[6:7], vcc
	v_cmp_eq_u32_e32 vcc, 3, v7
	s_and_b64 s[10:11], s[18:19], vcc
	v_cmp_eq_u32_e32 vcc, 3, v5
	v_cndmask_b32_e64 v4, 0, 1, s[8:9]
	s_and_b64 s[16:17], s[22:23], vcc
	v_cmp_ne_u32_e32 vcc, 0, v4
	v_cndmask_b32_e64 v4, 0, 1, s[6:7]
	s_bcnt1_i32_b64 s8, vcc
	v_cmp_ne_u32_e32 vcc, 0, v4
	v_cndmask_b32_e64 v4, 0, 1, s[10:11]
	s_bcnt1_i32_b64 s6, vcc
	;; [unrolled: 3-line block ×3, first 2 shown]
	v_cmp_ne_u32_e32 vcc, 0, v4
	s_bcnt1_i32_b64 s9, vcc
	s_add_u32 s8, s8, s38
	s_addc_u32 s10, 0, s39
	s_add_u32 s6, s8, s6
	s_addc_u32 s8, s10, 0
	s_add_u32 s6, s6, s7
	v_add_co_u32_e32 v26, vcc, s5, v26
	s_addc_u32 s7, s8, 0
	v_addc_co_u32_e32 v27, vcc, 0, v27, vcc
	s_add_u32 s38, s6, s9
	v_cmp_le_u64_e32 vcc, s[14:15], v[26:27]
	s_addc_u32 s39, s7, 0
	v_mov_b32_e32 v4, s46
	v_mov_b32_e32 v6, s44
	v_mov_b32_e32 v8, s42
	v_mov_b32_e32 v10, s38
	s_or_b64 s[36:37], vcc, s[36:37]
	v_mov_b32_e32 v5, s47
	v_mov_b32_e32 v7, s45
	;; [unrolled: 1-line block ×4, first 2 shown]
	s_andn2_b64 exec, exec, s[36:37]
	s_cbranch_execnz .LBB168_56
; %bb.57:                               ;   in Loop: Header=BB168_6 Depth=1
	s_or_b64 exec, exec, s[36:37]
.LBB168_58:                             ;   in Loop: Header=BB168_6 Depth=1
	s_or_b64 exec, exec, s[20:21]
	v_mov_b32_e32 v27, s15
	v_add_co_u32_e32 v26, vcc, s14, v0
	s_and_b32 s54, s12, 0x7fffffff
	v_addc_co_u32_e32 v27, vcc, 0, v27, vcc
	v_cmp_gt_u64_e32 vcc, s[54:55], v[26:27]
	s_and_saveexec_b64 s[8:9], vcc
	s_cbranch_execz .LBB168_62
; %bb.59:                               ;   in Loop: Header=BB168_6 Depth=1
	v_lshl_add_u32 v45, s2, 3, v39
	s_lshl_b32 s4, s4, 1
	s_mov_b64 s[2:3], 0
.LBB168_60:                             ;   Parent Loop BB168_6 Depth=1
                                        ; =>  This Inner Loop Header: Depth=2
	ds_read_i16 v46, v45
	v_add_u32_e32 v45, s4, v45
	s_waitcnt lgkmcnt(0)
	v_add_u32_e32 v46, 0x8000, v46
	v_and_b32_e32 v47, v46, v43
	v_bfe_u32 v46, v46, s63, 2
	v_cmp_eq_u32_e32 vcc, v47, v37
	v_cmp_eq_u32_e64 s[6:7], 0, v46
	s_and_b64 s[6:7], vcc, s[6:7]
	v_cndmask_b32_e64 v47, 0, 1, s[6:7]
	v_cmp_ne_u32_e64 s[6:7], 0, v47
	s_bcnt1_i32_b64 s5, s[6:7]
	v_add_co_u32_e64 v4, s[6:7], s5, v4
	v_addc_co_u32_e64 v5, s[6:7], 0, v5, s[6:7]
	v_cmp_eq_u32_e64 s[6:7], 1, v46
	s_and_b64 s[6:7], vcc, s[6:7]
	v_cndmask_b32_e64 v47, 0, 1, s[6:7]
	v_cmp_ne_u32_e64 s[6:7], 0, v47
	s_bcnt1_i32_b64 s5, s[6:7]
	v_add_co_u32_e64 v6, s[6:7], s5, v6
	v_addc_co_u32_e64 v7, s[6:7], 0, v7, s[6:7]
	;; [unrolled: 7-line block ×3, first 2 shown]
	v_cmp_eq_u32_e64 s[6:7], 3, v46
	s_and_b64 s[6:7], vcc, s[6:7]
	v_cndmask_b32_e64 v46, 0, 1, s[6:7]
	v_cmp_ne_u32_e32 vcc, 0, v46
	s_bcnt1_i32_b64 s5, vcc
	v_add_co_u32_e32 v10, vcc, s5, v10
	v_addc_co_u32_e32 v11, vcc, 0, v11, vcc
	v_add_co_u32_sdwa v26, vcc, v26, v2 dst_sel:DWORD dst_unused:UNUSED_PAD src0_sel:DWORD src1_sel:WORD_0
	v_addc_co_u32_e32 v27, vcc, 0, v27, vcc
	v_cmp_le_u64_e32 vcc, s[54:55], v[26:27]
	s_or_b64 s[2:3], vcc, s[2:3]
	s_andn2_b64 exec, exec, s[2:3]
	s_cbranch_execnz .LBB168_60
; %bb.61:                               ;   in Loop: Header=BB168_6 Depth=1
	s_or_b64 exec, exec, s[2:3]
.LBB168_62:                             ;   in Loop: Header=BB168_6 Depth=1
	s_or_b64 exec, exec, s[8:9]
	v_readlane_b32 s54, v49, 47
.LBB168_63:                             ;   in Loop: Header=BB168_6 Depth=1
	v_readlane_b32 s2, v49, 44
	s_lshl_b32 s4, s2, 6
	s_and_saveexec_b64 s[2:3], s[0:1]
	s_cbranch_execz .LBB168_65
; %bb.64:                               ;   in Loop: Header=BB168_6 Depth=1
	v_lshl_add_u32 v2, s4, 3, v36
	ds_write_b128 v2, v[4:7]
	ds_write_b128 v2, v[8:11] offset:16
.LBB168_65:                             ;   in Loop: Header=BB168_6 Depth=1
	s_or_b64 exec, exec, s[2:3]
	s_waitcnt lgkmcnt(0)
	s_barrier
	s_mov_b64 s[2:3], exec
	v_readlane_b32 s6, v49, 18
	v_readlane_b32 s7, v49, 19
	s_and_b64 s[6:7], s[2:3], s[6:7]
	s_mov_b64 exec, s[6:7]
	s_cbranch_execz .LBB168_77
; %bb.66:                               ;   in Loop: Header=BB168_6 Depth=1
	v_readlane_b32 s6, v49, 30
	v_mov_b32_e32 v4, 0
	v_readlane_b32 s7, v49, 31
	v_mov_b32_e32 v5, 0
	s_andn2_b64 vcc, exec, s[6:7]
	s_cbranch_vccnz .LBB168_76
; %bb.67:                               ;   in Loop: Header=BB168_6 Depth=1
	v_readlane_b32 s6, v49, 39
	v_readlane_b32 s7, v49, 40
	s_andn2_b64 vcc, exec, s[6:7]
	s_cbranch_vccnz .LBB168_72
; %bb.68:                               ;   in Loop: Header=BB168_6 Depth=1
	v_readlane_b32 s5, v49, 44
	v_mov_b32_e32 v4, 0
	v_lshl_add_u32 v2, s5, 9, v38
	v_mov_b32_e32 v5, 0
	s_mov_b32 s5, 0
.LBB168_69:                             ;   Parent Loop BB168_6 Depth=1
                                        ; =>  This Inner Loop Header: Depth=2
	ds_read2_b64 v[6:9], v2 offset1:4
	s_add_i32 s5, s5, 8
	s_cmp_eq_u32 s68, s5
	s_waitcnt lgkmcnt(0)
	v_add_co_u32_e32 v4, vcc, v6, v4
	v_addc_co_u32_e32 v5, vcc, v7, v5, vcc
	v_add_co_u32_e32 v8, vcc, v8, v4
	v_addc_co_u32_e32 v9, vcc, v9, v5, vcc
	ds_read2_b64 v[4:7], v2 offset0:8 offset1:12
	s_waitcnt lgkmcnt(0)
	v_add_co_u32_e32 v4, vcc, v4, v8
	v_addc_co_u32_e32 v5, vcc, v5, v9, vcc
	v_add_co_u32_e32 v8, vcc, v6, v4
	v_addc_co_u32_e32 v9, vcc, v7, v5, vcc
	ds_read2_b64 v[4:7], v2 offset0:16 offset1:20
	;; [unrolled: 6-line block ×3, first 2 shown]
	v_add_u32_e32 v2, 0x100, v2
	s_waitcnt lgkmcnt(0)
	v_add_co_u32_e32 v4, vcc, v4, v8
	v_addc_co_u32_e32 v5, vcc, v5, v9, vcc
	v_add_co_u32_e32 v4, vcc, v6, v4
	v_addc_co_u32_e32 v5, vcc, v7, v5, vcc
	s_cbranch_scc0 .LBB168_69
; %bb.70:                               ;   in Loop: Header=BB168_6 Depth=1
	s_mov_b32 s5, s68
	s_branch .LBB168_73
.LBB168_71:                             ;   in Loop: Header=BB168_6 Depth=1
                                        ; implicit-def: $sgpr2_sgpr3
	s_branch .LBB168_41
.LBB168_72:                             ;   in Loop: Header=BB168_6 Depth=1
	v_mov_b32_e32 v4, 0
	v_mov_b32_e32 v5, 0
	s_mov_b32 s5, 0
.LBB168_73:                             ;   in Loop: Header=BB168_6 Depth=1
	v_readlane_b32 s6, v49, 42
	v_readlane_b32 s7, v49, 43
	s_andn2_b64 vcc, exec, s[6:7]
	s_cbranch_vccnz .LBB168_76
; %bb.74:                               ;   in Loop: Header=BB168_6 Depth=1
	v_readlane_b32 s6, v49, 44
	s_lshl_b32 s6, s6, 9
	s_lshl_b32 s5, s5, 5
	s_add_i32 s6, s6, s5
	v_add_u32_e32 v2, s6, v38
	v_readlane_b32 s5, v49, 41
.LBB168_75:                             ;   Parent Loop BB168_6 Depth=1
                                        ; =>  This Inner Loop Header: Depth=2
	ds_read_b64 v[6:7], v2
	s_add_i32 s5, s5, -1
	v_add_u32_e32 v2, 32, v2
	s_cmp_lg_u32 s5, 0
	s_waitcnt lgkmcnt(0)
	v_add_co_u32_e32 v4, vcc, v6, v4
	v_addc_co_u32_e32 v5, vcc, v7, v5, vcc
	s_cbranch_scc1 .LBB168_75
.LBB168_76:                             ;   in Loop: Header=BB168_6 Depth=1
	v_add_lshl_u32 v2, s4, v31, 3
	ds_write_b64 v2, v[4:5] offset:3072
.LBB168_77:                             ;   in Loop: Header=BB168_6 Depth=1
	s_or_b64 exec, exec, s[2:3]
	s_lshl_b32 s2, s4, 3
	v_mov_b32_e32 v2, s2
	s_waitcnt lgkmcnt(0)
	s_barrier
	ds_read_b128 v[4:7], v2 offset:3072
	ds_read_b128 v[8:11], v2 offset:3088
	s_lshl_b32 s60, 3, s63
	v_cmp_eq_u64_e64 s[18:19], 1, v[24:25]
	s_not_b32 s61, s60
	s_waitcnt lgkmcnt(1)
	v_readfirstlane_b32 s23, v5
	v_readfirstlane_b32 s22, v4
	;; [unrolled: 1-line block ×4, first 2 shown]
	s_waitcnt lgkmcnt(0)
	v_readfirstlane_b32 s43, v9
	v_readfirstlane_b32 s42, v8
	;; [unrolled: 1-line block ×4, first 2 shown]
	s_mov_b64 s[2:3], -1
	s_mov_b64 s[24:25], 0
	s_andn2_b64 vcc, exec, s[52:53]
	s_mov_b64 s[48:49], 0
	s_mov_b64 s[46:47], 0
                                        ; implicit-def: $sgpr14_sgpr15
                                        ; implicit-def: $sgpr12_sgpr13
                                        ; implicit-def: $vgpr4_vgpr5
                                        ; implicit-def: $vgpr2
                                        ; implicit-def: $vgpr11
                                        ; implicit-def: $vgpr10
                                        ; implicit-def: $vgpr8
	s_cbranch_vccnz .LBB168_272
; %bb.78:                               ;   in Loop: Header=BB168_6 Depth=1
	s_cmp_eq_u64 s[22:23], 1
	s_cselect_b64 s[2:3], -1, 0
	s_and_b64 s[6:7], s[2:3], s[18:19]
	s_mov_b64 s[4:5], -1
	v_mov_b32_e32 v11, v37
	v_mov_b32_e32 v10, v43
	;; [unrolled: 1-line block ×3, first 2 shown]
                                        ; implicit-def: $sgpr12_sgpr13
                                        ; implicit-def: $sgpr14_sgpr15
	s_and_saveexec_b64 s[2:3], s[6:7]
	s_cbranch_execz .LBB168_113
; %bb.79:                               ;   in Loop: Header=BB168_6 Depth=1
	ds_read_b64 v[4:5], v3 offset:5120
	s_waitcnt lgkmcnt(0)
	s_barrier
	v_readfirstlane_b32 s10, v4
	v_readfirstlane_b32 s11, v5
	s_mov_b64 s[4:5], exec
	v_readlane_b32 s8, v49, 28
	v_readlane_b32 s9, v49, 29
	s_and_b64 s[8:9], s[4:5], s[8:9]
	s_mov_b64 exec, s[8:9]
; %bb.80:                               ;   in Loop: Header=BB168_6 Depth=1
	ds_write_b16 v40, v3
; %bb.81:                               ;   in Loop: Header=BB168_6 Depth=1
	s_or_b64 exec, exec, s[4:5]
	v_and_b32_e32 v11, s61, v37
	v_or_b32_e32 v10, s60, v43
	s_mov_b64 s[14:15], -1
	s_mov_b64 s[12:13], 0
	s_cmp_eq_u64 s[10:11], 0
	s_mov_b64 s[8:9], 0
	s_mov_b64 s[16:17], -1
	s_waitcnt lgkmcnt(0)
	s_barrier
                                        ; implicit-def: $vgpr8
	s_cbranch_scc1 .LBB168_98
; %bb.82:                               ;   in Loop: Header=BB168_6 Depth=1
	v_readlane_b32 s4, v49, 32
	s_add_u32 s20, s10, s4
	v_readlane_b32 s4, v49, 34
	s_addc_u32 s9, s11, s4
	s_mov_b32 s8, s55
	s_cmp_lg_u64 s[8:9], 0
	s_cbranch_scc0 .LBB168_139
; %bb.83:                               ;   in Loop: Header=BB168_6 Depth=1
	v_cvt_f32_u32_e32 v2, s33
	s_sub_u32 s8, 0, s33
	s_subb_u32 s16, 0, 0
	v_mac_f32_e32 v2, 0, v41
	v_rcp_f32_e32 v2, v2
	v_mul_f32_e32 v2, 0x5f7ffffc, v2
	v_mul_f32_e32 v4, 0x2f800000, v2
	v_trunc_f32_e32 v4, v4
	v_mac_f32_e32 v2, 0xcf800000, v4
	v_cvt_u32_f32_e32 v4, v4
	v_cvt_u32_f32_e32 v2, v2
	v_readfirstlane_b32 s17, v4
	v_readfirstlane_b32 s4, v2
	s_mul_i32 s5, s8, s17
	s_mul_hi_u32 s36, s8, s4
	s_mul_i32 s21, s16, s4
	s_add_i32 s5, s36, s5
	s_mul_i32 s37, s8, s4
	s_add_i32 s5, s5, s21
	s_mul_hi_u32 s36, s4, s37
	s_mul_i32 s38, s4, s5
	s_mul_hi_u32 s21, s4, s5
	s_add_u32 s36, s36, s38
	s_addc_u32 s21, 0, s21
	s_mul_hi_u32 s39, s17, s37
	s_mul_i32 s37, s17, s37
	s_add_u32 s36, s36, s37
	s_mul_hi_u32 s38, s17, s5
	s_addc_u32 s21, s21, s39
	s_addc_u32 s36, s38, 0
	s_mul_i32 s5, s17, s5
	s_add_u32 s5, s21, s5
	s_addc_u32 s21, 0, s36
	s_add_u32 s36, s4, s5
	s_cselect_b64 s[4:5], -1, 0
	s_cmp_lg_u64 s[4:5], 0
	s_addc_u32 s17, s17, s21
	s_mul_i32 s4, s8, s17
	s_mul_hi_u32 s5, s8, s36
	s_add_i32 s4, s5, s4
	s_mul_i32 s16, s16, s36
	s_add_i32 s4, s4, s16
	s_mul_i32 s8, s8, s36
	s_mul_hi_u32 s16, s17, s8
	s_mul_i32 s21, s17, s8
	s_mul_i32 s38, s36, s4
	s_mul_hi_u32 s8, s36, s8
	s_mul_hi_u32 s37, s36, s4
	s_add_u32 s8, s8, s38
	s_addc_u32 s37, 0, s37
	s_add_u32 s8, s8, s21
	s_mul_hi_u32 s5, s17, s4
	s_addc_u32 s8, s37, s16
	s_addc_u32 s5, s5, 0
	s_mul_i32 s4, s17, s4
	s_add_u32 s4, s8, s4
	s_addc_u32 s8, 0, s5
	s_add_u32 s16, s36, s4
	s_cselect_b64 s[4:5], -1, 0
	s_cmp_lg_u64 s[4:5], 0
	s_addc_u32 s4, s17, s8
	s_mul_i32 s8, s20, s4
	s_mul_hi_u32 s17, s20, s16
	s_mul_hi_u32 s5, s20, s4
	s_add_u32 s8, s17, s8
	s_addc_u32 s5, 0, s5
	s_mul_hi_u32 s21, s9, s16
	s_mul_i32 s16, s9, s16
	s_add_u32 s8, s8, s16
	s_mul_hi_u32 s17, s9, s4
	s_addc_u32 s5, s5, s21
	s_addc_u32 s8, s17, 0
	s_mul_i32 s4, s9, s4
	s_add_u32 s4, s5, s4
	s_addc_u32 s5, 0, s8
	s_mul_i32 s5, s33, s5
	s_mul_hi_u32 s8, s33, s4
	s_add_i32 s8, s8, s5
	s_mul_i32 s4, s33, s4
	s_sub_u32 s16, s20, s4
	s_cselect_b64 s[4:5], -1, 0
	s_cmp_lg_u64 s[4:5], 0
	s_subb_u32 s8, s9, s8
	s_sub_u32 s17, s16, s33
	s_cselect_b64 s[4:5], -1, 0
	s_cmp_lg_u64 s[4:5], 0
	s_subb_u32 s21, s8, 0
	;; [unrolled: 4-line block ×3, first 2 shown]
	s_cmp_ge_u32 s17, s33
	s_cselect_b32 s5, -1, 0
	s_cmp_eq_u32 s21, 0
	s_cselect_b32 s5, s5, -1
	s_cmp_lg_u32 s5, 0
	s_cselect_b32 s4, s4, s21
	s_cselect_b32 s17, s36, s17
	s_cmp_ge_u32 s16, s33
	s_cselect_b32 s5, -1, 0
	s_cmp_eq_u32 s8, 0
	s_cselect_b32 s5, s5, -1
	s_cmp_lg_u32 s5, 0
	s_cselect_b32 s5, s4, s8
	s_cselect_b32 s4, s17, s16
	s_cbranch_execnz .LBB168_85
.LBB168_84:                             ;   in Loop: Header=BB168_6 Depth=1
	v_cvt_f32_u32_e32 v2, s33
	s_sub_i32 s4, 0, s33
	v_rcp_iflag_f32_e32 v2, v2
	v_mul_f32_e32 v2, 0x4f7ffffe, v2
	v_cvt_u32_f32_e32 v2, v2
	v_readfirstlane_b32 s5, v2
	s_mul_i32 s4, s4, s5
	s_mul_hi_u32 s4, s5, s4
	s_add_i32 s5, s5, s4
	s_mul_hi_u32 s4, s20, s5
	s_mul_i32 s4, s4, s33
	s_sub_i32 s4, s20, s4
	s_sub_i32 s5, s4, s33
	s_cmp_ge_u32 s4, s33
	s_cselect_b32 s4, s5, s4
	s_sub_i32 s5, s4, s33
	s_cmp_ge_u32 s4, s33
	s_cselect_b32 s54, s5, s4
	s_mov_b64 s[4:5], s[54:55]
	v_readlane_b32 s54, v49, 47
.LBB168_85:                             ;   in Loop: Header=BB168_6 Depth=1
	s_sub_u32 s20, s20, s4
	s_subb_u32 s21, s9, s5
	v_cmp_gt_u64_e32 vcc, s[20:21], v[0:1]
	s_mov_b64 s[16:17], 0
	s_mov_b64 s[8:9], 0
                                        ; implicit-def: $vgpr8
	s_and_saveexec_b64 s[4:5], vcc
	s_cbranch_execz .LBB168_97
; %bb.86:                               ;   in Loop: Header=BB168_6 Depth=1
	v_mov_b32_e32 v5, v1
	v_mov_b32_e32 v2, v39
	;; [unrolled: 1-line block ×3, first 2 shown]
                                        ; implicit-def: $sgpr36_sgpr37
	s_branch .LBB168_89
.LBB168_87:                             ;   in Loop: Header=BB168_89 Depth=2
	s_or_b64 exec, exec, s[38:39]
	s_waitcnt lgkmcnt(0)
	s_barrier
	ds_read_b32 v6, v3 offset:3072
	s_mov_b64 s[38:39], -1
	s_waitcnt lgkmcnt(0)
	s_barrier
	v_cmp_ne_u32_sdwa s[40:41], v6, v3 src0_sel:WORD_0 src1_sel:DWORD
	s_and_b64 vcc, exec, s[40:41]
	s_mov_b64 s[40:41], -1
	s_cbranch_vccz .LBB168_92
.LBB168_88:                             ;   in Loop: Header=BB168_89 Depth=2
	s_and_b64 s[38:39], exec, s[38:39]
	s_or_b64 s[8:9], s[38:39], s[8:9]
	s_andn2_b64 s[36:37], s[36:37], exec
	s_and_b64 s[38:39], s[40:41], exec
	s_or_b64 s[36:37], s[36:37], s[38:39]
	s_andn2_b64 exec, exec, s[8:9]
	s_cbranch_execz .LBB168_96
.LBB168_89:                             ;   Parent Loop BB168_6 Depth=1
                                        ; =>  This Inner Loop Header: Depth=2
	v_cmp_gt_u64_e32 vcc, s[10:11], v[4:5]
	s_and_saveexec_b64 s[38:39], vcc
	s_cbranch_execz .LBB168_87
; %bb.90:                               ;   in Loop: Header=BB168_89 Depth=2
	ds_read_u16 v6, v2
	s_waitcnt lgkmcnt(0)
	v_add_u32_sdwa v7, sext(v6), s62 dst_sel:DWORD dst_unused:UNUSED_PAD src0_sel:WORD_0 src1_sel:DWORD
	v_and_b32_e32 v7, v7, v10
	v_cmp_eq_u32_e32 vcc, v7, v11
	s_and_b64 exec, exec, vcc
	s_cbranch_execz .LBB168_87
; %bb.91:                               ;   in Loop: Header=BB168_89 Depth=2
	v_perm_b32 v6, v6, 1, v42
	ds_write_b32 v3, v6 offset:3072
	s_branch .LBB168_87
.LBB168_92:                             ;   in Loop: Header=BB168_89 Depth=2
	v_add_co_u32_e32 v4, vcc, s33, v4
	v_addc_co_u32_e32 v5, vcc, 0, v5, vcc
	v_cmp_le_u64_e32 vcc, s[20:21], v[4:5]
	v_add_u32_e32 v2, s69, v2
	s_mov_b64 s[40:41], 0
	s_orn2_b64 s[38:39], vcc, exec
	s_branch .LBB168_88
.LBB168_93:                             ;   in Loop: Header=BB168_6 Depth=1
	s_or_b64 exec, exec, s[8:9]
	s_waitcnt lgkmcnt(0)
	s_barrier
	s_mov_b64 s[4:5], exec
	v_readlane_b32 s6, v49, 8
	v_readlane_b32 s7, v49, 9
	s_and_b64 s[6:7], s[4:5], s[6:7]
	s_mov_b64 exec, s[6:7]
	s_cbranch_execz .LBB168_95
; %bb.94:                               ;   in Loop: Header=BB168_6 Depth=1
	ds_read_b32 v4, v3 offset:5144
	s_waitcnt lgkmcnt(0)
	v_ashrrev_i32_e32 v5, 31, v4
	ds_write_b64 v3, v[4:5] offset:5120
.LBB168_95:                             ;   in Loop: Header=BB168_6 Depth=1
	s_or_b64 exec, exec, s[4:5]
	s_waitcnt lgkmcnt(0)
	s_barrier
	s_mov_b64 s[4:5], -1
	s_and_b64 vcc, exec, s[2:3]
	s_cbranch_vccnz .LBB168_21
	s_branch .LBB168_36
.LBB168_96:                             ;   in Loop: Header=BB168_6 Depth=1
	s_or_b64 exec, exec, s[8:9]
	v_lshrrev_b32_e32 v8, 16, v6
	s_and_b64 s[8:9], s[36:37], exec
.LBB168_97:                             ;   in Loop: Header=BB168_6 Depth=1
	s_or_b64 exec, exec, s[4:5]
.LBB168_98:                             ;   in Loop: Header=BB168_6 Depth=1
	s_and_b64 vcc, exec, s[16:17]
	s_cbranch_vccz .LBB168_112
; %bb.99:                               ;   in Loop: Header=BB168_6 Depth=1
	v_readlane_b32 s20, v49, 35
	v_readlane_b32 s21, v49, 36
	s_mov_b32 s20, s55
	s_cmp_lg_u64 s[20:21], 0
	v_writelane_b32 v49, s20, 35
	v_writelane_b32 v49, s21, 36
	s_cbranch_scc0 .LBB168_140
; %bb.100:                              ;   in Loop: Header=BB168_6 Depth=1
	v_cvt_f32_u32_e32 v2, s33
	s_sub_u32 s10, 0, s33
	s_subb_u32 s11, 0, 0
	v_mac_f32_e32 v2, 0, v41
	v_rcp_f32_e32 v2, v2
	v_mul_f32_e32 v2, 0x5f7ffffc, v2
	v_mul_f32_e32 v4, 0x2f800000, v2
	v_trunc_f32_e32 v4, v4
	v_mac_f32_e32 v2, 0xcf800000, v4
	v_cvt_u32_f32_e32 v4, v4
	v_cvt_u32_f32_e32 v2, v2
	v_readfirstlane_b32 s12, v4
	v_readfirstlane_b32 s4, v2
	s_mul_i32 s5, s10, s12
	s_mul_hi_u32 s14, s10, s4
	s_mul_i32 s13, s11, s4
	s_add_i32 s5, s14, s5
	s_mul_i32 s15, s10, s4
	s_add_i32 s5, s5, s13
	s_mul_hi_u32 s14, s4, s15
	s_mul_i32 s16, s4, s5
	s_mul_hi_u32 s13, s4, s5
	s_add_u32 s14, s14, s16
	s_addc_u32 s13, 0, s13
	s_mul_hi_u32 s17, s12, s15
	s_mul_i32 s15, s12, s15
	s_add_u32 s14, s14, s15
	s_mul_hi_u32 s16, s12, s5
	s_addc_u32 s13, s13, s17
	s_addc_u32 s14, s16, 0
	s_mul_i32 s5, s12, s5
	s_add_u32 s5, s13, s5
	s_addc_u32 s13, 0, s14
	s_add_u32 s14, s4, s5
	s_cselect_b64 s[4:5], -1, 0
	s_cmp_lg_u64 s[4:5], 0
	s_addc_u32 s12, s12, s13
	s_mul_i32 s4, s10, s12
	s_mul_hi_u32 s5, s10, s14
	s_add_i32 s4, s5, s4
	s_mul_i32 s11, s11, s14
	s_add_i32 s4, s4, s11
	s_mul_i32 s10, s10, s14
	s_mul_hi_u32 s11, s12, s10
	s_mul_i32 s13, s12, s10
	s_mul_i32 s16, s14, s4
	s_mul_hi_u32 s10, s14, s10
	s_mul_hi_u32 s15, s14, s4
	s_add_u32 s10, s10, s16
	s_addc_u32 s15, 0, s15
	s_add_u32 s10, s10, s13
	s_mul_hi_u32 s5, s12, s4
	s_addc_u32 s10, s15, s11
	s_addc_u32 s5, s5, 0
	s_mul_i32 s4, s12, s4
	s_add_u32 s4, s10, s4
	s_addc_u32 s10, 0, s5
	s_add_u32 s11, s14, s4
	s_cselect_b64 s[4:5], -1, 0
	s_cmp_lg_u64 s[4:5], 0
	s_addc_u32 s4, s12, s10
	v_readlane_b32 s14, v49, 33
	s_mul_i32 s10, s14, s4
	s_mul_hi_u32 s12, s14, s11
	s_mul_hi_u32 s5, s14, s4
	s_add_u32 s10, s12, s10
	s_addc_u32 s5, 0, s5
	s_mul_hi_u32 s13, s21, s11
	s_mul_i32 s11, s21, s11
	s_add_u32 s10, s10, s11
	s_mul_hi_u32 s12, s21, s4
	s_addc_u32 s5, s5, s13
	s_addc_u32 s10, s12, 0
	s_mul_i32 s4, s21, s4
	s_add_u32 s4, s5, s4
	s_addc_u32 s5, 0, s10
	s_mul_i32 s5, s33, s5
	s_mul_hi_u32 s10, s33, s4
	s_add_i32 s10, s10, s5
	s_mul_i32 s4, s33, s4
	s_sub_u32 s11, s14, s4
	s_cselect_b64 s[4:5], -1, 0
	s_cmp_lg_u64 s[4:5], 0
	s_subb_u32 s10, s21, s10
	s_sub_u32 s12, s11, s33
	s_cselect_b64 s[4:5], -1, 0
	s_cmp_lg_u64 s[4:5], 0
	s_subb_u32 s13, s10, 0
	;; [unrolled: 4-line block ×3, first 2 shown]
	s_cmp_ge_u32 s12, s33
	s_cselect_b32 s5, -1, 0
	s_cmp_eq_u32 s13, 0
	s_cselect_b32 s5, s5, -1
	s_cmp_lg_u32 s5, 0
	s_cselect_b32 s4, s4, s13
	s_cselect_b32 s12, s14, s12
	s_cmp_ge_u32 s11, s33
	s_cselect_b32 s5, -1, 0
	s_cmp_eq_u32 s10, 0
	s_cselect_b32 s5, s5, -1
	s_cmp_lg_u32 s5, 0
	s_cselect_b32 s5, s4, s10
	s_cselect_b32 s4, s12, s11
	s_cbranch_execnz .LBB168_102
.LBB168_101:                            ;   in Loop: Header=BB168_6 Depth=1
	v_cvt_f32_u32_e32 v2, s33
	s_sub_i32 s4, 0, s33
	v_readlane_b32 s10, v49, 33
	v_rcp_iflag_f32_e32 v2, v2
	v_mul_f32_e32 v2, 0x4f7ffffe, v2
	v_cvt_u32_f32_e32 v2, v2
	v_readfirstlane_b32 s5, v2
	s_mul_i32 s4, s4, s5
	s_mul_hi_u32 s4, s5, s4
	s_add_i32 s5, s5, s4
	s_mul_hi_u32 s4, s10, s5
	s_mul_i32 s4, s4, s33
	s_sub_i32 s4, s10, s4
	s_sub_i32 s5, s4, s33
	s_cmp_ge_u32 s4, s33
	s_cselect_b32 s4, s5, s4
	s_sub_i32 s5, s4, s33
	s_cmp_ge_u32 s4, s33
	s_cselect_b32 s54, s5, s4
	s_mov_b64 s[4:5], s[54:55]
	v_readlane_b32 s54, v49, 47
.LBB168_102:                            ;   in Loop: Header=BB168_6 Depth=1
	v_readlane_b32 s10, v49, 33
	s_sub_u32 s12, s10, s4
	v_readlane_b32 s10, v49, 35
	v_readlane_b32 s11, v49, 36
	s_subb_u32 s13, s11, s5
	v_cmp_gt_u64_e32 vcc, s[12:13], v[0:1]
                                        ; implicit-def: $vgpr8
	s_and_saveexec_b64 s[10:11], vcc
	s_cbranch_execz .LBB168_111
; %bb.103:                              ;   in Loop: Header=BB168_6 Depth=1
	v_mov_b32_e32 v4, v12
	v_mov_b32_e32 v7, v1
	s_mov_b64 s[4:5], 0
	v_mov_b32_e32 v5, v13
	v_mov_b32_e32 v6, v0
                                        ; implicit-def: $sgpr14_sgpr15
	s_branch .LBB168_106
.LBB168_104:                            ;   in Loop: Header=BB168_106 Depth=2
	s_or_b64 exec, exec, s[16:17]
	s_waitcnt lgkmcnt(0)
	s_barrier
	ds_read_b32 v2, v3 offset:3072
	s_mov_b64 s[16:17], -1
	s_waitcnt lgkmcnt(0)
	s_barrier
	v_cmp_ne_u32_sdwa s[20:21], v2, v3 src0_sel:WORD_0 src1_sel:DWORD
	s_and_b64 vcc, exec, s[20:21]
	s_mov_b64 s[20:21], -1
	s_cbranch_vccz .LBB168_109
.LBB168_105:                            ;   in Loop: Header=BB168_106 Depth=2
	s_and_b64 s[16:17], exec, s[16:17]
	s_or_b64 s[4:5], s[16:17], s[4:5]
	s_andn2_b64 s[14:15], s[14:15], exec
	s_and_b64 s[16:17], s[20:21], exec
	s_or_b64 s[14:15], s[14:15], s[16:17]
	s_andn2_b64 exec, exec, s[4:5]
	s_cbranch_execz .LBB168_110
.LBB168_106:                            ;   Parent Loop BB168_6 Depth=1
                                        ; =>  This Inner Loop Header: Depth=2
	v_cmp_gt_u64_e32 vcc, s[28:29], v[6:7]
	s_and_saveexec_b64 s[16:17], vcc
	s_cbranch_execz .LBB168_104
; %bb.107:                              ;   in Loop: Header=BB168_106 Depth=2
	global_load_ushort v2, v[4:5], off
	s_waitcnt vmcnt(0)
	v_add_u32_sdwa v8, sext(v2), s62 dst_sel:DWORD dst_unused:UNUSED_PAD src0_sel:WORD_0 src1_sel:DWORD
	v_and_b32_e32 v8, v8, v10
	v_cmp_eq_u32_e32 vcc, v8, v11
	s_and_b64 exec, exec, vcc
	s_cbranch_execz .LBB168_104
; %bb.108:                              ;   in Loop: Header=BB168_106 Depth=2
	v_perm_b32 v2, v2, 1, v42
	ds_write_b32 v3, v2 offset:3072
	s_branch .LBB168_104
.LBB168_109:                            ;   in Loop: Header=BB168_106 Depth=2
	v_add_co_u32_e32 v6, vcc, s33, v6
	v_addc_co_u32_e32 v7, vcc, 0, v7, vcc
	v_mov_b32_e32 v8, s35
	v_add_co_u32_e32 v4, vcc, s34, v4
	v_addc_co_u32_e32 v5, vcc, v5, v8, vcc
	v_cmp_le_u64_e32 vcc, s[12:13], v[6:7]
	s_mov_b64 s[20:21], 0
	s_orn2_b64 s[16:17], vcc, exec
	s_branch .LBB168_105
.LBB168_110:                            ;   in Loop: Header=BB168_6 Depth=1
	s_or_b64 exec, exec, s[4:5]
	s_andn2_b64 s[4:5], s[8:9], exec
	s_and_b64 s[8:9], s[14:15], exec
	v_lshrrev_b32_e32 v8, 16, v2
	s_or_b64 s[8:9], s[4:5], s[8:9]
.LBB168_111:                            ;   in Loop: Header=BB168_6 Depth=1
	s_or_b64 exec, exec, s[10:11]
	s_mov_b64 s[14:15], 0
	s_mov_b64 s[12:13], -1
.LBB168_112:                            ;   in Loop: Header=BB168_6 Depth=1
	s_orn2_b64 s[4:5], s[8:9], exec
.LBB168_113:                            ;   in Loop: Header=BB168_6 Depth=1
	s_or_b64 exec, exec, s[2:3]
	s_mov_b64 s[2:3], 0
	s_mov_b64 s[48:49], 0
	s_mov_b64 s[46:47], 0
                                        ; implicit-def: $vgpr4_vgpr5
                                        ; implicit-def: $vgpr2
	s_and_saveexec_b64 s[36:37], s[4:5]
	s_cbranch_execz .LBB168_271
; %bb.114:                              ;   in Loop: Header=BB168_6 Depth=1
	v_mov_b32_e32 v4, 1
	s_xor_b64 s[4:5], s[6:7], -1
	v_mov_b32_e32 v2, 1
	v_mov_b32_e32 v5, 0
	s_mov_b64 s[8:9], 0
	s_and_saveexec_b64 s[6:7], s[4:5]
	s_cbranch_execz .LBB168_123
; %bb.115:                              ;   in Loop: Header=BB168_6 Depth=1
	v_cmp_ge_u64_e32 vcc, s[22:23], v[24:25]
	s_and_saveexec_b64 s[4:5], vcc
	s_xor_b64 s[4:5], exec, s[4:5]
	s_cbranch_execz .LBB168_120
; %bb.116:                              ;   in Loop: Header=BB168_6 Depth=1
	ds_read_b64 v[4:5], v3 offset:5120
	v_and_b32_e32 v11, s61, v11
	v_or_b32_e32 v10, s60, v10
	s_waitcnt lgkmcnt(0)
	v_cmp_ne_u64_e32 vcc, 0, v[4:5]
	s_cbranch_vccnz .LBB168_120
; %bb.117:                              ;   in Loop: Header=BB168_6 Depth=1
	s_mov_b64 s[8:9], exec
	v_readlane_b32 s10, v49, 8
	v_readlane_b32 s11, v49, 9
	s_and_b64 s[10:11], s[8:9], s[10:11]
	s_mov_b64 exec, s[10:11]
; %bb.118:                              ;   in Loop: Header=BB168_6 Depth=1
	v_mov_b32_e32 v4, s22
	v_mov_b32_e32 v5, s23
	ds_write_b64 v3, v[4:5] offset:5128
; %bb.119:                              ;   in Loop: Header=BB168_6 Depth=1
	s_or_b64 exec, exec, s[8:9]
	s_waitcnt lgkmcnt(0)
	s_barrier
.LBB168_120:                            ;   in Loop: Header=BB168_6 Depth=1
	s_or_saveexec_b64 s[4:5], s[4:5]
	v_mov_b32_e32 v4, v24
	s_mov_b64 s[8:9], 0
	v_mov_b32_e32 v2, 8
	v_mov_b32_e32 v5, v25
	s_xor_b64 exec, exec, s[4:5]
; %bb.121:                              ;   in Loop: Header=BB168_6 Depth=1
	v_subrev_co_u32_e32 v4, vcc, s22, v24
	v_mov_b32_e32 v2, s23
	v_subb_co_u32_e32 v5, vcc, v25, v2, vcc
	v_mov_b32_e32 v2, 0
	s_mov_b64 s[8:9], exec
; %bb.122:                              ;   in Loop: Header=BB168_6 Depth=1
	s_or_b64 exec, exec, s[4:5]
	s_and_b64 s[8:9], s[8:9], exec
.LBB168_123:                            ;   in Loop: Header=BB168_6 Depth=1
	s_or_b64 exec, exec, s[6:7]
	s_mov_b64 s[4:5], -1
                                        ; implicit-def: $sgpr46_sgpr47
                                        ; implicit-def: $sgpr48_sgpr49
	s_and_saveexec_b64 s[6:7], s[8:9]
	s_xor_b64 s[6:7], exec, s[6:7]
	s_cbranch_execz .LBB168_268
; %bb.124:                              ;   in Loop: Header=BB168_6 Depth=1
	s_cmp_eq_u64 s[94:95], 1
	v_cmp_eq_u64_e32 vcc, 1, v[4:5]
	s_cselect_b64 s[4:5], -1, 0
	s_and_b64 s[8:9], s[4:5], vcc
	s_mov_b64 s[4:5], -1
                                        ; implicit-def: $sgpr48_sgpr49
                                        ; implicit-def: $sgpr46_sgpr47
	s_and_saveexec_b64 s[20:21], s[8:9]
	s_cbranch_execz .LBB168_158
; %bb.125:                              ;   in Loop: Header=BB168_6 Depth=1
	ds_read_b64 v[6:7], v3 offset:5120
	s_waitcnt lgkmcnt(0)
	s_barrier
	v_readfirstlane_b32 s38, v6
	v_readfirstlane_b32 s39, v7
	s_mov_b64 s[4:5], exec
	v_readlane_b32 s10, v49, 28
	v_readlane_b32 s11, v49, 29
	s_and_b64 s[10:11], s[4:5], s[10:11]
	s_mov_b64 exec, s[10:11]
; %bb.126:                              ;   in Loop: Header=BB168_6 Depth=1
	ds_write_b16 v40, v3
; %bb.127:                              ;   in Loop: Header=BB168_6 Depth=1
	s_or_b64 exec, exec, s[4:5]
	v_and_b32_e32 v6, s61, v11
	v_lshl_or_b32 v11, 1, s63, v6
	v_or_b32_e32 v10, s60, v10
	s_mov_b64 s[46:47], -1
	s_mov_b64 s[48:49], 0
	s_cmp_eq_u64 s[38:39], 0
	s_mov_b64 s[10:11], 0
	s_mov_b64 s[40:41], -1
	s_waitcnt lgkmcnt(0)
	s_barrier
                                        ; implicit-def: $vgpr8
	s_cbranch_scc1 .LBB168_143
; %bb.128:                              ;   in Loop: Header=BB168_6 Depth=1
	v_readlane_b32 s4, v49, 32
	s_add_u32 s40, s38, s4
	v_readlane_b32 s4, v49, 34
	s_addc_u32 s11, s39, s4
	s_mov_b32 s10, s55
	s_cmp_lg_u64 s[10:11], 0
	s_cbranch_scc0 .LBB168_184
; %bb.129:                              ;   in Loop: Header=BB168_6 Depth=1
	v_cvt_f32_u32_e32 v6, s33
	s_sub_u32 s10, 0, s33
	s_subb_u32 s16, 0, 0
	v_mac_f32_e32 v6, 0, v41
	v_rcp_f32_e32 v6, v6
	v_mul_f32_e32 v6, 0x5f7ffffc, v6
	v_mul_f32_e32 v7, 0x2f800000, v6
	v_trunc_f32_e32 v7, v7
	v_mac_f32_e32 v6, 0xcf800000, v7
	v_cvt_u32_f32_e32 v7, v7
	v_cvt_u32_f32_e32 v6, v6
	v_readfirstlane_b32 s17, v7
	v_readfirstlane_b32 s4, v6
	s_mul_i32 s5, s10, s17
	s_mul_hi_u32 s52, s10, s4
	s_mul_i32 s41, s16, s4
	s_add_i32 s5, s52, s5
	s_mul_i32 s53, s10, s4
	s_add_i32 s5, s5, s41
	s_mul_hi_u32 s52, s4, s53
	s_mul_i32 s54, s4, s5
	s_mul_hi_u32 s41, s4, s5
	s_add_u32 s52, s52, s54
	s_addc_u32 s41, 0, s41
	s_mul_hi_u32 s56, s17, s53
	s_mul_i32 s53, s17, s53
	s_add_u32 s52, s52, s53
	s_mul_hi_u32 s54, s17, s5
	s_addc_u32 s41, s41, s56
	s_addc_u32 s52, s54, 0
	s_mul_i32 s5, s17, s5
	s_add_u32 s5, s41, s5
	s_addc_u32 s41, 0, s52
	s_add_u32 s52, s4, s5
	s_cselect_b64 s[4:5], -1, 0
	s_cmp_lg_u64 s[4:5], 0
	s_addc_u32 s17, s17, s41
	s_mul_i32 s4, s10, s17
	s_mul_hi_u32 s5, s10, s52
	s_add_i32 s4, s5, s4
	s_mul_i32 s16, s16, s52
	s_add_i32 s4, s4, s16
	s_mul_i32 s10, s10, s52
	s_mul_hi_u32 s16, s17, s10
	s_mul_i32 s41, s17, s10
	s_mul_i32 s54, s52, s4
	s_mul_hi_u32 s10, s52, s10
	s_mul_hi_u32 s53, s52, s4
	s_add_u32 s10, s10, s54
	s_addc_u32 s53, 0, s53
	s_add_u32 s10, s10, s41
	s_mul_hi_u32 s5, s17, s4
	s_addc_u32 s10, s53, s16
	s_addc_u32 s5, s5, 0
	s_mul_i32 s4, s17, s4
	s_add_u32 s4, s10, s4
	s_addc_u32 s10, 0, s5
	s_add_u32 s16, s52, s4
	s_cselect_b64 s[4:5], -1, 0
	s_cmp_lg_u64 s[4:5], 0
	s_addc_u32 s4, s17, s10
	s_mul_i32 s10, s40, s4
	s_mul_hi_u32 s17, s40, s16
	s_mul_hi_u32 s5, s40, s4
	s_add_u32 s10, s17, s10
	s_addc_u32 s5, 0, s5
	s_mul_hi_u32 s41, s11, s16
	s_mul_i32 s16, s11, s16
	s_add_u32 s10, s10, s16
	s_mul_hi_u32 s17, s11, s4
	s_addc_u32 s5, s5, s41
	s_addc_u32 s10, s17, 0
	s_mul_i32 s4, s11, s4
	s_add_u32 s4, s5, s4
	s_addc_u32 s5, 0, s10
	s_mul_i32 s5, s33, s5
	s_mul_hi_u32 s10, s33, s4
	s_add_i32 s10, s10, s5
	s_mul_i32 s4, s33, s4
	s_sub_u32 s16, s40, s4
	s_cselect_b64 s[4:5], -1, 0
	s_cmp_lg_u64 s[4:5], 0
	s_subb_u32 s10, s11, s10
	s_sub_u32 s17, s16, s33
	s_cselect_b64 s[4:5], -1, 0
	s_cmp_lg_u64 s[4:5], 0
	s_subb_u32 s41, s10, 0
	;; [unrolled: 4-line block ×3, first 2 shown]
	s_cmp_ge_u32 s17, s33
	s_cselect_b32 s5, -1, 0
	s_cmp_eq_u32 s41, 0
	s_cselect_b32 s5, s5, -1
	s_cmp_lg_u32 s5, 0
	s_cselect_b32 s4, s4, s41
	s_cselect_b32 s17, s52, s17
	s_cmp_ge_u32 s16, s33
	s_cselect_b32 s5, -1, 0
	s_cmp_eq_u32 s10, 0
	s_cselect_b32 s5, s5, -1
	s_cmp_lg_u32 s5, 0
	s_cselect_b32 s5, s4, s10
	s_cselect_b32 s4, s17, s16
	s_cbranch_execnz .LBB168_131
.LBB168_130:                            ;   in Loop: Header=BB168_6 Depth=1
	v_cvt_f32_u32_e32 v6, s33
	s_sub_i32 s4, 0, s33
	v_rcp_iflag_f32_e32 v6, v6
	v_mul_f32_e32 v6, 0x4f7ffffe, v6
	v_cvt_u32_f32_e32 v6, v6
	v_readfirstlane_b32 s5, v6
	s_mul_i32 s4, s4, s5
	s_mul_hi_u32 s4, s5, s4
	s_add_i32 s5, s5, s4
	s_mul_hi_u32 s4, s40, s5
	s_mul_i32 s4, s4, s33
	s_sub_i32 s4, s40, s4
	s_sub_i32 s5, s4, s33
	s_cmp_ge_u32 s4, s33
	s_cselect_b32 s4, s5, s4
	s_sub_i32 s5, s4, s33
	s_cmp_ge_u32 s4, s33
	s_cselect_b32 s54, s5, s4
	s_mov_b64 s[4:5], s[54:55]
.LBB168_131:                            ;   in Loop: Header=BB168_6 Depth=1
	s_sub_u32 s4, s40, s4
	s_subb_u32 s5, s11, s5
	v_cmp_gt_u64_e32 vcc, s[4:5], v[0:1]
	s_mov_b64 s[40:41], 0
	s_mov_b64 s[10:11], 0
                                        ; implicit-def: $vgpr8
	s_and_saveexec_b64 s[16:17], vcc
	v_readlane_b32 s54, v49, 47
	s_cbranch_execz .LBB168_142
; %bb.132:                              ;   in Loop: Header=BB168_6 Depth=1
	v_mov_b32_e32 v7, v1
	v_mov_b32_e32 v8, v39
	;; [unrolled: 1-line block ×3, first 2 shown]
                                        ; implicit-def: $sgpr58_sgpr59
	s_branch .LBB168_135
.LBB168_133:                            ;   in Loop: Header=BB168_135 Depth=2
	s_or_b64 exec, exec, s[64:65]
	s_waitcnt lgkmcnt(0)
	s_barrier
	ds_read_b32 v9, v3 offset:3072
	s_mov_b64 s[52:53], -1
	s_mov_b64 s[64:65], -1
	s_waitcnt lgkmcnt(0)
	s_barrier
	v_cmp_ne_u32_sdwa s[56:57], v9, v3 src0_sel:WORD_0 src1_sel:DWORD
	s_and_b64 vcc, exec, s[56:57]
	s_cbranch_vccz .LBB168_138
.LBB168_134:                            ;   in Loop: Header=BB168_135 Depth=2
	s_and_b64 s[52:53], exec, s[52:53]
	s_or_b64 s[10:11], s[52:53], s[10:11]
	s_andn2_b64 s[52:53], s[58:59], exec
	s_and_b64 s[56:57], s[64:65], exec
	s_or_b64 s[58:59], s[52:53], s[56:57]
	s_andn2_b64 exec, exec, s[10:11]
	s_cbranch_execz .LBB168_141
.LBB168_135:                            ;   Parent Loop BB168_6 Depth=1
                                        ; =>  This Inner Loop Header: Depth=2
	v_cmp_gt_u64_e32 vcc, s[38:39], v[6:7]
	s_and_saveexec_b64 s[64:65], vcc
	s_cbranch_execz .LBB168_133
; %bb.136:                              ;   in Loop: Header=BB168_135 Depth=2
	ds_read_u16 v9, v8
	s_waitcnt lgkmcnt(0)
	v_add_u32_sdwa v26, sext(v9), s62 dst_sel:DWORD dst_unused:UNUSED_PAD src0_sel:WORD_0 src1_sel:DWORD
	v_and_b32_e32 v26, v26, v10
	v_cmp_eq_u32_e32 vcc, v26, v11
	s_and_b64 exec, exec, vcc
	s_cbranch_execz .LBB168_133
; %bb.137:                              ;   in Loop: Header=BB168_135 Depth=2
	v_perm_b32 v9, v9, 1, v42
	ds_write_b32 v3, v9 offset:3072
	s_branch .LBB168_133
.LBB168_138:                            ;   in Loop: Header=BB168_135 Depth=2
	v_add_co_u32_e32 v6, vcc, s33, v6
	v_addc_co_u32_e32 v7, vcc, 0, v7, vcc
	v_cmp_le_u64_e32 vcc, s[4:5], v[6:7]
	v_add_u32_e32 v8, s69, v8
	s_mov_b64 s[64:65], 0
	s_orn2_b64 s[52:53], vcc, exec
	s_branch .LBB168_134
.LBB168_139:                            ;   in Loop: Header=BB168_6 Depth=1
                                        ; implicit-def: $sgpr4_sgpr5
	s_andn2_b64 vcc, exec, s[16:17]
	s_cbranch_vccz .LBB168_84
	s_branch .LBB168_85
.LBB168_140:                            ;   in Loop: Header=BB168_6 Depth=1
                                        ; implicit-def: $sgpr4_sgpr5
	s_branch .LBB168_101
.LBB168_141:                            ;   in Loop: Header=BB168_6 Depth=1
	s_or_b64 exec, exec, s[10:11]
	v_lshrrev_b32_e32 v8, 16, v9
	s_and_b64 s[10:11], s[58:59], exec
.LBB168_142:                            ;   in Loop: Header=BB168_6 Depth=1
	s_or_b64 exec, exec, s[16:17]
	v_readlane_b32 s52, v49, 45
	v_readlane_b32 s53, v49, 46
.LBB168_143:                            ;   in Loop: Header=BB168_6 Depth=1
	s_and_b64 vcc, exec, s[40:41]
	s_cbranch_vccz .LBB168_157
; %bb.144:                              ;   in Loop: Header=BB168_6 Depth=1
	v_readlane_b32 s48, v49, 35
	v_readlane_b32 s49, v49, 36
	s_mov_b32 s48, s55
	s_cmp_lg_u64 s[48:49], 0
	v_writelane_b32 v49, s48, 35
	v_writelane_b32 v49, s49, 36
	s_cbranch_scc0 .LBB168_185
; %bb.145:                              ;   in Loop: Header=BB168_6 Depth=1
	v_cvt_f32_u32_e32 v6, s33
	s_sub_u32 s16, 0, s33
	s_subb_u32 s17, 0, 0
	v_mac_f32_e32 v6, 0, v41
	v_rcp_f32_e32 v6, v6
	v_mul_f32_e32 v6, 0x5f7ffffc, v6
	v_mul_f32_e32 v7, 0x2f800000, v6
	v_trunc_f32_e32 v7, v7
	v_mac_f32_e32 v6, 0xcf800000, v7
	v_cvt_u32_f32_e32 v7, v7
	v_cvt_u32_f32_e32 v6, v6
	v_readfirstlane_b32 s38, v7
	v_readfirstlane_b32 s4, v6
	s_mul_i32 s5, s16, s38
	s_mul_hi_u32 s40, s16, s4
	s_mul_i32 s39, s17, s4
	s_add_i32 s5, s40, s5
	s_mul_i32 s41, s16, s4
	s_add_i32 s5, s5, s39
	s_mul_hi_u32 s40, s4, s41
	s_mul_i32 s46, s4, s5
	s_mul_hi_u32 s39, s4, s5
	s_add_u32 s40, s40, s46
	s_addc_u32 s39, 0, s39
	s_mul_hi_u32 s47, s38, s41
	s_mul_i32 s41, s38, s41
	s_add_u32 s40, s40, s41
	s_mul_hi_u32 s46, s38, s5
	s_addc_u32 s39, s39, s47
	s_addc_u32 s40, s46, 0
	s_mul_i32 s5, s38, s5
	s_add_u32 s5, s39, s5
	s_addc_u32 s39, 0, s40
	s_add_u32 s40, s4, s5
	s_cselect_b64 s[4:5], -1, 0
	s_cmp_lg_u64 s[4:5], 0
	s_addc_u32 s38, s38, s39
	s_mul_i32 s4, s16, s38
	s_mul_hi_u32 s5, s16, s40
	s_add_i32 s4, s5, s4
	s_mul_i32 s17, s17, s40
	s_add_i32 s4, s4, s17
	s_mul_i32 s16, s16, s40
	s_mul_hi_u32 s17, s38, s16
	s_mul_i32 s39, s38, s16
	s_mul_i32 s46, s40, s4
	s_mul_hi_u32 s16, s40, s16
	s_mul_hi_u32 s41, s40, s4
	s_add_u32 s16, s16, s46
	s_addc_u32 s41, 0, s41
	s_add_u32 s16, s16, s39
	s_mul_hi_u32 s5, s38, s4
	s_addc_u32 s16, s41, s17
	s_addc_u32 s5, s5, 0
	s_mul_i32 s4, s38, s4
	s_add_u32 s4, s16, s4
	s_addc_u32 s16, 0, s5
	s_add_u32 s17, s40, s4
	s_cselect_b64 s[4:5], -1, 0
	s_cmp_lg_u64 s[4:5], 0
	s_addc_u32 s4, s38, s16
	v_readlane_b32 s40, v49, 33
	s_mul_i32 s16, s40, s4
	s_mul_hi_u32 s38, s40, s17
	s_mul_hi_u32 s5, s40, s4
	s_add_u32 s16, s38, s16
	s_addc_u32 s5, 0, s5
	s_mul_hi_u32 s39, s49, s17
	s_mul_i32 s17, s49, s17
	s_add_u32 s16, s16, s17
	s_mul_hi_u32 s38, s49, s4
	s_addc_u32 s5, s5, s39
	s_addc_u32 s16, s38, 0
	s_mul_i32 s4, s49, s4
	s_add_u32 s4, s5, s4
	s_addc_u32 s5, 0, s16
	s_mul_i32 s5, s33, s5
	s_mul_hi_u32 s16, s33, s4
	s_add_i32 s16, s16, s5
	s_mul_i32 s4, s33, s4
	s_sub_u32 s17, s40, s4
	s_cselect_b64 s[4:5], -1, 0
	s_cmp_lg_u64 s[4:5], 0
	s_subb_u32 s16, s49, s16
	s_sub_u32 s38, s17, s33
	s_cselect_b64 s[4:5], -1, 0
	s_cmp_lg_u64 s[4:5], 0
	s_subb_u32 s39, s16, 0
	;; [unrolled: 4-line block ×3, first 2 shown]
	s_cmp_ge_u32 s38, s33
	s_cselect_b32 s5, -1, 0
	s_cmp_eq_u32 s39, 0
	s_cselect_b32 s5, s5, -1
	s_cmp_lg_u32 s5, 0
	s_cselect_b32 s4, s4, s39
	s_cselect_b32 s38, s40, s38
	s_cmp_ge_u32 s17, s33
	s_cselect_b32 s5, -1, 0
	s_cmp_eq_u32 s16, 0
	s_cselect_b32 s5, s5, -1
	s_cmp_lg_u32 s5, 0
	s_cselect_b32 s5, s4, s16
	s_cselect_b32 s4, s38, s17
	s_cbranch_execnz .LBB168_147
.LBB168_146:                            ;   in Loop: Header=BB168_6 Depth=1
	v_cvt_f32_u32_e32 v6, s33
	s_sub_i32 s4, 0, s33
	v_readlane_b32 s16, v49, 33
	v_rcp_iflag_f32_e32 v6, v6
	v_mul_f32_e32 v6, 0x4f7ffffe, v6
	v_cvt_u32_f32_e32 v6, v6
	v_readfirstlane_b32 s5, v6
	s_mul_i32 s4, s4, s5
	s_mul_hi_u32 s4, s5, s4
	s_add_i32 s5, s5, s4
	s_mul_hi_u32 s4, s16, s5
	s_mul_i32 s4, s4, s33
	s_sub_i32 s4, s16, s4
	s_sub_i32 s5, s4, s33
	s_cmp_ge_u32 s4, s33
	s_cselect_b32 s4, s5, s4
	s_sub_i32 s5, s4, s33
	s_cmp_ge_u32 s4, s33
	s_cselect_b32 s54, s5, s4
	s_mov_b64 s[4:5], s[54:55]
	v_readlane_b32 s54, v49, 47
.LBB168_147:                            ;   in Loop: Header=BB168_6 Depth=1
	v_readlane_b32 s16, v49, 33
	s_sub_u32 s38, s16, s4
	v_readlane_b32 s16, v49, 35
	v_readlane_b32 s17, v49, 36
	s_subb_u32 s39, s17, s5
	v_cmp_gt_u64_e32 vcc, s[38:39], v[0:1]
                                        ; implicit-def: $vgpr8
	s_and_saveexec_b64 s[16:17], vcc
	s_cbranch_execz .LBB168_156
; %bb.148:                              ;   in Loop: Header=BB168_6 Depth=1
	v_mov_b32_e32 v6, v12
	v_mov_b32_e32 v9, v1
	s_mov_b64 s[4:5], 0
	v_mov_b32_e32 v7, v13
	v_mov_b32_e32 v8, v0
                                        ; implicit-def: $sgpr40_sgpr41
	s_branch .LBB168_151
.LBB168_149:                            ;   in Loop: Header=BB168_151 Depth=2
	s_or_b64 exec, exec, s[46:47]
	s_waitcnt lgkmcnt(0)
	s_barrier
	ds_read_b32 v26, v3 offset:3072
	s_mov_b64 s[46:47], -1
	s_waitcnt lgkmcnt(0)
	s_barrier
	v_cmp_eq_u32_sdwa s[48:49], v26, v3 src0_sel:WORD_0 src1_sel:DWORD
	s_and_b64 vcc, exec, s[48:49]
	s_mov_b64 s[48:49], -1
	s_cbranch_vccnz .LBB168_154
.LBB168_150:                            ;   in Loop: Header=BB168_151 Depth=2
	s_and_b64 s[46:47], exec, s[46:47]
	s_or_b64 s[4:5], s[46:47], s[4:5]
	s_andn2_b64 s[40:41], s[40:41], exec
	s_and_b64 s[46:47], s[48:49], exec
	s_or_b64 s[40:41], s[40:41], s[46:47]
	s_andn2_b64 exec, exec, s[4:5]
	s_cbranch_execz .LBB168_155
.LBB168_151:                            ;   Parent Loop BB168_6 Depth=1
                                        ; =>  This Inner Loop Header: Depth=2
	v_cmp_gt_u64_e32 vcc, s[28:29], v[8:9]
	s_and_saveexec_b64 s[46:47], vcc
	s_cbranch_execz .LBB168_149
; %bb.152:                              ;   in Loop: Header=BB168_151 Depth=2
	global_load_ushort v26, v[6:7], off
	s_waitcnt vmcnt(0)
	v_add_u32_sdwa v27, sext(v26), s62 dst_sel:DWORD dst_unused:UNUSED_PAD src0_sel:WORD_0 src1_sel:DWORD
	v_and_b32_e32 v27, v27, v10
	v_cmp_eq_u32_e32 vcc, v27, v11
	s_and_b64 exec, exec, vcc
	s_cbranch_execz .LBB168_149
; %bb.153:                              ;   in Loop: Header=BB168_151 Depth=2
	v_perm_b32 v26, v26, 1, v42
	ds_write_b32 v3, v26 offset:3072
	s_branch .LBB168_149
.LBB168_154:                            ;   in Loop: Header=BB168_151 Depth=2
	v_add_co_u32_e32 v8, vcc, s33, v8
	v_addc_co_u32_e32 v9, vcc, 0, v9, vcc
	v_mov_b32_e32 v27, s35
	v_add_co_u32_e32 v6, vcc, s34, v6
	v_addc_co_u32_e32 v7, vcc, v7, v27, vcc
	v_cmp_le_u64_e32 vcc, s[38:39], v[8:9]
	s_mov_b64 s[48:49], 0
	s_orn2_b64 s[46:47], vcc, exec
	s_branch .LBB168_150
.LBB168_155:                            ;   in Loop: Header=BB168_6 Depth=1
	s_or_b64 exec, exec, s[4:5]
	s_andn2_b64 s[4:5], s[10:11], exec
	s_and_b64 s[10:11], s[40:41], exec
	v_lshrrev_b32_e32 v8, 16, v26
	s_or_b64 s[10:11], s[4:5], s[10:11]
.LBB168_156:                            ;   in Loop: Header=BB168_6 Depth=1
	s_or_b64 exec, exec, s[16:17]
	s_mov_b64 s[46:47], 0
	s_mov_b64 s[48:49], -1
.LBB168_157:                            ;   in Loop: Header=BB168_6 Depth=1
	s_orn2_b64 s[4:5], s[10:11], exec
.LBB168_158:                            ;   in Loop: Header=BB168_6 Depth=1
	s_or_b64 exec, exec, s[20:21]
	s_mov_b64 s[10:11], 0
	s_and_saveexec_b64 s[38:39], s[4:5]
	s_cbranch_execz .LBB168_267
; %bb.159:                              ;   in Loop: Header=BB168_6 Depth=1
	v_mov_b32_e32 v6, 1
	s_xor_b64 s[4:5], s[8:9], -1
	v_mov_b32_e32 v2, 1
	v_mov_b32_e32 v7, 0
	s_and_saveexec_b64 s[8:9], s[4:5]
	s_cbranch_execz .LBB168_168
; %bb.160:                              ;   in Loop: Header=BB168_6 Depth=1
	v_cmp_ge_u64_e32 vcc, s[94:95], v[4:5]
	s_and_saveexec_b64 s[4:5], vcc
	s_xor_b64 s[4:5], exec, s[4:5]
	s_cbranch_execz .LBB168_165
; %bb.161:                              ;   in Loop: Header=BB168_6 Depth=1
	ds_read_b64 v[6:7], v3 offset:5120
	v_and_b32_e32 v2, s61, v11
	v_lshl_or_b32 v11, 1, s63, v2
	v_or_b32_e32 v10, s60, v10
	s_waitcnt lgkmcnt(0)
	v_cmp_ne_u64_e32 vcc, 0, v[6:7]
	s_cbranch_vccnz .LBB168_165
; %bb.162:                              ;   in Loop: Header=BB168_6 Depth=1
	s_mov_b64 s[10:11], exec
	v_readlane_b32 s16, v49, 8
	v_readlane_b32 s17, v49, 9
	s_and_b64 s[16:17], s[10:11], s[16:17]
	s_mov_b64 exec, s[16:17]
; %bb.163:                              ;   in Loop: Header=BB168_6 Depth=1
	v_mov_b32_e32 v6, s94
	v_mov_b32_e32 v7, s95
	ds_write_b64 v3, v[6:7] offset:5128
; %bb.164:                              ;   in Loop: Header=BB168_6 Depth=1
	s_or_b64 exec, exec, s[10:11]
	s_waitcnt lgkmcnt(0)
	s_barrier
.LBB168_165:                            ;   in Loop: Header=BB168_6 Depth=1
	s_or_saveexec_b64 s[4:5], s[4:5]
	s_mov_b64 s[10:11], 0
	v_mov_b32_e32 v2, 8
	s_xor_b64 exec, exec, s[4:5]
; %bb.166:                              ;   in Loop: Header=BB168_6 Depth=1
	v_subrev_co_u32_e32 v4, vcc, s94, v4
	v_mov_b32_e32 v2, s95
	v_subb_co_u32_e32 v5, vcc, v5, v2, vcc
	v_mov_b32_e32 v2, 0
	s_mov_b64 s[10:11], exec
; %bb.167:                              ;   in Loop: Header=BB168_6 Depth=1
	s_or_b64 exec, exec, s[4:5]
	v_mov_b32_e32 v7, v5
	s_and_b64 s[10:11], s[10:11], exec
	v_mov_b32_e32 v6, v4
.LBB168_168:                            ;   in Loop: Header=BB168_6 Depth=1
	s_or_b64 exec, exec, s[8:9]
	s_mov_b64 s[4:5], -1
                                        ; implicit-def: $sgpr8_sgpr9
                                        ; kill: killed $sgpr8_sgpr9
                                        ; implicit-def: $sgpr8_sgpr9
                                        ; kill: killed $sgpr8_sgpr9
	s_and_saveexec_b64 s[20:21], s[10:11]
	s_cbranch_execz .LBB168_266
; %bb.169:                              ;   in Loop: Header=BB168_6 Depth=1
	s_cmp_eq_u64 s[42:43], 1
	v_cmp_eq_u64_e32 vcc, 1, v[6:7]
	s_cselect_b64 s[4:5], -1, 0
	s_and_b64 s[8:9], s[4:5], vcc
	s_mov_b64 s[4:5], -1
                                        ; implicit-def: $sgpr10_sgpr11
                                        ; kill: killed $sgpr10_sgpr11
                                        ; implicit-def: $sgpr10_sgpr11
                                        ; kill: killed $sgpr10_sgpr11
	s_and_saveexec_b64 s[40:41], s[8:9]
	s_cbranch_execz .LBB168_203
; %bb.170:                              ;   in Loop: Header=BB168_6 Depth=1
	ds_read_b64 v[4:5], v3 offset:5120
	s_waitcnt lgkmcnt(0)
	s_barrier
	v_readfirstlane_b32 s58, v4
	v_readfirstlane_b32 s59, v5
	s_mov_b64 s[4:5], exec
	v_readlane_b32 s10, v49, 28
	v_readlane_b32 s11, v49, 29
	s_and_b64 s[10:11], s[4:5], s[10:11]
	s_mov_b64 exec, s[10:11]
; %bb.171:                              ;   in Loop: Header=BB168_6 Depth=1
	ds_write_b16 v40, v3
; %bb.172:                              ;   in Loop: Header=BB168_6 Depth=1
	s_or_b64 exec, exec, s[4:5]
	s_mov_b64 s[4:5], -1
	v_writelane_b32 v49, s4, 53
	v_and_b32_e32 v4, s61, v11
	v_writelane_b32 v49, s5, 54
	s_mov_b64 s[4:5], 0
	v_lshl_or_b32 v11, 2, s63, v4
	v_or_b32_e32 v10, s60, v10
	v_writelane_b32 v49, s4, 51
	s_cmp_eq_u64 s[58:59], 0
	s_mov_b64 s[10:11], 0
	s_mov_b64 s[16:17], -1
	s_waitcnt lgkmcnt(0)
	s_barrier
	v_writelane_b32 v49, s5, 52
                                        ; implicit-def: $vgpr8
	s_cbranch_scc1 .LBB168_188
; %bb.173:                              ;   in Loop: Header=BB168_6 Depth=1
	v_readlane_b32 s4, v49, 32
	s_add_u32 s52, s58, s4
	v_readlane_b32 s4, v49, 34
	s_addc_u32 s11, s59, s4
	s_mov_b32 s10, s55
	s_cmp_lg_u64 s[10:11], 0
	s_cbranch_scc0 .LBB168_220
; %bb.174:                              ;   in Loop: Header=BB168_6 Depth=1
	v_cvt_f32_u32_e32 v4, s33
	s_sub_u32 s10, 0, s33
	s_subb_u32 s16, 0, 0
	v_mac_f32_e32 v4, 0, v41
	v_rcp_f32_e32 v4, v4
	v_mul_f32_e32 v4, 0x5f7ffffc, v4
	v_mul_f32_e32 v5, 0x2f800000, v4
	v_trunc_f32_e32 v5, v5
	v_mac_f32_e32 v4, 0xcf800000, v5
	v_cvt_u32_f32_e32 v5, v5
	v_cvt_u32_f32_e32 v4, v4
	v_readfirstlane_b32 s17, v5
	v_readfirstlane_b32 s4, v4
	s_mul_i32 s5, s10, s17
	s_mul_hi_u32 s54, s10, s4
	s_mul_i32 s53, s16, s4
	s_add_i32 s5, s54, s5
	s_mul_i32 s56, s10, s4
	s_add_i32 s5, s5, s53
	s_mul_hi_u32 s54, s4, s56
	s_mul_i32 s57, s4, s5
	s_mul_hi_u32 s53, s4, s5
	s_add_u32 s54, s54, s57
	s_addc_u32 s53, 0, s53
	s_mul_hi_u32 s64, s17, s56
	s_mul_i32 s56, s17, s56
	s_add_u32 s54, s54, s56
	s_mul_hi_u32 s57, s17, s5
	s_addc_u32 s53, s53, s64
	s_addc_u32 s54, s57, 0
	s_mul_i32 s5, s17, s5
	s_add_u32 s5, s53, s5
	s_addc_u32 s53, 0, s54
	s_add_u32 s54, s4, s5
	s_cselect_b64 s[4:5], -1, 0
	s_cmp_lg_u64 s[4:5], 0
	s_addc_u32 s17, s17, s53
	s_mul_i32 s4, s10, s17
	s_mul_hi_u32 s5, s10, s54
	s_add_i32 s4, s5, s4
	s_mul_i32 s16, s16, s54
	s_add_i32 s4, s4, s16
	s_mul_i32 s10, s10, s54
	s_mul_hi_u32 s16, s17, s10
	s_mul_i32 s53, s17, s10
	s_mul_i32 s57, s54, s4
	s_mul_hi_u32 s10, s54, s10
	s_mul_hi_u32 s56, s54, s4
	s_add_u32 s10, s10, s57
	s_addc_u32 s56, 0, s56
	s_add_u32 s10, s10, s53
	s_mul_hi_u32 s5, s17, s4
	s_addc_u32 s10, s56, s16
	s_addc_u32 s5, s5, 0
	s_mul_i32 s4, s17, s4
	s_add_u32 s4, s10, s4
	s_addc_u32 s10, 0, s5
	s_add_u32 s16, s54, s4
	s_cselect_b64 s[4:5], -1, 0
	s_cmp_lg_u64 s[4:5], 0
	s_addc_u32 s4, s17, s10
	s_mul_i32 s10, s52, s4
	s_mul_hi_u32 s17, s52, s16
	s_mul_hi_u32 s5, s52, s4
	s_add_u32 s10, s17, s10
	s_addc_u32 s5, 0, s5
	s_mul_hi_u32 s53, s11, s16
	s_mul_i32 s16, s11, s16
	s_add_u32 s10, s10, s16
	s_mul_hi_u32 s17, s11, s4
	s_addc_u32 s5, s5, s53
	s_addc_u32 s10, s17, 0
	s_mul_i32 s4, s11, s4
	s_add_u32 s4, s5, s4
	s_addc_u32 s5, 0, s10
	s_mul_i32 s5, s33, s5
	s_mul_hi_u32 s10, s33, s4
	s_add_i32 s10, s10, s5
	s_mul_i32 s4, s33, s4
	s_sub_u32 s16, s52, s4
	s_cselect_b64 s[4:5], -1, 0
	s_cmp_lg_u64 s[4:5], 0
	s_subb_u32 s10, s11, s10
	s_sub_u32 s17, s16, s33
	s_cselect_b64 s[4:5], -1, 0
	s_cmp_lg_u64 s[4:5], 0
	s_subb_u32 s53, s10, 0
	;; [unrolled: 4-line block ×3, first 2 shown]
	s_cmp_ge_u32 s17, s33
	s_cselect_b32 s5, -1, 0
	s_cmp_eq_u32 s53, 0
	s_cselect_b32 s5, s5, -1
	s_cmp_lg_u32 s5, 0
	s_cselect_b32 s4, s4, s53
	s_cselect_b32 s17, s54, s17
	s_cmp_ge_u32 s16, s33
	s_cselect_b32 s5, -1, 0
	s_cmp_eq_u32 s10, 0
	s_cselect_b32 s5, s5, -1
	s_cmp_lg_u32 s5, 0
	s_cselect_b32 s5, s4, s10
	s_cselect_b32 s4, s17, s16
	s_cbranch_execnz .LBB168_176
.LBB168_175:                            ;   in Loop: Header=BB168_6 Depth=1
	v_cvt_f32_u32_e32 v4, s33
	s_sub_i32 s4, 0, s33
	v_rcp_iflag_f32_e32 v4, v4
	v_mul_f32_e32 v4, 0x4f7ffffe, v4
	v_cvt_u32_f32_e32 v4, v4
	v_readfirstlane_b32 s5, v4
	s_mul_i32 s4, s4, s5
	s_mul_hi_u32 s4, s5, s4
	s_add_i32 s5, s5, s4
	s_mul_hi_u32 s4, s52, s5
	s_mul_i32 s4, s4, s33
	s_sub_i32 s4, s52, s4
	s_sub_i32 s5, s4, s33
	s_cmp_ge_u32 s4, s33
	s_cselect_b32 s4, s5, s4
	s_sub_i32 s5, s4, s33
	s_cmp_ge_u32 s4, s33
	s_cselect_b32 s54, s5, s4
	s_mov_b64 s[4:5], s[54:55]
.LBB168_176:                            ;   in Loop: Header=BB168_6 Depth=1
	s_sub_u32 s64, s52, s4
	s_subb_u32 s65, s11, s5
	v_cmp_gt_u64_e32 vcc, s[64:65], v[0:1]
	s_mov_b64 s[16:17], 0
	s_mov_b64 s[10:11], 0
                                        ; implicit-def: $vgpr8
	s_and_saveexec_b64 s[4:5], vcc
	v_readlane_b32 s54, v49, 47
	s_cbranch_execz .LBB168_187
; %bb.177:                              ;   in Loop: Header=BB168_6 Depth=1
	v_mov_b32_e32 v5, v1
	v_mov_b32_e32 v8, v39
	;; [unrolled: 1-line block ×3, first 2 shown]
                                        ; implicit-def: $sgpr66_sgpr67
	s_branch .LBB168_180
.LBB168_178:                            ;   in Loop: Header=BB168_180 Depth=2
	s_or_b64 exec, exec, s[52:53]
	s_waitcnt lgkmcnt(0)
	s_barrier
	ds_read_b32 v9, v3 offset:3072
	s_mov_b64 s[52:53], -1
	s_waitcnt lgkmcnt(0)
	s_barrier
	v_cmp_ne_u32_sdwa s[56:57], v9, v3 src0_sel:WORD_0 src1_sel:DWORD
	s_and_b64 vcc, exec, s[56:57]
	s_mov_b64 s[56:57], -1
	s_cbranch_vccz .LBB168_183
.LBB168_179:                            ;   in Loop: Header=BB168_180 Depth=2
	s_and_b64 s[52:53], exec, s[52:53]
	s_or_b64 s[10:11], s[52:53], s[10:11]
	s_andn2_b64 s[52:53], s[66:67], exec
	s_and_b64 s[56:57], s[56:57], exec
	s_or_b64 s[66:67], s[52:53], s[56:57]
	s_andn2_b64 exec, exec, s[10:11]
	s_cbranch_execz .LBB168_186
.LBB168_180:                            ;   Parent Loop BB168_6 Depth=1
                                        ; =>  This Inner Loop Header: Depth=2
	v_cmp_gt_u64_e32 vcc, s[58:59], v[4:5]
	s_and_saveexec_b64 s[52:53], vcc
	s_cbranch_execz .LBB168_178
; %bb.181:                              ;   in Loop: Header=BB168_180 Depth=2
	ds_read_u16 v9, v8
	s_waitcnt lgkmcnt(0)
	v_add_u32_sdwa v26, sext(v9), s62 dst_sel:DWORD dst_unused:UNUSED_PAD src0_sel:WORD_0 src1_sel:DWORD
	v_and_b32_e32 v26, v26, v10
	v_cmp_eq_u32_e32 vcc, v26, v11
	s_and_b64 exec, exec, vcc
	s_cbranch_execz .LBB168_178
; %bb.182:                              ;   in Loop: Header=BB168_180 Depth=2
	v_perm_b32 v9, v9, 1, v42
	ds_write_b32 v3, v9 offset:3072
	s_branch .LBB168_178
.LBB168_183:                            ;   in Loop: Header=BB168_180 Depth=2
	v_add_co_u32_e32 v4, vcc, s33, v4
	v_addc_co_u32_e32 v5, vcc, 0, v5, vcc
	v_cmp_le_u64_e32 vcc, s[64:65], v[4:5]
	v_add_u32_e32 v8, s69, v8
	s_mov_b64 s[56:57], 0
	s_orn2_b64 s[52:53], vcc, exec
	s_branch .LBB168_179
.LBB168_184:                            ;   in Loop: Header=BB168_6 Depth=1
                                        ; implicit-def: $sgpr4_sgpr5
	s_branch .LBB168_130
.LBB168_185:                            ;   in Loop: Header=BB168_6 Depth=1
                                        ; implicit-def: $sgpr4_sgpr5
	s_branch .LBB168_146
.LBB168_186:                            ;   in Loop: Header=BB168_6 Depth=1
	s_or_b64 exec, exec, s[10:11]
	v_lshrrev_b32_e32 v8, 16, v9
	s_and_b64 s[10:11], s[66:67], exec
.LBB168_187:                            ;   in Loop: Header=BB168_6 Depth=1
	s_or_b64 exec, exec, s[4:5]
	v_readlane_b32 s52, v49, 45
	v_readlane_b32 s53, v49, 46
.LBB168_188:                            ;   in Loop: Header=BB168_6 Depth=1
	s_and_b64 vcc, exec, s[16:17]
	s_cbranch_vccz .LBB168_202
; %bb.189:                              ;   in Loop: Header=BB168_6 Depth=1
	v_readlane_b32 s58, v49, 35
	v_readlane_b32 s59, v49, 36
	s_mov_b32 s58, s55
	s_cmp_lg_u64 s[58:59], 0
	v_writelane_b32 v49, s58, 35
	v_writelane_b32 v49, s59, 36
	s_cbranch_scc0 .LBB168_221
; %bb.190:                              ;   in Loop: Header=BB168_6 Depth=1
	v_cvt_f32_u32_e32 v4, s33
	s_sub_u32 s16, 0, s33
	s_subb_u32 s17, 0, 0
	v_mac_f32_e32 v4, 0, v41
	v_rcp_f32_e32 v4, v4
	v_mul_f32_e32 v4, 0x5f7ffffc, v4
	v_mul_f32_e32 v5, 0x2f800000, v4
	v_trunc_f32_e32 v5, v5
	v_mac_f32_e32 v4, 0xcf800000, v5
	v_cvt_u32_f32_e32 v5, v5
	v_cvt_u32_f32_e32 v4, v4
	v_readfirstlane_b32 s52, v5
	v_readfirstlane_b32 s4, v4
	s_mul_i32 s5, s16, s52
	s_mul_hi_u32 s54, s16, s4
	s_mul_i32 s53, s17, s4
	s_add_i32 s5, s54, s5
	s_mul_i32 s56, s16, s4
	s_add_i32 s5, s5, s53
	s_mul_hi_u32 s54, s4, s56
	s_mul_i32 s57, s4, s5
	s_mul_hi_u32 s53, s4, s5
	s_add_u32 s54, s54, s57
	s_addc_u32 s53, 0, s53
	s_mul_hi_u32 s58, s52, s56
	s_mul_i32 s56, s52, s56
	s_add_u32 s54, s54, s56
	s_mul_hi_u32 s57, s52, s5
	s_addc_u32 s53, s53, s58
	s_addc_u32 s54, s57, 0
	s_mul_i32 s5, s52, s5
	s_add_u32 s5, s53, s5
	s_addc_u32 s53, 0, s54
	s_add_u32 s54, s4, s5
	s_cselect_b64 s[4:5], -1, 0
	s_cmp_lg_u64 s[4:5], 0
	s_addc_u32 s52, s52, s53
	s_mul_i32 s4, s16, s52
	s_mul_hi_u32 s5, s16, s54
	s_add_i32 s4, s5, s4
	s_mul_i32 s17, s17, s54
	s_add_i32 s4, s4, s17
	s_mul_i32 s16, s16, s54
	s_mul_hi_u32 s17, s52, s16
	s_mul_i32 s53, s52, s16
	s_mul_i32 s57, s54, s4
	s_mul_hi_u32 s16, s54, s16
	s_mul_hi_u32 s56, s54, s4
	s_add_u32 s16, s16, s57
	s_addc_u32 s56, 0, s56
	s_add_u32 s16, s16, s53
	s_mul_hi_u32 s5, s52, s4
	s_addc_u32 s16, s56, s17
	s_addc_u32 s5, s5, 0
	s_mul_i32 s4, s52, s4
	s_add_u32 s4, s16, s4
	s_addc_u32 s16, 0, s5
	s_add_u32 s17, s54, s4
	s_cselect_b64 s[4:5], -1, 0
	s_cmp_lg_u64 s[4:5], 0
	s_addc_u32 s4, s52, s16
	v_readlane_b32 s54, v49, 33
	s_mul_i32 s16, s54, s4
	s_mul_hi_u32 s52, s54, s17
	s_mul_hi_u32 s5, s54, s4
	s_add_u32 s16, s52, s16
	s_addc_u32 s5, 0, s5
	s_mul_hi_u32 s53, s59, s17
	s_mul_i32 s17, s59, s17
	s_add_u32 s16, s16, s17
	s_mul_hi_u32 s52, s59, s4
	s_addc_u32 s5, s5, s53
	s_addc_u32 s16, s52, 0
	s_mul_i32 s4, s59, s4
	s_add_u32 s4, s5, s4
	s_addc_u32 s5, 0, s16
	s_mul_i32 s5, s33, s5
	s_mul_hi_u32 s16, s33, s4
	s_add_i32 s16, s16, s5
	s_mul_i32 s4, s33, s4
	s_sub_u32 s17, s54, s4
	s_cselect_b64 s[4:5], -1, 0
	s_cmp_lg_u64 s[4:5], 0
	s_subb_u32 s16, s59, s16
	s_sub_u32 s52, s17, s33
	s_cselect_b64 s[4:5], -1, 0
	s_cmp_lg_u64 s[4:5], 0
	s_subb_u32 s53, s16, 0
	;; [unrolled: 4-line block ×3, first 2 shown]
	s_cmp_ge_u32 s52, s33
	s_cselect_b32 s5, -1, 0
	s_cmp_eq_u32 s53, 0
	s_cselect_b32 s5, s5, -1
	s_cmp_lg_u32 s5, 0
	s_cselect_b32 s4, s4, s53
	s_cselect_b32 s52, s54, s52
	s_cmp_ge_u32 s17, s33
	s_cselect_b32 s5, -1, 0
	s_cmp_eq_u32 s16, 0
	s_cselect_b32 s5, s5, -1
	s_cmp_lg_u32 s5, 0
	s_cselect_b32 s5, s4, s16
	s_cselect_b32 s4, s52, s17
	v_readlane_b32 s52, v49, 45
	v_readlane_b32 s53, v49, 46
	s_cbranch_execnz .LBB168_192
.LBB168_191:                            ;   in Loop: Header=BB168_6 Depth=1
	v_cvt_f32_u32_e32 v4, s33
	s_sub_i32 s4, 0, s33
	v_readlane_b32 s16, v49, 33
	v_rcp_iflag_f32_e32 v4, v4
	v_mul_f32_e32 v4, 0x4f7ffffe, v4
	v_cvt_u32_f32_e32 v4, v4
	v_readfirstlane_b32 s5, v4
	s_mul_i32 s4, s4, s5
	s_mul_hi_u32 s4, s5, s4
	s_add_i32 s5, s5, s4
	s_mul_hi_u32 s4, s16, s5
	s_mul_i32 s4, s4, s33
	s_sub_i32 s4, s16, s4
	s_sub_i32 s5, s4, s33
	s_cmp_ge_u32 s4, s33
	s_cselect_b32 s4, s5, s4
	s_sub_i32 s5, s4, s33
	s_cmp_ge_u32 s4, s33
	s_cselect_b32 s54, s5, s4
	s_mov_b64 s[4:5], s[54:55]
.LBB168_192:                            ;   in Loop: Header=BB168_6 Depth=1
	v_readlane_b32 s16, v49, 33
	s_sub_u32 s58, s16, s4
	v_readlane_b32 s16, v49, 35
	v_readlane_b32 s17, v49, 36
	s_subb_u32 s59, s17, s5
	v_cmp_gt_u64_e32 vcc, s[58:59], v[0:1]
                                        ; implicit-def: $vgpr8
	s_and_saveexec_b64 s[16:17], vcc
	v_readlane_b32 s54, v49, 47
	s_cbranch_execz .LBB168_201
; %bb.193:                              ;   in Loop: Header=BB168_6 Depth=1
	v_mov_b32_e32 v4, v12
	v_mov_b32_e32 v9, v1
	s_mov_b64 s[4:5], 0
	v_mov_b32_e32 v5, v13
	v_mov_b32_e32 v8, v0
                                        ; implicit-def: $sgpr64_sgpr65
	s_branch .LBB168_196
.LBB168_194:                            ;   in Loop: Header=BB168_196 Depth=2
	s_or_b64 exec, exec, s[52:53]
	s_waitcnt lgkmcnt(0)
	s_barrier
	ds_read_b32 v26, v3 offset:3072
	s_mov_b64 s[52:53], -1
	s_waitcnt lgkmcnt(0)
	s_barrier
	v_cmp_eq_u32_sdwa s[56:57], v26, v3 src0_sel:WORD_0 src1_sel:DWORD
	s_and_b64 vcc, exec, s[56:57]
	s_mov_b64 s[56:57], -1
	s_cbranch_vccnz .LBB168_199
.LBB168_195:                            ;   in Loop: Header=BB168_196 Depth=2
	s_and_b64 s[52:53], exec, s[52:53]
	s_or_b64 s[4:5], s[52:53], s[4:5]
	s_andn2_b64 s[52:53], s[64:65], exec
	s_and_b64 s[56:57], s[56:57], exec
	s_or_b64 s[64:65], s[52:53], s[56:57]
	s_andn2_b64 exec, exec, s[4:5]
	s_cbranch_execz .LBB168_200
.LBB168_196:                            ;   Parent Loop BB168_6 Depth=1
                                        ; =>  This Inner Loop Header: Depth=2
	v_cmp_gt_u64_e32 vcc, s[28:29], v[8:9]
	s_and_saveexec_b64 s[52:53], vcc
	s_cbranch_execz .LBB168_194
; %bb.197:                              ;   in Loop: Header=BB168_196 Depth=2
	global_load_ushort v26, v[4:5], off
	s_waitcnt vmcnt(0)
	v_add_u32_sdwa v27, sext(v26), s62 dst_sel:DWORD dst_unused:UNUSED_PAD src0_sel:WORD_0 src1_sel:DWORD
	v_and_b32_e32 v27, v27, v10
	v_cmp_eq_u32_e32 vcc, v27, v11
	s_and_b64 exec, exec, vcc
	s_cbranch_execz .LBB168_194
; %bb.198:                              ;   in Loop: Header=BB168_196 Depth=2
	v_perm_b32 v26, v26, 1, v42
	ds_write_b32 v3, v26 offset:3072
	s_branch .LBB168_194
.LBB168_199:                            ;   in Loop: Header=BB168_196 Depth=2
	v_add_co_u32_e32 v8, vcc, s33, v8
	v_addc_co_u32_e32 v9, vcc, 0, v9, vcc
	v_mov_b32_e32 v27, s35
	v_add_co_u32_e32 v4, vcc, s34, v4
	v_addc_co_u32_e32 v5, vcc, v5, v27, vcc
	v_cmp_le_u64_e32 vcc, s[58:59], v[8:9]
	s_mov_b64 s[56:57], 0
	s_orn2_b64 s[52:53], vcc, exec
	s_branch .LBB168_195
.LBB168_200:                            ;   in Loop: Header=BB168_6 Depth=1
	s_or_b64 exec, exec, s[4:5]
	s_andn2_b64 s[4:5], s[10:11], exec
	s_and_b64 s[10:11], s[64:65], exec
	v_readlane_b32 s52, v49, 45
	v_lshrrev_b32_e32 v8, 16, v26
	s_or_b64 s[10:11], s[4:5], s[10:11]
	v_readlane_b32 s53, v49, 46
.LBB168_201:                            ;   in Loop: Header=BB168_6 Depth=1
	s_or_b64 exec, exec, s[16:17]
	s_mov_b64 s[4:5], 0
	v_writelane_b32 v49, s4, 53
	v_writelane_b32 v49, s5, 54
	s_mov_b64 s[4:5], -1
	v_writelane_b32 v49, s4, 51
	v_writelane_b32 v49, s5, 52
.LBB168_202:                            ;   in Loop: Header=BB168_6 Depth=1
	s_orn2_b64 s[4:5], s[10:11], exec
.LBB168_203:                            ;   in Loop: Header=BB168_6 Depth=1
	s_or_b64 exec, exec, s[40:41]
	s_mov_b64 s[10:11], 0
	s_and_saveexec_b64 s[40:41], s[4:5]
	s_cbranch_execz .LBB168_265
; %bb.204:                              ;   in Loop: Header=BB168_6 Depth=1
	v_mov_b32_e32 v4, 1
	s_xor_b64 s[4:5], s[8:9], -1
	v_mov_b32_e32 v2, 1
	v_mov_b32_e32 v5, 0
	s_and_saveexec_b64 s[8:9], s[4:5]
	s_cbranch_execz .LBB168_213
; %bb.205:                              ;   in Loop: Header=BB168_6 Depth=1
	v_cmp_ge_u64_e32 vcc, s[42:43], v[6:7]
	s_and_saveexec_b64 s[4:5], vcc
	s_xor_b64 s[4:5], exec, s[4:5]
	s_cbranch_execz .LBB168_210
; %bb.206:                              ;   in Loop: Header=BB168_6 Depth=1
	ds_read_b64 v[4:5], v3 offset:5120
	v_and_b32_e32 v2, s61, v11
	v_lshl_or_b32 v11, 2, s63, v2
	v_or_b32_e32 v10, s60, v10
	s_waitcnt lgkmcnt(0)
	v_cmp_ne_u64_e32 vcc, 0, v[4:5]
	s_cbranch_vccnz .LBB168_210
; %bb.207:                              ;   in Loop: Header=BB168_6 Depth=1
	s_mov_b64 s[10:11], exec
	v_readlane_b32 s16, v49, 8
	v_readlane_b32 s17, v49, 9
	s_and_b64 s[16:17], s[10:11], s[16:17]
	s_mov_b64 exec, s[16:17]
; %bb.208:                              ;   in Loop: Header=BB168_6 Depth=1
	v_mov_b32_e32 v4, s42
	v_mov_b32_e32 v5, s43
	ds_write_b64 v3, v[4:5] offset:5128
; %bb.209:                              ;   in Loop: Header=BB168_6 Depth=1
	s_or_b64 exec, exec, s[10:11]
	s_waitcnt lgkmcnt(0)
	s_barrier
.LBB168_210:                            ;   in Loop: Header=BB168_6 Depth=1
	s_or_saveexec_b64 s[4:5], s[4:5]
	s_mov_b64 s[10:11], 0
	v_mov_b32_e32 v2, 8
	s_xor_b64 exec, exec, s[4:5]
; %bb.211:                              ;   in Loop: Header=BB168_6 Depth=1
	v_subrev_co_u32_e32 v6, vcc, s42, v6
	v_mov_b32_e32 v2, s43
	v_subb_co_u32_e32 v7, vcc, v7, v2, vcc
	v_mov_b32_e32 v2, 0
	s_mov_b64 s[10:11], exec
; %bb.212:                              ;   in Loop: Header=BB168_6 Depth=1
	s_or_b64 exec, exec, s[4:5]
	v_mov_b32_e32 v4, v6
	s_and_b64 s[10:11], s[10:11], exec
	v_mov_b32_e32 v5, v7
.LBB168_213:                            ;   in Loop: Header=BB168_6 Depth=1
	s_or_b64 exec, exec, s[8:9]
	s_mov_b64 s[4:5], -1
                                        ; implicit-def: $sgpr8_sgpr9
                                        ; kill: killed $sgpr8_sgpr9
                                        ; implicit-def: $sgpr56_sgpr57
	s_and_saveexec_b64 s[8:9], s[10:11]
	s_cbranch_execz .LBB168_264
; %bb.214:                              ;   in Loop: Header=BB168_6 Depth=1
	s_cmp_eq_u64 s[44:45], 1
	v_cmp_eq_u64_e32 vcc, 1, v[4:5]
	s_cselect_b64 s[4:5], -1, 0
	s_and_b64 s[10:11], s[4:5], vcc
	s_mov_b64 s[4:5], -1
                                        ; implicit-def: $sgpr16_sgpr17
                                        ; kill: killed $sgpr16_sgpr17
                                        ; implicit-def: $sgpr56_sgpr57
	s_mov_b64 s[16:17], exec
	v_writelane_b32 v49, s10, 55
	v_writelane_b32 v49, s11, 56
	v_writelane_b32 v49, s16, 57
	s_and_b64 s[10:11], s[16:17], s[10:11]
	v_writelane_b32 v49, s17, 58
	s_mov_b64 exec, s[10:11]
	s_cbranch_execz .LBB168_252
; %bb.215:                              ;   in Loop: Header=BB168_6 Depth=1
	ds_read_b64 v[6:7], v3 offset:5120
	s_waitcnt lgkmcnt(0)
	s_barrier
	v_readfirstlane_b32 s58, v6
	v_readfirstlane_b32 s59, v7
	s_mov_b64 s[4:5], exec
	v_readlane_b32 s10, v49, 28
	v_readlane_b32 s11, v49, 29
	s_and_b64 s[10:11], s[4:5], s[10:11]
	s_mov_b64 exec, s[10:11]
; %bb.216:                              ;   in Loop: Header=BB168_6 Depth=1
	ds_write_b16 v40, v3
; %bb.217:                              ;   in Loop: Header=BB168_6 Depth=1
	s_or_b64 exec, exec, s[4:5]
	s_mov_b64 s[4:5], 0
	v_or_b32_e32 v11, s60, v11
	v_or_b32_e32 v10, s60, v10
	s_mov_b64 s[56:57], -1
	v_writelane_b32 v49, s4, 59
	s_cmp_eq_u64 s[58:59], 0
	s_mov_b64 s[64:65], 0
	s_mov_b64 s[10:11], -1
	s_waitcnt lgkmcnt(0)
	s_barrier
	v_writelane_b32 v49, s5, 60
                                        ; implicit-def: $vgpr8
	s_cbranch_scc1 .LBB168_235
; %bb.218:                              ;   in Loop: Header=BB168_6 Depth=1
	v_readlane_b32 s4, v49, 32
	s_add_u32 s52, s58, s4
	v_readlane_b32 s4, v49, 34
	s_addc_u32 s11, s59, s4
	s_mov_b32 s10, s55
	s_cmp_lg_u64 s[10:11], 0
	s_cbranch_scc0 .LBB168_222
; %bb.219:                              ;   in Loop: Header=BB168_6 Depth=1
	v_cvt_f32_u32_e32 v6, s33
	s_sub_u32 s10, 0, s33
	s_subb_u32 s16, 0, 0
	v_mac_f32_e32 v6, 0, v41
	v_rcp_f32_e32 v6, v6
	v_mul_f32_e32 v6, 0x5f7ffffc, v6
	v_mul_f32_e32 v7, 0x2f800000, v6
	v_trunc_f32_e32 v7, v7
	v_mac_f32_e32 v6, 0xcf800000, v7
	v_cvt_u32_f32_e32 v7, v7
	v_cvt_u32_f32_e32 v6, v6
	v_readfirstlane_b32 s17, v7
	v_readfirstlane_b32 s4, v6
	s_mul_i32 s5, s10, s17
	s_mul_hi_u32 s54, s10, s4
	s_mul_i32 s53, s16, s4
	s_add_i32 s5, s54, s5
	s_mul_i32 s56, s10, s4
	s_add_i32 s5, s5, s53
	s_mul_hi_u32 s54, s4, s56
	s_mul_i32 s57, s4, s5
	s_mul_hi_u32 s53, s4, s5
	s_add_u32 s54, s54, s57
	s_addc_u32 s53, 0, s53
	s_mul_hi_u32 s64, s17, s56
	s_mul_i32 s56, s17, s56
	s_add_u32 s54, s54, s56
	s_mul_hi_u32 s57, s17, s5
	s_addc_u32 s53, s53, s64
	s_addc_u32 s54, s57, 0
	s_mul_i32 s5, s17, s5
	s_add_u32 s5, s53, s5
	s_addc_u32 s53, 0, s54
	s_add_u32 s54, s4, s5
	s_cselect_b64 s[4:5], -1, 0
	s_cmp_lg_u64 s[4:5], 0
	s_addc_u32 s17, s17, s53
	s_mul_i32 s4, s10, s17
	s_mul_hi_u32 s5, s10, s54
	s_add_i32 s4, s5, s4
	s_mul_i32 s16, s16, s54
	s_add_i32 s4, s4, s16
	s_mul_i32 s10, s10, s54
	s_mul_hi_u32 s16, s17, s10
	s_mul_i32 s53, s17, s10
	s_mul_i32 s57, s54, s4
	s_mul_hi_u32 s10, s54, s10
	s_mul_hi_u32 s56, s54, s4
	s_add_u32 s10, s10, s57
	s_addc_u32 s56, 0, s56
	s_add_u32 s10, s10, s53
	s_mul_hi_u32 s5, s17, s4
	s_addc_u32 s10, s56, s16
	s_addc_u32 s5, s5, 0
	s_mul_i32 s4, s17, s4
	s_add_u32 s4, s10, s4
	s_addc_u32 s10, 0, s5
	s_add_u32 s16, s54, s4
	s_cselect_b64 s[4:5], -1, 0
	s_cmp_lg_u64 s[4:5], 0
	s_addc_u32 s4, s17, s10
	s_mul_i32 s10, s52, s4
	s_mul_hi_u32 s17, s52, s16
	s_mul_hi_u32 s5, s52, s4
	s_add_u32 s10, s17, s10
	s_addc_u32 s5, 0, s5
	s_mul_hi_u32 s53, s11, s16
	s_mul_i32 s16, s11, s16
	s_add_u32 s10, s10, s16
	s_mul_hi_u32 s17, s11, s4
	s_addc_u32 s5, s5, s53
	s_addc_u32 s10, s17, 0
	s_mul_i32 s4, s11, s4
	s_add_u32 s4, s5, s4
	s_addc_u32 s5, 0, s10
	s_mul_i32 s5, s33, s5
	s_mul_hi_u32 s10, s33, s4
	s_add_i32 s10, s10, s5
	s_mul_i32 s4, s33, s4
	s_sub_u32 s16, s52, s4
	s_cselect_b64 s[4:5], -1, 0
	s_cmp_lg_u64 s[4:5], 0
	s_subb_u32 s10, s11, s10
	s_sub_u32 s17, s16, s33
	s_cselect_b64 s[4:5], -1, 0
	s_cmp_lg_u64 s[4:5], 0
	s_subb_u32 s53, s10, 0
	;; [unrolled: 4-line block ×3, first 2 shown]
	s_cmp_ge_u32 s17, s33
	s_cselect_b32 s5, -1, 0
	s_cmp_eq_u32 s53, 0
	s_cselect_b32 s5, s5, -1
	s_cmp_lg_u32 s5, 0
	s_cselect_b32 s4, s4, s53
	s_cselect_b32 s17, s54, s17
	s_cmp_ge_u32 s16, s33
	s_cselect_b32 s5, -1, 0
	s_cmp_eq_u32 s10, 0
	s_cselect_b32 s5, s5, -1
	s_cmp_lg_u32 s5, 0
	v_readlane_b32 s54, v49, 47
	s_cselect_b32 s5, s4, s10
	s_cselect_b32 s4, s17, s16
	s_mov_b64 s[16:17], 0
	s_branch .LBB168_223
.LBB168_220:                            ;   in Loop: Header=BB168_6 Depth=1
                                        ; implicit-def: $sgpr4_sgpr5
	s_andn2_b64 vcc, exec, s[16:17]
	s_cbranch_vccz .LBB168_175
	s_branch .LBB168_176
.LBB168_221:                            ;   in Loop: Header=BB168_6 Depth=1
                                        ; implicit-def: $sgpr4_sgpr5
	s_branch .LBB168_191
.LBB168_222:                            ;   in Loop: Header=BB168_6 Depth=1
	s_mov_b64 s[16:17], -1
                                        ; implicit-def: $sgpr4_sgpr5
.LBB168_223:                            ;   in Loop: Header=BB168_6 Depth=1
	s_andn2_b64 vcc, exec, s[16:17]
	s_cbranch_vccnz .LBB168_225
; %bb.224:                              ;   in Loop: Header=BB168_6 Depth=1
	v_cvt_f32_u32_e32 v6, s33
	s_sub_i32 s4, 0, s33
	v_rcp_iflag_f32_e32 v6, v6
	v_mul_f32_e32 v6, 0x4f7ffffe, v6
	v_cvt_u32_f32_e32 v6, v6
	v_readfirstlane_b32 s5, v6
	s_mul_i32 s4, s4, s5
	s_mul_hi_u32 s4, s5, s4
	s_add_i32 s5, s5, s4
	s_mul_hi_u32 s4, s52, s5
	s_mul_i32 s4, s4, s33
	s_sub_i32 s4, s52, s4
	s_sub_i32 s5, s4, s33
	s_cmp_ge_u32 s4, s33
	s_cselect_b32 s4, s5, s4
	s_sub_i32 s5, s4, s33
	s_cmp_ge_u32 s4, s33
	s_cselect_b32 s54, s5, s4
	s_mov_b64 s[4:5], s[54:55]
	v_readlane_b32 s54, v49, 47
.LBB168_225:                            ;   in Loop: Header=BB168_6 Depth=1
	s_sub_u32 s16, s52, s4
	s_subb_u32 s17, s11, s5
	v_cmp_gt_u64_e32 vcc, s[16:17], v[0:1]
	s_mov_b64 s[10:11], 0
	s_mov_b64 s[64:65], 0
                                        ; implicit-def: $vgpr8
	s_and_saveexec_b64 s[4:5], vcc
	s_cbranch_execz .LBB168_234
; %bb.226:                              ;   in Loop: Header=BB168_6 Depth=1
	v_mov_b32_e32 v7, v1
	v_mov_b32_e32 v8, v39
	;; [unrolled: 1-line block ×3, first 2 shown]
                                        ; implicit-def: $sgpr66_sgpr67
	s_branch .LBB168_229
.LBB168_227:                            ;   in Loop: Header=BB168_229 Depth=2
	s_or_b64 exec, exec, s[52:53]
	s_waitcnt lgkmcnt(0)
	s_barrier
	ds_read_b32 v9, v3 offset:3072
	s_mov_b64 s[52:53], -1
	s_waitcnt lgkmcnt(0)
	s_barrier
	v_cmp_ne_u32_sdwa s[56:57], v9, v3 src0_sel:WORD_0 src1_sel:DWORD
	s_and_b64 vcc, exec, s[56:57]
	s_mov_b64 s[56:57], -1
	s_cbranch_vccz .LBB168_232
.LBB168_228:                            ;   in Loop: Header=BB168_229 Depth=2
	s_and_b64 s[52:53], exec, s[52:53]
	s_or_b64 s[64:65], s[52:53], s[64:65]
	s_andn2_b64 s[52:53], s[66:67], exec
	s_and_b64 s[56:57], s[56:57], exec
	s_or_b64 s[66:67], s[52:53], s[56:57]
	s_andn2_b64 exec, exec, s[64:65]
	s_cbranch_execz .LBB168_233
.LBB168_229:                            ;   Parent Loop BB168_6 Depth=1
                                        ; =>  This Inner Loop Header: Depth=2
	v_cmp_gt_u64_e32 vcc, s[58:59], v[6:7]
	s_and_saveexec_b64 s[52:53], vcc
	s_cbranch_execz .LBB168_227
; %bb.230:                              ;   in Loop: Header=BB168_229 Depth=2
	ds_read_u16 v9, v8
	s_waitcnt lgkmcnt(0)
	v_add_u32_sdwa v26, sext(v9), s62 dst_sel:DWORD dst_unused:UNUSED_PAD src0_sel:WORD_0 src1_sel:DWORD
	v_and_b32_e32 v26, v26, v10
	v_cmp_eq_u32_e32 vcc, v26, v11
	s_and_b64 exec, exec, vcc
	s_cbranch_execz .LBB168_227
; %bb.231:                              ;   in Loop: Header=BB168_229 Depth=2
	v_perm_b32 v9, v9, 1, v42
	ds_write_b32 v3, v9 offset:3072
	s_branch .LBB168_227
.LBB168_232:                            ;   in Loop: Header=BB168_229 Depth=2
	v_add_co_u32_e32 v6, vcc, s33, v6
	v_addc_co_u32_e32 v7, vcc, 0, v7, vcc
	v_cmp_le_u64_e32 vcc, s[16:17], v[6:7]
	v_add_u32_e32 v8, s69, v8
	s_mov_b64 s[56:57], 0
	s_orn2_b64 s[52:53], vcc, exec
	s_branch .LBB168_228
.LBB168_233:                            ;   in Loop: Header=BB168_6 Depth=1
	s_or_b64 exec, exec, s[64:65]
	v_lshrrev_b32_e32 v8, 16, v9
	s_and_b64 s[64:65], s[66:67], exec
.LBB168_234:                            ;   in Loop: Header=BB168_6 Depth=1
	s_or_b64 exec, exec, s[4:5]
	v_readlane_b32 s52, v49, 45
	v_readlane_b32 s53, v49, 46
	s_mov_b64 s[56:57], -1
.LBB168_235:                            ;   in Loop: Header=BB168_6 Depth=1
	s_and_b64 vcc, exec, s[10:11]
	s_cbranch_vccz .LBB168_251
; %bb.236:                              ;   in Loop: Header=BB168_6 Depth=1
	v_readlane_b32 s56, v49, 35
	v_readlane_b32 s57, v49, 36
	s_mov_b32 s56, s55
	s_cmp_lg_u64 s[56:57], 0
	v_writelane_b32 v49, s56, 35
	v_writelane_b32 v49, s57, 36
	s_cbranch_scc0 .LBB168_238
; %bb.237:                              ;   in Loop: Header=BB168_6 Depth=1
	v_cvt_f32_u32_e32 v6, s33
	s_sub_u32 s10, 0, s33
	s_subb_u32 s11, 0, 0
	v_mac_f32_e32 v6, 0, v41
	v_rcp_f32_e32 v6, v6
	v_mul_f32_e32 v6, 0x5f7ffffc, v6
	v_mul_f32_e32 v7, 0x2f800000, v6
	v_trunc_f32_e32 v7, v7
	v_mac_f32_e32 v6, 0xcf800000, v7
	v_cvt_u32_f32_e32 v7, v7
	v_cvt_u32_f32_e32 v6, v6
	v_readfirstlane_b32 s16, v7
	v_readfirstlane_b32 s4, v6
	s_mul_i32 s5, s10, s16
	s_mul_hi_u32 s52, s10, s4
	s_mul_i32 s17, s11, s4
	s_add_i32 s5, s52, s5
	s_mul_i32 s53, s10, s4
	s_add_i32 s5, s5, s17
	s_mul_hi_u32 s52, s4, s53
	s_mul_i32 s54, s4, s5
	s_mul_hi_u32 s17, s4, s5
	s_add_u32 s52, s52, s54
	s_addc_u32 s17, 0, s17
	s_mul_hi_u32 s56, s16, s53
	s_mul_i32 s53, s16, s53
	s_add_u32 s52, s52, s53
	s_mul_hi_u32 s54, s16, s5
	s_addc_u32 s17, s17, s56
	s_addc_u32 s52, s54, 0
	s_mul_i32 s5, s16, s5
	s_add_u32 s5, s17, s5
	s_addc_u32 s17, 0, s52
	s_add_u32 s52, s4, s5
	s_cselect_b64 s[4:5], -1, 0
	s_cmp_lg_u64 s[4:5], 0
	s_addc_u32 s16, s16, s17
	s_mul_i32 s4, s10, s16
	s_mul_hi_u32 s5, s10, s52
	s_add_i32 s4, s5, s4
	s_mul_i32 s11, s11, s52
	s_add_i32 s4, s4, s11
	s_mul_i32 s10, s10, s52
	s_mul_hi_u32 s11, s16, s10
	s_mul_i32 s17, s16, s10
	s_mul_i32 s54, s52, s4
	s_mul_hi_u32 s10, s52, s10
	s_mul_hi_u32 s53, s52, s4
	s_add_u32 s10, s10, s54
	s_addc_u32 s53, 0, s53
	s_add_u32 s10, s10, s17
	s_mul_hi_u32 s5, s16, s4
	s_addc_u32 s10, s53, s11
	s_addc_u32 s5, s5, 0
	s_mul_i32 s4, s16, s4
	s_add_u32 s4, s10, s4
	s_addc_u32 s10, 0, s5
	s_add_u32 s11, s52, s4
	s_cselect_b64 s[4:5], -1, 0
	s_cmp_lg_u64 s[4:5], 0
	s_addc_u32 s4, s16, s10
	v_readlane_b32 s52, v49, 33
	s_mul_i32 s10, s52, s4
	s_mul_hi_u32 s16, s52, s11
	s_mul_hi_u32 s5, s52, s4
	s_add_u32 s10, s16, s10
	s_addc_u32 s5, 0, s5
	s_mul_hi_u32 s17, s57, s11
	s_mul_i32 s11, s57, s11
	s_add_u32 s10, s10, s11
	s_mul_hi_u32 s16, s57, s4
	s_addc_u32 s5, s5, s17
	s_addc_u32 s10, s16, 0
	s_mul_i32 s4, s57, s4
	s_add_u32 s4, s5, s4
	s_addc_u32 s5, 0, s10
	s_mul_i32 s5, s33, s5
	s_mul_hi_u32 s10, s33, s4
	s_add_i32 s10, s10, s5
	s_mul_i32 s4, s33, s4
	s_sub_u32 s11, s52, s4
	s_cselect_b64 s[4:5], -1, 0
	s_cmp_lg_u64 s[4:5], 0
	s_subb_u32 s10, s57, s10
	s_sub_u32 s16, s11, s33
	s_cselect_b64 s[4:5], -1, 0
	s_cmp_lg_u64 s[4:5], 0
	s_subb_u32 s17, s10, 0
	s_sub_u32 s52, s16, s33
	s_cselect_b64 s[4:5], -1, 0
	s_cmp_lg_u64 s[4:5], 0
	s_subb_u32 s4, s17, 0
	s_cmp_ge_u32 s16, s33
	s_cselect_b32 s5, -1, 0
	s_cmp_eq_u32 s17, 0
	s_cselect_b32 s5, s5, -1
	s_cmp_lg_u32 s5, 0
	s_cselect_b32 s4, s4, s17
	s_cselect_b32 s16, s52, s16
	s_cmp_ge_u32 s11, s33
	s_cselect_b32 s5, -1, 0
	s_cmp_eq_u32 s10, 0
	s_cselect_b32 s5, s5, -1
	v_readlane_b32 s52, v49, 45
	s_cmp_lg_u32 s5, 0
	v_readlane_b32 s53, v49, 46
	s_cselect_b32 s5, s4, s10
	s_cselect_b32 s4, s16, s11
	s_mov_b64 s[10:11], 0
	s_branch .LBB168_239
.LBB168_238:                            ;   in Loop: Header=BB168_6 Depth=1
	s_mov_b64 s[10:11], -1
                                        ; implicit-def: $sgpr4_sgpr5
.LBB168_239:                            ;   in Loop: Header=BB168_6 Depth=1
	s_andn2_b64 vcc, exec, s[10:11]
	s_cbranch_vccnz .LBB168_241
; %bb.240:                              ;   in Loop: Header=BB168_6 Depth=1
	v_cvt_f32_u32_e32 v6, s33
	s_sub_i32 s4, 0, s33
	v_readlane_b32 s10, v49, 33
	v_rcp_iflag_f32_e32 v6, v6
	v_mul_f32_e32 v6, 0x4f7ffffe, v6
	v_cvt_u32_f32_e32 v6, v6
	v_readfirstlane_b32 s5, v6
	s_mul_i32 s4, s4, s5
	s_mul_hi_u32 s4, s5, s4
	s_add_i32 s5, s5, s4
	s_mul_hi_u32 s4, s10, s5
	s_mul_i32 s4, s4, s33
	s_sub_i32 s4, s10, s4
	s_sub_i32 s5, s4, s33
	s_cmp_ge_u32 s4, s33
	s_cselect_b32 s4, s5, s4
	s_sub_i32 s5, s4, s33
	s_cmp_ge_u32 s4, s33
	s_cselect_b32 s54, s5, s4
	s_mov_b64 s[4:5], s[54:55]
.LBB168_241:                            ;   in Loop: Header=BB168_6 Depth=1
	v_readlane_b32 s10, v49, 33
	s_sub_u32 s16, s10, s4
	v_readlane_b32 s10, v49, 35
	v_readlane_b32 s11, v49, 36
	s_subb_u32 s17, s11, s5
	v_cmp_gt_u64_e32 vcc, s[16:17], v[0:1]
                                        ; implicit-def: $vgpr8
	s_and_saveexec_b64 s[10:11], vcc
	v_readlane_b32 s54, v49, 47
	s_cbranch_execz .LBB168_250
; %bb.242:                              ;   in Loop: Header=BB168_6 Depth=1
	v_mov_b32_e32 v6, v12
	v_mov_b32_e32 v9, v1
	s_mov_b64 s[4:5], 0
	v_mov_b32_e32 v7, v13
	v_mov_b32_e32 v8, v0
                                        ; implicit-def: $sgpr58_sgpr59
	s_branch .LBB168_245
.LBB168_243:                            ;   in Loop: Header=BB168_245 Depth=2
	s_or_b64 exec, exec, s[52:53]
	s_waitcnt lgkmcnt(0)
	s_barrier
	ds_read_b32 v26, v3 offset:3072
	s_mov_b64 s[52:53], -1
	s_waitcnt lgkmcnt(0)
	s_barrier
	v_cmp_eq_u32_sdwa s[56:57], v26, v3 src0_sel:WORD_0 src1_sel:DWORD
	s_and_b64 vcc, exec, s[56:57]
	s_mov_b64 s[56:57], -1
	s_cbranch_vccnz .LBB168_248
.LBB168_244:                            ;   in Loop: Header=BB168_245 Depth=2
	s_and_b64 s[52:53], exec, s[52:53]
	s_or_b64 s[4:5], s[52:53], s[4:5]
	s_andn2_b64 s[52:53], s[58:59], exec
	s_and_b64 s[56:57], s[56:57], exec
	s_or_b64 s[58:59], s[52:53], s[56:57]
	s_andn2_b64 exec, exec, s[4:5]
	s_cbranch_execz .LBB168_249
.LBB168_245:                            ;   Parent Loop BB168_6 Depth=1
                                        ; =>  This Inner Loop Header: Depth=2
	v_cmp_gt_u64_e32 vcc, s[28:29], v[8:9]
	s_and_saveexec_b64 s[52:53], vcc
	s_cbranch_execz .LBB168_243
; %bb.246:                              ;   in Loop: Header=BB168_245 Depth=2
	global_load_ushort v26, v[6:7], off
	s_waitcnt vmcnt(0)
	v_add_u32_sdwa v27, sext(v26), s62 dst_sel:DWORD dst_unused:UNUSED_PAD src0_sel:WORD_0 src1_sel:DWORD
	v_and_b32_e32 v27, v27, v10
	v_cmp_eq_u32_e32 vcc, v27, v11
	s_and_b64 exec, exec, vcc
	s_cbranch_execz .LBB168_243
; %bb.247:                              ;   in Loop: Header=BB168_245 Depth=2
	v_perm_b32 v26, v26, 1, v42
	ds_write_b32 v3, v26 offset:3072
	s_branch .LBB168_243
.LBB168_248:                            ;   in Loop: Header=BB168_245 Depth=2
	v_add_co_u32_e32 v8, vcc, s33, v8
	v_addc_co_u32_e32 v9, vcc, 0, v9, vcc
	v_mov_b32_e32 v27, s35
	v_add_co_u32_e32 v6, vcc, s34, v6
	v_addc_co_u32_e32 v7, vcc, v7, v27, vcc
	v_cmp_le_u64_e32 vcc, s[16:17], v[8:9]
	s_mov_b64 s[56:57], 0
	s_orn2_b64 s[52:53], vcc, exec
	s_branch .LBB168_244
.LBB168_249:                            ;   in Loop: Header=BB168_6 Depth=1
	s_or_b64 exec, exec, s[4:5]
	s_andn2_b64 s[4:5], s[64:65], exec
	s_and_b64 s[16:17], s[58:59], exec
	v_readlane_b32 s52, v49, 45
	v_lshrrev_b32_e32 v8, 16, v26
	s_or_b64 s[64:65], s[4:5], s[16:17]
	v_readlane_b32 s53, v49, 46
.LBB168_250:                            ;   in Loop: Header=BB168_6 Depth=1
	s_or_b64 exec, exec, s[10:11]
	s_mov_b64 s[4:5], -1
	s_mov_b64 s[56:57], 0
	v_writelane_b32 v49, s4, 59
	v_writelane_b32 v49, s5, 60
.LBB168_251:                            ;   in Loop: Header=BB168_6 Depth=1
	s_orn2_b64 s[4:5], s[64:65], exec
.LBB168_252:                            ;   in Loop: Header=BB168_6 Depth=1
	v_readlane_b32 s10, v49, 57
	v_readlane_b32 s11, v49, 58
	s_or_b64 exec, exec, s[10:11]
	s_mov_b64 s[16:17], 0
	s_and_saveexec_b64 s[10:11], s[4:5]
	s_cbranch_execz .LBB168_263
; %bb.253:                              ;   in Loop: Header=BB168_6 Depth=1
	v_readlane_b32 s4, v49, 55
	v_readlane_b32 s5, v49, 56
	v_mov_b32_e32 v6, 1
	s_xor_b64 s[16:17], s[4:5], -1
	v_mov_b32_e32 v7, 0
	v_mov_b32_e32 v2, 1
	s_and_saveexec_b64 s[4:5], s[16:17]
	s_cbranch_execz .LBB168_262
; %bb.254:                              ;   in Loop: Header=BB168_6 Depth=1
	v_cmp_ge_u64_e32 vcc, s[44:45], v[4:5]
	s_and_saveexec_b64 s[16:17], vcc
	s_xor_b64 s[16:17], exec, s[16:17]
	s_cbranch_execz .LBB168_259
; %bb.255:                              ;   in Loop: Header=BB168_6 Depth=1
	ds_read_b64 v[6:7], v3 offset:5120
	v_or_b32_e32 v11, s60, v11
	v_or_b32_e32 v10, s60, v10
	s_waitcnt lgkmcnt(0)
	v_cmp_ne_u64_e32 vcc, 0, v[6:7]
	s_cbranch_vccnz .LBB168_259
; %bb.256:                              ;   in Loop: Header=BB168_6 Depth=1
	s_mov_b64 s[58:59], s[56:57]
	s_mov_b64 s[52:53], exec
	v_readlane_b32 s56, v49, 8
	v_readlane_b32 s57, v49, 9
	s_and_b64 s[56:57], s[52:53], s[56:57]
	s_mov_b64 exec, s[56:57]
; %bb.257:                              ;   in Loop: Header=BB168_6 Depth=1
	v_mov_b32_e32 v6, s44
	v_mov_b32_e32 v7, s45
	ds_write_b64 v3, v[6:7] offset:5128
; %bb.258:                              ;   in Loop: Header=BB168_6 Depth=1
	s_or_b64 exec, exec, s[52:53]
	s_mov_b64 s[56:57], s[58:59]
	s_waitcnt lgkmcnt(0)
	s_barrier
.LBB168_259:                            ;   in Loop: Header=BB168_6 Depth=1
	s_andn2_saveexec_b64 s[16:17], s[16:17]
; %bb.260:                              ;   in Loop: Header=BB168_6 Depth=1
	v_mov_b32_e32 v2, s45
	v_subrev_co_u32_e32 v4, vcc, s44, v4
	v_subb_co_u32_e32 v5, vcc, v5, v2, vcc
; %bb.261:                              ;   in Loop: Header=BB168_6 Depth=1
	s_or_b64 exec, exec, s[16:17]
	v_mov_b32_e32 v7, v5
	v_readlane_b32 s52, v49, 45
	v_mov_b32_e32 v2, 8
	v_mov_b32_e32 v6, v4
	v_readlane_b32 s53, v49, 46
.LBB168_262:                            ;   in Loop: Header=BB168_6 Depth=1
	s_or_b64 exec, exec, s[4:5]
	v_mov_b32_e32 v4, v6
	s_mov_b64 s[16:17], exec
	v_mov_b32_e32 v5, v7
.LBB168_263:                            ;   in Loop: Header=BB168_6 Depth=1
	s_or_b64 exec, exec, s[10:11]
	s_orn2_b64 s[4:5], s[16:17], exec
.LBB168_264:                            ;   in Loop: Header=BB168_6 Depth=1
	s_or_b64 exec, exec, s[8:9]
	v_readlane_b32 s8, v49, 51
	v_readlane_b32 s10, v49, 59
	;; [unrolled: 1-line block ×4, first 2 shown]
	s_andn2_b64 s[8:9], s[8:9], exec
	s_and_b64 s[10:11], s[10:11], exec
	s_or_b64 s[8:9], s[8:9], s[10:11]
	v_writelane_b32 v49, s8, 51
	v_writelane_b32 v49, s9, 52
	v_readlane_b32 s8, v49, 53
	v_readlane_b32 s9, v49, 54
	s_andn2_b64 s[8:9], s[8:9], exec
	s_and_b64 s[10:11], s[56:57], exec
	s_or_b64 s[8:9], s[8:9], s[10:11]
	v_mov_b32_e32 v7, v5
	v_writelane_b32 v49, s8, 53
	s_and_b64 s[10:11], s[4:5], exec
	v_mov_b32_e32 v6, v4
	v_writelane_b32 v49, s9, 54
.LBB168_265:                            ;   in Loop: Header=BB168_6 Depth=1
	s_or_b64 exec, exec, s[40:41]
	s_orn2_b64 s[4:5], s[10:11], exec
.LBB168_266:                            ;   in Loop: Header=BB168_6 Depth=1
	s_or_b64 exec, exec, s[20:21]
	v_readlane_b32 s10, v49, 51
	v_readlane_b32 s11, v49, 52
	s_andn2_b64 s[8:9], s[48:49], exec
	s_and_b64 s[10:11], s[10:11], exec
	s_or_b64 s[48:49], s[8:9], s[10:11]
	v_readlane_b32 s10, v49, 53
	v_readlane_b32 s11, v49, 54
	s_andn2_b64 s[8:9], s[46:47], exec
	s_and_b64 s[10:11], s[10:11], exec
	v_mov_b32_e32 v4, v6
	s_or_b64 s[46:47], s[8:9], s[10:11]
	s_and_b64 s[10:11], s[4:5], exec
	v_mov_b32_e32 v5, v7
.LBB168_267:                            ;   in Loop: Header=BB168_6 Depth=1
	s_or_b64 exec, exec, s[38:39]
	s_orn2_b64 s[4:5], s[10:11], exec
.LBB168_268:                            ;   in Loop: Header=BB168_6 Depth=1
	s_or_b64 exec, exec, s[6:7]
	s_mov_b64 s[6:7], 0
	s_mov_b64 s[8:9], 0
	s_and_saveexec_b64 s[10:11], s[4:5]
	s_xor_b64 s[4:5], exec, s[10:11]
; %bb.269:                              ;   in Loop: Header=BB168_6 Depth=1
	v_cmp_eq_u32_e32 vcc, 8, v2
	v_cmp_ne_u32_e64 s[6:7], 8, v2
	s_and_b64 s[8:9], s[6:7], exec
	s_and_b64 s[6:7], vcc, exec
; %bb.270:                              ;   in Loop: Header=BB168_6 Depth=1
	s_or_b64 exec, exec, s[4:5]
	s_andn2_b64 s[4:5], s[12:13], exec
	s_and_b64 s[10:11], s[48:49], exec
	s_or_b64 s[12:13], s[4:5], s[10:11]
	s_andn2_b64 s[4:5], s[14:15], exec
	s_and_b64 s[10:11], s[46:47], exec
	s_or_b64 s[14:15], s[4:5], s[10:11]
	s_and_b64 s[46:47], s[8:9], exec
	s_and_b64 s[48:49], s[6:7], exec
.LBB168_271:                            ;   in Loop: Header=BB168_6 Depth=1
	s_or_b64 exec, exec, s[36:37]
.LBB168_272:                            ;   in Loop: Header=BB168_6 Depth=1
	s_and_b64 vcc, exec, s[2:3]
	s_cbranch_vccz .LBB168_288
; %bb.273:                              ;   in Loop: Header=BB168_6 Depth=1
	s_cmp_eq_u64 s[44:45], 1
	s_cselect_b64 s[2:3], -1, 0
	s_and_b64 s[6:7], s[2:3], s[18:19]
	s_mov_b64 s[4:5], -1
                                        ; implicit-def: $sgpr18_sgpr19
                                        ; implicit-def: $sgpr24_sgpr25
	s_and_saveexec_b64 s[2:3], s[6:7]
	s_cbranch_execz .LBB168_306
; %bb.274:                              ;   in Loop: Header=BB168_6 Depth=1
	ds_read_b64 v[4:5], v3 offset:5120
	s_waitcnt lgkmcnt(0)
	s_barrier
	v_readfirstlane_b32 s10, v4
	v_readfirstlane_b32 s11, v5
	s_mov_b64 s[4:5], exec
	v_readlane_b32 s8, v49, 28
	v_readlane_b32 s9, v49, 29
	s_and_b64 s[8:9], s[4:5], s[8:9]
	s_mov_b64 exec, s[8:9]
; %bb.275:                              ;   in Loop: Header=BB168_6 Depth=1
	ds_write_b16 v40, v3
; %bb.276:                              ;   in Loop: Header=BB168_6 Depth=1
	s_or_b64 exec, exec, s[4:5]
	v_or_b32_e32 v37, s60, v37
	v_or_b32_e32 v43, s60, v43
	s_mov_b64 s[24:25], -1
	s_mov_b64 s[18:19], 0
	s_cmp_eq_u64 s[10:11], 0
	s_mov_b64 s[8:9], 0
	s_mov_b64 s[12:13], -1
	s_waitcnt lgkmcnt(0)
	s_barrier
                                        ; implicit-def: $vgpr44
	s_cbranch_scc1 .LBB168_291
; %bb.277:                              ;   in Loop: Header=BB168_6 Depth=1
	v_readlane_b32 s4, v49, 32
	s_add_u32 s14, s10, s4
	v_readlane_b32 s4, v49, 34
	s_addc_u32 s9, s11, s4
	s_mov_b32 s8, s55
	s_cmp_lg_u64 s[8:9], 0
	s_cbranch_scc0 .LBB168_332
; %bb.278:                              ;   in Loop: Header=BB168_6 Depth=1
	v_cvt_f32_u32_e32 v2, s33
	s_sub_u32 s8, 0, s33
	s_subb_u32 s12, 0, 0
	v_mac_f32_e32 v2, 0, v41
	v_rcp_f32_e32 v2, v2
	v_mul_f32_e32 v2, 0x5f7ffffc, v2
	v_mul_f32_e32 v4, 0x2f800000, v2
	v_trunc_f32_e32 v4, v4
	v_mac_f32_e32 v2, 0xcf800000, v4
	v_cvt_u32_f32_e32 v4, v4
	v_cvt_u32_f32_e32 v2, v2
	v_readfirstlane_b32 s13, v4
	v_readfirstlane_b32 s4, v2
	s_mul_i32 s5, s8, s13
	s_mul_hi_u32 s16, s8, s4
	s_mul_i32 s15, s12, s4
	s_add_i32 s5, s16, s5
	s_mul_i32 s17, s8, s4
	s_add_i32 s5, s5, s15
	s_mul_hi_u32 s16, s4, s17
	s_mul_i32 s20, s4, s5
	s_mul_hi_u32 s15, s4, s5
	s_add_u32 s16, s16, s20
	s_addc_u32 s15, 0, s15
	s_mul_hi_u32 s21, s13, s17
	s_mul_i32 s17, s13, s17
	s_add_u32 s16, s16, s17
	s_mul_hi_u32 s20, s13, s5
	s_addc_u32 s15, s15, s21
	s_addc_u32 s16, s20, 0
	s_mul_i32 s5, s13, s5
	s_add_u32 s5, s15, s5
	s_addc_u32 s15, 0, s16
	s_add_u32 s16, s4, s5
	s_cselect_b64 s[4:5], -1, 0
	s_cmp_lg_u64 s[4:5], 0
	s_addc_u32 s13, s13, s15
	s_mul_i32 s4, s8, s13
	s_mul_hi_u32 s5, s8, s16
	s_add_i32 s4, s5, s4
	s_mul_i32 s12, s12, s16
	s_add_i32 s4, s4, s12
	s_mul_i32 s8, s8, s16
	s_mul_hi_u32 s12, s13, s8
	s_mul_i32 s15, s13, s8
	s_mul_i32 s20, s16, s4
	s_mul_hi_u32 s8, s16, s8
	s_mul_hi_u32 s17, s16, s4
	s_add_u32 s8, s8, s20
	s_addc_u32 s17, 0, s17
	s_add_u32 s8, s8, s15
	s_mul_hi_u32 s5, s13, s4
	s_addc_u32 s8, s17, s12
	s_addc_u32 s5, s5, 0
	s_mul_i32 s4, s13, s4
	s_add_u32 s4, s8, s4
	s_addc_u32 s8, 0, s5
	s_add_u32 s12, s16, s4
	s_cselect_b64 s[4:5], -1, 0
	s_cmp_lg_u64 s[4:5], 0
	s_addc_u32 s4, s13, s8
	s_mul_i32 s8, s14, s4
	s_mul_hi_u32 s13, s14, s12
	s_mul_hi_u32 s5, s14, s4
	s_add_u32 s8, s13, s8
	s_addc_u32 s5, 0, s5
	s_mul_hi_u32 s15, s9, s12
	s_mul_i32 s12, s9, s12
	s_add_u32 s8, s8, s12
	s_mul_hi_u32 s13, s9, s4
	s_addc_u32 s5, s5, s15
	s_addc_u32 s8, s13, 0
	s_mul_i32 s4, s9, s4
	s_add_u32 s4, s5, s4
	s_addc_u32 s5, 0, s8
	s_mul_i32 s5, s33, s5
	s_mul_hi_u32 s8, s33, s4
	s_add_i32 s8, s8, s5
	s_mul_i32 s4, s33, s4
	s_sub_u32 s12, s14, s4
	s_cselect_b64 s[4:5], -1, 0
	s_cmp_lg_u64 s[4:5], 0
	s_subb_u32 s8, s9, s8
	s_sub_u32 s13, s12, s33
	s_cselect_b64 s[4:5], -1, 0
	s_cmp_lg_u64 s[4:5], 0
	s_subb_u32 s15, s8, 0
	;; [unrolled: 4-line block ×3, first 2 shown]
	s_cmp_ge_u32 s13, s33
	s_cselect_b32 s5, -1, 0
	s_cmp_eq_u32 s15, 0
	s_cselect_b32 s5, s5, -1
	s_cmp_lg_u32 s5, 0
	s_cselect_b32 s4, s4, s15
	s_cselect_b32 s13, s16, s13
	s_cmp_ge_u32 s12, s33
	s_cselect_b32 s5, -1, 0
	s_cmp_eq_u32 s8, 0
	s_cselect_b32 s5, s5, -1
	s_cmp_lg_u32 s5, 0
	s_cselect_b32 s5, s4, s8
	s_cselect_b32 s4, s13, s12
	s_cbranch_execnz .LBB168_280
.LBB168_279:                            ;   in Loop: Header=BB168_6 Depth=1
	v_cvt_f32_u32_e32 v2, s33
	s_sub_i32 s4, 0, s33
	v_rcp_iflag_f32_e32 v2, v2
	v_mul_f32_e32 v2, 0x4f7ffffe, v2
	v_cvt_u32_f32_e32 v2, v2
	v_readfirstlane_b32 s5, v2
	s_mul_i32 s4, s4, s5
	s_mul_hi_u32 s4, s5, s4
	s_add_i32 s5, s5, s4
	s_mul_hi_u32 s4, s14, s5
	s_mul_i32 s4, s4, s33
	s_sub_i32 s4, s14, s4
	s_sub_i32 s5, s4, s33
	s_cmp_ge_u32 s4, s33
	s_cselect_b32 s4, s5, s4
	s_sub_i32 s5, s4, s33
	s_cmp_ge_u32 s4, s33
	s_cselect_b32 s54, s5, s4
	s_mov_b64 s[4:5], s[54:55]
	v_readlane_b32 s54, v49, 47
.LBB168_280:                            ;   in Loop: Header=BB168_6 Depth=1
	s_sub_u32 s4, s14, s4
	s_subb_u32 s5, s9, s5
	v_cmp_gt_u64_e32 vcc, s[4:5], v[0:1]
	s_mov_b64 s[12:13], 0
	s_mov_b64 s[8:9], 0
                                        ; implicit-def: $vgpr44
	s_and_saveexec_b64 s[14:15], vcc
	s_cbranch_execz .LBB168_290
; %bb.281:                              ;   in Loop: Header=BB168_6 Depth=1
	v_mov_b32_e32 v5, v1
	v_mov_b32_e32 v2, v39
	;; [unrolled: 1-line block ×3, first 2 shown]
                                        ; implicit-def: $sgpr16_sgpr17
	s_branch .LBB168_284
.LBB168_282:                            ;   in Loop: Header=BB168_284 Depth=2
	s_or_b64 exec, exec, s[20:21]
	s_waitcnt lgkmcnt(0)
	s_barrier
	ds_read_b32 v6, v3 offset:3072
	s_mov_b64 s[20:21], -1
	s_waitcnt lgkmcnt(0)
	s_barrier
	v_cmp_ne_u32_sdwa s[36:37], v6, v3 src0_sel:WORD_0 src1_sel:DWORD
	s_and_b64 vcc, exec, s[36:37]
	s_mov_b64 s[36:37], -1
	s_cbranch_vccz .LBB168_287
.LBB168_283:                            ;   in Loop: Header=BB168_284 Depth=2
	s_and_b64 s[20:21], exec, s[20:21]
	s_or_b64 s[8:9], s[20:21], s[8:9]
	s_andn2_b64 s[16:17], s[16:17], exec
	s_and_b64 s[20:21], s[36:37], exec
	s_or_b64 s[16:17], s[16:17], s[20:21]
	s_andn2_b64 exec, exec, s[8:9]
	s_cbranch_execz .LBB168_289
.LBB168_284:                            ;   Parent Loop BB168_6 Depth=1
                                        ; =>  This Inner Loop Header: Depth=2
	v_cmp_gt_u64_e32 vcc, s[10:11], v[4:5]
	s_and_saveexec_b64 s[20:21], vcc
	s_cbranch_execz .LBB168_282
; %bb.285:                              ;   in Loop: Header=BB168_284 Depth=2
	ds_read_u16 v6, v2
	s_waitcnt lgkmcnt(0)
	v_add_u32_sdwa v7, sext(v6), s62 dst_sel:DWORD dst_unused:UNUSED_PAD src0_sel:WORD_0 src1_sel:DWORD
	v_and_b32_e32 v7, v7, v43
	v_cmp_eq_u32_e32 vcc, v7, v37
	s_and_b64 exec, exec, vcc
	s_cbranch_execz .LBB168_282
; %bb.286:                              ;   in Loop: Header=BB168_284 Depth=2
	v_perm_b32 v6, v6, 1, v42
	ds_write_b32 v3, v6 offset:3072
	s_branch .LBB168_282
.LBB168_287:                            ;   in Loop: Header=BB168_284 Depth=2
	v_add_co_u32_e32 v4, vcc, s33, v4
	v_addc_co_u32_e32 v5, vcc, 0, v5, vcc
	v_cmp_le_u64_e32 vcc, s[4:5], v[4:5]
	v_add_u32_e32 v2, s69, v2
	s_mov_b64 s[36:37], 0
	s_orn2_b64 s[20:21], vcc, exec
	s_branch .LBB168_283
.LBB168_288:                            ;   in Loop: Header=BB168_6 Depth=1
	s_mov_b64 s[18:19], 0
	v_mov_b32_e32 v37, v11
	v_mov_b32_e32 v43, v10
	;; [unrolled: 1-line block ×3, first 2 shown]
	s_and_saveexec_b64 s[2:3], s[48:49]
	s_cbranch_execnz .LBB168_465
	s_branch .LBB168_466
.LBB168_289:                            ;   in Loop: Header=BB168_6 Depth=1
	s_or_b64 exec, exec, s[8:9]
	v_lshrrev_b32_e32 v44, 16, v6
	s_and_b64 s[8:9], s[16:17], exec
.LBB168_290:                            ;   in Loop: Header=BB168_6 Depth=1
	s_or_b64 exec, exec, s[14:15]
.LBB168_291:                            ;   in Loop: Header=BB168_6 Depth=1
	s_and_b64 vcc, exec, s[12:13]
	s_cbranch_vccz .LBB168_305
; %bb.292:                              ;   in Loop: Header=BB168_6 Depth=1
	v_readlane_b32 s18, v49, 35
	v_readlane_b32 s19, v49, 36
	s_mov_b32 s18, s55
	s_cmp_lg_u64 s[18:19], 0
	v_writelane_b32 v49, s18, 35
	v_writelane_b32 v49, s19, 36
	s_cbranch_scc0 .LBB168_333
; %bb.293:                              ;   in Loop: Header=BB168_6 Depth=1
	v_cvt_f32_u32_e32 v2, s33
	s_sub_u32 s10, 0, s33
	s_subb_u32 s11, 0, 0
	v_mac_f32_e32 v2, 0, v41
	v_rcp_f32_e32 v2, v2
	v_mul_f32_e32 v2, 0x5f7ffffc, v2
	v_mul_f32_e32 v4, 0x2f800000, v2
	v_trunc_f32_e32 v4, v4
	v_mac_f32_e32 v2, 0xcf800000, v4
	v_cvt_u32_f32_e32 v4, v4
	v_cvt_u32_f32_e32 v2, v2
	v_readfirstlane_b32 s12, v4
	v_readfirstlane_b32 s4, v2
	s_mul_i32 s5, s10, s12
	s_mul_hi_u32 s14, s10, s4
	s_mul_i32 s13, s11, s4
	s_add_i32 s5, s14, s5
	s_mul_i32 s15, s10, s4
	s_add_i32 s5, s5, s13
	s_mul_hi_u32 s14, s4, s15
	s_mul_i32 s16, s4, s5
	s_mul_hi_u32 s13, s4, s5
	s_add_u32 s14, s14, s16
	s_addc_u32 s13, 0, s13
	s_mul_hi_u32 s17, s12, s15
	s_mul_i32 s15, s12, s15
	s_add_u32 s14, s14, s15
	s_mul_hi_u32 s16, s12, s5
	s_addc_u32 s13, s13, s17
	s_addc_u32 s14, s16, 0
	s_mul_i32 s5, s12, s5
	s_add_u32 s5, s13, s5
	s_addc_u32 s13, 0, s14
	s_add_u32 s14, s4, s5
	s_cselect_b64 s[4:5], -1, 0
	s_cmp_lg_u64 s[4:5], 0
	s_addc_u32 s12, s12, s13
	s_mul_i32 s4, s10, s12
	s_mul_hi_u32 s5, s10, s14
	s_add_i32 s4, s5, s4
	s_mul_i32 s11, s11, s14
	s_add_i32 s4, s4, s11
	s_mul_i32 s10, s10, s14
	s_mul_hi_u32 s11, s12, s10
	s_mul_i32 s13, s12, s10
	s_mul_i32 s16, s14, s4
	s_mul_hi_u32 s10, s14, s10
	s_mul_hi_u32 s15, s14, s4
	s_add_u32 s10, s10, s16
	s_addc_u32 s15, 0, s15
	s_add_u32 s10, s10, s13
	s_mul_hi_u32 s5, s12, s4
	s_addc_u32 s10, s15, s11
	s_addc_u32 s5, s5, 0
	s_mul_i32 s4, s12, s4
	s_add_u32 s4, s10, s4
	s_addc_u32 s10, 0, s5
	s_add_u32 s11, s14, s4
	s_cselect_b64 s[4:5], -1, 0
	s_cmp_lg_u64 s[4:5], 0
	s_addc_u32 s4, s12, s10
	v_readlane_b32 s14, v49, 33
	s_mul_i32 s10, s14, s4
	s_mul_hi_u32 s12, s14, s11
	s_mul_hi_u32 s5, s14, s4
	s_add_u32 s10, s12, s10
	s_addc_u32 s5, 0, s5
	s_mul_hi_u32 s13, s19, s11
	s_mul_i32 s11, s19, s11
	s_add_u32 s10, s10, s11
	s_mul_hi_u32 s12, s19, s4
	s_addc_u32 s5, s5, s13
	s_addc_u32 s10, s12, 0
	s_mul_i32 s4, s19, s4
	s_add_u32 s4, s5, s4
	s_addc_u32 s5, 0, s10
	s_mul_i32 s5, s33, s5
	s_mul_hi_u32 s10, s33, s4
	s_add_i32 s10, s10, s5
	s_mul_i32 s4, s33, s4
	s_sub_u32 s11, s14, s4
	s_cselect_b64 s[4:5], -1, 0
	s_cmp_lg_u64 s[4:5], 0
	s_subb_u32 s10, s19, s10
	s_sub_u32 s12, s11, s33
	s_cselect_b64 s[4:5], -1, 0
	s_cmp_lg_u64 s[4:5], 0
	s_subb_u32 s13, s10, 0
	;; [unrolled: 4-line block ×3, first 2 shown]
	s_cmp_ge_u32 s12, s33
	s_cselect_b32 s5, -1, 0
	s_cmp_eq_u32 s13, 0
	s_cselect_b32 s5, s5, -1
	s_cmp_lg_u32 s5, 0
	s_cselect_b32 s4, s4, s13
	s_cselect_b32 s12, s14, s12
	s_cmp_ge_u32 s11, s33
	s_cselect_b32 s5, -1, 0
	s_cmp_eq_u32 s10, 0
	s_cselect_b32 s5, s5, -1
	s_cmp_lg_u32 s5, 0
	s_cselect_b32 s5, s4, s10
	s_cselect_b32 s4, s12, s11
	s_cbranch_execnz .LBB168_295
.LBB168_294:                            ;   in Loop: Header=BB168_6 Depth=1
	v_cvt_f32_u32_e32 v2, s33
	s_sub_i32 s4, 0, s33
	v_readlane_b32 s10, v49, 33
	v_rcp_iflag_f32_e32 v2, v2
	v_mul_f32_e32 v2, 0x4f7ffffe, v2
	v_cvt_u32_f32_e32 v2, v2
	v_readfirstlane_b32 s5, v2
	s_mul_i32 s4, s4, s5
	s_mul_hi_u32 s4, s5, s4
	s_add_i32 s5, s5, s4
	s_mul_hi_u32 s4, s10, s5
	s_mul_i32 s4, s4, s33
	s_sub_i32 s4, s10, s4
	s_sub_i32 s5, s4, s33
	s_cmp_ge_u32 s4, s33
	s_cselect_b32 s4, s5, s4
	s_sub_i32 s5, s4, s33
	s_cmp_ge_u32 s4, s33
	s_cselect_b32 s54, s5, s4
	s_mov_b64 s[4:5], s[54:55]
	v_readlane_b32 s54, v49, 47
.LBB168_295:                            ;   in Loop: Header=BB168_6 Depth=1
	v_readlane_b32 s10, v49, 33
	s_sub_u32 s12, s10, s4
	v_readlane_b32 s10, v49, 35
	v_readlane_b32 s11, v49, 36
	s_subb_u32 s13, s11, s5
	v_cmp_gt_u64_e32 vcc, s[12:13], v[0:1]
                                        ; implicit-def: $vgpr44
	s_and_saveexec_b64 s[10:11], vcc
	s_cbranch_execz .LBB168_304
; %bb.296:                              ;   in Loop: Header=BB168_6 Depth=1
	v_mov_b32_e32 v4, v12
	v_mov_b32_e32 v7, v1
	s_mov_b64 s[4:5], 0
	v_mov_b32_e32 v5, v13
	v_mov_b32_e32 v6, v0
                                        ; implicit-def: $sgpr14_sgpr15
	s_branch .LBB168_299
.LBB168_297:                            ;   in Loop: Header=BB168_299 Depth=2
	s_or_b64 exec, exec, s[16:17]
	s_waitcnt lgkmcnt(0)
	s_barrier
	ds_read_b32 v2, v3 offset:3072
	s_mov_b64 s[16:17], -1
	s_waitcnt lgkmcnt(0)
	s_barrier
	v_cmp_ne_u32_sdwa s[18:19], v2, v3 src0_sel:WORD_0 src1_sel:DWORD
	s_and_b64 vcc, exec, s[18:19]
	s_mov_b64 s[18:19], -1
	s_cbranch_vccz .LBB168_302
.LBB168_298:                            ;   in Loop: Header=BB168_299 Depth=2
	s_and_b64 s[16:17], exec, s[16:17]
	s_or_b64 s[4:5], s[16:17], s[4:5]
	s_andn2_b64 s[14:15], s[14:15], exec
	s_and_b64 s[16:17], s[18:19], exec
	s_or_b64 s[14:15], s[14:15], s[16:17]
	s_andn2_b64 exec, exec, s[4:5]
	s_cbranch_execz .LBB168_303
.LBB168_299:                            ;   Parent Loop BB168_6 Depth=1
                                        ; =>  This Inner Loop Header: Depth=2
	v_cmp_gt_u64_e32 vcc, s[28:29], v[6:7]
	s_and_saveexec_b64 s[16:17], vcc
	s_cbranch_execz .LBB168_297
; %bb.300:                              ;   in Loop: Header=BB168_299 Depth=2
	global_load_ushort v2, v[4:5], off
	s_waitcnt vmcnt(0)
	v_add_u32_sdwa v8, sext(v2), s62 dst_sel:DWORD dst_unused:UNUSED_PAD src0_sel:WORD_0 src1_sel:DWORD
	v_and_b32_e32 v8, v8, v43
	v_cmp_eq_u32_e32 vcc, v8, v37
	s_and_b64 exec, exec, vcc
	s_cbranch_execz .LBB168_297
; %bb.301:                              ;   in Loop: Header=BB168_299 Depth=2
	v_perm_b32 v2, v2, 1, v42
	ds_write_b32 v3, v2 offset:3072
	s_branch .LBB168_297
.LBB168_302:                            ;   in Loop: Header=BB168_299 Depth=2
	v_add_co_u32_e32 v6, vcc, s33, v6
	v_addc_co_u32_e32 v7, vcc, 0, v7, vcc
	v_mov_b32_e32 v8, s35
	v_add_co_u32_e32 v4, vcc, s34, v4
	v_addc_co_u32_e32 v5, vcc, v5, v8, vcc
	v_cmp_le_u64_e32 vcc, s[12:13], v[6:7]
	s_mov_b64 s[18:19], 0
	s_orn2_b64 s[16:17], vcc, exec
	s_branch .LBB168_298
.LBB168_303:                            ;   in Loop: Header=BB168_6 Depth=1
	s_or_b64 exec, exec, s[4:5]
	s_andn2_b64 s[4:5], s[8:9], exec
	s_and_b64 s[8:9], s[14:15], exec
	v_lshrrev_b32_e32 v44, 16, v2
	s_or_b64 s[8:9], s[4:5], s[8:9]
.LBB168_304:                            ;   in Loop: Header=BB168_6 Depth=1
	s_or_b64 exec, exec, s[10:11]
	s_mov_b64 s[24:25], 0
	s_mov_b64 s[18:19], -1
.LBB168_305:                            ;   in Loop: Header=BB168_6 Depth=1
	s_orn2_b64 s[4:5], s[8:9], exec
.LBB168_306:                            ;   in Loop: Header=BB168_6 Depth=1
	s_or_b64 exec, exec, s[2:3]
                                        ; implicit-def: $vgpr4_vgpr5
                                        ; implicit-def: $vgpr2
	s_and_saveexec_b64 s[2:3], s[4:5]
	s_cbranch_execz .LBB168_464
; %bb.307:                              ;   in Loop: Header=BB168_6 Depth=1
	v_mov_b32_e32 v4, 1
	s_xor_b64 s[4:5], s[6:7], -1
	v_mov_b32_e32 v2, 1
	v_mov_b32_e32 v5, 0
	s_mov_b64 s[8:9], 0
	s_and_saveexec_b64 s[6:7], s[4:5]
	s_cbranch_execz .LBB168_316
; %bb.308:                              ;   in Loop: Header=BB168_6 Depth=1
	v_cmp_ge_u64_e32 vcc, s[44:45], v[24:25]
	s_and_saveexec_b64 s[4:5], vcc
	s_xor_b64 s[4:5], exec, s[4:5]
	s_cbranch_execz .LBB168_313
; %bb.309:                              ;   in Loop: Header=BB168_6 Depth=1
	ds_read_b64 v[4:5], v3 offset:5120
	v_or_b32_e32 v37, s60, v37
	v_or_b32_e32 v43, s60, v43
	s_waitcnt lgkmcnt(0)
	v_cmp_ne_u64_e32 vcc, 0, v[4:5]
	s_cbranch_vccnz .LBB168_313
; %bb.310:                              ;   in Loop: Header=BB168_6 Depth=1
	s_mov_b64 s[8:9], exec
	v_readlane_b32 s10, v49, 8
	v_readlane_b32 s11, v49, 9
	s_and_b64 s[10:11], s[8:9], s[10:11]
	s_mov_b64 exec, s[10:11]
; %bb.311:                              ;   in Loop: Header=BB168_6 Depth=1
	v_mov_b32_e32 v4, s44
	v_mov_b32_e32 v5, s45
	ds_write_b64 v3, v[4:5] offset:5128
; %bb.312:                              ;   in Loop: Header=BB168_6 Depth=1
	s_or_b64 exec, exec, s[8:9]
	s_waitcnt lgkmcnt(0)
	s_barrier
.LBB168_313:                            ;   in Loop: Header=BB168_6 Depth=1
	s_or_saveexec_b64 s[4:5], s[4:5]
	s_mov_b64 s[8:9], 0
	v_mov_b32_e32 v2, 5
	s_xor_b64 exec, exec, s[4:5]
; %bb.314:                              ;   in Loop: Header=BB168_6 Depth=1
	v_subrev_co_u32_e32 v24, vcc, s44, v24
	v_mov_b32_e32 v2, s45
	v_subb_co_u32_e32 v25, vcc, v25, v2, vcc
	v_mov_b32_e32 v2, 0
	s_mov_b64 s[8:9], exec
; %bb.315:                              ;   in Loop: Header=BB168_6 Depth=1
	s_or_b64 exec, exec, s[4:5]
	v_mov_b32_e32 v4, v24
	s_and_b64 s[8:9], s[8:9], exec
	v_mov_b32_e32 v5, v25
.LBB168_316:                            ;   in Loop: Header=BB168_6 Depth=1
	s_or_b64 exec, exec, s[6:7]
	s_mov_b64 s[4:5], -1
                                        ; implicit-def: $sgpr12_sgpr13
                                        ; implicit-def: $sgpr14_sgpr15
	s_and_saveexec_b64 s[6:7], s[8:9]
	s_xor_b64 s[6:7], exec, s[6:7]
	s_cbranch_execz .LBB168_461
; %bb.317:                              ;   in Loop: Header=BB168_6 Depth=1
	s_cmp_eq_u64 s[42:43], 1
	v_cmp_eq_u64_e32 vcc, 1, v[4:5]
	s_cselect_b64 s[4:5], -1, 0
	s_and_b64 s[8:9], s[4:5], vcc
	s_mov_b64 s[4:5], -1
                                        ; implicit-def: $sgpr14_sgpr15
                                        ; implicit-def: $sgpr12_sgpr13
	s_and_saveexec_b64 s[20:21], s[8:9]
	s_cbranch_execz .LBB168_351
; %bb.318:                              ;   in Loop: Header=BB168_6 Depth=1
	ds_read_b64 v[6:7], v3 offset:5120
	s_waitcnt lgkmcnt(0)
	s_barrier
	v_readfirstlane_b32 s36, v6
	v_readfirstlane_b32 s37, v7
	s_mov_b64 s[4:5], exec
	v_readlane_b32 s10, v49, 28
	v_readlane_b32 s11, v49, 29
	s_and_b64 s[10:11], s[4:5], s[10:11]
	s_mov_b64 exec, s[10:11]
; %bb.319:                              ;   in Loop: Header=BB168_6 Depth=1
	ds_write_b16 v40, v3
; %bb.320:                              ;   in Loop: Header=BB168_6 Depth=1
	s_or_b64 exec, exec, s[4:5]
	v_and_b32_e32 v6, s61, v37
	v_lshl_or_b32 v37, 2, s63, v6
	v_or_b32_e32 v43, s60, v43
	s_mov_b64 s[12:13], -1
	s_mov_b64 s[14:15], 0
	s_cmp_eq_u64 s[36:37], 0
	s_mov_b64 s[10:11], 0
	s_mov_b64 s[38:39], -1
	s_waitcnt lgkmcnt(0)
	s_barrier
                                        ; implicit-def: $vgpr44
	s_cbranch_scc1 .LBB168_336
; %bb.321:                              ;   in Loop: Header=BB168_6 Depth=1
	v_readlane_b32 s4, v49, 32
	s_add_u32 s38, s36, s4
	v_readlane_b32 s4, v49, 34
	s_addc_u32 s11, s37, s4
	s_mov_b32 s10, s55
	s_cmp_lg_u64 s[10:11], 0
	s_cbranch_scc0 .LBB168_377
; %bb.322:                              ;   in Loop: Header=BB168_6 Depth=1
	v_cvt_f32_u32_e32 v6, s33
	s_sub_u32 s10, 0, s33
	s_subb_u32 s16, 0, 0
	v_mac_f32_e32 v6, 0, v41
	v_rcp_f32_e32 v6, v6
	v_mul_f32_e32 v6, 0x5f7ffffc, v6
	v_mul_f32_e32 v7, 0x2f800000, v6
	v_trunc_f32_e32 v7, v7
	v_mac_f32_e32 v6, 0xcf800000, v7
	v_cvt_u32_f32_e32 v7, v7
	v_cvt_u32_f32_e32 v6, v6
	v_readfirstlane_b32 s17, v7
	v_readfirstlane_b32 s4, v6
	s_mul_i32 s5, s10, s17
	s_mul_hi_u32 s40, s10, s4
	s_mul_i32 s39, s16, s4
	s_add_i32 s5, s40, s5
	s_mul_i32 s41, s10, s4
	s_add_i32 s5, s5, s39
	s_mul_hi_u32 s40, s4, s41
	s_mul_i32 s44, s4, s5
	s_mul_hi_u32 s39, s4, s5
	s_add_u32 s40, s40, s44
	s_addc_u32 s39, 0, s39
	s_mul_hi_u32 s45, s17, s41
	s_mul_i32 s41, s17, s41
	s_add_u32 s40, s40, s41
	s_mul_hi_u32 s44, s17, s5
	s_addc_u32 s39, s39, s45
	s_addc_u32 s40, s44, 0
	s_mul_i32 s5, s17, s5
	s_add_u32 s5, s39, s5
	s_addc_u32 s39, 0, s40
	s_add_u32 s40, s4, s5
	s_cselect_b64 s[4:5], -1, 0
	s_cmp_lg_u64 s[4:5], 0
	s_addc_u32 s17, s17, s39
	s_mul_i32 s4, s10, s17
	s_mul_hi_u32 s5, s10, s40
	s_add_i32 s4, s5, s4
	s_mul_i32 s16, s16, s40
	s_add_i32 s4, s4, s16
	s_mul_i32 s10, s10, s40
	s_mul_hi_u32 s16, s17, s10
	s_mul_i32 s39, s17, s10
	s_mul_i32 s44, s40, s4
	s_mul_hi_u32 s10, s40, s10
	s_mul_hi_u32 s41, s40, s4
	s_add_u32 s10, s10, s44
	s_addc_u32 s41, 0, s41
	s_add_u32 s10, s10, s39
	s_mul_hi_u32 s5, s17, s4
	s_addc_u32 s10, s41, s16
	s_addc_u32 s5, s5, 0
	s_mul_i32 s4, s17, s4
	s_add_u32 s4, s10, s4
	s_addc_u32 s10, 0, s5
	s_add_u32 s16, s40, s4
	s_cselect_b64 s[4:5], -1, 0
	s_cmp_lg_u64 s[4:5], 0
	s_addc_u32 s4, s17, s10
	s_mul_i32 s10, s38, s4
	s_mul_hi_u32 s17, s38, s16
	s_mul_hi_u32 s5, s38, s4
	s_add_u32 s10, s17, s10
	s_addc_u32 s5, 0, s5
	s_mul_hi_u32 s39, s11, s16
	s_mul_i32 s16, s11, s16
	s_add_u32 s10, s10, s16
	s_mul_hi_u32 s17, s11, s4
	s_addc_u32 s5, s5, s39
	s_addc_u32 s10, s17, 0
	s_mul_i32 s4, s11, s4
	s_add_u32 s4, s5, s4
	s_addc_u32 s5, 0, s10
	s_mul_i32 s5, s33, s5
	s_mul_hi_u32 s10, s33, s4
	s_add_i32 s10, s10, s5
	s_mul_i32 s4, s33, s4
	s_sub_u32 s16, s38, s4
	s_cselect_b64 s[4:5], -1, 0
	s_cmp_lg_u64 s[4:5], 0
	s_subb_u32 s10, s11, s10
	s_sub_u32 s17, s16, s33
	s_cselect_b64 s[4:5], -1, 0
	s_cmp_lg_u64 s[4:5], 0
	s_subb_u32 s39, s10, 0
	;; [unrolled: 4-line block ×3, first 2 shown]
	s_cmp_ge_u32 s17, s33
	s_cselect_b32 s5, -1, 0
	s_cmp_eq_u32 s39, 0
	s_cselect_b32 s5, s5, -1
	s_cmp_lg_u32 s5, 0
	s_cselect_b32 s4, s4, s39
	s_cselect_b32 s17, s40, s17
	s_cmp_ge_u32 s16, s33
	s_cselect_b32 s5, -1, 0
	s_cmp_eq_u32 s10, 0
	s_cselect_b32 s5, s5, -1
	s_cmp_lg_u32 s5, 0
	s_cselect_b32 s5, s4, s10
	s_cselect_b32 s4, s17, s16
	s_cbranch_execnz .LBB168_324
.LBB168_323:                            ;   in Loop: Header=BB168_6 Depth=1
	v_cvt_f32_u32_e32 v6, s33
	s_sub_i32 s4, 0, s33
	v_rcp_iflag_f32_e32 v6, v6
	v_mul_f32_e32 v6, 0x4f7ffffe, v6
	v_cvt_u32_f32_e32 v6, v6
	v_readfirstlane_b32 s5, v6
	s_mul_i32 s4, s4, s5
	s_mul_hi_u32 s4, s5, s4
	s_add_i32 s5, s5, s4
	s_mul_hi_u32 s4, s38, s5
	s_mul_i32 s4, s4, s33
	s_sub_i32 s4, s38, s4
	s_sub_i32 s5, s4, s33
	s_cmp_ge_u32 s4, s33
	s_cselect_b32 s4, s5, s4
	s_sub_i32 s5, s4, s33
	s_cmp_ge_u32 s4, s33
	s_cselect_b32 s54, s5, s4
	s_mov_b64 s[4:5], s[54:55]
	v_readlane_b32 s54, v49, 47
.LBB168_324:                            ;   in Loop: Header=BB168_6 Depth=1
	s_sub_u32 s4, s38, s4
	s_subb_u32 s5, s11, s5
	v_cmp_gt_u64_e32 vcc, s[4:5], v[0:1]
	s_mov_b64 s[38:39], 0
	s_mov_b64 s[10:11], 0
                                        ; implicit-def: $vgpr44
	s_and_saveexec_b64 s[16:17], vcc
	s_cbranch_execz .LBB168_335
; %bb.325:                              ;   in Loop: Header=BB168_6 Depth=1
	v_mov_b32_e32 v7, v1
	v_mov_b32_e32 v8, v39
	;; [unrolled: 1-line block ×3, first 2 shown]
                                        ; implicit-def: $sgpr40_sgpr41
	s_branch .LBB168_328
.LBB168_326:                            ;   in Loop: Header=BB168_328 Depth=2
	s_or_b64 exec, exec, s[44:45]
	s_waitcnt lgkmcnt(0)
	s_barrier
	ds_read_b32 v9, v3 offset:3072
	s_mov_b64 s[44:45], -1
	s_waitcnt lgkmcnt(0)
	s_barrier
	v_cmp_ne_u32_sdwa s[52:53], v9, v3 src0_sel:WORD_0 src1_sel:DWORD
	s_and_b64 vcc, exec, s[52:53]
	s_mov_b64 s[52:53], -1
	s_cbranch_vccz .LBB168_331
.LBB168_327:                            ;   in Loop: Header=BB168_328 Depth=2
	s_and_b64 s[44:45], exec, s[44:45]
	s_or_b64 s[10:11], s[44:45], s[10:11]
	s_andn2_b64 s[40:41], s[40:41], exec
	s_and_b64 s[44:45], s[52:53], exec
	s_or_b64 s[40:41], s[40:41], s[44:45]
	s_andn2_b64 exec, exec, s[10:11]
	s_cbranch_execz .LBB168_334
.LBB168_328:                            ;   Parent Loop BB168_6 Depth=1
                                        ; =>  This Inner Loop Header: Depth=2
	v_cmp_gt_u64_e32 vcc, s[36:37], v[6:7]
	s_and_saveexec_b64 s[44:45], vcc
	s_cbranch_execz .LBB168_326
; %bb.329:                              ;   in Loop: Header=BB168_328 Depth=2
	ds_read_u16 v9, v8
	s_waitcnt lgkmcnt(0)
	v_add_u32_sdwa v10, sext(v9), s62 dst_sel:DWORD dst_unused:UNUSED_PAD src0_sel:WORD_0 src1_sel:DWORD
	v_and_b32_e32 v10, v10, v43
	v_cmp_eq_u32_e32 vcc, v10, v37
	s_and_b64 exec, exec, vcc
	s_cbranch_execz .LBB168_326
; %bb.330:                              ;   in Loop: Header=BB168_328 Depth=2
	v_perm_b32 v9, v9, 1, v42
	ds_write_b32 v3, v9 offset:3072
	s_branch .LBB168_326
.LBB168_331:                            ;   in Loop: Header=BB168_328 Depth=2
	v_add_co_u32_e32 v6, vcc, s33, v6
	v_addc_co_u32_e32 v7, vcc, 0, v7, vcc
	v_cmp_le_u64_e32 vcc, s[4:5], v[6:7]
	v_add_u32_e32 v8, s69, v8
	s_mov_b64 s[52:53], 0
	s_orn2_b64 s[44:45], vcc, exec
	s_branch .LBB168_327
.LBB168_332:                            ;   in Loop: Header=BB168_6 Depth=1
                                        ; implicit-def: $sgpr4_sgpr5
	s_andn2_b64 vcc, exec, s[12:13]
	s_cbranch_vccz .LBB168_279
	s_branch .LBB168_280
.LBB168_333:                            ;   in Loop: Header=BB168_6 Depth=1
                                        ; implicit-def: $sgpr4_sgpr5
	s_branch .LBB168_294
.LBB168_334:                            ;   in Loop: Header=BB168_6 Depth=1
	s_or_b64 exec, exec, s[10:11]
	v_readlane_b32 s52, v49, 45
	v_lshrrev_b32_e32 v44, 16, v9
	s_and_b64 s[10:11], s[40:41], exec
	v_readlane_b32 s53, v49, 46
.LBB168_335:                            ;   in Loop: Header=BB168_6 Depth=1
	s_or_b64 exec, exec, s[16:17]
.LBB168_336:                            ;   in Loop: Header=BB168_6 Depth=1
	s_and_b64 vcc, exec, s[38:39]
	s_cbranch_vccz .LBB168_350
; %bb.337:                              ;   in Loop: Header=BB168_6 Depth=1
	v_readlane_b32 s38, v49, 35
	v_readlane_b32 s39, v49, 36
	s_mov_b32 s38, s55
	s_cmp_lg_u64 s[38:39], 0
	v_writelane_b32 v49, s38, 35
	v_writelane_b32 v49, s39, 36
	s_cbranch_scc0 .LBB168_378
; %bb.338:                              ;   in Loop: Header=BB168_6 Depth=1
	v_cvt_f32_u32_e32 v6, s33
	s_sub_u32 s12, 0, s33
	s_subb_u32 s13, 0, 0
	v_mac_f32_e32 v6, 0, v41
	v_rcp_f32_e32 v6, v6
	v_mul_f32_e32 v6, 0x5f7ffffc, v6
	v_mul_f32_e32 v7, 0x2f800000, v6
	v_trunc_f32_e32 v7, v7
	v_mac_f32_e32 v6, 0xcf800000, v7
	v_cvt_u32_f32_e32 v7, v7
	v_cvt_u32_f32_e32 v6, v6
	v_readfirstlane_b32 s14, v7
	v_readfirstlane_b32 s4, v6
	s_mul_i32 s5, s12, s14
	s_mul_hi_u32 s16, s12, s4
	s_mul_i32 s15, s13, s4
	s_add_i32 s5, s16, s5
	s_mul_i32 s17, s12, s4
	s_add_i32 s5, s5, s15
	s_mul_hi_u32 s16, s4, s17
	s_mul_i32 s36, s4, s5
	s_mul_hi_u32 s15, s4, s5
	s_add_u32 s16, s16, s36
	s_addc_u32 s15, 0, s15
	s_mul_hi_u32 s37, s14, s17
	s_mul_i32 s17, s14, s17
	s_add_u32 s16, s16, s17
	s_mul_hi_u32 s36, s14, s5
	s_addc_u32 s15, s15, s37
	s_addc_u32 s16, s36, 0
	s_mul_i32 s5, s14, s5
	s_add_u32 s5, s15, s5
	s_addc_u32 s15, 0, s16
	s_add_u32 s16, s4, s5
	s_cselect_b64 s[4:5], -1, 0
	s_cmp_lg_u64 s[4:5], 0
	s_addc_u32 s14, s14, s15
	s_mul_i32 s4, s12, s14
	s_mul_hi_u32 s5, s12, s16
	s_add_i32 s4, s5, s4
	s_mul_i32 s13, s13, s16
	s_add_i32 s4, s4, s13
	s_mul_i32 s12, s12, s16
	s_mul_hi_u32 s13, s14, s12
	s_mul_i32 s15, s14, s12
	s_mul_i32 s36, s16, s4
	s_mul_hi_u32 s12, s16, s12
	s_mul_hi_u32 s17, s16, s4
	s_add_u32 s12, s12, s36
	s_addc_u32 s17, 0, s17
	s_add_u32 s12, s12, s15
	s_mul_hi_u32 s5, s14, s4
	s_addc_u32 s12, s17, s13
	s_addc_u32 s5, s5, 0
	s_mul_i32 s4, s14, s4
	s_add_u32 s4, s12, s4
	s_addc_u32 s12, 0, s5
	s_add_u32 s13, s16, s4
	s_cselect_b64 s[4:5], -1, 0
	s_cmp_lg_u64 s[4:5], 0
	s_addc_u32 s4, s14, s12
	v_readlane_b32 s16, v49, 33
	s_mul_i32 s12, s16, s4
	s_mul_hi_u32 s14, s16, s13
	s_mul_hi_u32 s5, s16, s4
	s_add_u32 s12, s14, s12
	s_addc_u32 s5, 0, s5
	s_mul_hi_u32 s15, s39, s13
	s_mul_i32 s13, s39, s13
	s_add_u32 s12, s12, s13
	s_mul_hi_u32 s14, s39, s4
	s_addc_u32 s5, s5, s15
	s_addc_u32 s12, s14, 0
	s_mul_i32 s4, s39, s4
	s_add_u32 s4, s5, s4
	s_addc_u32 s5, 0, s12
	s_mul_i32 s5, s33, s5
	s_mul_hi_u32 s12, s33, s4
	s_add_i32 s12, s12, s5
	s_mul_i32 s4, s33, s4
	s_sub_u32 s13, s16, s4
	s_cselect_b64 s[4:5], -1, 0
	s_cmp_lg_u64 s[4:5], 0
	s_subb_u32 s12, s39, s12
	s_sub_u32 s14, s13, s33
	s_cselect_b64 s[4:5], -1, 0
	s_cmp_lg_u64 s[4:5], 0
	s_subb_u32 s15, s12, 0
	s_sub_u32 s16, s14, s33
	s_cselect_b64 s[4:5], -1, 0
	s_cmp_lg_u64 s[4:5], 0
	s_subb_u32 s4, s15, 0
	s_cmp_ge_u32 s14, s33
	s_cselect_b32 s5, -1, 0
	s_cmp_eq_u32 s15, 0
	s_cselect_b32 s5, s5, -1
	s_cmp_lg_u32 s5, 0
	s_cselect_b32 s4, s4, s15
	s_cselect_b32 s14, s16, s14
	s_cmp_ge_u32 s13, s33
	s_cselect_b32 s5, -1, 0
	s_cmp_eq_u32 s12, 0
	s_cselect_b32 s5, s5, -1
	s_cmp_lg_u32 s5, 0
	s_cselect_b32 s5, s4, s12
	s_cselect_b32 s4, s14, s13
	s_cbranch_execnz .LBB168_340
.LBB168_339:                            ;   in Loop: Header=BB168_6 Depth=1
	v_cvt_f32_u32_e32 v6, s33
	s_sub_i32 s4, 0, s33
	v_readlane_b32 s12, v49, 33
	v_rcp_iflag_f32_e32 v6, v6
	v_mul_f32_e32 v6, 0x4f7ffffe, v6
	v_cvt_u32_f32_e32 v6, v6
	v_readfirstlane_b32 s5, v6
	s_mul_i32 s4, s4, s5
	s_mul_hi_u32 s4, s5, s4
	s_add_i32 s5, s5, s4
	s_mul_hi_u32 s4, s12, s5
	s_mul_i32 s4, s4, s33
	s_sub_i32 s4, s12, s4
	s_sub_i32 s5, s4, s33
	s_cmp_ge_u32 s4, s33
	s_cselect_b32 s4, s5, s4
	s_sub_i32 s5, s4, s33
	s_cmp_ge_u32 s4, s33
	s_cselect_b32 s54, s5, s4
	s_mov_b64 s[4:5], s[54:55]
	v_readlane_b32 s54, v49, 47
.LBB168_340:                            ;   in Loop: Header=BB168_6 Depth=1
	v_readlane_b32 s12, v49, 33
	s_sub_u32 s14, s12, s4
	v_readlane_b32 s12, v49, 35
	v_readlane_b32 s13, v49, 36
	s_subb_u32 s15, s13, s5
	v_cmp_gt_u64_e32 vcc, s[14:15], v[0:1]
                                        ; implicit-def: $vgpr44
	s_and_saveexec_b64 s[12:13], vcc
	s_cbranch_execz .LBB168_349
; %bb.341:                              ;   in Loop: Header=BB168_6 Depth=1
	v_mov_b32_e32 v6, v12
	v_mov_b32_e32 v9, v1
	s_mov_b64 s[4:5], 0
	v_mov_b32_e32 v7, v13
	v_mov_b32_e32 v8, v0
                                        ; implicit-def: $sgpr16_sgpr17
	s_branch .LBB168_344
.LBB168_342:                            ;   in Loop: Header=BB168_344 Depth=2
	s_or_b64 exec, exec, s[36:37]
	s_waitcnt lgkmcnt(0)
	s_barrier
	ds_read_b32 v10, v3 offset:3072
	s_mov_b64 s[36:37], -1
	s_waitcnt lgkmcnt(0)
	s_barrier
	v_cmp_eq_u32_sdwa s[38:39], v10, v3 src0_sel:WORD_0 src1_sel:DWORD
	s_and_b64 vcc, exec, s[38:39]
	s_mov_b64 s[38:39], -1
	s_cbranch_vccnz .LBB168_347
.LBB168_343:                            ;   in Loop: Header=BB168_344 Depth=2
	s_and_b64 s[36:37], exec, s[36:37]
	s_or_b64 s[4:5], s[36:37], s[4:5]
	s_andn2_b64 s[16:17], s[16:17], exec
	s_and_b64 s[36:37], s[38:39], exec
	s_or_b64 s[16:17], s[16:17], s[36:37]
	s_andn2_b64 exec, exec, s[4:5]
	s_cbranch_execz .LBB168_348
.LBB168_344:                            ;   Parent Loop BB168_6 Depth=1
                                        ; =>  This Inner Loop Header: Depth=2
	v_cmp_gt_u64_e32 vcc, s[28:29], v[8:9]
	s_and_saveexec_b64 s[36:37], vcc
	s_cbranch_execz .LBB168_342
; %bb.345:                              ;   in Loop: Header=BB168_344 Depth=2
	global_load_ushort v10, v[6:7], off
	s_waitcnt vmcnt(0)
	v_add_u32_sdwa v11, sext(v10), s62 dst_sel:DWORD dst_unused:UNUSED_PAD src0_sel:WORD_0 src1_sel:DWORD
	v_and_b32_e32 v11, v11, v43
	v_cmp_eq_u32_e32 vcc, v11, v37
	s_and_b64 exec, exec, vcc
	s_cbranch_execz .LBB168_342
; %bb.346:                              ;   in Loop: Header=BB168_344 Depth=2
	v_perm_b32 v10, v10, 1, v42
	ds_write_b32 v3, v10 offset:3072
	s_branch .LBB168_342
.LBB168_347:                            ;   in Loop: Header=BB168_344 Depth=2
	v_add_co_u32_e32 v8, vcc, s33, v8
	v_addc_co_u32_e32 v9, vcc, 0, v9, vcc
	v_mov_b32_e32 v11, s35
	v_add_co_u32_e32 v6, vcc, s34, v6
	v_addc_co_u32_e32 v7, vcc, v7, v11, vcc
	v_cmp_le_u64_e32 vcc, s[14:15], v[8:9]
	s_mov_b64 s[38:39], 0
	s_orn2_b64 s[36:37], vcc, exec
	s_branch .LBB168_343
.LBB168_348:                            ;   in Loop: Header=BB168_6 Depth=1
	s_or_b64 exec, exec, s[4:5]
	s_andn2_b64 s[4:5], s[10:11], exec
	s_and_b64 s[10:11], s[16:17], exec
	v_lshrrev_b32_e32 v44, 16, v10
	s_or_b64 s[10:11], s[4:5], s[10:11]
.LBB168_349:                            ;   in Loop: Header=BB168_6 Depth=1
	s_or_b64 exec, exec, s[12:13]
	s_mov_b64 s[12:13], 0
	s_mov_b64 s[14:15], -1
.LBB168_350:                            ;   in Loop: Header=BB168_6 Depth=1
	s_orn2_b64 s[4:5], s[10:11], exec
.LBB168_351:                            ;   in Loop: Header=BB168_6 Depth=1
	s_or_b64 exec, exec, s[20:21]
	s_mov_b64 s[10:11], 0
	s_and_saveexec_b64 s[36:37], s[4:5]
	s_cbranch_execz .LBB168_460
; %bb.352:                              ;   in Loop: Header=BB168_6 Depth=1
	v_mov_b32_e32 v6, 1
	s_xor_b64 s[4:5], s[8:9], -1
	v_mov_b32_e32 v2, 1
	v_mov_b32_e32 v7, 0
	s_and_saveexec_b64 s[8:9], s[4:5]
	s_cbranch_execz .LBB168_361
; %bb.353:                              ;   in Loop: Header=BB168_6 Depth=1
	v_cmp_ge_u64_e32 vcc, s[42:43], v[4:5]
	s_and_saveexec_b64 s[4:5], vcc
	s_xor_b64 s[4:5], exec, s[4:5]
	s_cbranch_execz .LBB168_358
; %bb.354:                              ;   in Loop: Header=BB168_6 Depth=1
	ds_read_b64 v[6:7], v3 offset:5120
	v_and_b32_e32 v2, s61, v37
	v_lshl_or_b32 v37, 2, s63, v2
	v_or_b32_e32 v43, s60, v43
	s_waitcnt lgkmcnt(0)
	v_cmp_ne_u64_e32 vcc, 0, v[6:7]
	s_cbranch_vccnz .LBB168_358
; %bb.355:                              ;   in Loop: Header=BB168_6 Depth=1
	s_mov_b64 s[10:11], exec
	v_readlane_b32 s16, v49, 8
	v_readlane_b32 s17, v49, 9
	s_and_b64 s[16:17], s[10:11], s[16:17]
	s_mov_b64 exec, s[16:17]
; %bb.356:                              ;   in Loop: Header=BB168_6 Depth=1
	v_mov_b32_e32 v6, s42
	v_mov_b32_e32 v7, s43
	ds_write_b64 v3, v[6:7] offset:5128
; %bb.357:                              ;   in Loop: Header=BB168_6 Depth=1
	s_or_b64 exec, exec, s[10:11]
	s_waitcnt lgkmcnt(0)
	s_barrier
.LBB168_358:                            ;   in Loop: Header=BB168_6 Depth=1
	s_or_saveexec_b64 s[4:5], s[4:5]
	s_mov_b64 s[10:11], 0
	v_mov_b32_e32 v2, 5
	s_xor_b64 exec, exec, s[4:5]
; %bb.359:                              ;   in Loop: Header=BB168_6 Depth=1
	v_subrev_co_u32_e32 v4, vcc, s42, v4
	v_mov_b32_e32 v2, s43
	v_subb_co_u32_e32 v5, vcc, v5, v2, vcc
	v_mov_b32_e32 v2, 0
	s_mov_b64 s[10:11], exec
; %bb.360:                              ;   in Loop: Header=BB168_6 Depth=1
	s_or_b64 exec, exec, s[4:5]
	v_mov_b32_e32 v7, v5
	s_and_b64 s[10:11], s[10:11], exec
	v_mov_b32_e32 v6, v4
.LBB168_361:                            ;   in Loop: Header=BB168_6 Depth=1
	s_or_b64 exec, exec, s[8:9]
	s_mov_b64 s[4:5], -1
                                        ; implicit-def: $sgpr20_sgpr21
                                        ; implicit-def: $sgpr42_sgpr43
	s_and_saveexec_b64 s[38:39], s[10:11]
	s_cbranch_execz .LBB168_459
; %bb.362:                              ;   in Loop: Header=BB168_6 Depth=1
	s_cmp_eq_u64 s[94:95], 1
	v_cmp_eq_u64_e32 vcc, 1, v[6:7]
	s_cselect_b64 s[4:5], -1, 0
	s_and_b64 s[8:9], s[4:5], vcc
	s_mov_b64 s[4:5], -1
                                        ; implicit-def: $sgpr42_sgpr43
                                        ; implicit-def: $sgpr20_sgpr21
	s_and_saveexec_b64 s[40:41], s[8:9]
	s_cbranch_execz .LBB168_396
; %bb.363:                              ;   in Loop: Header=BB168_6 Depth=1
	ds_read_b64 v[4:5], v3 offset:5120
	s_waitcnt lgkmcnt(0)
	s_barrier
	v_readfirstlane_b32 s44, v4
	v_readfirstlane_b32 s45, v5
	s_mov_b64 s[4:5], exec
	v_readlane_b32 s10, v49, 28
	v_readlane_b32 s11, v49, 29
	s_and_b64 s[10:11], s[4:5], s[10:11]
	s_mov_b64 exec, s[10:11]
; %bb.364:                              ;   in Loop: Header=BB168_6 Depth=1
	ds_write_b16 v40, v3
; %bb.365:                              ;   in Loop: Header=BB168_6 Depth=1
	s_or_b64 exec, exec, s[4:5]
	v_and_b32_e32 v4, s61, v37
	v_lshl_or_b32 v37, 1, s63, v4
	v_or_b32_e32 v43, s60, v43
	s_mov_b64 s[20:21], -1
	s_mov_b64 s[42:43], 0
	s_cmp_eq_u64 s[44:45], 0
	s_mov_b64 s[10:11], 0
	s_mov_b64 s[58:59], -1
	s_waitcnt lgkmcnt(0)
	s_barrier
                                        ; implicit-def: $vgpr44
	s_cbranch_scc1 .LBB168_381
; %bb.366:                              ;   in Loop: Header=BB168_6 Depth=1
	v_readlane_b32 s4, v49, 32
	s_add_u32 s52, s44, s4
	v_readlane_b32 s4, v49, 34
	s_addc_u32 s11, s45, s4
	s_mov_b32 s10, s55
	s_cmp_lg_u64 s[10:11], 0
	s_cbranch_scc0 .LBB168_413
; %bb.367:                              ;   in Loop: Header=BB168_6 Depth=1
	v_cvt_f32_u32_e32 v4, s33
	s_sub_u32 s10, 0, s33
	s_subb_u32 s16, 0, 0
	v_mac_f32_e32 v4, 0, v41
	v_rcp_f32_e32 v4, v4
	v_mul_f32_e32 v4, 0x5f7ffffc, v4
	v_mul_f32_e32 v5, 0x2f800000, v4
	v_trunc_f32_e32 v5, v5
	v_mac_f32_e32 v4, 0xcf800000, v5
	v_cvt_u32_f32_e32 v5, v5
	v_cvt_u32_f32_e32 v4, v4
	v_readfirstlane_b32 s17, v5
	v_readfirstlane_b32 s4, v4
	s_mul_i32 s5, s10, s17
	s_mul_hi_u32 s54, s10, s4
	s_mul_i32 s53, s16, s4
	s_add_i32 s5, s54, s5
	s_mul_i32 s56, s10, s4
	s_add_i32 s5, s5, s53
	s_mul_hi_u32 s54, s4, s56
	s_mul_i32 s57, s4, s5
	s_mul_hi_u32 s53, s4, s5
	s_add_u32 s54, s54, s57
	s_addc_u32 s53, 0, s53
	s_mul_hi_u32 s58, s17, s56
	s_mul_i32 s56, s17, s56
	s_add_u32 s54, s54, s56
	s_mul_hi_u32 s57, s17, s5
	s_addc_u32 s53, s53, s58
	s_addc_u32 s54, s57, 0
	s_mul_i32 s5, s17, s5
	s_add_u32 s5, s53, s5
	s_addc_u32 s53, 0, s54
	s_add_u32 s54, s4, s5
	s_cselect_b64 s[4:5], -1, 0
	s_cmp_lg_u64 s[4:5], 0
	s_addc_u32 s17, s17, s53
	s_mul_i32 s4, s10, s17
	s_mul_hi_u32 s5, s10, s54
	s_add_i32 s4, s5, s4
	s_mul_i32 s16, s16, s54
	s_add_i32 s4, s4, s16
	s_mul_i32 s10, s10, s54
	s_mul_hi_u32 s16, s17, s10
	s_mul_i32 s53, s17, s10
	s_mul_i32 s57, s54, s4
	s_mul_hi_u32 s10, s54, s10
	s_mul_hi_u32 s56, s54, s4
	s_add_u32 s10, s10, s57
	s_addc_u32 s56, 0, s56
	s_add_u32 s10, s10, s53
	s_mul_hi_u32 s5, s17, s4
	s_addc_u32 s10, s56, s16
	s_addc_u32 s5, s5, 0
	s_mul_i32 s4, s17, s4
	s_add_u32 s4, s10, s4
	s_addc_u32 s10, 0, s5
	s_add_u32 s16, s54, s4
	s_cselect_b64 s[4:5], -1, 0
	s_cmp_lg_u64 s[4:5], 0
	s_addc_u32 s4, s17, s10
	s_mul_i32 s10, s52, s4
	s_mul_hi_u32 s17, s52, s16
	s_mul_hi_u32 s5, s52, s4
	s_add_u32 s10, s17, s10
	s_addc_u32 s5, 0, s5
	s_mul_hi_u32 s53, s11, s16
	s_mul_i32 s16, s11, s16
	s_add_u32 s10, s10, s16
	s_mul_hi_u32 s17, s11, s4
	s_addc_u32 s5, s5, s53
	s_addc_u32 s10, s17, 0
	s_mul_i32 s4, s11, s4
	s_add_u32 s4, s5, s4
	s_addc_u32 s5, 0, s10
	s_mul_i32 s5, s33, s5
	s_mul_hi_u32 s10, s33, s4
	s_add_i32 s10, s10, s5
	s_mul_i32 s4, s33, s4
	s_sub_u32 s16, s52, s4
	s_cselect_b64 s[4:5], -1, 0
	s_cmp_lg_u64 s[4:5], 0
	s_subb_u32 s10, s11, s10
	s_sub_u32 s17, s16, s33
	s_cselect_b64 s[4:5], -1, 0
	s_cmp_lg_u64 s[4:5], 0
	s_subb_u32 s53, s10, 0
	;; [unrolled: 4-line block ×3, first 2 shown]
	s_cmp_ge_u32 s17, s33
	s_cselect_b32 s5, -1, 0
	s_cmp_eq_u32 s53, 0
	s_cselect_b32 s5, s5, -1
	s_cmp_lg_u32 s5, 0
	s_cselect_b32 s4, s4, s53
	s_cselect_b32 s17, s54, s17
	s_cmp_ge_u32 s16, s33
	s_cselect_b32 s5, -1, 0
	s_cmp_eq_u32 s10, 0
	s_cselect_b32 s5, s5, -1
	s_cmp_lg_u32 s5, 0
	s_cselect_b32 s5, s4, s10
	s_cselect_b32 s4, s17, s16
	s_cbranch_execnz .LBB168_369
.LBB168_368:                            ;   in Loop: Header=BB168_6 Depth=1
	v_cvt_f32_u32_e32 v4, s33
	s_sub_i32 s4, 0, s33
	v_rcp_iflag_f32_e32 v4, v4
	v_mul_f32_e32 v4, 0x4f7ffffe, v4
	v_cvt_u32_f32_e32 v4, v4
	v_readfirstlane_b32 s5, v4
	s_mul_i32 s4, s4, s5
	s_mul_hi_u32 s4, s5, s4
	s_add_i32 s5, s5, s4
	s_mul_hi_u32 s4, s52, s5
	s_mul_i32 s4, s4, s33
	s_sub_i32 s4, s52, s4
	s_sub_i32 s5, s4, s33
	s_cmp_ge_u32 s4, s33
	s_cselect_b32 s4, s5, s4
	s_sub_i32 s5, s4, s33
	s_cmp_ge_u32 s4, s33
	s_cselect_b32 s54, s5, s4
	s_mov_b64 s[4:5], s[54:55]
.LBB168_369:                            ;   in Loop: Header=BB168_6 Depth=1
	s_sub_u32 s4, s52, s4
	s_subb_u32 s5, s11, s5
	v_cmp_gt_u64_e32 vcc, s[4:5], v[0:1]
	s_mov_b64 s[58:59], 0
	s_mov_b64 s[10:11], 0
                                        ; implicit-def: $vgpr44
	s_and_saveexec_b64 s[16:17], vcc
	v_readlane_b32 s54, v49, 47
	s_cbranch_execz .LBB168_380
; %bb.370:                              ;   in Loop: Header=BB168_6 Depth=1
	v_mov_b32_e32 v5, v1
	v_mov_b32_e32 v8, v39
	;; [unrolled: 1-line block ×3, first 2 shown]
                                        ; implicit-def: $sgpr64_sgpr65
	s_branch .LBB168_373
.LBB168_371:                            ;   in Loop: Header=BB168_373 Depth=2
	s_or_b64 exec, exec, s[66:67]
	s_waitcnt lgkmcnt(0)
	s_barrier
	ds_read_b32 v9, v3 offset:3072
	s_mov_b64 s[52:53], -1
	s_waitcnt lgkmcnt(0)
	s_barrier
	v_cmp_ne_u32_sdwa s[56:57], v9, v3 src0_sel:WORD_0 src1_sel:DWORD
	s_and_b64 vcc, exec, s[56:57]
	s_mov_b64 s[56:57], -1
	s_cbranch_vccz .LBB168_376
.LBB168_372:                            ;   in Loop: Header=BB168_373 Depth=2
	s_and_b64 s[52:53], exec, s[52:53]
	s_or_b64 s[10:11], s[52:53], s[10:11]
	s_andn2_b64 s[52:53], s[64:65], exec
	s_and_b64 s[56:57], s[56:57], exec
	s_or_b64 s[64:65], s[52:53], s[56:57]
	s_andn2_b64 exec, exec, s[10:11]
	s_cbranch_execz .LBB168_379
.LBB168_373:                            ;   Parent Loop BB168_6 Depth=1
                                        ; =>  This Inner Loop Header: Depth=2
	v_cmp_gt_u64_e32 vcc, s[44:45], v[4:5]
	s_and_saveexec_b64 s[66:67], vcc
	s_cbranch_execz .LBB168_371
; %bb.374:                              ;   in Loop: Header=BB168_373 Depth=2
	ds_read_u16 v9, v8
	s_waitcnt lgkmcnt(0)
	v_add_u32_sdwa v10, sext(v9), s62 dst_sel:DWORD dst_unused:UNUSED_PAD src0_sel:WORD_0 src1_sel:DWORD
	v_and_b32_e32 v10, v10, v43
	v_cmp_eq_u32_e32 vcc, v10, v37
	s_and_b64 exec, exec, vcc
	s_cbranch_execz .LBB168_371
; %bb.375:                              ;   in Loop: Header=BB168_373 Depth=2
	v_perm_b32 v9, v9, 1, v42
	ds_write_b32 v3, v9 offset:3072
	s_branch .LBB168_371
.LBB168_376:                            ;   in Loop: Header=BB168_373 Depth=2
	v_add_co_u32_e32 v4, vcc, s33, v4
	v_addc_co_u32_e32 v5, vcc, 0, v5, vcc
	v_cmp_le_u64_e32 vcc, s[4:5], v[4:5]
	v_add_u32_e32 v8, s69, v8
	s_mov_b64 s[56:57], 0
	s_orn2_b64 s[52:53], vcc, exec
	s_branch .LBB168_372
.LBB168_377:                            ;   in Loop: Header=BB168_6 Depth=1
                                        ; implicit-def: $sgpr4_sgpr5
	s_branch .LBB168_323
.LBB168_378:                            ;   in Loop: Header=BB168_6 Depth=1
                                        ; implicit-def: $sgpr4_sgpr5
	s_branch .LBB168_339
.LBB168_379:                            ;   in Loop: Header=BB168_6 Depth=1
	s_or_b64 exec, exec, s[10:11]
	v_lshrrev_b32_e32 v44, 16, v9
	s_and_b64 s[10:11], s[64:65], exec
.LBB168_380:                            ;   in Loop: Header=BB168_6 Depth=1
	s_or_b64 exec, exec, s[16:17]
	v_readlane_b32 s52, v49, 45
	v_readlane_b32 s53, v49, 46
.LBB168_381:                            ;   in Loop: Header=BB168_6 Depth=1
	s_and_b64 vcc, exec, s[58:59]
	s_cbranch_vccz .LBB168_395
; %bb.382:                              ;   in Loop: Header=BB168_6 Depth=1
	v_readlane_b32 s56, v49, 35
	v_readlane_b32 s57, v49, 36
	s_mov_b32 s56, s55
	s_cmp_lg_u64 s[56:57], 0
	v_writelane_b32 v49, s56, 35
	v_writelane_b32 v49, s57, 36
	s_cbranch_scc0 .LBB168_414
; %bb.383:                              ;   in Loop: Header=BB168_6 Depth=1
	v_cvt_f32_u32_e32 v4, s33
	s_sub_u32 s16, 0, s33
	s_subb_u32 s17, 0, 0
	v_mac_f32_e32 v4, 0, v41
	v_rcp_f32_e32 v4, v4
	v_mul_f32_e32 v4, 0x5f7ffffc, v4
	v_mul_f32_e32 v5, 0x2f800000, v4
	v_trunc_f32_e32 v5, v5
	v_mac_f32_e32 v4, 0xcf800000, v5
	v_cvt_u32_f32_e32 v5, v5
	v_cvt_u32_f32_e32 v4, v4
	v_readfirstlane_b32 s20, v5
	v_readfirstlane_b32 s4, v4
	s_mul_i32 s5, s16, s20
	s_mul_hi_u32 s42, s16, s4
	s_mul_i32 s21, s17, s4
	s_add_i32 s5, s42, s5
	s_mul_i32 s43, s16, s4
	s_add_i32 s5, s5, s21
	s_mul_hi_u32 s42, s4, s43
	s_mul_i32 s44, s4, s5
	s_mul_hi_u32 s21, s4, s5
	s_add_u32 s42, s42, s44
	s_addc_u32 s21, 0, s21
	s_mul_hi_u32 s45, s20, s43
	s_mul_i32 s43, s20, s43
	s_add_u32 s42, s42, s43
	s_mul_hi_u32 s44, s20, s5
	s_addc_u32 s21, s21, s45
	s_addc_u32 s42, s44, 0
	s_mul_i32 s5, s20, s5
	s_add_u32 s5, s21, s5
	s_addc_u32 s21, 0, s42
	s_add_u32 s42, s4, s5
	s_cselect_b64 s[4:5], -1, 0
	s_cmp_lg_u64 s[4:5], 0
	s_addc_u32 s20, s20, s21
	s_mul_i32 s4, s16, s20
	s_mul_hi_u32 s5, s16, s42
	s_add_i32 s4, s5, s4
	s_mul_i32 s17, s17, s42
	s_add_i32 s4, s4, s17
	s_mul_i32 s16, s16, s42
	s_mul_hi_u32 s17, s20, s16
	s_mul_i32 s21, s20, s16
	s_mul_i32 s44, s42, s4
	s_mul_hi_u32 s16, s42, s16
	s_mul_hi_u32 s43, s42, s4
	s_add_u32 s16, s16, s44
	s_addc_u32 s43, 0, s43
	s_add_u32 s16, s16, s21
	s_mul_hi_u32 s5, s20, s4
	s_addc_u32 s16, s43, s17
	s_addc_u32 s5, s5, 0
	s_mul_i32 s4, s20, s4
	s_add_u32 s4, s16, s4
	s_addc_u32 s16, 0, s5
	s_add_u32 s17, s42, s4
	s_cselect_b64 s[4:5], -1, 0
	s_cmp_lg_u64 s[4:5], 0
	s_addc_u32 s4, s20, s16
	v_readlane_b32 s42, v49, 33
	s_mul_i32 s16, s42, s4
	s_mul_hi_u32 s20, s42, s17
	s_mul_hi_u32 s5, s42, s4
	s_add_u32 s16, s20, s16
	s_addc_u32 s5, 0, s5
	s_mul_hi_u32 s21, s57, s17
	s_mul_i32 s17, s57, s17
	s_add_u32 s16, s16, s17
	s_mul_hi_u32 s20, s57, s4
	s_addc_u32 s5, s5, s21
	s_addc_u32 s16, s20, 0
	s_mul_i32 s4, s57, s4
	s_add_u32 s4, s5, s4
	s_addc_u32 s5, 0, s16
	s_mul_i32 s5, s33, s5
	s_mul_hi_u32 s16, s33, s4
	s_add_i32 s16, s16, s5
	s_mul_i32 s4, s33, s4
	s_sub_u32 s17, s42, s4
	s_cselect_b64 s[4:5], -1, 0
	s_cmp_lg_u64 s[4:5], 0
	s_subb_u32 s16, s57, s16
	s_sub_u32 s20, s17, s33
	s_cselect_b64 s[4:5], -1, 0
	s_cmp_lg_u64 s[4:5], 0
	s_subb_u32 s21, s16, 0
	;; [unrolled: 4-line block ×3, first 2 shown]
	s_cmp_ge_u32 s20, s33
	s_cselect_b32 s5, -1, 0
	s_cmp_eq_u32 s21, 0
	s_cselect_b32 s5, s5, -1
	s_cmp_lg_u32 s5, 0
	s_cselect_b32 s4, s4, s21
	s_cselect_b32 s20, s42, s20
	s_cmp_ge_u32 s17, s33
	s_cselect_b32 s5, -1, 0
	s_cmp_eq_u32 s16, 0
	s_cselect_b32 s5, s5, -1
	s_cmp_lg_u32 s5, 0
	s_cselect_b32 s5, s4, s16
	s_cselect_b32 s4, s20, s17
	s_cbranch_execnz .LBB168_385
.LBB168_384:                            ;   in Loop: Header=BB168_6 Depth=1
	v_cvt_f32_u32_e32 v4, s33
	s_sub_i32 s4, 0, s33
	v_readlane_b32 s16, v49, 33
	v_rcp_iflag_f32_e32 v4, v4
	v_mul_f32_e32 v4, 0x4f7ffffe, v4
	v_cvt_u32_f32_e32 v4, v4
	v_readfirstlane_b32 s5, v4
	s_mul_i32 s4, s4, s5
	s_mul_hi_u32 s4, s5, s4
	s_add_i32 s5, s5, s4
	s_mul_hi_u32 s4, s16, s5
	s_mul_i32 s4, s4, s33
	s_sub_i32 s4, s16, s4
	s_sub_i32 s5, s4, s33
	s_cmp_ge_u32 s4, s33
	s_cselect_b32 s4, s5, s4
	s_sub_i32 s5, s4, s33
	s_cmp_ge_u32 s4, s33
	s_cselect_b32 s54, s5, s4
	s_mov_b64 s[4:5], s[54:55]
	v_readlane_b32 s54, v49, 47
.LBB168_385:                            ;   in Loop: Header=BB168_6 Depth=1
	v_readlane_b32 s16, v49, 33
	s_sub_u32 s20, s16, s4
	v_readlane_b32 s16, v49, 35
	v_readlane_b32 s17, v49, 36
	s_subb_u32 s21, s17, s5
	v_cmp_gt_u64_e32 vcc, s[20:21], v[0:1]
                                        ; implicit-def: $vgpr44
	s_and_saveexec_b64 s[16:17], vcc
	s_cbranch_execz .LBB168_394
; %bb.386:                              ;   in Loop: Header=BB168_6 Depth=1
	v_mov_b32_e32 v4, v12
	v_mov_b32_e32 v9, v1
	s_mov_b64 s[4:5], 0
	v_mov_b32_e32 v5, v13
	v_mov_b32_e32 v8, v0
                                        ; implicit-def: $sgpr42_sgpr43
	s_branch .LBB168_389
.LBB168_387:                            ;   in Loop: Header=BB168_389 Depth=2
	s_or_b64 exec, exec, s[44:45]
	s_waitcnt lgkmcnt(0)
	s_barrier
	ds_read_b32 v10, v3 offset:3072
	s_mov_b64 s[44:45], -1
	s_waitcnt lgkmcnt(0)
	s_barrier
	v_cmp_eq_u32_sdwa s[52:53], v10, v3 src0_sel:WORD_0 src1_sel:DWORD
	s_and_b64 vcc, exec, s[52:53]
	s_mov_b64 s[52:53], -1
	s_cbranch_vccnz .LBB168_392
.LBB168_388:                            ;   in Loop: Header=BB168_389 Depth=2
	s_and_b64 s[44:45], exec, s[44:45]
	s_or_b64 s[4:5], s[44:45], s[4:5]
	s_andn2_b64 s[42:43], s[42:43], exec
	s_and_b64 s[44:45], s[52:53], exec
	s_or_b64 s[42:43], s[42:43], s[44:45]
	s_andn2_b64 exec, exec, s[4:5]
	s_cbranch_execz .LBB168_393
.LBB168_389:                            ;   Parent Loop BB168_6 Depth=1
                                        ; =>  This Inner Loop Header: Depth=2
	v_cmp_gt_u64_e32 vcc, s[28:29], v[8:9]
	s_and_saveexec_b64 s[44:45], vcc
	s_cbranch_execz .LBB168_387
; %bb.390:                              ;   in Loop: Header=BB168_389 Depth=2
	global_load_ushort v10, v[4:5], off
	s_waitcnt vmcnt(0)
	v_add_u32_sdwa v11, sext(v10), s62 dst_sel:DWORD dst_unused:UNUSED_PAD src0_sel:WORD_0 src1_sel:DWORD
	v_and_b32_e32 v11, v11, v43
	v_cmp_eq_u32_e32 vcc, v11, v37
	s_and_b64 exec, exec, vcc
	s_cbranch_execz .LBB168_387
; %bb.391:                              ;   in Loop: Header=BB168_389 Depth=2
	v_perm_b32 v10, v10, 1, v42
	ds_write_b32 v3, v10 offset:3072
	s_branch .LBB168_387
.LBB168_392:                            ;   in Loop: Header=BB168_389 Depth=2
	v_add_co_u32_e32 v8, vcc, s33, v8
	v_addc_co_u32_e32 v9, vcc, 0, v9, vcc
	v_mov_b32_e32 v11, s35
	v_add_co_u32_e32 v4, vcc, s34, v4
	v_addc_co_u32_e32 v5, vcc, v5, v11, vcc
	v_cmp_le_u64_e32 vcc, s[20:21], v[8:9]
	s_mov_b64 s[52:53], 0
	s_orn2_b64 s[44:45], vcc, exec
	s_branch .LBB168_388
.LBB168_393:                            ;   in Loop: Header=BB168_6 Depth=1
	s_or_b64 exec, exec, s[4:5]
	s_andn2_b64 s[4:5], s[10:11], exec
	s_and_b64 s[10:11], s[42:43], exec
	v_readlane_b32 s52, v49, 45
	v_lshrrev_b32_e32 v44, 16, v10
	s_or_b64 s[10:11], s[4:5], s[10:11]
	v_readlane_b32 s53, v49, 46
.LBB168_394:                            ;   in Loop: Header=BB168_6 Depth=1
	s_or_b64 exec, exec, s[16:17]
	s_mov_b64 s[20:21], 0
	s_mov_b64 s[42:43], -1
.LBB168_395:                            ;   in Loop: Header=BB168_6 Depth=1
	s_orn2_b64 s[4:5], s[10:11], exec
.LBB168_396:                            ;   in Loop: Header=BB168_6 Depth=1
	s_or_b64 exec, exec, s[40:41]
	s_mov_b64 s[10:11], 0
	s_and_saveexec_b64 s[44:45], s[4:5]
	s_cbranch_execz .LBB168_458
; %bb.397:                              ;   in Loop: Header=BB168_6 Depth=1
	v_mov_b32_e32 v4, 1
	s_xor_b64 s[4:5], s[8:9], -1
	v_mov_b32_e32 v2, 1
	v_mov_b32_e32 v5, 0
	s_mov_b64 s[16:17], 0
	s_and_saveexec_b64 s[8:9], s[4:5]
	s_cbranch_execz .LBB168_406
; %bb.398:                              ;   in Loop: Header=BB168_6 Depth=1
	v_cmp_ge_u64_e32 vcc, s[94:95], v[6:7]
	s_and_saveexec_b64 s[4:5], vcc
	s_xor_b64 s[4:5], exec, s[4:5]
	s_cbranch_execz .LBB168_403
; %bb.399:                              ;   in Loop: Header=BB168_6 Depth=1
	ds_read_b64 v[4:5], v3 offset:5120
	v_and_b32_e32 v2, s61, v37
	v_lshl_or_b32 v37, 1, s63, v2
	v_or_b32_e32 v43, s60, v43
	s_waitcnt lgkmcnt(0)
	v_cmp_ne_u64_e32 vcc, 0, v[4:5]
	s_cbranch_vccnz .LBB168_403
; %bb.400:                              ;   in Loop: Header=BB168_6 Depth=1
	s_mov_b64 s[10:11], exec
	v_readlane_b32 s16, v49, 8
	v_readlane_b32 s17, v49, 9
	s_and_b64 s[16:17], s[10:11], s[16:17]
	s_mov_b64 exec, s[16:17]
; %bb.401:                              ;   in Loop: Header=BB168_6 Depth=1
	v_mov_b32_e32 v4, s94
	v_mov_b32_e32 v5, s95
	ds_write_b64 v3, v[4:5] offset:5128
; %bb.402:                              ;   in Loop: Header=BB168_6 Depth=1
	s_or_b64 exec, exec, s[10:11]
	s_waitcnt lgkmcnt(0)
	s_barrier
.LBB168_403:                            ;   in Loop: Header=BB168_6 Depth=1
	s_or_saveexec_b64 s[4:5], s[4:5]
	s_mov_b64 s[10:11], 0
	v_mov_b32_e32 v2, 5
	s_xor_b64 exec, exec, s[4:5]
; %bb.404:                              ;   in Loop: Header=BB168_6 Depth=1
	v_subrev_co_u32_e32 v6, vcc, s94, v6
	v_mov_b32_e32 v2, s95
	v_subb_co_u32_e32 v7, vcc, v7, v2, vcc
	v_mov_b32_e32 v2, 0
	s_mov_b64 s[10:11], exec
; %bb.405:                              ;   in Loop: Header=BB168_6 Depth=1
	s_or_b64 exec, exec, s[4:5]
	v_mov_b32_e32 v4, v6
	s_and_b64 s[16:17], s[10:11], exec
	v_mov_b32_e32 v5, v7
.LBB168_406:                            ;   in Loop: Header=BB168_6 Depth=1
	s_or_b64 exec, exec, s[8:9]
	s_mov_b64 s[4:5], -1
                                        ; implicit-def: $sgpr66_sgpr67
                                        ; implicit-def: $sgpr56_sgpr57
	s_and_saveexec_b64 s[40:41], s[16:17]
	s_cbranch_execz .LBB168_457
; %bb.407:                              ;   in Loop: Header=BB168_6 Depth=1
	s_cmp_eq_u64 s[22:23], 1
	v_cmp_eq_u64_e32 vcc, 1, v[4:5]
	s_cselect_b64 s[4:5], -1, 0
	s_and_b64 s[8:9], s[4:5], vcc
	s_mov_b64 s[4:5], -1
                                        ; implicit-def: $sgpr66_sgpr67
                                        ; implicit-def: $sgpr56_sgpr57
	s_mov_b64 s[10:11], exec
	v_writelane_b32 v49, s8, 51
	v_writelane_b32 v49, s9, 52
	v_writelane_b32 v49, s10, 53
	s_and_b64 s[8:9], s[10:11], s[8:9]
	v_writelane_b32 v49, s11, 54
	s_mov_b64 exec, s[8:9]
	s_cbranch_execz .LBB168_445
; %bb.408:                              ;   in Loop: Header=BB168_6 Depth=1
	ds_read_b64 v[6:7], v3 offset:5120
	s_waitcnt lgkmcnt(0)
	s_barrier
	v_readfirstlane_b32 s58, v6
	v_readfirstlane_b32 s59, v7
	s_mov_b64 s[4:5], exec
	v_readlane_b32 s8, v49, 28
	v_readlane_b32 s9, v49, 29
	s_and_b64 s[8:9], s[4:5], s[8:9]
	s_mov_b64 exec, s[8:9]
; %bb.409:                              ;   in Loop: Header=BB168_6 Depth=1
	ds_write_b16 v40, v3
; %bb.410:                              ;   in Loop: Header=BB168_6 Depth=1
	s_or_b64 exec, exec, s[4:5]
	v_and_b32_e32 v37, s61, v37
	v_or_b32_e32 v43, s60, v43
	s_mov_b64 s[56:57], -1
	s_mov_b64 s[66:67], 0
	s_cmp_eq_u64 s[58:59], 0
	s_mov_b64 s[94:95], 0
	s_mov_b64 s[8:9], -1
	s_waitcnt lgkmcnt(0)
	s_barrier
                                        ; implicit-def: $vgpr44
	s_cbranch_scc1 .LBB168_428
; %bb.411:                              ;   in Loop: Header=BB168_6 Depth=1
	v_readlane_b32 s4, v49, 32
	s_add_u32 s10, s58, s4
	v_readlane_b32 s4, v49, 34
	s_addc_u32 s95, s59, s4
	s_mov_b32 s94, s55
	s_cmp_lg_u64 s[94:95], 0
	s_cbranch_scc0 .LBB168_415
; %bb.412:                              ;   in Loop: Header=BB168_6 Depth=1
	v_cvt_f32_u32_e32 v6, s33
	s_sub_u32 s8, 0, s33
	s_subb_u32 s9, 0, 0
	v_mac_f32_e32 v6, 0, v41
	v_rcp_f32_e32 v6, v6
	v_mul_f32_e32 v6, 0x5f7ffffc, v6
	v_mul_f32_e32 v7, 0x2f800000, v6
	v_trunc_f32_e32 v7, v7
	v_mac_f32_e32 v6, 0xcf800000, v7
	v_cvt_u32_f32_e32 v7, v7
	v_cvt_u32_f32_e32 v6, v6
	v_readfirstlane_b32 s11, v7
	v_readfirstlane_b32 s4, v6
	s_mul_i32 s5, s8, s11
	s_mul_hi_u32 s17, s8, s4
	s_mul_i32 s16, s9, s4
	s_add_i32 s5, s17, s5
	s_mul_i32 s52, s8, s4
	s_add_i32 s5, s5, s16
	s_mul_hi_u32 s17, s4, s52
	s_mul_i32 s53, s4, s5
	s_mul_hi_u32 s16, s4, s5
	s_add_u32 s17, s17, s53
	s_addc_u32 s16, 0, s16
	s_mul_hi_u32 s54, s11, s52
	s_mul_i32 s52, s11, s52
	s_add_u32 s17, s17, s52
	s_mul_hi_u32 s53, s11, s5
	s_addc_u32 s16, s16, s54
	s_addc_u32 s17, s53, 0
	s_mul_i32 s5, s11, s5
	s_add_u32 s5, s16, s5
	s_addc_u32 s16, 0, s17
	s_add_u32 s17, s4, s5
	s_cselect_b64 s[4:5], -1, 0
	s_cmp_lg_u64 s[4:5], 0
	s_addc_u32 s11, s11, s16
	s_mul_i32 s4, s8, s11
	s_mul_hi_u32 s5, s8, s17
	s_add_i32 s4, s5, s4
	s_mul_i32 s9, s9, s17
	s_add_i32 s4, s4, s9
	s_mul_i32 s8, s8, s17
	s_mul_hi_u32 s9, s11, s8
	s_mul_i32 s16, s11, s8
	s_mul_i32 s53, s17, s4
	s_mul_hi_u32 s8, s17, s8
	s_mul_hi_u32 s52, s17, s4
	s_add_u32 s8, s8, s53
	s_addc_u32 s52, 0, s52
	s_add_u32 s8, s8, s16
	s_mul_hi_u32 s5, s11, s4
	s_addc_u32 s8, s52, s9
	s_addc_u32 s5, s5, 0
	s_mul_i32 s4, s11, s4
	s_add_u32 s4, s8, s4
	s_addc_u32 s8, 0, s5
	s_add_u32 s9, s17, s4
	s_cselect_b64 s[4:5], -1, 0
	s_cmp_lg_u64 s[4:5], 0
	s_addc_u32 s4, s11, s8
	s_mul_i32 s8, s10, s4
	s_mul_hi_u32 s11, s10, s9
	s_mul_hi_u32 s5, s10, s4
	s_add_u32 s8, s11, s8
	s_addc_u32 s5, 0, s5
	s_mul_hi_u32 s16, s95, s9
	s_mul_i32 s9, s95, s9
	s_add_u32 s8, s8, s9
	s_mul_hi_u32 s11, s95, s4
	s_addc_u32 s5, s5, s16
	s_addc_u32 s8, s11, 0
	s_mul_i32 s4, s95, s4
	s_add_u32 s4, s5, s4
	s_addc_u32 s5, 0, s8
	s_mul_i32 s5, s33, s5
	s_mul_hi_u32 s8, s33, s4
	s_add_i32 s8, s8, s5
	s_mul_i32 s4, s33, s4
	s_sub_u32 s9, s10, s4
	s_cselect_b64 s[4:5], -1, 0
	s_cmp_lg_u64 s[4:5], 0
	s_subb_u32 s8, s95, s8
	s_sub_u32 s11, s9, s33
	s_cselect_b64 s[4:5], -1, 0
	s_cmp_lg_u64 s[4:5], 0
	s_subb_u32 s16, s8, 0
	;; [unrolled: 4-line block ×3, first 2 shown]
	s_cmp_ge_u32 s11, s33
	s_cselect_b32 s5, -1, 0
	s_cmp_eq_u32 s16, 0
	s_cselect_b32 s5, s5, -1
	s_cmp_lg_u32 s5, 0
	s_cselect_b32 s4, s4, s16
	s_cselect_b32 s11, s17, s11
	s_cmp_ge_u32 s9, s33
	s_cselect_b32 s5, -1, 0
	s_cmp_eq_u32 s8, 0
	s_cselect_b32 s5, s5, -1
	s_cmp_lg_u32 s5, 0
	s_cselect_b32 s5, s4, s8
	s_cselect_b32 s4, s11, s9
	s_mov_b64 s[8:9], 0
	s_branch .LBB168_416
.LBB168_413:                            ;   in Loop: Header=BB168_6 Depth=1
                                        ; implicit-def: $sgpr4_sgpr5
	s_branch .LBB168_368
.LBB168_414:                            ;   in Loop: Header=BB168_6 Depth=1
                                        ; implicit-def: $sgpr4_sgpr5
	s_branch .LBB168_384
.LBB168_415:                            ;   in Loop: Header=BB168_6 Depth=1
                                        ; implicit-def: $sgpr4_sgpr5
.LBB168_416:                            ;   in Loop: Header=BB168_6 Depth=1
	s_andn2_b64 vcc, exec, s[8:9]
	s_cbranch_vccnz .LBB168_418
; %bb.417:                              ;   in Loop: Header=BB168_6 Depth=1
	v_cvt_f32_u32_e32 v6, s33
	s_sub_i32 s4, 0, s33
	v_rcp_iflag_f32_e32 v6, v6
	v_mul_f32_e32 v6, 0x4f7ffffe, v6
	v_cvt_u32_f32_e32 v6, v6
	v_readfirstlane_b32 s5, v6
	s_mul_i32 s4, s4, s5
	s_mul_hi_u32 s4, s5, s4
	s_add_i32 s5, s5, s4
	s_mul_hi_u32 s4, s10, s5
	s_mul_i32 s4, s4, s33
	s_sub_i32 s4, s10, s4
	s_sub_i32 s5, s4, s33
	s_cmp_ge_u32 s4, s33
	s_cselect_b32 s4, s5, s4
	s_sub_i32 s5, s4, s33
	s_cmp_ge_u32 s4, s33
	s_cselect_b32 s54, s5, s4
	s_mov_b64 s[4:5], s[54:55]
.LBB168_418:                            ;   in Loop: Header=BB168_6 Depth=1
	s_sub_u32 s4, s10, s4
	s_subb_u32 s5, s95, s5
	v_cmp_gt_u64_e32 vcc, s[4:5], v[0:1]
	s_mov_b64 s[8:9], 0
	s_mov_b64 s[94:95], 0
                                        ; implicit-def: $vgpr44
	s_and_saveexec_b64 s[16:17], vcc
	v_readlane_b32 s54, v49, 47
	s_cbranch_execz .LBB168_427
; %bb.419:                              ;   in Loop: Header=BB168_6 Depth=1
	v_mov_b32_e32 v7, v1
	v_mov_b32_e32 v8, v39
	;; [unrolled: 1-line block ×3, first 2 shown]
                                        ; implicit-def: $sgpr64_sgpr65
	s_branch .LBB168_422
.LBB168_420:                            ;   in Loop: Header=BB168_422 Depth=2
	s_or_b64 exec, exec, s[10:11]
	s_waitcnt lgkmcnt(0)
	s_barrier
	ds_read_b32 v9, v3 offset:3072
	s_mov_b64 s[10:11], -1
	s_waitcnt lgkmcnt(0)
	s_barrier
	v_cmp_ne_u32_sdwa s[52:53], v9, v3 src0_sel:WORD_0 src1_sel:DWORD
	s_and_b64 vcc, exec, s[52:53]
	s_mov_b64 s[52:53], -1
	s_cbranch_vccz .LBB168_425
.LBB168_421:                            ;   in Loop: Header=BB168_422 Depth=2
	s_and_b64 s[10:11], exec, s[10:11]
	s_or_b64 s[94:95], s[10:11], s[94:95]
	s_andn2_b64 s[10:11], s[64:65], exec
	s_and_b64 s[52:53], s[52:53], exec
	s_or_b64 s[64:65], s[10:11], s[52:53]
	s_andn2_b64 exec, exec, s[94:95]
	s_cbranch_execz .LBB168_426
.LBB168_422:                            ;   Parent Loop BB168_6 Depth=1
                                        ; =>  This Inner Loop Header: Depth=2
	v_cmp_gt_u64_e32 vcc, s[58:59], v[6:7]
	s_and_saveexec_b64 s[10:11], vcc
	s_cbranch_execz .LBB168_420
; %bb.423:                              ;   in Loop: Header=BB168_422 Depth=2
	ds_read_u16 v9, v8
	s_waitcnt lgkmcnt(0)
	v_add_u32_sdwa v10, sext(v9), s62 dst_sel:DWORD dst_unused:UNUSED_PAD src0_sel:WORD_0 src1_sel:DWORD
	v_and_b32_e32 v10, v10, v43
	v_cmp_eq_u32_e32 vcc, v10, v37
	s_and_b64 exec, exec, vcc
	s_cbranch_execz .LBB168_420
; %bb.424:                              ;   in Loop: Header=BB168_422 Depth=2
	v_perm_b32 v9, v9, 1, v42
	ds_write_b32 v3, v9 offset:3072
	s_branch .LBB168_420
.LBB168_425:                            ;   in Loop: Header=BB168_422 Depth=2
	v_add_co_u32_e32 v6, vcc, s33, v6
	v_addc_co_u32_e32 v7, vcc, 0, v7, vcc
	v_cmp_le_u64_e32 vcc, s[4:5], v[6:7]
	v_add_u32_e32 v8, s69, v8
	s_mov_b64 s[52:53], 0
	s_orn2_b64 s[10:11], vcc, exec
	s_branch .LBB168_421
.LBB168_426:                            ;   in Loop: Header=BB168_6 Depth=1
	s_or_b64 exec, exec, s[94:95]
	v_lshrrev_b32_e32 v44, 16, v9
	s_and_b64 s[94:95], s[64:65], exec
.LBB168_427:                            ;   in Loop: Header=BB168_6 Depth=1
	s_or_b64 exec, exec, s[16:17]
	v_readlane_b32 s52, v49, 45
	v_readlane_b32 s53, v49, 46
.LBB168_428:                            ;   in Loop: Header=BB168_6 Depth=1
	s_and_b64 vcc, exec, s[8:9]
	s_cbranch_vccz .LBB168_444
; %bb.429:                              ;   in Loop: Header=BB168_6 Depth=1
	v_readlane_b32 s56, v49, 35
	v_readlane_b32 s57, v49, 36
	s_mov_b32 s56, s55
	s_cmp_lg_u64 s[56:57], 0
	v_writelane_b32 v49, s56, 35
	v_writelane_b32 v49, s57, 36
	s_cbranch_scc0 .LBB168_431
; %bb.430:                              ;   in Loop: Header=BB168_6 Depth=1
	v_cvt_f32_u32_e32 v6, s33
	s_sub_u32 s8, 0, s33
	s_subb_u32 s9, 0, 0
	v_mac_f32_e32 v6, 0, v41
	v_rcp_f32_e32 v6, v6
	v_mul_f32_e32 v6, 0x5f7ffffc, v6
	v_mul_f32_e32 v7, 0x2f800000, v6
	v_trunc_f32_e32 v7, v7
	v_mac_f32_e32 v6, 0xcf800000, v7
	v_cvt_u32_f32_e32 v7, v7
	v_cvt_u32_f32_e32 v6, v6
	v_readfirstlane_b32 s10, v7
	v_readfirstlane_b32 s4, v6
	s_mul_i32 s5, s8, s10
	s_mul_hi_u32 s16, s8, s4
	s_mul_i32 s11, s9, s4
	s_add_i32 s5, s16, s5
	s_mul_i32 s17, s8, s4
	s_add_i32 s5, s5, s11
	s_mul_hi_u32 s16, s4, s17
	s_mul_i32 s52, s4, s5
	s_mul_hi_u32 s11, s4, s5
	s_add_u32 s16, s16, s52
	s_addc_u32 s11, 0, s11
	s_mul_hi_u32 s53, s10, s17
	s_mul_i32 s17, s10, s17
	s_add_u32 s16, s16, s17
	s_mul_hi_u32 s52, s10, s5
	s_addc_u32 s11, s11, s53
	s_addc_u32 s16, s52, 0
	s_mul_i32 s5, s10, s5
	s_add_u32 s5, s11, s5
	s_addc_u32 s11, 0, s16
	s_add_u32 s16, s4, s5
	s_cselect_b64 s[4:5], -1, 0
	s_cmp_lg_u64 s[4:5], 0
	s_addc_u32 s10, s10, s11
	s_mul_i32 s4, s8, s10
	s_mul_hi_u32 s5, s8, s16
	s_add_i32 s4, s5, s4
	s_mul_i32 s9, s9, s16
	s_add_i32 s4, s4, s9
	s_mul_i32 s8, s8, s16
	s_mul_hi_u32 s9, s10, s8
	s_mul_i32 s11, s10, s8
	s_mul_i32 s52, s16, s4
	s_mul_hi_u32 s8, s16, s8
	s_mul_hi_u32 s17, s16, s4
	s_add_u32 s8, s8, s52
	s_addc_u32 s17, 0, s17
	s_add_u32 s8, s8, s11
	s_mul_hi_u32 s5, s10, s4
	s_addc_u32 s8, s17, s9
	s_addc_u32 s5, s5, 0
	s_mul_i32 s4, s10, s4
	s_add_u32 s4, s8, s4
	s_addc_u32 s8, 0, s5
	s_add_u32 s9, s16, s4
	s_cselect_b64 s[4:5], -1, 0
	s_cmp_lg_u64 s[4:5], 0
	s_addc_u32 s4, s10, s8
	v_readlane_b32 s16, v49, 33
	s_mul_i32 s8, s16, s4
	s_mul_hi_u32 s10, s16, s9
	s_mul_hi_u32 s5, s16, s4
	s_add_u32 s8, s10, s8
	s_addc_u32 s5, 0, s5
	s_mul_hi_u32 s11, s57, s9
	s_mul_i32 s9, s57, s9
	s_add_u32 s8, s8, s9
	s_mul_hi_u32 s10, s57, s4
	s_addc_u32 s5, s5, s11
	s_addc_u32 s8, s10, 0
	s_mul_i32 s4, s57, s4
	s_add_u32 s4, s5, s4
	s_addc_u32 s5, 0, s8
	s_mul_i32 s5, s33, s5
	s_mul_hi_u32 s8, s33, s4
	s_add_i32 s8, s8, s5
	s_mul_i32 s4, s33, s4
	s_sub_u32 s9, s16, s4
	s_cselect_b64 s[4:5], -1, 0
	s_cmp_lg_u64 s[4:5], 0
	s_subb_u32 s8, s57, s8
	s_sub_u32 s10, s9, s33
	s_cselect_b64 s[4:5], -1, 0
	s_cmp_lg_u64 s[4:5], 0
	s_subb_u32 s11, s8, 0
	;; [unrolled: 4-line block ×3, first 2 shown]
	s_cmp_ge_u32 s10, s33
	s_cselect_b32 s5, -1, 0
	s_cmp_eq_u32 s11, 0
	s_cselect_b32 s5, s5, -1
	s_cmp_lg_u32 s5, 0
	s_cselect_b32 s4, s4, s11
	s_cselect_b32 s10, s16, s10
	s_cmp_ge_u32 s9, s33
	s_cselect_b32 s5, -1, 0
	s_cmp_eq_u32 s8, 0
	s_cselect_b32 s5, s5, -1
	v_readlane_b32 s52, v49, 45
	s_cmp_lg_u32 s5, 0
	v_readlane_b32 s53, v49, 46
	s_cselect_b32 s5, s4, s8
	s_cselect_b32 s4, s10, s9
	s_mov_b64 s[8:9], 0
	s_branch .LBB168_432
.LBB168_431:                            ;   in Loop: Header=BB168_6 Depth=1
	s_mov_b64 s[8:9], -1
                                        ; implicit-def: $sgpr4_sgpr5
.LBB168_432:                            ;   in Loop: Header=BB168_6 Depth=1
	s_andn2_b64 vcc, exec, s[8:9]
	s_cbranch_vccnz .LBB168_434
; %bb.433:                              ;   in Loop: Header=BB168_6 Depth=1
	v_cvt_f32_u32_e32 v6, s33
	s_sub_i32 s4, 0, s33
	v_readlane_b32 s8, v49, 33
	v_rcp_iflag_f32_e32 v6, v6
	v_mul_f32_e32 v6, 0x4f7ffffe, v6
	v_cvt_u32_f32_e32 v6, v6
	v_readfirstlane_b32 s5, v6
	s_mul_i32 s4, s4, s5
	s_mul_hi_u32 s4, s5, s4
	s_add_i32 s5, s5, s4
	s_mul_hi_u32 s4, s8, s5
	s_mul_i32 s4, s4, s33
	s_sub_i32 s4, s8, s4
	s_sub_i32 s5, s4, s33
	s_cmp_ge_u32 s4, s33
	s_cselect_b32 s4, s5, s4
	s_sub_i32 s5, s4, s33
	s_cmp_ge_u32 s4, s33
	s_cselect_b32 s54, s5, s4
	s_mov_b64 s[4:5], s[54:55]
	v_readlane_b32 s54, v49, 47
.LBB168_434:                            ;   in Loop: Header=BB168_6 Depth=1
	v_readlane_b32 s8, v49, 33
	s_sub_u32 s10, s8, s4
	v_readlane_b32 s8, v49, 35
	v_readlane_b32 s9, v49, 36
	s_subb_u32 s11, s9, s5
	v_cmp_gt_u64_e32 vcc, s[10:11], v[0:1]
                                        ; implicit-def: $vgpr44
	s_and_saveexec_b64 s[8:9], vcc
	s_cbranch_execz .LBB168_443
; %bb.435:                              ;   in Loop: Header=BB168_6 Depth=1
	v_mov_b32_e32 v6, v12
	v_mov_b32_e32 v9, v1
	s_mov_b64 s[4:5], 0
	v_mov_b32_e32 v7, v13
	v_mov_b32_e32 v8, v0
                                        ; implicit-def: $sgpr16_sgpr17
	s_branch .LBB168_438
.LBB168_436:                            ;   in Loop: Header=BB168_438 Depth=2
	s_or_b64 exec, exec, s[58:59]
	s_waitcnt lgkmcnt(0)
	s_barrier
	ds_read_b32 v10, v3 offset:3072
	s_mov_b64 s[52:53], -1
	s_waitcnt lgkmcnt(0)
	s_barrier
	v_cmp_eq_u32_sdwa s[56:57], v10, v3 src0_sel:WORD_0 src1_sel:DWORD
	s_and_b64 vcc, exec, s[56:57]
	s_mov_b64 s[56:57], -1
	s_cbranch_vccnz .LBB168_441
.LBB168_437:                            ;   in Loop: Header=BB168_438 Depth=2
	s_and_b64 s[52:53], exec, s[52:53]
	s_or_b64 s[4:5], s[52:53], s[4:5]
	s_andn2_b64 s[16:17], s[16:17], exec
	s_and_b64 s[52:53], s[56:57], exec
	s_or_b64 s[16:17], s[16:17], s[52:53]
	s_andn2_b64 exec, exec, s[4:5]
	s_cbranch_execz .LBB168_442
.LBB168_438:                            ;   Parent Loop BB168_6 Depth=1
                                        ; =>  This Inner Loop Header: Depth=2
	v_cmp_gt_u64_e32 vcc, s[28:29], v[8:9]
	s_and_saveexec_b64 s[58:59], vcc
	s_cbranch_execz .LBB168_436
; %bb.439:                              ;   in Loop: Header=BB168_438 Depth=2
	global_load_ushort v10, v[6:7], off
	s_waitcnt vmcnt(0)
	v_add_u32_sdwa v11, sext(v10), s62 dst_sel:DWORD dst_unused:UNUSED_PAD src0_sel:WORD_0 src1_sel:DWORD
	v_and_b32_e32 v11, v11, v43
	v_cmp_eq_u32_e32 vcc, v11, v37
	s_and_b64 exec, exec, vcc
	s_cbranch_execz .LBB168_436
; %bb.440:                              ;   in Loop: Header=BB168_438 Depth=2
	v_perm_b32 v10, v10, 1, v42
	ds_write_b32 v3, v10 offset:3072
	s_branch .LBB168_436
.LBB168_441:                            ;   in Loop: Header=BB168_438 Depth=2
	v_add_co_u32_e32 v8, vcc, s33, v8
	v_addc_co_u32_e32 v9, vcc, 0, v9, vcc
	v_mov_b32_e32 v11, s35
	v_add_co_u32_e32 v6, vcc, s34, v6
	v_addc_co_u32_e32 v7, vcc, v7, v11, vcc
	v_cmp_le_u64_e32 vcc, s[10:11], v[8:9]
	s_mov_b64 s[56:57], 0
	s_orn2_b64 s[52:53], vcc, exec
	s_branch .LBB168_437
.LBB168_442:                            ;   in Loop: Header=BB168_6 Depth=1
	s_or_b64 exec, exec, s[4:5]
	s_andn2_b64 s[4:5], s[94:95], exec
	s_and_b64 s[10:11], s[16:17], exec
	v_readlane_b32 s52, v49, 45
	v_lshrrev_b32_e32 v44, 16, v10
	s_or_b64 s[94:95], s[4:5], s[10:11]
	v_readlane_b32 s53, v49, 46
.LBB168_443:                            ;   in Loop: Header=BB168_6 Depth=1
	s_or_b64 exec, exec, s[8:9]
	s_mov_b64 s[56:57], 0
	s_mov_b64 s[66:67], -1
.LBB168_444:                            ;   in Loop: Header=BB168_6 Depth=1
	s_orn2_b64 s[4:5], s[94:95], exec
.LBB168_445:                            ;   in Loop: Header=BB168_6 Depth=1
	v_readlane_b32 s8, v49, 53
	v_readlane_b32 s9, v49, 54
	s_or_b64 exec, exec, s[8:9]
	s_mov_b64 s[8:9], 0
	s_and_saveexec_b64 s[58:59], s[4:5]
	s_cbranch_execz .LBB168_456
; %bb.446:                              ;   in Loop: Header=BB168_6 Depth=1
	v_readlane_b32 s4, v49, 51
	v_readlane_b32 s5, v49, 52
	v_mov_b32_e32 v6, 1
	s_xor_b64 s[4:5], s[4:5], -1
	v_mov_b32_e32 v7, 0
	v_mov_b32_e32 v2, 1
	s_and_saveexec_b64 s[8:9], s[4:5]
	s_cbranch_execz .LBB168_455
; %bb.447:                              ;   in Loop: Header=BB168_6 Depth=1
	v_cmp_ge_u64_e32 vcc, s[22:23], v[4:5]
	s_and_saveexec_b64 s[4:5], vcc
	s_xor_b64 s[4:5], exec, s[4:5]
	s_cbranch_execz .LBB168_452
; %bb.448:                              ;   in Loop: Header=BB168_6 Depth=1
	ds_read_b64 v[6:7], v3 offset:5120
	v_and_b32_e32 v37, s61, v37
	v_or_b32_e32 v43, s60, v43
	s_waitcnt lgkmcnt(0)
	v_cmp_ne_u64_e32 vcc, 0, v[6:7]
	s_cbranch_vccnz .LBB168_452
; %bb.449:                              ;   in Loop: Header=BB168_6 Depth=1
	s_mov_b64 s[10:11], exec
	v_readlane_b32 s16, v49, 8
	v_readlane_b32 s17, v49, 9
	s_and_b64 s[16:17], s[10:11], s[16:17]
	s_mov_b64 exec, s[16:17]
; %bb.450:                              ;   in Loop: Header=BB168_6 Depth=1
	v_mov_b32_e32 v6, s22
	v_mov_b32_e32 v7, s23
	ds_write_b64 v3, v[6:7] offset:5128
; %bb.451:                              ;   in Loop: Header=BB168_6 Depth=1
	s_or_b64 exec, exec, s[10:11]
	s_waitcnt lgkmcnt(0)
	s_barrier
.LBB168_452:                            ;   in Loop: Header=BB168_6 Depth=1
	s_andn2_saveexec_b64 s[4:5], s[4:5]
; %bb.453:                              ;   in Loop: Header=BB168_6 Depth=1
	v_mov_b32_e32 v2, s23
	v_subrev_co_u32_e32 v4, vcc, s22, v4
	v_subb_co_u32_e32 v5, vcc, v5, v2, vcc
; %bb.454:                              ;   in Loop: Header=BB168_6 Depth=1
	s_or_b64 exec, exec, s[4:5]
	v_mov_b32_e32 v7, v5
	v_mov_b32_e32 v2, 5
	;; [unrolled: 1-line block ×3, first 2 shown]
.LBB168_455:                            ;   in Loop: Header=BB168_6 Depth=1
	s_or_b64 exec, exec, s[8:9]
	v_mov_b32_e32 v4, v6
	s_mov_b64 s[8:9], exec
	v_mov_b32_e32 v5, v7
.LBB168_456:                            ;   in Loop: Header=BB168_6 Depth=1
	s_or_b64 exec, exec, s[58:59]
	s_orn2_b64 s[4:5], s[8:9], exec
.LBB168_457:                            ;   in Loop: Header=BB168_6 Depth=1
	s_or_b64 exec, exec, s[40:41]
	s_andn2_b64 s[8:9], s[42:43], exec
	s_and_b64 s[10:11], s[66:67], exec
	s_or_b64 s[42:43], s[8:9], s[10:11]
	s_andn2_b64 s[8:9], s[20:21], exec
	s_and_b64 s[10:11], s[56:57], exec
	v_mov_b32_e32 v7, v5
	s_or_b64 s[20:21], s[8:9], s[10:11]
	s_and_b64 s[10:11], s[4:5], exec
	v_mov_b32_e32 v6, v4
.LBB168_458:                            ;   in Loop: Header=BB168_6 Depth=1
	s_or_b64 exec, exec, s[44:45]
	s_orn2_b64 s[4:5], s[10:11], exec
.LBB168_459:                            ;   in Loop: Header=BB168_6 Depth=1
	s_or_b64 exec, exec, s[38:39]
	s_andn2_b64 s[8:9], s[14:15], exec
	s_and_b64 s[10:11], s[42:43], exec
	s_or_b64 s[14:15], s[8:9], s[10:11]
	s_andn2_b64 s[8:9], s[12:13], exec
	s_and_b64 s[10:11], s[20:21], exec
	v_mov_b32_e32 v4, v6
	s_or_b64 s[12:13], s[8:9], s[10:11]
	s_and_b64 s[10:11], s[4:5], exec
	v_mov_b32_e32 v5, v7
.LBB168_460:                            ;   in Loop: Header=BB168_6 Depth=1
	s_or_b64 exec, exec, s[36:37]
	s_orn2_b64 s[4:5], s[10:11], exec
.LBB168_461:                            ;   in Loop: Header=BB168_6 Depth=1
	s_or_b64 exec, exec, s[6:7]
	s_mov_b64 s[6:7], s[48:49]
	s_mov_b64 s[8:9], s[46:47]
	s_and_saveexec_b64 s[10:11], s[4:5]
; %bb.462:                              ;   in Loop: Header=BB168_6 Depth=1
	v_cmp_ne_u32_e64 s[6:7], 5, v2
	v_cmp_eq_u32_e32 vcc, 5, v2
	s_andn2_b64 s[4:5], s[46:47], exec
	s_and_b64 s[6:7], s[6:7], exec
	s_or_b64 s[8:9], s[4:5], s[6:7]
	s_andn2_b64 s[4:5], s[48:49], exec
	s_and_b64 s[6:7], vcc, exec
	s_or_b64 s[6:7], s[4:5], s[6:7]
; %bb.463:                              ;   in Loop: Header=BB168_6 Depth=1
	s_or_b64 exec, exec, s[10:11]
	s_andn2_b64 s[4:5], s[18:19], exec
	s_and_b64 s[10:11], s[14:15], exec
	s_or_b64 s[18:19], s[4:5], s[10:11]
	s_andn2_b64 s[4:5], s[24:25], exec
	s_and_b64 s[10:11], s[12:13], exec
	s_or_b64 s[24:25], s[4:5], s[10:11]
	;; [unrolled: 3-line block ×4, first 2 shown]
.LBB168_464:                            ;   in Loop: Header=BB168_6 Depth=1
	s_or_b64 exec, exec, s[2:3]
	s_mov_b64 s[14:15], 0
	s_mov_b64 s[12:13], 0
	s_and_saveexec_b64 s[2:3], s[48:49]
.LBB168_465:                            ;   in Loop: Header=BB168_6 Depth=1
	v_mov_b32_e32 v2, 0
	s_or_b64 s[46:47], s[46:47], exec
.LBB168_466:                            ;   in Loop: Header=BB168_6 Depth=1
	s_or_b64 exec, exec, s[2:3]
	s_andn2_b64 s[2:3], s[90:91], exec
	s_and_b64 s[6:7], s[18:19], exec
	s_or_b64 s[90:91], s[2:3], s[6:7]
	s_andn2_b64 s[2:3], s[88:89], exec
	s_and_b64 s[6:7], s[24:25], exec
	s_or_b64 s[88:89], s[2:3], s[6:7]
	;; [unrolled: 3-line block ×3, first 2 shown]
	s_andn2_b64 s[2:3], s[84:85], exec
	s_and_b64 s[6:7], s[14:15], exec
	v_mov_b32_e32 v25, v5
	s_mov_b64 s[4:5], -1
	s_andn2_b64 s[92:93], s[92:93], exec
	s_or_b64 s[84:85], s[2:3], s[6:7]
	v_mov_b32_e32 v24, v4
	s_and_saveexec_b64 s[2:3], s[46:47]
	v_readlane_b32 s20, v49, 49
	s_xor_b64 s[2:3], exec, s[2:3]
	v_readlane_b32 s17, v49, 48
	v_readlane_b32 s21, v49, 50
	s_cbranch_execz .LBB168_5
; %bb.467:                              ;   in Loop: Header=BB168_6 Depth=1
	v_cmp_eq_u32_e32 vcc, 0, v2
	s_mov_b64 s[6:7], -1
	s_and_saveexec_b64 s[8:9], vcc
	s_cbranch_execz .LBB168_4
; %bb.468:                              ;   in Loop: Header=BB168_6 Depth=1
	v_readlane_b32 s4, v49, 44
	s_xor_b32 s4, s4, 1
	s_add_i32 s10, s63, -2
	s_cmp_eq_u32 s63, 0
	v_writelane_b32 v49, s4, 44
	s_cselect_b64 s[4:5], -1, 0
	s_xor_b64 s[6:7], exec, -1
	s_orn2_b64 s[4:5], s[4:5], exec
	s_mov_b32 s63, s10
	s_branch .LBB168_4
.LBB168_469:
	s_or_b64 exec, exec, s[72:73]
	s_xor_b64 s[4:5], s[82:83], -1
	s_xor_b64 s[12:13], s[78:79], -1
	;; [unrolled: 1-line block ×5, first 2 shown]
	s_mov_b64 s[6:7], 0
	s_and_saveexec_b64 s[14:15], s[8:9]
	s_xor_b64 s[8:9], exec, s[14:15]
	s_cbranch_execnz .LBB168_474
; %bb.470:
	s_andn2_saveexec_b64 s[0:1], s[8:9]
	s_cbranch_execnz .LBB168_493
.LBB168_471:
	s_or_b64 exec, exec, s[0:1]
	s_and_saveexec_b64 s[0:1], s[6:7]
.LBB168_472:
	; divergent unreachable
.LBB168_473:
	s_endpgm
.LBB168_474:
	s_and_saveexec_b64 s[14:15], s[10:11]
	s_xor_b64 s[10:11], exec, s[14:15]
	s_cbranch_execz .LBB168_491
; %bb.475:
	s_and_saveexec_b64 s[14:15], s[12:13]
	s_xor_b64 s[12:13], exec, s[14:15]
	s_cbranch_execz .LBB168_489
; %bb.476:
	;; [unrolled: 4-line block ×3, first 2 shown]
	s_and_saveexec_b64 s[4:5], s[2:3]
	s_xor_b64 s[2:3], exec, s[4:5]
; %bb.478:
	v_xor_b32_e32 v44, 0xffff8000, v37
; %bb.479:
	s_or_b64 exec, exec, s[2:3]
	s_mov_b64 s[2:3], exec
	v_readlane_b32 s6, v49, 10
	v_readlane_b32 s7, v49, 11
	s_load_dwordx2 s[52:53], s[6:7], 0x0
	v_readlane_b32 s4, v49, 8
	v_readlane_b32 s5, v49, 9
	;; [unrolled: 1-line block ×3, first 2 shown]
	s_and_b64 s[4:5], s[2:3], s[4:5]
	v_readlane_b32 s55, v49, 17
	s_mov_b64 exec, s[4:5]
; %bb.480:
	v_mov_b32_e32 v2, 0
	v_mov_b32_e32 v3, v2
	ds_write_b64 v2, v[2:3] offset:5136
; %bb.481:
	s_or_b64 exec, exec, s[2:3]
	v_mov_b32_e32 v16, 0
	s_waitcnt lgkmcnt(0)
	s_barrier
	s_mov_b64 s[2:3], exec
	v_readlane_b32 s4, v49, 22
	v_readlane_b32 s5, v49, 23
	s_and_b64 s[4:5], s[2:3], s[4:5]
	s_mov_b64 exec, s[4:5]
	s_cbranch_execz .LBB168_483
; %bb.482:
	global_load_ushort v16, v[12:13], off
.LBB168_483:
	s_or_b64 exec, exec, s[2:3]
	s_add_u32 s2, s28, 63
	s_addc_u32 s17, s29, 0
	s_and_b32 s16, s2, 0xffffffc0
	v_readlane_b32 s2, v49, 12
	v_readlane_b32 s4, v49, 4
	;; [unrolled: 1-line block ×3, first 2 shown]
	s_mov_b32 s18, s2
	v_readlane_b32 s5, v49, 5
	v_readlane_b32 s20, v49, 0
	s_mul_i32 s2, s5, s2
	s_mul_hi_u32 s3, s4, s18
	v_readlane_b32 s21, v49, 1
	s_add_i32 s3, s3, s2
	s_mul_i32 s2, s4, s18
	s_mul_i32 s4, s21, s18
	s_mul_hi_u32 s5, s20, s18
	s_add_i32 s5, s5, s4
	s_mul_i32 s4, s20, s18
	s_lshl_b64 s[2:3], s[2:3], 1
	v_readlane_b32 s18, v49, 6
	v_readlane_b32 s19, v49, 7
	s_add_u32 s46, s18, s2
	s_addc_u32 s47, s19, s3
	s_load_dwordx2 s[18:19], s[6:7], 0x368
	s_load_dwordx2 s[20:21], s[6:7], 0x510
	s_lshl_b64 s[2:3], s[4:5], 3
	v_readlane_b32 s4, v49, 2
	v_readlane_b32 s5, v49, 3
	s_add_u32 s48, s4, s2
	v_cmp_gt_u64_e32 vcc, s[16:17], v[0:1]
	s_addc_u32 s49, s5, s3
	s_mov_b64 s[24:25], -1
	s_mov_b64 s[2:3], 0
	s_mov_b64 s[4:5], 0
	s_and_saveexec_b64 s[22:23], vcc
	s_cbranch_execnz .LBB168_494
; %bb.484:
	s_or_b64 exec, exec, s[22:23]
	s_and_saveexec_b64 s[6:7], s[24:25]
	s_cbranch_execnz .LBB168_509
.LBB168_485:
	s_or_b64 exec, exec, s[6:7]
	s_and_saveexec_b64 s[0:1], s[4:5]
	s_xor_b64 s[0:1], exec, s[0:1]
	s_cbranch_execnz .LBB168_532
.LBB168_486:
	s_or_b64 exec, exec, s[0:1]
	s_and_b64 s[6:7], s[2:3], exec
.LBB168_487:
	s_andn2_saveexec_b64 s[0:1], s[14:15]
	s_cbranch_execnz .LBB168_534
.LBB168_488:
	s_or_b64 exec, exec, s[0:1]
	s_and_b64 s[6:7], s[6:7], exec
.LBB168_489:
	s_andn2_saveexec_b64 s[0:1], s[12:13]
	s_cbranch_execnz .LBB168_533
.LBB168_490:
	s_or_b64 exec, exec, s[0:1]
	s_and_b64 s[6:7], s[6:7], exec
.LBB168_491:
	s_andn2_saveexec_b64 s[0:1], s[10:11]
	s_cbranch_execnz .LBB168_528
.LBB168_492:
	s_or_b64 exec, exec, s[0:1]
	s_and_b64 s[6:7], s[6:7], exec
	s_andn2_saveexec_b64 s[0:1], s[8:9]
	s_cbranch_execz .LBB168_471
.LBB168_493:
	s_or_b64 s[6:7], s[6:7], exec
	s_trap 2
	s_or_b64 exec, exec, s[0:1]
	s_and_saveexec_b64 s[0:1], s[6:7]
	s_cbranch_execnz .LBB168_472
	s_branch .LBB168_473
.LBB168_494:
	v_add_co_u32_e64 v2, s[4:5], s33, v0
	v_addc_co_u32_e64 v3, s[4:5], 0, 0, s[4:5]
	v_mul_lo_u32 v4, s27, v2
	v_mul_lo_u32 v5, s26, v3
	v_mad_u64_u32 v[2:3], s[4:5], s26, v2, 0
	v_readlane_b32 s4, v49, 14
	v_readlane_b32 s5, v49, 15
	v_add3_u32 v3, v3, v5, v4
	v_lshlrev_b64 v[2:3], 1, v[2:3]
	s_add_u32 s4, s52, s4
	s_addc_u32 s5, s53, s5
	s_mov_b32 s50, 0x8000
	v_mov_b32_e32 v4, s5
	v_add_co_u32_e64 v2, s[4:5], s4, v2
	v_mov_b32_e32 v11, v1
	v_add_u32_sdwa v17, sext(v44), s50 dst_sel:DWORD dst_unused:UNUSED_PAD src0_sel:WORD_0 src1_sel:DWORD
	v_addc_co_u32_e64 v3, s[4:5], v4, v3, s[4:5]
	s_mov_b64 s[24:25], 0
	v_mov_b32_e32 v5, 0
	v_mov_b32_e32 v10, v0
                                        ; implicit-def: $sgpr36_sgpr37
                                        ; implicit-def: $vgpr8_vgpr9
	s_branch .LBB168_496
.LBB168_495:                            ;   in Loop: Header=BB168_496 Depth=1
	s_or_b64 exec, exec, s[38:39]
	s_xor_b64 s[4:5], s[40:41], -1
	s_and_b64 s[6:7], exec, s[6:7]
	s_or_b64 s[24:25], s[6:7], s[24:25]
	s_andn2_b64 s[6:7], s[36:37], exec
	s_and_b64 s[4:5], s[4:5], exec
	v_mov_b32_e32 v11, v7
	s_or_b64 s[36:37], s[6:7], s[4:5]
	v_mov_b32_e32 v16, v18
	v_mov_b32_e32 v10, v6
	s_andn2_b64 exec, exec, s[24:25]
	s_cbranch_execz .LBB168_508
.LBB168_496:                            ; =>This Inner Loop Header: Depth=1
	v_add_co_u32_e64 v6, s[4:5], s33, v10
	v_addc_co_u32_e64 v7, s[4:5], 0, v11, s[4:5]
	v_cmp_gt_u64_e64 s[4:5], s[28:29], v[6:7]
	v_mov_b32_e32 v18, 0
	s_and_saveexec_b64 s[6:7], s[4:5]
	s_cbranch_execz .LBB168_498
; %bb.497:                              ;   in Loop: Header=BB168_496 Depth=1
	global_load_ushort v18, v[2:3], off
.LBB168_498:                            ;   in Loop: Header=BB168_496 Depth=1
	s_or_b64 exec, exec, s[6:7]
	s_waitcnt vmcnt(0)
	v_add_u32_sdwa v4, sext(v16), s50 dst_sel:DWORD dst_unused:UNUSED_PAD src0_sel:WORD_0 src1_sel:DWORD
	v_cmp_gt_u32_e64 s[6:7], v4, v17
	v_cndmask_b32_e64 v14, 0, 1, s[6:7]
	v_cmp_lt_u32_e64 s[6:7], v4, v17
	v_cndmask_b32_e64 v4, 0, 1, s[6:7]
	v_cndmask_b32_e64 v4, v4, v14, s[54:55]
	v_cmp_gt_u64_e64 s[4:5], s[28:29], v[10:11]
	v_and_b32_e32 v4, 1, v4
	v_cmp_eq_u32_e64 s[6:7], 1, v4
	s_and_b64 s[40:41], s[4:5], s[6:7]
	v_cndmask_b32_e64 v4, 0, 1, s[40:41]
	v_cmp_ne_u32_e64 s[4:5], 0, v4
	s_cmp_lg_u64 s[4:5], 0
	s_cselect_b64 s[6:7], -1, 0
	s_and_b64 s[6:7], s[0:1], s[6:7]
	s_and_saveexec_b64 s[38:39], s[6:7]
	s_cbranch_execz .LBB168_502
; %bb.499:                              ;   in Loop: Header=BB168_496 Depth=1
	s_mov_b64 s[44:45], exec
	v_mbcnt_lo_u32_b32 v4, s44, 0
	v_mbcnt_hi_u32_b32 v14, s45, v4
	s_bcnt1_i32_b64 s51, s[4:5]
	v_cmp_eq_u32_e64 s[6:7], 0, v14
                                        ; implicit-def: $vgpr8_vgpr9
	s_and_saveexec_b64 s[42:43], s[6:7]
	s_cbranch_execz .LBB168_501
; %bb.500:                              ;   in Loop: Header=BB168_496 Depth=1
	s_bcnt1_i32_b64 s6, s[44:45]
	s_mul_i32 s6, s51, s6
	v_mov_b32_e32 v4, s6
	s_waitcnt lgkmcnt(0)
	ds_add_rtn_u64 v[8:9], v5, v[4:5] offset:5136
.LBB168_501:                            ;   in Loop: Header=BB168_496 Depth=1
	s_or_b64 exec, exec, s[42:43]
	s_waitcnt lgkmcnt(0)
	v_readfirstlane_b32 s6, v9
	v_readfirstlane_b32 s7, v8
	v_mov_b32_e32 v8, s7
	v_mov_b32_e32 v9, s6
	v_mad_u64_u32 v[8:9], s[6:7], s51, v14, v[8:9]
.LBB168_502:                            ;   in Loop: Header=BB168_496 Depth=1
	s_or_b64 exec, exec, s[38:39]
	s_waitcnt lgkmcnt(0)
	ds_bpermute_b32 v8, v30, v8
	ds_bpermute_b32 v9, v30, v9
	s_mov_b64 s[6:7], -1
	s_mov_b64 s[42:43], -1
	s_and_saveexec_b64 s[38:39], s[40:41]
	s_cbranch_execz .LBB168_506
; %bb.503:                              ;   in Loop: Header=BB168_496 Depth=1
	v_and_b32_e32 v14, s4, v29
	v_and_b32_e32 v4, s5, v28
	v_bcnt_u32_b32 v14, v14, 0
	v_bcnt_u32_b32 v4, v4, v14
	s_waitcnt lgkmcnt(0)
	v_add_co_u32_e64 v14, s[4:5], v8, v4
	v_addc_co_u32_e64 v15, s[4:5], 0, v9, s[4:5]
	v_cmp_gt_u64_e64 s[4:5], s[30:31], v[14:15]
	s_mov_b64 s[40:41], 0
	s_and_saveexec_b64 s[42:43], s[4:5]
; %bb.504:                              ;   in Loop: Header=BB168_496 Depth=1
	v_mul_lo_u32 v4, v15, s18
	v_mul_lo_u32 v21, v14, s19
	v_mad_u64_u32 v[19:20], s[4:5], v14, s18, 0
	v_mul_lo_u32 v22, v15, s20
	v_mul_lo_u32 v23, v14, s21
	v_mad_u64_u32 v[14:15], s[4:5], v14, s20, 0
	v_add3_u32 v20, v20, v21, v4
	v_lshlrev_b64 v[19:20], 1, v[19:20]
	v_add3_u32 v15, v15, v23, v22
	v_mov_b32_e32 v4, s47
	v_add_co_u32_e64 v19, s[4:5], s46, v19
	v_lshlrev_b64 v[14:15], 3, v[14:15]
	v_addc_co_u32_e64 v20, s[4:5], v4, v20, s[4:5]
	v_mov_b32_e32 v4, s49
	v_add_co_u32_e64 v14, s[4:5], s48, v14
	s_mov_b64 s[40:41], exec
	v_addc_co_u32_e64 v15, s[4:5], v4, v15, s[4:5]
	global_store_short v[19:20], v16, off
	global_store_dwordx2 v[14:15], v[10:11], off
; %bb.505:                              ;   in Loop: Header=BB168_496 Depth=1
	s_or_b64 exec, exec, s[42:43]
	s_orn2_b64 s[42:43], s[40:41], exec
.LBB168_506:                            ;   in Loop: Header=BB168_496 Depth=1
	s_or_b64 exec, exec, s[38:39]
	s_mov_b64 s[40:41], -1
	s_and_saveexec_b64 s[38:39], s[42:43]
	s_cbranch_execz .LBB168_495
; %bb.507:                              ;   in Loop: Header=BB168_496 Depth=1
	v_mov_b32_e32 v4, s35
	v_add_co_u32_e64 v2, s[4:5], s34, v2
	v_addc_co_u32_e64 v3, s[4:5], v3, v4, s[4:5]
	v_cmp_le_u64_e64 s[4:5], s[16:17], v[6:7]
	s_xor_b64 s[40:41], exec, -1
	s_orn2_b64 s[6:7], s[4:5], exec
	s_branch .LBB168_495
.LBB168_508:
	s_or_b64 exec, exec, s[24:25]
	s_mov_b64 s[4:5], exec
	s_orn2_b64 s[24:25], s[36:37], exec
	s_or_b64 exec, exec, s[22:23]
	s_and_saveexec_b64 s[6:7], s[24:25]
	s_cbranch_execz .LBB168_485
.LBB168_509:
	v_mov_b32_e32 v4, 0
	s_waitcnt vmcnt(0) lgkmcnt(0)
	s_barrier
	s_mov_b64 s[2:3], exec
	v_readlane_b32 s22, v49, 22
	v_readlane_b32 s23, v49, 23
	s_and_b64 s[22:23], s[2:3], s[22:23]
	s_mov_b64 exec, s[22:23]
	s_cbranch_execz .LBB168_511
; %bb.510:
	global_load_ushort v4, v[12:13], off
.LBB168_511:
	s_or_b64 exec, exec, s[2:3]
	s_mov_b64 s[2:3], 0
	s_and_saveexec_b64 s[22:23], vcc
	s_cbranch_execz .LBB168_531
; %bb.512:
	v_add_co_u32_e32 v2, vcc, s33, v0
	v_addc_co_u32_e64 v3, s[2:3], 0, 0, vcc
	v_mul_lo_u32 v5, s27, v2
	v_mul_lo_u32 v6, s26, v3
	v_mad_u64_u32 v[2:3], s[2:3], s26, v2, 0
	v_readlane_b32 s2, v49, 14
	v_readlane_b32 s3, v49, 15
	v_add3_u32 v3, v3, v6, v5
	v_lshlrev_b64 v[2:3], 1, v[2:3]
	s_add_u32 s2, s52, s2
	s_addc_u32 s3, s53, s3
	v_mov_b32_e32 v5, s3
	v_add_co_u32_e32 v2, vcc, s2, v2
	v_addc_co_u32_e32 v3, vcc, v5, v3, vcc
	s_mov_b64 s[24:25], 0
	v_mov_b32_e32 v5, 0
                                        ; implicit-def: $sgpr26_sgpr27
                                        ; implicit-def: $vgpr8_vgpr9
	s_branch .LBB168_515
.LBB168_513:                            ;   in Loop: Header=BB168_515 Depth=1
	s_or_b64 exec, exec, s[38:39]
	s_orn2_b64 s[40:41], s[42:43], exec
	s_orn2_b64 s[38:39], s[36:37], exec
.LBB168_514:                            ;   in Loop: Header=BB168_515 Depth=1
	s_or_b64 exec, exec, s[2:3]
	s_xor_b64 s[2:3], s[40:41], -1
	s_and_b64 s[36:37], exec, s[38:39]
	s_or_b64 s[24:25], s[36:37], s[24:25]
	s_andn2_b64 s[26:27], s[26:27], exec
	s_and_b64 s[2:3], s[2:3], exec
	v_mov_b32_e32 v0, v6
	s_or_b64 s[26:27], s[26:27], s[2:3]
	v_mov_b32_e32 v1, v7
	v_mov_b32_e32 v4, v12
	s_andn2_b64 exec, exec, s[24:25]
	s_cbranch_execz .LBB168_529
.LBB168_515:                            ; =>This Inner Loop Header: Depth=1
	v_add_co_u32_e32 v6, vcc, s33, v0
	v_addc_co_u32_e32 v7, vcc, 0, v1, vcc
	v_cmp_gt_u64_e32 vcc, s[28:29], v[6:7]
	v_mov_b32_e32 v12, 0
	s_and_saveexec_b64 s[2:3], vcc
	s_cbranch_execz .LBB168_517
; %bb.516:                              ;   in Loop: Header=BB168_515 Depth=1
	global_load_ushort v12, v[2:3], off
.LBB168_517:                            ;   in Loop: Header=BB168_515 Depth=1
	s_or_b64 exec, exec, s[2:3]
	v_cmp_gt_u64_e32 vcc, s[28:29], v[0:1]
	s_waitcnt vmcnt(0)
	v_cmp_eq_u16_e64 s[2:3], v4, v44
	s_and_b64 s[36:37], vcc, s[2:3]
	v_cndmask_b32_e64 v4, 0, 1, s[36:37]
	v_cmp_ne_u32_e32 vcc, 0, v4
	s_cmp_lg_u64 vcc, 0
	s_cselect_b64 s[2:3], -1, 0
	s_and_b64 s[2:3], s[0:1], s[2:3]
	s_and_saveexec_b64 s[38:39], s[2:3]
	s_cbranch_execz .LBB168_521
; %bb.518:                              ;   in Loop: Header=BB168_515 Depth=1
	s_mov_b64 s[42:43], exec
	v_mbcnt_lo_u32_b32 v4, s42, 0
	v_mbcnt_hi_u32_b32 v10, s43, v4
	s_bcnt1_i32_b64 s44, vcc
	v_cmp_eq_u32_e64 s[2:3], 0, v10
                                        ; implicit-def: $vgpr8_vgpr9
	s_and_saveexec_b64 s[40:41], s[2:3]
; %bb.519:                              ;   in Loop: Header=BB168_515 Depth=1
	s_bcnt1_i32_b64 s2, s[42:43]
	s_mul_i32 s2, s44, s2
	v_mov_b32_e32 v4, s2
	ds_add_rtn_u64 v[8:9], v5, v[4:5] offset:5136
; %bb.520:                              ;   in Loop: Header=BB168_515 Depth=1
	s_or_b64 exec, exec, s[40:41]
	s_waitcnt lgkmcnt(0)
	v_readfirstlane_b32 s2, v9
	v_readfirstlane_b32 s3, v8
	v_mov_b32_e32 v8, s3
	v_mov_b32_e32 v9, s2
	v_mad_u64_u32 v[8:9], s[2:3], s44, v10, v[8:9]
.LBB168_521:                            ;   in Loop: Header=BB168_515 Depth=1
	s_or_b64 exec, exec, s[38:39]
	ds_bpermute_b32 v8, v30, v8
	ds_bpermute_b32 v9, v30, v9
	s_cmp_eq_u64 vcc, 0
	s_cselect_b64 s[40:41], -1, 0
	s_mov_b64 s[38:39], -1
	s_waitcnt lgkmcnt(0)
	v_cmp_gt_u64_e64 s[2:3], s[30:31], v[8:9]
	s_or_b64 s[42:43], s[40:41], s[2:3]
	s_mov_b64 s[40:41], -1
	s_and_saveexec_b64 s[2:3], s[42:43]
	s_cbranch_execz .LBB168_514
; %bb.522:                              ;   in Loop: Header=BB168_515 Depth=1
	v_and_b32_e32 v10, vcc_lo, v29
	v_and_b32_e32 v4, vcc_hi, v28
	v_bcnt_u32_b32 v10, v10, 0
	v_bcnt_u32_b32 v4, v4, v10
	v_mov_b32_e32 v11, s31
	v_sub_co_u32_e32 v10, vcc, s30, v8
	v_subb_co_u32_e32 v11, vcc, v11, v9, vcc
	v_cmp_gt_u64_e32 vcc, v[10:11], v[4:5]
	s_mov_b64 s[42:43], -1
	s_and_b64 s[44:45], s[36:37], vcc
	s_mov_b64 s[36:37], -1
	s_and_saveexec_b64 s[38:39], s[44:45]
	s_cbranch_execz .LBB168_526
; %bb.523:                              ;   in Loop: Header=BB168_515 Depth=1
	v_add_co_u32_e32 v10, vcc, v8, v4
	v_addc_co_u32_e32 v11, vcc, 0, v9, vcc
	v_cmp_gt_u64_e32 vcc, s[30:31], v[10:11]
	s_mov_b64 s[40:41], 0
	s_and_saveexec_b64 s[42:43], vcc
; %bb.524:                              ;   in Loop: Header=BB168_515 Depth=1
	v_mul_lo_u32 v4, v11, s18
	v_mul_lo_u32 v15, v10, s19
	v_mad_u64_u32 v[13:14], s[44:45], v10, s18, 0
	v_mul_lo_u32 v16, v11, s20
	v_mul_lo_u32 v17, v10, s21
	v_mad_u64_u32 v[10:11], s[44:45], v10, s20, 0
	v_add3_u32 v14, v14, v15, v4
	v_lshlrev_b64 v[13:14], 1, v[13:14]
	v_add3_u32 v11, v11, v17, v16
	v_mov_b32_e32 v4, s47
	v_add_co_u32_e32 v13, vcc, s46, v13
	v_lshlrev_b64 v[10:11], 3, v[10:11]
	v_addc_co_u32_e32 v14, vcc, v4, v14, vcc
	v_mov_b32_e32 v4, s49
	v_add_co_u32_e32 v10, vcc, s48, v10
	s_mov_b64 s[40:41], exec
	v_addc_co_u32_e32 v11, vcc, v4, v11, vcc
	global_store_short v[13:14], v44, off
	global_store_dwordx2 v[10:11], v[0:1], off
; %bb.525:                              ;   in Loop: Header=BB168_515 Depth=1
	s_or_b64 exec, exec, s[42:43]
	s_xor_b64 s[42:43], exec, -1
	s_orn2_b64 s[40:41], s[40:41], exec
.LBB168_526:                            ;   in Loop: Header=BB168_515 Depth=1
	s_or_b64 exec, exec, s[38:39]
	s_and_saveexec_b64 s[38:39], s[40:41]
	s_cbranch_execz .LBB168_513
; %bb.527:                              ;   in Loop: Header=BB168_515 Depth=1
	v_mov_b32_e32 v0, s35
	v_add_co_u32_e32 v2, vcc, s34, v2
	v_addc_co_u32_e32 v3, vcc, v3, v0, vcc
	v_cmp_le_u64_e32 vcc, s[16:17], v[6:7]
	s_or_b64 s[42:43], s[42:43], exec
	s_orn2_b64 s[36:37], vcc, exec
	s_branch .LBB168_513
.LBB168_528:
	s_or_b64 s[6:7], s[6:7], exec
	s_trap 2
	s_branch .LBB168_492
.LBB168_529:
	s_or_b64 exec, exec, s[24:25]
	s_mov_b64 s[0:1], 0
	s_and_saveexec_b64 s[2:3], s[26:27]
	s_xor_b64 s[2:3], exec, s[2:3]
	s_cbranch_execnz .LBB168_535
.LBB168_530:
	s_or_b64 exec, exec, s[2:3]
	s_and_b64 s[2:3], s[0:1], exec
.LBB168_531:
	s_or_b64 exec, exec, s[22:23]
	s_and_b64 s[2:3], s[2:3], exec
	s_andn2_b64 s[4:5], s[4:5], exec
	s_or_b64 exec, exec, s[6:7]
	s_and_saveexec_b64 s[0:1], s[4:5]
	s_xor_b64 s[0:1], exec, s[0:1]
	s_cbranch_execz .LBB168_486
.LBB168_532:
	s_trap 2
	s_or_b64 s[2:3], s[2:3], exec
	s_branch .LBB168_486
.LBB168_533:
	s_or_b64 s[6:7], s[6:7], exec
	s_trap 2
	s_branch .LBB168_490
.LBB168_534:
	s_trap 2
	s_or_b64 s[6:7], s[6:7], exec
	s_branch .LBB168_488
.LBB168_535:
	s_mov_b64 s[0:1], exec
	s_trap 2
	s_branch .LBB168_530
	.section	.rodata,"a",@progbits
	.p2align	6, 0x0
	.amdhsa_kernel _ZN2at6native6sbtopk10gatherTopKIsmLi1ELb0EEEvNS_4cuda6detail10TensorInfoIKT_T0_EES8_S8_bS8_S8_NS5_IS6_S8_EES8_NS5_IlS8_EES8_PS6_
		.amdhsa_group_segment_fixed_size 5152
		.amdhsa_private_segment_fixed_size 0
		.amdhsa_kernarg_size 1568
		.amdhsa_user_sgpr_count 6
		.amdhsa_user_sgpr_private_segment_buffer 1
		.amdhsa_user_sgpr_dispatch_ptr 0
		.amdhsa_user_sgpr_queue_ptr 0
		.amdhsa_user_sgpr_kernarg_segment_ptr 1
		.amdhsa_user_sgpr_dispatch_id 0
		.amdhsa_user_sgpr_flat_scratch_init 0
		.amdhsa_user_sgpr_private_segment_size 0
		.amdhsa_uses_dynamic_stack 0
		.amdhsa_system_sgpr_private_segment_wavefront_offset 0
		.amdhsa_system_sgpr_workgroup_id_x 1
		.amdhsa_system_sgpr_workgroup_id_y 1
		.amdhsa_system_sgpr_workgroup_id_z 1
		.amdhsa_system_sgpr_workgroup_info 0
		.amdhsa_system_vgpr_workitem_id 0
		.amdhsa_next_free_vgpr 50
		.amdhsa_next_free_sgpr 96
		.amdhsa_reserve_vcc 1
		.amdhsa_reserve_flat_scratch 0
		.amdhsa_float_round_mode_32 0
		.amdhsa_float_round_mode_16_64 0
		.amdhsa_float_denorm_mode_32 3
		.amdhsa_float_denorm_mode_16_64 3
		.amdhsa_dx10_clamp 1
		.amdhsa_ieee_mode 1
		.amdhsa_fp16_overflow 0
		.amdhsa_exception_fp_ieee_invalid_op 0
		.amdhsa_exception_fp_denorm_src 0
		.amdhsa_exception_fp_ieee_div_zero 0
		.amdhsa_exception_fp_ieee_overflow 0
		.amdhsa_exception_fp_ieee_underflow 0
		.amdhsa_exception_fp_ieee_inexact 0
		.amdhsa_exception_int_div_zero 0
	.end_amdhsa_kernel
	.section	.text._ZN2at6native6sbtopk10gatherTopKIsmLi1ELb0EEEvNS_4cuda6detail10TensorInfoIKT_T0_EES8_S8_bS8_S8_NS5_IS6_S8_EES8_NS5_IlS8_EES8_PS6_,"axG",@progbits,_ZN2at6native6sbtopk10gatherTopKIsmLi1ELb0EEEvNS_4cuda6detail10TensorInfoIKT_T0_EES8_S8_bS8_S8_NS5_IS6_S8_EES8_NS5_IlS8_EES8_PS6_,comdat
.Lfunc_end168:
	.size	_ZN2at6native6sbtopk10gatherTopKIsmLi1ELb0EEEvNS_4cuda6detail10TensorInfoIKT_T0_EES8_S8_bS8_S8_NS5_IS6_S8_EES8_NS5_IlS8_EES8_PS6_, .Lfunc_end168-_ZN2at6native6sbtopk10gatherTopKIsmLi1ELb0EEEvNS_4cuda6detail10TensorInfoIKT_T0_EES8_S8_bS8_S8_NS5_IS6_S8_EES8_NS5_IlS8_EES8_PS6_
                                        ; -- End function
	.set _ZN2at6native6sbtopk10gatherTopKIsmLi1ELb0EEEvNS_4cuda6detail10TensorInfoIKT_T0_EES8_S8_bS8_S8_NS5_IS6_S8_EES8_NS5_IlS8_EES8_PS6_.num_vgpr, 50
	.set _ZN2at6native6sbtopk10gatherTopKIsmLi1ELb0EEEvNS_4cuda6detail10TensorInfoIKT_T0_EES8_S8_bS8_S8_NS5_IS6_S8_EES8_NS5_IlS8_EES8_PS6_.num_agpr, 0
	.set _ZN2at6native6sbtopk10gatherTopKIsmLi1ELb0EEEvNS_4cuda6detail10TensorInfoIKT_T0_EES8_S8_bS8_S8_NS5_IS6_S8_EES8_NS5_IlS8_EES8_PS6_.numbered_sgpr, 96
	.set _ZN2at6native6sbtopk10gatherTopKIsmLi1ELb0EEEvNS_4cuda6detail10TensorInfoIKT_T0_EES8_S8_bS8_S8_NS5_IS6_S8_EES8_NS5_IlS8_EES8_PS6_.num_named_barrier, 0
	.set _ZN2at6native6sbtopk10gatherTopKIsmLi1ELb0EEEvNS_4cuda6detail10TensorInfoIKT_T0_EES8_S8_bS8_S8_NS5_IS6_S8_EES8_NS5_IlS8_EES8_PS6_.private_seg_size, 0
	.set _ZN2at6native6sbtopk10gatherTopKIsmLi1ELb0EEEvNS_4cuda6detail10TensorInfoIKT_T0_EES8_S8_bS8_S8_NS5_IS6_S8_EES8_NS5_IlS8_EES8_PS6_.uses_vcc, 1
	.set _ZN2at6native6sbtopk10gatherTopKIsmLi1ELb0EEEvNS_4cuda6detail10TensorInfoIKT_T0_EES8_S8_bS8_S8_NS5_IS6_S8_EES8_NS5_IlS8_EES8_PS6_.uses_flat_scratch, 0
	.set _ZN2at6native6sbtopk10gatherTopKIsmLi1ELb0EEEvNS_4cuda6detail10TensorInfoIKT_T0_EES8_S8_bS8_S8_NS5_IS6_S8_EES8_NS5_IlS8_EES8_PS6_.has_dyn_sized_stack, 0
	.set _ZN2at6native6sbtopk10gatherTopKIsmLi1ELb0EEEvNS_4cuda6detail10TensorInfoIKT_T0_EES8_S8_bS8_S8_NS5_IS6_S8_EES8_NS5_IlS8_EES8_PS6_.has_recursion, 0
	.set _ZN2at6native6sbtopk10gatherTopKIsmLi1ELb0EEEvNS_4cuda6detail10TensorInfoIKT_T0_EES8_S8_bS8_S8_NS5_IS6_S8_EES8_NS5_IlS8_EES8_PS6_.has_indirect_call, 0
	.section	.AMDGPU.csdata,"",@progbits
; Kernel info:
; codeLenInByte = 26392
; TotalNumSgprs: 100
; NumVgprs: 50
; ScratchSize: 0
; MemoryBound: 0
; FloatMode: 240
; IeeeMode: 1
; LDSByteSize: 5152 bytes/workgroup (compile time only)
; SGPRBlocks: 12
; VGPRBlocks: 12
; NumSGPRsForWavesPerEU: 100
; NumVGPRsForWavesPerEU: 50
; Occupancy: 4
; WaveLimiterHint : 1
; COMPUTE_PGM_RSRC2:SCRATCH_EN: 0
; COMPUTE_PGM_RSRC2:USER_SGPR: 6
; COMPUTE_PGM_RSRC2:TRAP_HANDLER: 0
; COMPUTE_PGM_RSRC2:TGID_X_EN: 1
; COMPUTE_PGM_RSRC2:TGID_Y_EN: 1
; COMPUTE_PGM_RSRC2:TGID_Z_EN: 1
; COMPUTE_PGM_RSRC2:TIDIG_COMP_CNT: 0
	.section	.text._ZN2at6native6mbtopk23computeBlockDigitCountsIsmjLi2EEEvNS_4cuda6detail10TensorInfoIKT_T0_EEjPjjS8_iijT1_PSB_Ps,"axG",@progbits,_ZN2at6native6mbtopk23computeBlockDigitCountsIsmjLi2EEEvNS_4cuda6detail10TensorInfoIKT_T0_EEjPjjS8_iijT1_PSB_Ps,comdat
	.protected	_ZN2at6native6mbtopk23computeBlockDigitCountsIsmjLi2EEEvNS_4cuda6detail10TensorInfoIKT_T0_EEjPjjS8_iijT1_PSB_Ps ; -- Begin function _ZN2at6native6mbtopk23computeBlockDigitCountsIsmjLi2EEEvNS_4cuda6detail10TensorInfoIKT_T0_EEjPjjS8_iijT1_PSB_Ps
	.globl	_ZN2at6native6mbtopk23computeBlockDigitCountsIsmjLi2EEEvNS_4cuda6detail10TensorInfoIKT_T0_EEjPjjS8_iijT1_PSB_Ps
	.p2align	8
	.type	_ZN2at6native6mbtopk23computeBlockDigitCountsIsmjLi2EEEvNS_4cuda6detail10TensorInfoIKT_T0_EEjPjjS8_iijT1_PSB_Ps,@function
_ZN2at6native6mbtopk23computeBlockDigitCountsIsmjLi2EEEvNS_4cuda6detail10TensorInfoIKT_T0_EEjPjjS8_iijT1_PSB_Ps: ; @_ZN2at6native6mbtopk23computeBlockDigitCountsIsmjLi2EEEvNS_4cuda6detail10TensorInfoIKT_T0_EEjPjjS8_iijT1_PSB_Ps
; %bb.0:
	s_load_dwordx4 s[0:3], s[4:5], 0x1c0
	s_load_dword s9, s[4:5], 0x1b0
	s_load_dwordx2 s[10:11], s[4:5], 0x1e0
	s_waitcnt lgkmcnt(0)
	v_cvt_f32_u32_e32 v1, s2
	s_mul_i32 s8, s11, s8
	s_add_i32 s7, s8, s7
	v_rcp_iflag_f32_e32 v1, v1
	s_mul_i32 s18, s7, s10
	s_sub_i32 s11, 0, s2
	s_add_i32 s18, s18, s6
	v_mul_f32_e32 v1, 0x4f7ffffe, v1
	v_cvt_u32_f32_e32 v1, v1
	v_readfirstlane_b32 s6, v1
	s_mul_i32 s11, s11, s6
	s_mul_hi_u32 s7, s6, s11
	s_add_i32 s6, s6, s7
	s_mul_hi_u32 s6, s18, s6
	s_mul_i32 s7, s6, s2
	s_sub_i32 s7, s18, s7
	s_add_i32 s8, s6, 1
	s_sub_i32 s10, s7, s2
	s_cmp_ge_u32 s7, s2
	s_cselect_b32 s6, s8, s6
	s_cselect_b32 s7, s10, s7
	s_add_i32 s8, s6, 1
	s_cmp_ge_u32 s7, s2
	s_cselect_b32 s6, s8, s6
	s_cmp_ge_u32 s6, s9
	s_mov_b32 s7, 0
	s_cbranch_scc1 .LBB169_23
; %bb.1:
	s_load_dwordx4 s[8:11], s[4:5], 0x1d0
	s_load_dwordx2 s[12:13], s[4:5], 0x10
	s_lshl_b64 s[14:15], s[6:7], 2
	s_waitcnt lgkmcnt(0)
	s_add_u32 s8, s8, s14
	v_mov_b32_e32 v1, s12
	v_mov_b32_e32 v2, s13
	v_cmp_lt_u64_e32 vcc, s[6:7], v[1:2]
	s_addc_u32 s9, s9, s15
	s_mov_b64 s[14:15], 0
	s_cbranch_vccnz .LBB169_3
; %bb.2:
	v_cvt_f32_u32_e32 v1, s12
	s_sub_i32 s7, 0, s12
	v_rcp_iflag_f32_e32 v1, v1
	v_mul_f32_e32 v1, 0x4f7ffffe, v1
	v_cvt_u32_f32_e32 v1, v1
	v_readfirstlane_b32 s14, v1
	s_mul_i32 s7, s7, s14
	s_mul_hi_u32 s7, s14, s7
	s_add_i32 s14, s14, s7
	s_mul_hi_u32 s7, s6, s14
	s_mul_i32 s15, s7, s12
	s_sub_i32 s15, s6, s15
	s_add_i32 s14, s7, 1
	s_sub_i32 s16, s15, s12
	s_cmp_ge_u32 s15, s12
	s_cselect_b32 s7, s14, s7
	s_cselect_b32 s15, s16, s15
	s_add_i32 s14, s7, 1
	s_cmp_ge_u32 s15, s12
	s_cselect_b32 s14, s14, s7
.LBB169_3:
	s_movk_i32 s7, 0x100
	v_cmp_gt_u32_e32 vcc, s7, v0
	v_lshlrev_b32_e32 v1, 2, v0
	s_and_saveexec_b64 s[16:17], vcc
; %bb.4:
	v_mov_b32_e32 v2, 0
	ds_write_b32 v1, v2
; %bb.5:
	s_or_b64 exec, exec, s[16:17]
	s_load_dword s15, s[4:5], 0x1a0
	s_mul_i32 s7, s6, s2
	s_sub_i32 s7, s18, s7
	s_add_i32 s19, s7, 1
	s_mul_i32 s7, s1, s7
	s_lshl_b32 s7, s7, 8
	s_waitcnt lgkmcnt(0)
	s_sub_i32 s16, s15, s7
	s_add_u32 s16, s16, 0xff
	s_addc_u32 s17, 0, 0
	s_lshr_b64 s[16:17], s[16:17], 8
	s_cmp_lt_u32 s19, s2
	s_cselect_b32 s16, s1, s16
	s_cmp_lt_i32 s16, 1
	s_mov_b32 s1, 0
	s_barrier
	s_cbranch_scc1 .LBB169_21
; %bb.6:
	s_load_dwordx2 s[24:25], s[4:5], 0x0
	s_load_dwordx4 s[20:23], s[4:5], 0xd0
	s_load_dword s2, s[8:9], 0x0
	s_mul_i32 s8, s14, s13
	s_mul_hi_u32 s9, s14, s12
	s_add_i32 s9, s9, s8
	s_mul_i32 s8, s14, s12
	s_sub_u32 s6, s6, s8
	s_subb_u32 s8, 0, s9
	s_waitcnt lgkmcnt(0)
	s_mul_i32 s9, s6, s23
	s_mul_hi_u32 s12, s6, s22
	s_add_i32 s9, s12, s9
	s_mul_i32 s8, s8, s22
	s_add_i32 s9, s9, s8
	s_mul_i32 s8, s6, s22
	s_mul_i32 s6, s14, s21
	s_mul_hi_u32 s12, s14, s20
	s_add_i32 s13, s12, s6
	s_mul_i32 s12, s14, s20
	s_lshl_b64 s[12:13], s[12:13], 1
	s_add_u32 s6, s24, s12
	s_load_dwordx2 s[4:5], s[4:5], 0x1b8
	s_addc_u32 s14, s25, s13
	s_lshl_b64 s[12:13], s[8:9], 1
	s_add_u32 s9, s6, s12
	s_addc_u32 s12, s14, s13
	s_and_b32 s8, s0, 0xff
	s_cmp_eq_u32 s16, 1
	v_add_u32_e32 v2, s7, v0
	s_cbranch_scc1 .LBB169_16
; %bb.7:
	s_and_b32 s13, s16, 0x7ffffffe
	s_mov_b32 s14, 0
	v_mov_b32_e32 v3, 1
	v_mov_b32_e32 v4, v2
	s_branch .LBB169_9
.LBB169_8:                              ;   in Loop: Header=BB169_9 Depth=1
	s_or_b64 exec, exec, s[6:7]
	s_add_i32 s14, s14, 2
	s_cmp_eq_u32 s13, s14
	v_add_u32_e32 v4, 0x200, v4
	s_cbranch_scc1 .LBB169_15
.LBB169_9:                              ; =>This Inner Loop Header: Depth=1
	v_cmp_gt_u32_e64 s[0:1], s15, v4
	s_and_saveexec_b64 s[6:7], s[0:1]
	s_cbranch_execz .LBB169_12
; %bb.10:                               ;   in Loop: Header=BB169_9 Depth=1
	s_waitcnt lgkmcnt(0)
	v_mad_u64_u32 v[5:6], s[0:1], s4, v4, 0
	v_mad_u64_u32 v[6:7], s[0:1], s5, v4, v[6:7]
	v_mov_b32_e32 v7, s12
	v_lshlrev_b64 v[5:6], 1, v[5:6]
	v_add_co_u32_e64 v5, s[0:1], s9, v5
	v_addc_co_u32_e64 v6, s[0:1], v7, v6, s[0:1]
	global_load_sshort v5, v[5:6], off
	s_waitcnt vmcnt(0)
	v_add_u32_e32 v5, 0x8000, v5
	v_xor_b32_e32 v6, s2, v5
	v_and_b32_e32 v6, s3, v6
	v_cmp_eq_u32_e64 s[0:1], 0, v6
	s_and_b64 exec, exec, s[0:1]
; %bb.11:                               ;   in Loop: Header=BB169_9 Depth=1
	v_bfe_u32 v5, v5, s8, 8
	v_lshlrev_b32_e32 v5, 2, v5
	ds_add_u32 v5, v3
.LBB169_12:                             ;   in Loop: Header=BB169_9 Depth=1
	s_or_b64 exec, exec, s[6:7]
	v_add_u32_e32 v5, 0x100, v4
	v_cmp_gt_u32_e64 s[0:1], s15, v5
	s_and_saveexec_b64 s[6:7], s[0:1]
	s_cbranch_execz .LBB169_8
; %bb.13:                               ;   in Loop: Header=BB169_9 Depth=1
	s_waitcnt lgkmcnt(0)
	v_mad_u64_u32 v[6:7], s[0:1], s4, v5, 0
	v_mad_u64_u32 v[7:8], s[0:1], s5, v5, v[7:8]
	v_mov_b32_e32 v8, s12
	v_lshlrev_b64 v[5:6], 1, v[6:7]
	v_add_co_u32_e64 v5, s[0:1], s9, v5
	v_addc_co_u32_e64 v6, s[0:1], v8, v6, s[0:1]
	global_load_sshort v5, v[5:6], off
	s_waitcnt vmcnt(0)
	v_add_u32_e32 v5, 0x8000, v5
	v_xor_b32_e32 v6, s2, v5
	v_and_b32_e32 v6, s3, v6
	v_cmp_eq_u32_e64 s[0:1], 0, v6
	s_and_b64 exec, exec, s[0:1]
	s_cbranch_execz .LBB169_8
; %bb.14:                               ;   in Loop: Header=BB169_9 Depth=1
	v_bfe_u32 v5, v5, s8, 8
	v_lshlrev_b32_e32 v5, 2, v5
	ds_add_u32 v5, v3
	s_branch .LBB169_8
.LBB169_15:
	s_lshl_b32 s1, s13, 8
.LBB169_16:
	s_bitcmp0_b32 s16, 0
	s_cbranch_scc1 .LBB169_21
; %bb.17:
	v_add_u32_e32 v2, s1, v2
	v_cmp_gt_u32_e64 s[0:1], s15, v2
	s_and_saveexec_b64 s[6:7], s[0:1]
	s_cbranch_execz .LBB169_20
; %bb.18:
	s_waitcnt lgkmcnt(0)
	v_mad_u64_u32 v[3:4], s[0:1], s4, v2, 0
	v_mad_u64_u32 v[4:5], s[0:1], s5, v2, v[4:5]
	v_mov_b32_e32 v5, s12
	v_lshlrev_b64 v[2:3], 1, v[3:4]
	v_add_co_u32_e64 v2, s[0:1], s9, v2
	v_addc_co_u32_e64 v3, s[0:1], v5, v3, s[0:1]
	global_load_sshort v2, v[2:3], off
	s_waitcnt vmcnt(0)
	v_add_u32_e32 v2, 0x8000, v2
	v_xor_b32_e32 v3, s2, v2
	v_and_b32_e32 v3, s3, v3
	v_cmp_eq_u32_e64 s[0:1], 0, v3
	s_and_b64 exec, exec, s[0:1]
; %bb.19:
	v_bfe_u32 v2, v2, s8, 8
	v_lshlrev_b32_e32 v2, 2, v2
	v_mov_b32_e32 v3, 1
	ds_add_u32 v2, v3
.LBB169_20:
	s_or_b64 exec, exec, s[6:7]
.LBB169_21:
	s_waitcnt lgkmcnt(0)
	s_barrier
	s_and_saveexec_b64 s[0:1], vcc
	s_cbranch_execz .LBB169_23
; %bb.22:
	v_lshl_or_b32 v2, s18, 8, v0
	v_mov_b32_e32 v3, 0
	ds_read_b32 v5, v1
	v_lshlrev_b64 v[2:3], 1, v[2:3]
	v_mov_b32_e32 v4, s11
	v_add_co_u32_e32 v0, vcc, s10, v2
	v_addc_co_u32_e32 v1, vcc, v4, v3, vcc
	s_waitcnt lgkmcnt(0)
	global_store_short v[0:1], v5, off
.LBB169_23:
	s_endpgm
	.section	.rodata,"a",@progbits
	.p2align	6, 0x0
	.amdhsa_kernel _ZN2at6native6mbtopk23computeBlockDigitCountsIsmjLi2EEEvNS_4cuda6detail10TensorInfoIKT_T0_EEjPjjS8_iijT1_PSB_Ps
		.amdhsa_group_segment_fixed_size 1024
		.amdhsa_private_segment_fixed_size 0
		.amdhsa_kernarg_size 736
		.amdhsa_user_sgpr_count 6
		.amdhsa_user_sgpr_private_segment_buffer 1
		.amdhsa_user_sgpr_dispatch_ptr 0
		.amdhsa_user_sgpr_queue_ptr 0
		.amdhsa_user_sgpr_kernarg_segment_ptr 1
		.amdhsa_user_sgpr_dispatch_id 0
		.amdhsa_user_sgpr_flat_scratch_init 0
		.amdhsa_user_sgpr_private_segment_size 0
		.amdhsa_uses_dynamic_stack 0
		.amdhsa_system_sgpr_private_segment_wavefront_offset 0
		.amdhsa_system_sgpr_workgroup_id_x 1
		.amdhsa_system_sgpr_workgroup_id_y 1
		.amdhsa_system_sgpr_workgroup_id_z 1
		.amdhsa_system_sgpr_workgroup_info 0
		.amdhsa_system_vgpr_workitem_id 0
		.amdhsa_next_free_vgpr 9
		.amdhsa_next_free_sgpr 26
		.amdhsa_reserve_vcc 1
		.amdhsa_reserve_flat_scratch 0
		.amdhsa_float_round_mode_32 0
		.amdhsa_float_round_mode_16_64 0
		.amdhsa_float_denorm_mode_32 3
		.amdhsa_float_denorm_mode_16_64 3
		.amdhsa_dx10_clamp 1
		.amdhsa_ieee_mode 1
		.amdhsa_fp16_overflow 0
		.amdhsa_exception_fp_ieee_invalid_op 0
		.amdhsa_exception_fp_denorm_src 0
		.amdhsa_exception_fp_ieee_div_zero 0
		.amdhsa_exception_fp_ieee_overflow 0
		.amdhsa_exception_fp_ieee_underflow 0
		.amdhsa_exception_fp_ieee_inexact 0
		.amdhsa_exception_int_div_zero 0
	.end_amdhsa_kernel
	.section	.text._ZN2at6native6mbtopk23computeBlockDigitCountsIsmjLi2EEEvNS_4cuda6detail10TensorInfoIKT_T0_EEjPjjS8_iijT1_PSB_Ps,"axG",@progbits,_ZN2at6native6mbtopk23computeBlockDigitCountsIsmjLi2EEEvNS_4cuda6detail10TensorInfoIKT_T0_EEjPjjS8_iijT1_PSB_Ps,comdat
.Lfunc_end169:
	.size	_ZN2at6native6mbtopk23computeBlockDigitCountsIsmjLi2EEEvNS_4cuda6detail10TensorInfoIKT_T0_EEjPjjS8_iijT1_PSB_Ps, .Lfunc_end169-_ZN2at6native6mbtopk23computeBlockDigitCountsIsmjLi2EEEvNS_4cuda6detail10TensorInfoIKT_T0_EEjPjjS8_iijT1_PSB_Ps
                                        ; -- End function
	.set _ZN2at6native6mbtopk23computeBlockDigitCountsIsmjLi2EEEvNS_4cuda6detail10TensorInfoIKT_T0_EEjPjjS8_iijT1_PSB_Ps.num_vgpr, 9
	.set _ZN2at6native6mbtopk23computeBlockDigitCountsIsmjLi2EEEvNS_4cuda6detail10TensorInfoIKT_T0_EEjPjjS8_iijT1_PSB_Ps.num_agpr, 0
	.set _ZN2at6native6mbtopk23computeBlockDigitCountsIsmjLi2EEEvNS_4cuda6detail10TensorInfoIKT_T0_EEjPjjS8_iijT1_PSB_Ps.numbered_sgpr, 26
	.set _ZN2at6native6mbtopk23computeBlockDigitCountsIsmjLi2EEEvNS_4cuda6detail10TensorInfoIKT_T0_EEjPjjS8_iijT1_PSB_Ps.num_named_barrier, 0
	.set _ZN2at6native6mbtopk23computeBlockDigitCountsIsmjLi2EEEvNS_4cuda6detail10TensorInfoIKT_T0_EEjPjjS8_iijT1_PSB_Ps.private_seg_size, 0
	.set _ZN2at6native6mbtopk23computeBlockDigitCountsIsmjLi2EEEvNS_4cuda6detail10TensorInfoIKT_T0_EEjPjjS8_iijT1_PSB_Ps.uses_vcc, 1
	.set _ZN2at6native6mbtopk23computeBlockDigitCountsIsmjLi2EEEvNS_4cuda6detail10TensorInfoIKT_T0_EEjPjjS8_iijT1_PSB_Ps.uses_flat_scratch, 0
	.set _ZN2at6native6mbtopk23computeBlockDigitCountsIsmjLi2EEEvNS_4cuda6detail10TensorInfoIKT_T0_EEjPjjS8_iijT1_PSB_Ps.has_dyn_sized_stack, 0
	.set _ZN2at6native6mbtopk23computeBlockDigitCountsIsmjLi2EEEvNS_4cuda6detail10TensorInfoIKT_T0_EEjPjjS8_iijT1_PSB_Ps.has_recursion, 0
	.set _ZN2at6native6mbtopk23computeBlockDigitCountsIsmjLi2EEEvNS_4cuda6detail10TensorInfoIKT_T0_EEjPjjS8_iijT1_PSB_Ps.has_indirect_call, 0
	.section	.AMDGPU.csdata,"",@progbits
; Kernel info:
; codeLenInByte = 1064
; TotalNumSgprs: 30
; NumVgprs: 9
; ScratchSize: 0
; MemoryBound: 0
; FloatMode: 240
; IeeeMode: 1
; LDSByteSize: 1024 bytes/workgroup (compile time only)
; SGPRBlocks: 3
; VGPRBlocks: 2
; NumSGPRsForWavesPerEU: 30
; NumVGPRsForWavesPerEU: 9
; Occupancy: 10
; WaveLimiterHint : 1
; COMPUTE_PGM_RSRC2:SCRATCH_EN: 0
; COMPUTE_PGM_RSRC2:USER_SGPR: 6
; COMPUTE_PGM_RSRC2:TRAP_HANDLER: 0
; COMPUTE_PGM_RSRC2:TGID_X_EN: 1
; COMPUTE_PGM_RSRC2:TGID_Y_EN: 1
; COMPUTE_PGM_RSRC2:TGID_Z_EN: 1
; COMPUTE_PGM_RSRC2:TIDIG_COMP_CNT: 0
	.section	.text._ZN2at6native6mbtopk10gatherTopKIsmLi2EEEvNS_4cuda6detail10TensorInfoIKT_T0_EES8_S8_bjS8_NS5_IS6_S8_EES8_NS5_IlS8_EES8_jjPS6_PjSD_j,"axG",@progbits,_ZN2at6native6mbtopk10gatherTopKIsmLi2EEEvNS_4cuda6detail10TensorInfoIKT_T0_EES8_S8_bjS8_NS5_IS6_S8_EES8_NS5_IlS8_EES8_jjPS6_PjSD_j,comdat
	.protected	_ZN2at6native6mbtopk10gatherTopKIsmLi2EEEvNS_4cuda6detail10TensorInfoIKT_T0_EES8_S8_bjS8_NS5_IS6_S8_EES8_NS5_IlS8_EES8_jjPS6_PjSD_j ; -- Begin function _ZN2at6native6mbtopk10gatherTopKIsmLi2EEEvNS_4cuda6detail10TensorInfoIKT_T0_EES8_S8_bjS8_NS5_IS6_S8_EES8_NS5_IlS8_EES8_jjPS6_PjSD_j
	.globl	_ZN2at6native6mbtopk10gatherTopKIsmLi2EEEvNS_4cuda6detail10TensorInfoIKT_T0_EES8_S8_bjS8_NS5_IS6_S8_EES8_NS5_IlS8_EES8_jjPS6_PjSD_j
	.p2align	8
	.type	_ZN2at6native6mbtopk10gatherTopKIsmLi2EEEvNS_4cuda6detail10TensorInfoIKT_T0_EES8_S8_bjS8_NS5_IS6_S8_EES8_NS5_IlS8_EES8_jjPS6_PjSD_j,@function
_ZN2at6native6mbtopk10gatherTopKIsmLi2EEEvNS_4cuda6detail10TensorInfoIKT_T0_EES8_S8_bjS8_NS5_IS6_S8_EES8_NS5_IlS8_EES8_jjPS6_PjSD_j: ; @_ZN2at6native6mbtopk10gatherTopKIsmLi2EEEvNS_4cuda6detail10TensorInfoIKT_T0_EES8_S8_bjS8_NS5_IS6_S8_EES8_NS5_IlS8_EES8_jjPS6_PjSD_j
; %bb.0:
	s_load_dwordx2 s[0:1], s[4:5], 0x538
	s_load_dword s2, s[4:5], 0x530
	s_waitcnt lgkmcnt(0)
	s_mul_i32 s1, s1, s8
	s_add_i32 s1, s1, s7
	s_mul_i32 s0, s1, s0
	s_add_i32 s0, s0, s6
	s_cmp_ge_u32 s0, s2
	s_cbranch_scc1 .LBB170_48
; %bb.1:
	s_load_dwordx2 s[34:35], s[4:5], 0x510
	s_load_dwordx2 s[38:39], s[4:5], 0x1d0
	s_load_dwordx4 s[8:11], s[4:5], 0x1a0
	s_load_dwordx2 s[36:37], s[4:5], 0x10
	s_mov_b32 s7, 0
	s_waitcnt lgkmcnt(0)
	v_cvt_f32_u32_e32 v1, s35
	s_sub_i32 s2, 0, s35
	s_lshl_b32 s1, s34, 8
	v_rcp_iflag_f32_e32 v1, v1
	v_mul_f32_e32 v1, 0x4f7ffffe, v1
	v_cvt_u32_f32_e32 v1, v1
	v_readfirstlane_b32 s3, v1
	s_mul_i32 s2, s2, s3
	s_mul_hi_u32 s2, s3, s2
	s_add_i32 s3, s3, s2
	s_mul_hi_u32 s2, s0, s3
	s_mul_i32 s3, s2, s35
	s_sub_i32 s3, s0, s3
	s_add_i32 s6, s2, 1
	s_sub_i32 s12, s3, s35
	s_cmp_ge_u32 s3, s35
	s_cselect_b32 s2, s6, s2
	s_cselect_b32 s3, s12, s3
	s_add_i32 s6, s2, 1
	s_cmp_ge_u32 s3, s35
	s_cselect_b32 s6, s6, s2
	s_mul_i32 s20, s6, s35
	s_sub_i32 s28, s0, s20
	s_add_i32 s0, s28, 1
	s_cmp_lt_u32 s0, s35
	s_mul_i32 s33, s28, s1
	s_cbranch_scc1 .LBB170_3
; %bb.2:
	s_sub_u32 s0, s8, s33
	s_subb_u32 s1, s9, 0
	s_add_u32 s0, s0, 0xff
	s_addc_u32 s1, s1, 0
	s_ashr_i32 s2, s1, 31
	s_lshr_b32 s2, s2, 24
	s_add_u32 s0, s0, s2
	s_addc_u32 s1, s1, 0
	s_lshr_b64 s[0:1], s[0:1], 8
	s_mov_b32 s34, s0
.LBB170_3:
	s_load_dwordx2 s[40:41], s[4:5], 0x378
	v_mov_b32_e32 v1, s36
	v_mov_b32_e32 v2, s37
	v_cmp_lt_u64_e32 vcc, s[6:7], v[1:2]
	s_mov_b64 s[44:45], 0
	s_mov_b64 s[42:43], 0
	s_cbranch_vccnz .LBB170_5
; %bb.4:
	v_cvt_f32_u32_e32 v1, s36
	s_sub_i32 s0, 0, s36
	v_rcp_iflag_f32_e32 v1, v1
	v_mul_f32_e32 v1, 0x4f7ffffe, v1
	v_cvt_u32_f32_e32 v1, v1
	v_readfirstlane_b32 s1, v1
	s_mul_i32 s0, s0, s1
	s_mul_hi_u32 s0, s1, s0
	s_add_i32 s1, s1, s0
	s_mul_hi_u32 s0, s6, s1
	s_mul_i32 s2, s0, s36
	s_sub_i32 s2, s6, s2
	s_add_i32 s1, s0, 1
	s_sub_i32 s3, s2, s36
	s_cmp_ge_u32 s2, s36
	s_cselect_b32 s0, s1, s0
	s_cselect_b32 s2, s3, s2
	s_add_i32 s1, s0, 1
	s_cmp_ge_u32 s2, s36
	s_cselect_b32 s42, s1, s0
.LBB170_5:
	v_mov_b32_e32 v1, s38
	v_mov_b32_e32 v2, s39
	v_cmp_lt_u64_e32 vcc, s[6:7], v[1:2]
	s_cbranch_vccnz .LBB170_7
; %bb.6:
	v_cvt_f32_u32_e32 v1, s38
	s_sub_i32 s0, 0, s38
	v_rcp_iflag_f32_e32 v1, v1
	v_mul_f32_e32 v1, 0x4f7ffffe, v1
	v_cvt_u32_f32_e32 v1, v1
	v_readfirstlane_b32 s1, v1
	s_mul_i32 s0, s0, s1
	s_mul_hi_u32 s0, s1, s0
	s_add_i32 s1, s1, s0
	s_mul_hi_u32 s0, s6, s1
	s_mul_i32 s2, s0, s38
	s_sub_i32 s2, s6, s2
	s_add_i32 s1, s0, 1
	s_sub_i32 s3, s2, s38
	s_cmp_ge_u32 s2, s38
	s_cselect_b32 s0, s1, s0
	s_cselect_b32 s2, s3, s2
	s_add_i32 s1, s0, 1
	s_cmp_ge_u32 s2, s38
	s_cselect_b32 s44, s1, s0
.LBB170_7:
	s_waitcnt lgkmcnt(0)
	v_mov_b32_e32 v1, s40
	v_mov_b32_e32 v2, s41
	v_cmp_lt_u64_e32 vcc, s[6:7], v[1:2]
	s_mov_b64 s[46:47], 0
	s_cbranch_vccnz .LBB170_9
; %bb.8:
	v_cvt_f32_u32_e32 v1, s40
	s_sub_i32 s0, 0, s40
	v_rcp_iflag_f32_e32 v1, v1
	v_mul_f32_e32 v1, 0x4f7ffffe, v1
	v_cvt_u32_f32_e32 v1, v1
	v_readfirstlane_b32 s1, v1
	s_mul_i32 s0, s0, s1
	s_mul_hi_u32 s0, s1, s0
	s_add_i32 s1, s1, s0
	s_mul_hi_u32 s0, s6, s1
	s_mul_i32 s2, s0, s40
	s_sub_i32 s2, s6, s2
	s_add_i32 s1, s0, 1
	s_sub_i32 s3, s2, s40
	s_cmp_ge_u32 s2, s40
	s_cselect_b32 s0, s1, s0
	s_cselect_b32 s2, s3, s2
	s_add_i32 s1, s0, 1
	s_cmp_ge_u32 s2, s40
	s_cselect_b32 s46, s1, s0
.LBB170_9:
	s_load_dwordx4 s[12:15], s[4:5], 0x518
	s_load_dwordx2 s[48:49], s[4:5], 0x0
	s_lshl_b64 s[0:1], s[6:7], 1
	v_mov_b32_e32 v1, 0
	s_mov_b32 s21, 0
	s_waitcnt lgkmcnt(0)
	s_add_u32 s0, s12, s0
	s_addc_u32 s1, s13, s1
	global_load_ushort v8, v1, s[0:1]
	v_cmp_ne_u32_e64 s[0:1], 0, v0
	v_cmp_eq_u32_e64 s[2:3], 0, v0
	s_and_saveexec_b64 s[12:13], s[2:3]
	s_cbranch_execz .LBB170_25
; %bb.10:
	s_load_dwordx2 s[22:23], s[4:5], 0x528
	s_lshl_b64 s[24:25], s[20:21], 2
	s_add_u32 s16, s14, s24
	s_addc_u32 s17, s15, s25
	s_mov_b32 s20, 0
	s_waitcnt lgkmcnt(0)
	s_add_u32 s18, s22, s24
	s_addc_u32 s19, s23, s25
	s_cmp_lt_u32 s35, 4
	s_cbranch_scc1 .LBB170_22
; %bb.11:
	s_mov_b32 s29, 0
.LBB170_12:                             ; =>This Inner Loop Header: Depth=1
	s_add_u32 s26, s14, s24
	s_addc_u32 s27, s15, s25
	s_load_dwordx4 s[16:19], s[26:27], 0x0
	s_add_u32 s26, s22, s24
	s_addc_u32 s27, s23, s25
	s_cmp_ge_u32 s29, s28
	s_cbranch_scc0 .LBB170_19
; %bb.13:                               ;   in Loop: Header=BB170_12 Depth=1
	s_add_i32 s30, s29, 1
	s_cmp_ge_u32 s30, s28
	s_cbranch_scc0 .LBB170_20
.LBB170_14:                             ;   in Loop: Header=BB170_12 Depth=1
	s_add_i32 s30, s30, 1
	s_cmp_ge_u32 s30, s28
	s_cbranch_scc0 .LBB170_21
.LBB170_15:                             ;   in Loop: Header=BB170_12 Depth=1
	s_add_i32 s30, s30, 1
	s_cmp_ge_u32 s30, s28
	s_cbranch_scc1 .LBB170_17
.LBB170_16:                             ;   in Loop: Header=BB170_12 Depth=1
	s_load_dword s26, s[26:27], 0xc
	s_waitcnt lgkmcnt(0)
	s_add_i32 s21, s21, s19
	s_add_i32 s7, s26, s7
.LBB170_17:                             ;   in Loop: Header=BB170_12 Depth=1
	s_waitcnt lgkmcnt(0)
	s_add_i32 s16, s16, s20
	s_add_i32 s16, s16, s17
	;; [unrolled: 1-line block ×4, first 2 shown]
	s_add_u32 s14, s14, 16
	s_addc_u32 s15, s15, 0
	s_add_u32 s22, s22, 16
	s_addc_u32 s23, s23, 0
	s_add_i32 s27, s30, 4
	s_add_u32 s18, s22, s24
	s_addc_u32 s19, s23, s25
	s_add_u32 s16, s14, s24
	s_addc_u32 s17, s15, s25
	s_add_i32 s26, s30, 1
	s_cmp_ge_u32 s27, s35
	s_cbranch_scc1 .LBB170_23
; %bb.18:                               ;   in Loop: Header=BB170_12 Depth=1
	s_mov_b32 s29, s26
	s_branch .LBB170_12
.LBB170_19:                             ;   in Loop: Header=BB170_12 Depth=1
	s_load_dword s30, s[26:27], 0x0
	s_waitcnt lgkmcnt(0)
	s_add_i32 s21, s16, s21
	s_add_i32 s7, s30, s7
	;; [unrolled: 1-line block ×3, first 2 shown]
	s_cmp_ge_u32 s30, s28
	s_cbranch_scc1 .LBB170_14
.LBB170_20:                             ;   in Loop: Header=BB170_12 Depth=1
	s_load_dword s31, s[26:27], 0x4
	s_waitcnt lgkmcnt(0)
	s_add_i32 s21, s21, s17
	s_add_i32 s7, s31, s7
	;; [unrolled: 1-line block ×3, first 2 shown]
	s_cmp_ge_u32 s30, s28
	s_cbranch_scc1 .LBB170_15
.LBB170_21:                             ;   in Loop: Header=BB170_12 Depth=1
	s_load_dword s31, s[26:27], 0x8
	s_waitcnt lgkmcnt(0)
	s_add_i32 s21, s21, s18
	s_add_i32 s7, s31, s7
	;; [unrolled: 1-line block ×3, first 2 shown]
	s_cmp_ge_u32 s30, s28
	s_cbranch_scc0 .LBB170_16
	s_branch .LBB170_17
.LBB170_22:
	s_mov_b32 s14, 0
	s_cmp_ge_u32 s14, s35
	s_cbranch_scc0 .LBB170_46
	s_branch .LBB170_24
.LBB170_23:
	s_add_i32 s14, s29, 4
	s_cmp_ge_u32 s14, s35
	s_cbranch_scc0 .LBB170_46
.LBB170_24:
	v_mov_b32_e32 v1, s7
	v_mov_b32_e32 v2, s20
	;; [unrolled: 1-line block ×4, first 2 shown]
	ds_write_b96 v4, v[1:3] offset:1056
.LBB170_25:
	s_or_b64 exec, exec, s[12:13]
	s_load_dwordx4 s[12:15], s[4:5], 0x1b8
	s_load_dwordx4 s[24:27], s[4:5], 0xd0
	;; [unrolled: 1-line block ×5, first 2 shown]
	s_cmp_eq_u32 s34, 0
	s_waitcnt vmcnt(0) lgkmcnt(0)
	s_barrier
	s_cbranch_scc1 .LBB170_48
; %bb.26:
	s_mul_i32 s7, s44, s39
	s_mul_hi_u32 s35, s44, s38
	s_add_i32 s35, s35, s7
	s_mul_i32 s7, s44, s38
	s_sub_u32 s7, s6, s7
	s_subb_u32 s35, 0, s35
	s_mul_i32 s31, s7, s31
	s_mul_hi_u32 s38, s7, s30
	s_add_i32 s31, s38, s31
	s_mul_i32 s35, s35, s30
	s_mul_i32 s30, s7, s30
	s_mul_i32 s7, s44, s29
	s_mul_hi_u32 s29, s44, s28
	s_add_i32 s31, s31, s35
	s_add_i32 s29, s29, s7
	s_mul_i32 s7, s42, s37
	s_mul_hi_u32 s35, s42, s36
	s_add_i32 s35, s35, s7
	s_mul_i32 s7, s42, s36
	s_sub_u32 s7, s6, s7
	s_subb_u32 s35, 0, s35
	s_mul_i32 s27, s7, s27
	s_mul_hi_u32 s36, s7, s26
	s_add_i32 s27, s36, s27
	s_mul_i32 s35, s35, s26
	s_mul_i32 s26, s7, s26
	;; [unrolled: 1-line block ×3, first 2 shown]
	s_mul_hi_u32 s25, s42, s24
	s_add_i32 s27, s27, s35
	s_add_i32 s25, s25, s7
	s_mul_i32 s7, s46, s41
	s_mul_hi_u32 s35, s46, s40
	s_add_i32 s35, s35, s7
	s_mul_i32 s7, s46, s40
	s_sub_u32 s6, s6, s7
	s_subb_u32 s7, 0, s35
	s_mul_i32 s23, s6, s23
	s_mul_hi_u32 s35, s6, s22
	s_mul_i32 s24, s42, s24
	s_add_i32 s23, s35, s23
	s_mul_i32 s7, s7, s22
	s_mul_i32 s6, s6, s22
	;; [unrolled: 1-line block ×3, first 2 shown]
	s_mul_hi_u32 s22, s46, s20
	s_add_i32 s7, s23, s7
	s_add_i32 s37, s22, s21
	s_mul_i32 s36, s46, s20
	s_lshl_b64 s[20:21], s[24:25], 1
	s_add_u32 s22, s48, s20
	s_addc_u32 s23, s49, s21
	s_lshl_b64 s[20:21], s[26:27], 1
	s_mul_i32 s28, s44, s28
	s_add_u32 s20, s22, s20
	s_addc_u32 s21, s23, s21
	s_lshl_b64 s[22:23], s[28:29], 1
	v_mov_b32_e32 v5, 0
	s_add_u32 s22, s14, s22
	ds_read_b96 v[1:3], v5 offset:1056
	s_addc_u32 s23, s15, s23
	s_lshl_b64 s[14:15], s[30:31], 1
	s_add_u32 s22, s22, s14
	s_addc_u32 s23, s23, s15
	s_lshl_b64 s[14:15], s[36:37], 3
	s_add_u32 s14, s18, s14
	s_addc_u32 s15, s19, s15
	s_lshl_b64 s[6:7], s[6:7], 3
	s_waitcnt lgkmcnt(0)
	v_add_u32_e32 v1, v1, v2
	v_lshrrev_b32_e32 v2, 3, v0
	s_add_u32 s24, s14, s6
	s_load_dword s6, s[4:5], 0x1b0
	v_and_b32_e32 v2, 28, v2
	v_lshl_add_u32 v10, v0, 2, v2
	v_lshrrev_b32_e32 v2, 1, v0
	s_addc_u32 s25, s15, s7
	s_load_dwordx2 s[14:15], s[4:5], 0x508
	v_and_b32_e32 v11, 0x7c, v2
	v_add_u32_e32 v2, -1, v0
	v_lshrrev_b32_e32 v4, 3, v2
	v_and_b32_e32 v4, 0x1ffffffc, v4
	s_mov_b32 s26, 0x8000
	s_waitcnt lgkmcnt(0)
	s_bitcmp1_b32 s6, 0
	v_cmp_gt_u32_e64 s[6:7], 64, v0
	v_lshlrev_b32_e32 v12, 4, v0
	v_lshl_add_u32 v13, v2, 2, v4
	v_add_u32_e32 v4, s33, v0
	v_mbcnt_lo_u32_b32 v0, -1, 0
	v_add_u32_sdwa v9, sext(v8), s26 dst_sel:DWORD dst_unused:UNUSED_PAD src0_sel:WORD_0 src1_sel:DWORD
	s_cselect_b64 s[4:5], -1, 0
	v_mbcnt_hi_u32_b32 v0, -1, v0
                                        ; implicit-def: $vgpr14
	s_branch .LBB170_29
.LBB170_27:                             ;   in Loop: Header=BB170_29 Depth=1
	s_or_b64 exec, exec, s[18:19]
	v_add_u32_e32 v1, v2, v1
.LBB170_28:                             ;   in Loop: Header=BB170_29 Depth=1
	s_add_i32 s34, s34, -1
	v_add_u32_e32 v3, v15, v3
	s_cmp_lg_u32 s34, 0
	v_add_u32_e32 v4, 0x100, v4
	s_cbranch_scc0 .LBB170_48
.LBB170_29:                             ; =>This Inner Loop Header: Depth=1
	v_cmp_gt_u64_e32 vcc, s[8:9], v[4:5]
	v_mov_b32_e32 v2, v5
	v_mov_b32_e32 v6, v5
	s_and_saveexec_b64 s[18:19], vcc
	s_cbranch_execz .LBB170_31
; %bb.30:                               ;   in Loop: Header=BB170_29 Depth=1
	v_mad_u64_u32 v[6:7], s[28:29], s12, v4, 0
	v_mov_b32_e32 v2, v7
	v_mad_u64_u32 v[14:15], s[28:29], s13, v4, v[2:3]
	v_mov_b32_e32 v2, s21
	v_mov_b32_e32 v7, v14
	v_lshlrev_b64 v[6:7], 1, v[6:7]
	v_add_co_u32_e32 v6, vcc, s20, v6
	v_addc_co_u32_e32 v7, vcc, v2, v7, vcc
	global_load_ushort v14, v[6:7], off
	s_waitcnt vmcnt(0)
	v_add_u32_sdwa v2, sext(v14), s26 dst_sel:DWORD dst_unused:UNUSED_PAD src0_sel:WORD_0 src1_sel:DWORD
	v_cmp_gt_u32_e32 vcc, v2, v9
	v_cndmask_b32_e64 v6, 0, 1, vcc
	v_cmp_lt_u32_e32 vcc, v2, v9
	v_cndmask_b32_e64 v2, 0, 1, vcc
	v_cndmask_b32_e64 v2, v2, v6, s[4:5]
	v_cmp_eq_u16_e32 vcc, v14, v8
	v_and_b32_e32 v2, 1, v2
	v_cndmask_b32_e64 v6, 0, 1, vcc
.LBB170_31:                             ;   in Loop: Header=BB170_29 Depth=1
	s_or_b64 exec, exec, s[18:19]
	ds_write_b32 v10, v2
	s_waitcnt vmcnt(0) lgkmcnt(0)
	s_barrier
	s_and_saveexec_b64 s[18:19], s[6:7]
	s_cbranch_execz .LBB170_33
; %bb.32:                               ;   in Loop: Header=BB170_29 Depth=1
	v_add_u32_e32 v7, v11, v12
	ds_read2_b32 v[15:16], v7 offset1:1
	ds_read2_b32 v[17:18], v7 offset0:2 offset1:3
	v_and_b32_e32 v19, 15, v0
	v_cmp_ne_u32_e32 vcc, 0, v19
	s_waitcnt lgkmcnt(1)
	v_add_u32_e32 v16, v16, v15
	s_waitcnt lgkmcnt(0)
	v_add3_u32 v16, v16, v17, v18
	v_bfe_i32 v18, v0, 4, 1
	; wave barrier
	s_nop 0
	v_mov_b32_dpp v17, v16 row_shr:1 row_mask:0xf bank_mask:0xf
	v_cndmask_b32_e32 v17, 0, v17, vcc
	v_add_u32_e32 v16, v17, v16
	v_cmp_lt_u32_e32 vcc, 1, v19
	s_nop 0
	v_mov_b32_dpp v17, v16 row_shr:2 row_mask:0xf bank_mask:0xf
	v_cndmask_b32_e32 v17, 0, v17, vcc
	v_add_u32_e32 v16, v16, v17
	v_cmp_lt_u32_e32 vcc, 3, v19
	;; [unrolled: 5-line block ×4, first 2 shown]
	s_nop 0
	v_mov_b32_dpp v17, v16 row_bcast:15 row_mask:0xf bank_mask:0xf
	v_and_b32_e32 v17, v18, v17
	v_add_u32_e32 v16, v16, v17
	v_and_b32_e32 v18, 64, v0
	s_nop 0
	v_mov_b32_dpp v17, v16 row_bcast:31 row_mask:0xf bank_mask:0xf
	v_cndmask_b32_e32 v17, 0, v17, vcc
	v_add_u32_e32 v16, v16, v17
	v_add_u32_e32 v17, -1, v0
	v_cmp_lt_i32_e32 vcc, v17, v18
	v_cndmask_b32_e32 v17, v17, v0, vcc
	v_lshlrev_b32_e32 v17, 2, v17
	ds_bpermute_b32 v16, v17, v16
	s_waitcnt lgkmcnt(0)
	v_add_u32_e32 v15, v16, v15
	v_cndmask_b32_e64 v17, v15, v2, s[2:3]
	ds_write_b32 v7, v17
	; wave barrier
	ds_read2_b32 v[15:16], v7 offset0:1 offset1:2
	ds_read_b32 v18, v7 offset:12
	s_waitcnt lgkmcnt(1)
	v_add_u32_e32 v15, v15, v17
	v_add_u32_e32 v16, v16, v15
	ds_write2_b32 v7, v15, v16 offset0:1 offset1:2
	s_waitcnt lgkmcnt(1)
	v_add_u32_e32 v15, v18, v16
	ds_write_b32 v7, v15 offset:12
.LBB170_33:                             ;   in Loop: Header=BB170_29 Depth=1
	s_or_b64 exec, exec, s[18:19]
	v_mov_b32_e32 v7, 0
	s_waitcnt lgkmcnt(0)
	s_barrier
	s_and_saveexec_b64 s[18:19], s[0:1]
; %bb.34:                               ;   in Loop: Header=BB170_29 Depth=1
	ds_read_b32 v7, v13
; %bb.35:                               ;   in Loop: Header=BB170_29 Depth=1
	s_or_b64 exec, exec, s[18:19]
	ds_read_b32 v15, v5 offset:1048
	v_cmp_ne_u32_e32 vcc, 0, v2
	s_waitcnt lgkmcnt(0)
	s_barrier
	s_and_saveexec_b64 s[18:19], vcc
	s_cbranch_execz .LBB170_37
; %bb.36:                               ;   in Loop: Header=BB170_29 Depth=1
	v_add_u32_e32 v7, v7, v3
	v_mad_u64_u32 v[16:17], s[28:29], s16, v7, 0
	v_mad_u64_u32 v[18:19], s[28:29], s14, v7, 0
	v_mov_b32_e32 v2, v17
	v_mad_u64_u32 v[20:21], s[28:29], s17, v7, v[2:3]
	v_mov_b32_e32 v2, v19
	v_mov_b32_e32 v21, s23
	;; [unrolled: 1-line block ×3, first 2 shown]
	v_lshlrev_b64 v[16:17], 1, v[16:17]
	v_mad_u64_u32 v[19:20], s[28:29], s15, v7, v[2:3]
	v_add_co_u32_e32 v16, vcc, s22, v16
	v_addc_co_u32_e32 v17, vcc, v21, v17, vcc
	global_store_short v[16:17], v14, off
	v_lshlrev_b64 v[16:17], 3, v[18:19]
	v_mov_b32_e32 v2, s25
	v_add_co_u32_e32 v16, vcc, s24, v16
	v_addc_co_u32_e32 v17, vcc, v2, v17, vcc
	global_store_dwordx2 v[16:17], v[4:5], off
.LBB170_37:                             ;   in Loop: Header=BB170_29 Depth=1
	s_or_b64 exec, exec, s[18:19]
	v_mov_b32_e32 v2, v5
	v_cmp_le_u64_e32 vcc, s[10:11], v[1:2]
	s_cbranch_vccnz .LBB170_28
; %bb.38:                               ;   in Loop: Header=BB170_29 Depth=1
	ds_write_b32 v10, v6
	s_waitcnt vmcnt(0) lgkmcnt(0)
	s_barrier
	s_and_saveexec_b64 s[18:19], s[6:7]
	s_cbranch_execz .LBB170_40
; %bb.39:                               ;   in Loop: Header=BB170_29 Depth=1
	v_add_u32_e32 v2, v11, v12
	ds_read2_b32 v[16:17], v2 offset1:1
	ds_read2_b32 v[18:19], v2 offset0:2 offset1:3
	v_and_b32_e32 v7, 15, v0
	v_cmp_ne_u32_e32 vcc, 0, v7
	s_waitcnt lgkmcnt(1)
	v_add_u32_e32 v17, v17, v16
	s_waitcnt lgkmcnt(0)
	v_add3_u32 v17, v17, v18, v19
	; wave barrier
	s_nop 1
	v_mov_b32_dpp v18, v17 row_shr:1 row_mask:0xf bank_mask:0xf
	v_cndmask_b32_e32 v18, 0, v18, vcc
	v_add_u32_e32 v17, v18, v17
	v_cmp_lt_u32_e32 vcc, 1, v7
	s_nop 0
	v_mov_b32_dpp v18, v17 row_shr:2 row_mask:0xf bank_mask:0xf
	v_cndmask_b32_e32 v18, 0, v18, vcc
	v_add_u32_e32 v17, v17, v18
	v_cmp_lt_u32_e32 vcc, 3, v7
	;; [unrolled: 5-line block ×3, first 2 shown]
	s_nop 0
	v_mov_b32_dpp v18, v17 row_shr:8 row_mask:0xf bank_mask:0xf
	v_cndmask_b32_e32 v7, 0, v18, vcc
	v_add_u32_e32 v7, v17, v7
	v_bfe_i32 v18, v0, 4, 1
	v_cmp_lt_u32_e32 vcc, 31, v0
	v_mov_b32_dpp v17, v7 row_bcast:15 row_mask:0xf bank_mask:0xf
	v_and_b32_e32 v17, v18, v17
	v_add_u32_e32 v7, v7, v17
	v_and_b32_e32 v18, 64, v0
	s_nop 0
	v_mov_b32_dpp v17, v7 row_bcast:31 row_mask:0xf bank_mask:0xf
	v_cndmask_b32_e32 v17, 0, v17, vcc
	v_add_u32_e32 v7, v7, v17
	v_add_u32_e32 v17, -1, v0
	v_cmp_lt_i32_e32 vcc, v17, v18
	v_cndmask_b32_e32 v17, v17, v0, vcc
	v_lshlrev_b32_e32 v17, 2, v17
	ds_bpermute_b32 v7, v17, v7
	s_waitcnt lgkmcnt(0)
	v_add_u32_e32 v7, v7, v16
	v_cndmask_b32_e64 v7, v7, v6, s[2:3]
	ds_write_b32 v2, v7
	; wave barrier
	ds_read2_b32 v[16:17], v2 offset0:1 offset1:2
	ds_read_b32 v18, v2 offset:12
	s_waitcnt lgkmcnt(1)
	v_add_u32_e32 v7, v16, v7
	v_add_u32_e32 v16, v17, v7
	ds_write2_b32 v2, v7, v16 offset0:1 offset1:2
	s_waitcnt lgkmcnt(1)
	v_add_u32_e32 v7, v18, v16
	ds_write_b32 v2, v7 offset:12
.LBB170_40:                             ;   in Loop: Header=BB170_29 Depth=1
	s_or_b64 exec, exec, s[18:19]
	v_mov_b32_e32 v7, 0
	s_waitcnt lgkmcnt(0)
	s_barrier
	s_and_saveexec_b64 s[18:19], s[0:1]
; %bb.41:                               ;   in Loop: Header=BB170_29 Depth=1
	ds_read_b32 v7, v13
; %bb.42:                               ;   in Loop: Header=BB170_29 Depth=1
	s_or_b64 exec, exec, s[18:19]
	ds_read_b32 v2, v5 offset:1048
	v_cmp_ne_u32_e32 vcc, 0, v6
	s_waitcnt lgkmcnt(0)
	s_barrier
	s_and_saveexec_b64 s[18:19], vcc
	s_cbranch_execz .LBB170_27
; %bb.43:                               ;   in Loop: Header=BB170_29 Depth=1
	v_add_u32_e32 v6, v7, v1
	v_mov_b32_e32 v7, v5
	v_cmp_gt_u64_e32 vcc, s[10:11], v[6:7]
	s_and_b64 exec, exec, vcc
	s_cbranch_execz .LBB170_27
; %bb.44:                               ;   in Loop: Header=BB170_29 Depth=1
	v_mad_u64_u32 v[16:17], s[28:29], s16, v6, 0
	v_mad_u64_u32 v[18:19], s[28:29], s14, v6, 0
	v_mov_b32_e32 v7, v17
	v_mad_u64_u32 v[20:21], s[28:29], s17, v6, v[7:8]
	v_mov_b32_e32 v7, v19
	;; [unrolled: 2-line block ×3, first 2 shown]
	v_lshlrev_b64 v[16:17], 1, v[16:17]
	v_mov_b32_e32 v19, v6
	v_mov_b32_e32 v21, s23
	v_add_co_u32_e32 v16, vcc, s22, v16
	v_lshlrev_b64 v[6:7], 3, v[18:19]
	v_addc_co_u32_e32 v17, vcc, v21, v17, vcc
	global_store_short v[16:17], v14, off
	v_mov_b32_e32 v16, s25
	v_add_co_u32_e32 v6, vcc, s24, v6
	v_addc_co_u32_e32 v7, vcc, v16, v7, vcc
	global_store_dwordx2 v[6:7], v[4:5], off
	s_branch .LBB170_27
.LBB170_45:                             ;   in Loop: Header=BB170_46 Depth=1
	s_add_u32 s16, s16, 4
	s_addc_u32 s17, s17, 0
	s_waitcnt lgkmcnt(0)
	s_add_i32 s20, s15, s20
	s_add_u32 s18, s18, 4
	s_addc_u32 s19, s19, 0
	s_add_i32 s14, s14, 1
	s_cmp_lt_u32 s14, s35
	s_cbranch_scc0 .LBB170_24
.LBB170_46:                             ; =>This Inner Loop Header: Depth=1
	s_load_dword s15, s[16:17], 0x0
	s_cmp_ge_u32 s14, s28
	s_cbranch_scc1 .LBB170_45
; %bb.47:                               ;   in Loop: Header=BB170_46 Depth=1
	s_load_dword s22, s[18:19], 0x0
	s_waitcnt lgkmcnt(0)
	s_add_i32 s21, s15, s21
	s_add_i32 s7, s22, s7
	s_branch .LBB170_45
.LBB170_48:
	s_endpgm
	.section	.rodata,"a",@progbits
	.p2align	6, 0x0
	.amdhsa_kernel _ZN2at6native6mbtopk10gatherTopKIsmLi2EEEvNS_4cuda6detail10TensorInfoIKT_T0_EES8_S8_bjS8_NS5_IS6_S8_EES8_NS5_IlS8_EES8_jjPS6_PjSD_j
		.amdhsa_group_segment_fixed_size 1068
		.amdhsa_private_segment_fixed_size 0
		.amdhsa_kernarg_size 1592
		.amdhsa_user_sgpr_count 6
		.amdhsa_user_sgpr_private_segment_buffer 1
		.amdhsa_user_sgpr_dispatch_ptr 0
		.amdhsa_user_sgpr_queue_ptr 0
		.amdhsa_user_sgpr_kernarg_segment_ptr 1
		.amdhsa_user_sgpr_dispatch_id 0
		.amdhsa_user_sgpr_flat_scratch_init 0
		.amdhsa_user_sgpr_private_segment_size 0
		.amdhsa_uses_dynamic_stack 0
		.amdhsa_system_sgpr_private_segment_wavefront_offset 0
		.amdhsa_system_sgpr_workgroup_id_x 1
		.amdhsa_system_sgpr_workgroup_id_y 1
		.amdhsa_system_sgpr_workgroup_id_z 1
		.amdhsa_system_sgpr_workgroup_info 0
		.amdhsa_system_vgpr_workitem_id 0
		.amdhsa_next_free_vgpr 22
		.amdhsa_next_free_sgpr 50
		.amdhsa_reserve_vcc 1
		.amdhsa_reserve_flat_scratch 0
		.amdhsa_float_round_mode_32 0
		.amdhsa_float_round_mode_16_64 0
		.amdhsa_float_denorm_mode_32 3
		.amdhsa_float_denorm_mode_16_64 3
		.amdhsa_dx10_clamp 1
		.amdhsa_ieee_mode 1
		.amdhsa_fp16_overflow 0
		.amdhsa_exception_fp_ieee_invalid_op 0
		.amdhsa_exception_fp_denorm_src 0
		.amdhsa_exception_fp_ieee_div_zero 0
		.amdhsa_exception_fp_ieee_overflow 0
		.amdhsa_exception_fp_ieee_underflow 0
		.amdhsa_exception_fp_ieee_inexact 0
		.amdhsa_exception_int_div_zero 0
	.end_amdhsa_kernel
	.section	.text._ZN2at6native6mbtopk10gatherTopKIsmLi2EEEvNS_4cuda6detail10TensorInfoIKT_T0_EES8_S8_bjS8_NS5_IS6_S8_EES8_NS5_IlS8_EES8_jjPS6_PjSD_j,"axG",@progbits,_ZN2at6native6mbtopk10gatherTopKIsmLi2EEEvNS_4cuda6detail10TensorInfoIKT_T0_EES8_S8_bjS8_NS5_IS6_S8_EES8_NS5_IlS8_EES8_jjPS6_PjSD_j,comdat
.Lfunc_end170:
	.size	_ZN2at6native6mbtopk10gatherTopKIsmLi2EEEvNS_4cuda6detail10TensorInfoIKT_T0_EES8_S8_bjS8_NS5_IS6_S8_EES8_NS5_IlS8_EES8_jjPS6_PjSD_j, .Lfunc_end170-_ZN2at6native6mbtopk10gatherTopKIsmLi2EEEvNS_4cuda6detail10TensorInfoIKT_T0_EES8_S8_bjS8_NS5_IS6_S8_EES8_NS5_IlS8_EES8_jjPS6_PjSD_j
                                        ; -- End function
	.set _ZN2at6native6mbtopk10gatherTopKIsmLi2EEEvNS_4cuda6detail10TensorInfoIKT_T0_EES8_S8_bjS8_NS5_IS6_S8_EES8_NS5_IlS8_EES8_jjPS6_PjSD_j.num_vgpr, 22
	.set _ZN2at6native6mbtopk10gatherTopKIsmLi2EEEvNS_4cuda6detail10TensorInfoIKT_T0_EES8_S8_bjS8_NS5_IS6_S8_EES8_NS5_IlS8_EES8_jjPS6_PjSD_j.num_agpr, 0
	.set _ZN2at6native6mbtopk10gatherTopKIsmLi2EEEvNS_4cuda6detail10TensorInfoIKT_T0_EES8_S8_bjS8_NS5_IS6_S8_EES8_NS5_IlS8_EES8_jjPS6_PjSD_j.numbered_sgpr, 50
	.set _ZN2at6native6mbtopk10gatherTopKIsmLi2EEEvNS_4cuda6detail10TensorInfoIKT_T0_EES8_S8_bjS8_NS5_IS6_S8_EES8_NS5_IlS8_EES8_jjPS6_PjSD_j.num_named_barrier, 0
	.set _ZN2at6native6mbtopk10gatherTopKIsmLi2EEEvNS_4cuda6detail10TensorInfoIKT_T0_EES8_S8_bjS8_NS5_IS6_S8_EES8_NS5_IlS8_EES8_jjPS6_PjSD_j.private_seg_size, 0
	.set _ZN2at6native6mbtopk10gatherTopKIsmLi2EEEvNS_4cuda6detail10TensorInfoIKT_T0_EES8_S8_bjS8_NS5_IS6_S8_EES8_NS5_IlS8_EES8_jjPS6_PjSD_j.uses_vcc, 1
	.set _ZN2at6native6mbtopk10gatherTopKIsmLi2EEEvNS_4cuda6detail10TensorInfoIKT_T0_EES8_S8_bjS8_NS5_IS6_S8_EES8_NS5_IlS8_EES8_jjPS6_PjSD_j.uses_flat_scratch, 0
	.set _ZN2at6native6mbtopk10gatherTopKIsmLi2EEEvNS_4cuda6detail10TensorInfoIKT_T0_EES8_S8_bjS8_NS5_IS6_S8_EES8_NS5_IlS8_EES8_jjPS6_PjSD_j.has_dyn_sized_stack, 0
	.set _ZN2at6native6mbtopk10gatherTopKIsmLi2EEEvNS_4cuda6detail10TensorInfoIKT_T0_EES8_S8_bjS8_NS5_IS6_S8_EES8_NS5_IlS8_EES8_jjPS6_PjSD_j.has_recursion, 0
	.set _ZN2at6native6mbtopk10gatherTopKIsmLi2EEEvNS_4cuda6detail10TensorInfoIKT_T0_EES8_S8_bjS8_NS5_IS6_S8_EES8_NS5_IlS8_EES8_jjPS6_PjSD_j.has_indirect_call, 0
	.section	.AMDGPU.csdata,"",@progbits
; Kernel info:
; codeLenInByte = 2728
; TotalNumSgprs: 54
; NumVgprs: 22
; ScratchSize: 0
; MemoryBound: 0
; FloatMode: 240
; IeeeMode: 1
; LDSByteSize: 1068 bytes/workgroup (compile time only)
; SGPRBlocks: 6
; VGPRBlocks: 5
; NumSGPRsForWavesPerEU: 54
; NumVGPRsForWavesPerEU: 22
; Occupancy: 10
; WaveLimiterHint : 1
; COMPUTE_PGM_RSRC2:SCRATCH_EN: 0
; COMPUTE_PGM_RSRC2:USER_SGPR: 6
; COMPUTE_PGM_RSRC2:TRAP_HANDLER: 0
; COMPUTE_PGM_RSRC2:TGID_X_EN: 1
; COMPUTE_PGM_RSRC2:TGID_Y_EN: 1
; COMPUTE_PGM_RSRC2:TGID_Z_EN: 1
; COMPUTE_PGM_RSRC2:TIDIG_COMP_CNT: 0
	.section	.text._ZN2at6native6sbtopk10gatherTopKIsmLi2ELb0EEEvNS_4cuda6detail10TensorInfoIKT_T0_EES8_S8_bS8_S8_NS5_IS6_S8_EES8_NS5_IlS8_EES8_PS6_,"axG",@progbits,_ZN2at6native6sbtopk10gatherTopKIsmLi2ELb0EEEvNS_4cuda6detail10TensorInfoIKT_T0_EES8_S8_bS8_S8_NS5_IS6_S8_EES8_NS5_IlS8_EES8_PS6_,comdat
	.protected	_ZN2at6native6sbtopk10gatherTopKIsmLi2ELb0EEEvNS_4cuda6detail10TensorInfoIKT_T0_EES8_S8_bS8_S8_NS5_IS6_S8_EES8_NS5_IlS8_EES8_PS6_ ; -- Begin function _ZN2at6native6sbtopk10gatherTopKIsmLi2ELb0EEEvNS_4cuda6detail10TensorInfoIKT_T0_EES8_S8_bS8_S8_NS5_IS6_S8_EES8_NS5_IlS8_EES8_PS6_
	.globl	_ZN2at6native6sbtopk10gatherTopKIsmLi2ELb0EEEvNS_4cuda6detail10TensorInfoIKT_T0_EES8_S8_bS8_S8_NS5_IS6_S8_EES8_NS5_IlS8_EES8_PS6_
	.p2align	8
	.type	_ZN2at6native6sbtopk10gatherTopKIsmLi2ELb0EEEvNS_4cuda6detail10TensorInfoIKT_T0_EES8_S8_bS8_S8_NS5_IS6_S8_EES8_NS5_IlS8_EES8_PS6_,@function
_ZN2at6native6sbtopk10gatherTopKIsmLi2ELb0EEEvNS_4cuda6detail10TensorInfoIKT_T0_EES8_S8_bS8_S8_NS5_IS6_S8_EES8_NS5_IlS8_EES8_PS6_: ; @_ZN2at6native6sbtopk10gatherTopKIsmLi2ELb0EEEvNS_4cuda6detail10TensorInfoIKT_T0_EES8_S8_bS8_S8_NS5_IS6_S8_EES8_NS5_IlS8_EES8_PS6_
; %bb.0:
	s_load_dwordx2 s[14:15], s[4:5], 0x520
	s_load_dwordx4 s[60:63], s[4:5], 0x1b8
	s_mov_b64 s[20:21], s[4:5]
	s_add_u32 s10, s20, 0x520
	s_addc_u32 s11, s21, 0
	s_waitcnt lgkmcnt(0)
	s_mul_i32 s0, s15, s8
	s_add_i32 s0, s0, s7
	s_mul_i32 s0, s0, s14
	s_add_i32 s22, s0, s6
	s_mov_b32 s23, 0
	v_mov_b32_e32 v1, s22
	v_mov_b32_e32 v2, s23
	v_cmp_le_u64_e32 vcc, s[60:61], v[1:2]
	s_cbranch_vccnz .LBB171_485
; %bb.1:
	s_load_dwordx2 s[4:5], s[20:21], 0x10
	s_load_dwordx2 s[16:17], s[20:21], 0x380
	;; [unrolled: 1-line block ×3, first 2 shown]
	s_mov_b64 s[0:1], 0
                                        ; implicit-def: $vgpr50 : SGPR spill to VGPR lane
	s_mov_b64 s[8:9], 0
	s_waitcnt lgkmcnt(0)
	v_mov_b32_e32 v1, s4
	v_mov_b32_e32 v2, s5
	v_cmp_lt_u64_e32 vcc, s[22:23], v[1:2]
	v_writelane_b32 v50, s0, 0
	v_writelane_b32 v50, s1, 1
	s_cbranch_vccnz .LBB171_3
; %bb.2:
	v_cvt_f32_u32_e32 v1, s4
	s_sub_i32 s0, 0, s4
	v_rcp_iflag_f32_e32 v1, v1
	v_mul_f32_e32 v1, 0x4f7ffffe, v1
	v_cvt_u32_f32_e32 v1, v1
	v_readfirstlane_b32 s1, v1
	s_mul_i32 s0, s0, s1
	s_mul_hi_u32 s0, s1, s0
	s_add_i32 s1, s1, s0
	s_mul_hi_u32 s0, s22, s1
	s_mul_i32 s2, s0, s4
	s_sub_i32 s2, s22, s2
	s_add_i32 s1, s0, 1
	s_sub_i32 s3, s2, s4
	s_cmp_ge_u32 s2, s4
	s_cselect_b32 s0, s1, s0
	s_cselect_b32 s2, s3, s2
	s_add_i32 s1, s0, 1
	s_cmp_ge_u32 s2, s4
	s_cselect_b32 s8, s1, s0
.LBB171_3:
	v_mov_b32_e32 v1, s12
	v_mov_b32_e32 v2, s13
	v_cmp_lt_u64_e32 vcc, s[22:23], v[1:2]
	s_cbranch_vccnz .LBB171_5
; %bb.4:
	v_cvt_f32_u32_e32 v1, s12
	s_sub_i32 s0, 0, s12
	v_rcp_iflag_f32_e32 v1, v1
	v_mul_f32_e32 v1, 0x4f7ffffe, v1
	v_cvt_u32_f32_e32 v1, v1
	v_readfirstlane_b32 s1, v1
	s_mul_i32 s0, s0, s1
	s_mul_hi_u32 s0, s1, s0
	s_add_i32 s1, s1, s0
	s_mul_hi_u32 s0, s22, s1
	s_mul_i32 s2, s0, s12
	s_sub_i32 s2, s22, s2
	s_add_i32 s1, s0, 1
	s_sub_i32 s3, s2, s12
	s_cmp_ge_u32 s2, s12
	s_cselect_b32 s0, s1, s0
	s_cselect_b32 s2, s3, s2
	s_add_i32 s1, s0, 1
	s_cmp_ge_u32 s2, s12
	s_cselect_b32 s0, s1, s0
	v_writelane_b32 v50, s0, 0
	v_writelane_b32 v50, s1, 1
.LBB171_5:
	v_writelane_b32 v50, s12, 2
	v_writelane_b32 v50, s13, 3
	s_load_dwordx2 s[12:13], s[20:21], 0x0
	v_mov_b32_e32 v1, s16
	v_mov_b32_e32 v2, s17
	v_cmp_lt_u64_e32 vcc, s[22:23], v[1:2]
	s_mov_b64 s[0:1], 0
	v_writelane_b32 v50, s0, 4
	v_writelane_b32 v50, s1, 5
	s_cbranch_vccnz .LBB171_7
; %bb.6:
	v_cvt_f32_u32_e32 v1, s16
	s_sub_i32 s0, 0, s16
	v_rcp_iflag_f32_e32 v1, v1
	v_mul_f32_e32 v1, 0x4f7ffffe, v1
	v_cvt_u32_f32_e32 v1, v1
	v_readfirstlane_b32 s1, v1
	s_mul_i32 s0, s0, s1
	s_mul_hi_u32 s0, s1, s0
	s_add_i32 s1, s1, s0
	s_mul_hi_u32 s0, s22, s1
	s_mul_i32 s2, s0, s16
	s_sub_i32 s2, s22, s2
	s_add_i32 s1, s0, 1
	s_sub_i32 s3, s2, s16
	s_cmp_ge_u32 s2, s16
	s_cselect_b32 s0, s1, s0
	s_cselect_b32 s2, s3, s2
	s_add_i32 s1, s0, 1
	s_cmp_ge_u32 s2, s16
	s_cselect_b32 s0, s1, s0
	v_writelane_b32 v50, s0, 4
	v_writelane_b32 v50, s1, 5
.LBB171_7:
	s_load_dwordx2 s[0:1], s[20:21], 0x370
	v_writelane_b32 v50, s16, 6
	v_writelane_b32 v50, s17, 7
	s_mov_b32 s89, 0
	v_cmp_eq_u32_e64 s[18:19], 0, v0
	s_waitcnt lgkmcnt(0)
	v_writelane_b32 v50, s0, 8
	v_writelane_b32 v50, s1, 9
	s_load_dwordx2 s[0:1], s[20:21], 0x1c8
	s_waitcnt lgkmcnt(0)
	v_writelane_b32 v50, s0, 10
	v_writelane_b32 v50, s1, 11
	s_load_dwordx4 s[0:3], s[20:21], 0xd0
	s_load_dwordx4 s[64:67], s[20:21], 0x1a0
	s_mov_b64 s[16:17], exec
	v_writelane_b32 v50, s18, 12
	v_writelane_b32 v50, s19, 13
	s_and_b64 s[18:19], s[16:17], s[18:19]
	s_mov_b64 exec, s[18:19]
	s_cbranch_execz .LBB171_9
; %bb.8:
	v_mov_b32_e32 v1, 0
	s_waitcnt lgkmcnt(0)
	v_mov_b32_e32 v3, s64
	v_mov_b32_e32 v4, s65
	;; [unrolled: 1-line block ×3, first 2 shown]
	ds_write_b32 v1, v1 offset:5144
	ds_write_b128 v1, v[1:4] offset:5120
.LBB171_9:
	s_or_b64 exec, exec, s[16:17]
	s_mul_i32 s5, s8, s5
	s_mul_hi_u32 s7, s8, s4
	s_add_i32 s7, s7, s5
	s_mul_i32 s4, s8, s4
	s_sub_u32 s4, s22, s4
	s_subb_u32 s5, 0, s7
	s_waitcnt lgkmcnt(0)
	s_mul_i32 s3, s4, s3
	s_mul_hi_u32 s7, s4, s2
	s_mul_i32 s5, s5, s2
	s_mul_i32 s2, s4, s2
	;; [unrolled: 1-line block ×3, first 2 shown]
	s_mul_hi_u32 s4, s8, s0
	s_add_i32 s3, s7, s3
	s_add_i32 s1, s4, s1
	s_mul_i32 s0, s8, s0
	s_add_i32 s3, s3, s5
	s_lshl_b64 s[0:1], s[0:1], 1
	s_add_u32 s4, s12, s0
	s_addc_u32 s7, s13, s1
	s_lshl_b64 s[0:1], s[2:3], 1
	s_add_u32 s33, s4, s0
	s_load_dword s5, s[20:21], 0x1b0
	s_addc_u32 s86, s7, s1
	s_load_dwordx4 s[0:3], s[20:21], 0x298
	s_mov_b32 s16, s22
	v_writelane_b32 v50, s16, 14
	v_writelane_b32 v50, s17, 15
	s_waitcnt lgkmcnt(0)
	s_bitcmp1_b32 s5, 0
	v_writelane_b32 v50, s0, 16
	v_writelane_b32 v50, s1, 17
	;; [unrolled: 1-line block ×4, first 2 shown]
	s_cselect_b64 s[0:1], -1, 0
	v_writelane_b32 v50, s0, 20
	v_writelane_b32 v50, s1, 21
	s_xor_b64 s[94:95], s[0:1], -1
	v_mbcnt_lo_u32_b32 v1, -1, 0
	v_mad_u64_u32 v[4:5], s[0:1], s62, v0, 0
	v_mbcnt_hi_u32_b32 v26, -1, v1
	v_cmp_gt_u32_e32 vcc, 64, v0
	v_cmp_gt_i32_e64 s[2:3], 4, v26
	s_and_b64 s[0:1], vcc, s[2:3]
	v_writelane_b32 v50, s0, 22
	v_mov_b32_e32 v1, 0x600
	v_mov_b32_e32 v3, v5
	v_writelane_b32 v50, s1, 23
	v_mov_b32_e32 v2, 0
	v_mad_u64_u32 v[5:6], s[0:1], s63, v0, v[3:4]
	v_cmp_gt_u64_e64 s[0:1], s[64:65], v[1:2]
	v_mov_b32_e32 v3, 0
	v_writelane_b32 v50, s0, 24
	v_mov_b32_e32 v1, v3
	v_writelane_b32 v50, s1, 25
	v_cmp_gt_u64_e64 s[0:1], s[64:65], v[0:1]
	v_writelane_b32 v50, s0, 26
	v_writelane_b32 v50, s1, 27
	v_cmp_gt_u32_e64 s[0:1], 2, v0
	v_writelane_b32 v50, s0, 28
	s_barrier
	v_writelane_b32 v50, s1, 29
	s_load_dword s0, s[10:11], 0xc
	v_lshlrev_b64 v[4:5], 1, v[4:5]
	v_mov_b32_e32 v2, s86
	v_add_co_u32_e32 v12, vcc, s33, v4
	s_waitcnt lgkmcnt(0)
	s_and_b32 s87, s0, 0xffff
	s_bfe_u32 s0, s0, 0xa0006
	s_cmp_gt_u32 s87, 63
	v_addc_co_u32_e32 v13, vcc, v2, v5, vcc
	v_lshlrev_b32_e32 v2, 2, v26
	s_cselect_b64 s[2:3], -1, 0
	v_and_b32_e32 v23, 0x100, v2
	v_writelane_b32 v50, s2, 30
	s_add_u32 s1, s87, -1
	v_lshrrev_b32_e32 v2, 1, v0
	v_writelane_b32 v50, s3, 31
	s_addc_u32 s2, 0, -1
	v_and_b32_e32 v2, 0x1e0, v2
	v_lshlrev_b64 v[4:5], v26, -1
	v_writelane_b32 v50, s1, 32
	s_add_u32 s1, s1, s64
	v_or_b32_e32 v29, 0xc00, v2
	v_add_u32_e32 v2, 2, v0
	s_addc_u32 s77, s2, s65
	v_cmp_gt_u64_e32 vcc, s[64:65], v[2:3]
	v_not_b32_e32 v25, v4
	s_cmp_lt_u32 s6, s14
	v_mov_b32_e32 v4, s65
	v_not_b32_e32 v24, v5
	v_writelane_b32 v50, s1, 33
	s_cselect_b32 s1, 12, 18
	v_cndmask_b32_e32 v5, 0, v4, vcc
	v_mov_b32_e32 v4, s64
	v_writelane_b32 v50, s2, 34
	s_add_u32 s2, s10, s1
	v_cndmask_b32_e32 v2, v2, v4, vcc
	v_not_b32_e32 v4, v0
	s_addc_u32 s3, s11, 0
	v_add_co_u32_e32 v4, vcc, v2, v4
	v_writelane_b32 v50, s2, 35
	v_addc_co_u32_e32 v5, vcc, -1, v5, vcc
	v_writelane_b32 v50, s3, 36
	v_cmp_lt_u64_e64 s[2:3], 1, v[4:5]
	v_and_b32_e32 v16, -2, v4
	v_writelane_b32 v50, s2, 37
	v_mov_b32_e32 v17, v5
	v_writelane_b32 v50, s3, 38
	v_cmp_ne_u64_e64 s[2:3], v[4:5], v[16:17]
	s_add_i32 s1, s0, -1
	v_writelane_b32 v50, s2, 39
	v_writelane_b32 v50, s3, 40
	s_bfe_u32 s2, s87, 0x30006
	s_and_b32 s1, s1, 0xffff
	s_cmp_gt_u32 s1, 6
	s_cselect_b64 s[4:5], -1, 0
	v_writelane_b32 v50, s4, 41
	s_and_b32 s84, s0, 0x3f8
	v_writelane_b32 v50, s5, 42
	s_cmp_lg_u32 s2, 0
	v_writelane_b32 v50, s2, 43
	s_cselect_b64 s[0:1], -1, 0
	v_writelane_b32 v50, s0, 44
	v_writelane_b32 v50, s1, 45
	;; [unrolled: 1-line block ×3, first 2 shown]
	s_load_dwordx4 s[4:7], s[20:21], 0x440
	v_writelane_b32 v50, s21, 47
	s_mov_b32 s1, 0
	v_lshlrev_b32_e32 v27, 1, v0
	s_mov_b32 s15, s63
	s_waitcnt lgkmcnt(0)
	v_writelane_b32 v50, s4, 48
	v_writelane_b32 v50, s5, 49
	;; [unrolled: 1-line block ×6, first 2 shown]
	v_mov_b32_e32 v2, 0xc00
	v_mov_b32_e32 v19, s66
	v_writelane_b32 v50, s95, 54
	v_cmp_eq_u32_e64 s[92:93], 0, v26
	v_lshlrev_b32_e32 v14, 2, v0
	v_mov_b32_e32 v15, v3
	v_add_u32_e32 v28, 0xc00, v27
	v_add_co_u32_e32 v18, vcc, v16, v0
	s_mov_b32 s14, s62
	v_lshlrev_b32_e32 v31, 3, v0
	v_lshl_or_b32 v32, v26, 3, v2
	s_lshl_b32 s76, s87, 1
	s_mov_b32 s0, 14
	s_mov_b64 s[72:73], 0
	s_mov_b32 s85, 0x8000
	v_mov_b32_e32 v33, 0x4f800000
	v_mov_b32_e32 v34, 0x5040100
	;; [unrolled: 1-line block ×6, first 2 shown]
	v_writelane_b32 v50, s15, 55
                                        ; implicit-def: $sgpr74_sgpr75
                                        ; implicit-def: $sgpr16_sgpr17
                                        ; implicit-def: $sgpr82_sgpr83
                                        ; implicit-def: $sgpr60_sgpr61
                                        ; implicit-def: $sgpr80_sgpr81
                                        ; implicit-def: $sgpr22_sgpr23
                                        ; implicit-def: $sgpr24_sgpr25
                                        ; implicit-def: $sgpr36_sgpr37
                                        ; implicit-def: $sgpr2_sgpr3
                                        ; implicit-def: $sgpr68_sgpr69
	v_writelane_b32 v50, s76, 56
	s_branch .LBB171_12
.LBB171_10:                             ;   in Loop: Header=BB171_12 Depth=1
	s_or_b64 exec, exec, s[10:11]
	s_andn2_b64 s[10:11], s[68:69], exec
	s_and_b64 s[8:9], s[8:9], exec
	v_mov_b32_e32 v20, v5
	s_or_b64 s[68:69], s[10:11], s[8:9]
	s_andn2_b64 s[2:3], s[2:3], exec
	s_andn2_b64 s[36:37], s[36:37], exec
	;; [unrolled: 1-line block ×4, first 2 shown]
	s_orn2_b64 s[6:7], s[6:7], exec
	v_mov_b32_e32 v19, v4
.LBB171_11:                             ;   in Loop: Header=BB171_12 Depth=1
	s_or_b64 exec, exec, s[4:5]
	s_and_b64 s[4:5], exec, s[6:7]
	s_or_b64 s[72:73], s[4:5], s[72:73]
	s_andn2_b64 s[4:5], s[80:81], exec
	s_and_b64 s[6:7], s[68:69], exec
	s_or_b64 s[80:81], s[4:5], s[6:7]
	s_andn2_b64 s[4:5], s[60:61], exec
	s_and_b64 s[6:7], s[2:3], exec
	;; [unrolled: 3-line block ×5, first 2 shown]
	s_or_b64 s[74:75], s[4:5], s[6:7]
	s_andn2_b64 exec, exec, s[72:73]
	s_cbranch_execz .LBB171_481
.LBB171_12:                             ; =>This Loop Header: Depth=1
                                        ;     Child Loop BB171_17 Depth 2
                                        ;     Child Loop BB171_31 Depth 2
	;; [unrolled: 1-line block ×25, first 2 shown]
	ds_read_b128 v[4:7], v3 offset:5120
	s_waitcnt lgkmcnt(0)
	v_readfirstlane_b32 s71, v5
	v_readfirstlane_b32 s70, v4
	s_cmp_lg_u64 s[70:71], 0
	s_cbranch_scc1 .LBB171_44
; %bb.13:                               ;   in Loop: Header=BB171_12 Depth=1
	v_readlane_b32 s4, v50, 24
	v_readlane_b32 s5, v50, 25
	s_and_b64 vcc, exec, s[4:5]
	s_cbranch_vccz .LBB171_25
; %bb.14:                               ;   in Loop: Header=BB171_12 Depth=1
	s_mov_b64 s[4:5], 0x601
	v_cmp_gt_u64_e32 vcc, s[4:5], v[6:7]
	s_mov_b64 s[4:5], 0
	s_mov_b64 s[6:7], 0
	s_cbranch_vccz .LBB171_26
; %bb.15:                               ;   in Loop: Header=BB171_12 Depth=1
	v_readlane_b32 s6, v50, 35
	v_readlane_b32 s7, v50, 36
	global_load_ushort v6, v[12:13], off
	v_mov_b32_e32 v5, v1
	s_mov_b64 s[8:9], 0
	v_mov_b32_e32 v4, v0
	s_nop 0
	global_load_ushort v2, v3, s[6:7]
	s_branch .LBB171_17
.LBB171_16:                             ;   in Loop: Header=BB171_17 Depth=2
	s_or_b64 exec, exec, s[6:7]
	s_waitcnt vmcnt(0)
	v_mov_b32_e32 v6, v7
	s_andn2_b64 exec, exec, s[8:9]
	s_cbranch_execz .LBB171_99
.LBB171_17:                             ;   Parent Loop BB171_12 Depth=1
                                        ; =>  This Inner Loop Header: Depth=2
	s_waitcnt vmcnt(0)
	v_add_co_u32_sdwa v4, vcc, v4, v2 dst_sel:DWORD dst_unused:UNUSED_PAD src0_sel:DWORD src1_sel:WORD_0
	v_addc_co_u32_e32 v5, vcc, 0, v5, vcc
	v_cmp_gt_u64_e64 s[6:7], s[64:65], v[4:5]
	v_cmp_le_u64_e32 vcc, s[64:65], v[4:5]
	s_waitcnt lgkmcnt(0)
	v_mov_b32_e32 v8, 0
	v_mov_b32_e32 v7, 0
	s_and_saveexec_b64 s[10:11], s[6:7]
	s_cbranch_execz .LBB171_19
; %bb.18:                               ;   in Loop: Header=BB171_17 Depth=2
	v_mul_lo_u32 v7, v5, s62
	v_mul_lo_u32 v11, v4, s63
	v_mad_u64_u32 v[9:10], s[6:7], v4, s62, 0
	v_add3_u32 v10, v10, v11, v7
	v_lshlrev_b64 v[9:10], 1, v[9:10]
	v_mov_b32_e32 v7, s86
	v_add_co_u32_e64 v9, s[6:7], s33, v9
	v_addc_co_u32_e64 v10, s[6:7], v7, v10, s[6:7]
	global_load_ushort v7, v[9:10], off
.LBB171_19:                             ;   in Loop: Header=BB171_17 Depth=2
	s_or_b64 exec, exec, s[10:11]
	v_add_u32_sdwa v9, sext(v6), s85 dst_sel:DWORD dst_unused:UNUSED_PAD src0_sel:WORD_0 src1_sel:DWORD
	v_and_b32_e32 v9, v9, v35
	v_cmp_eq_u32_e64 s[18:19], v9, v30
	s_cmp_lg_u64 s[18:19], 0
	s_cselect_b64 s[6:7], -1, 0
	s_and_b64 s[6:7], s[92:93], s[6:7]
	s_and_saveexec_b64 s[10:11], s[6:7]
	s_cbranch_execz .LBB171_23
; %bb.20:                               ;   in Loop: Header=BB171_17 Depth=2
	s_mov_b64 s[20:21], exec
	v_mbcnt_lo_u32_b32 v8, s20, 0
	v_mbcnt_hi_u32_b32 v8, s21, v8
	s_bcnt1_i32_b64 s1, s[18:19]
	v_cmp_eq_u32_e64 s[6:7], 0, v8
                                        ; implicit-def: $vgpr9
	s_and_saveexec_b64 s[12:13], s[6:7]
; %bb.21:                               ;   in Loop: Header=BB171_17 Depth=2
	s_bcnt1_i32_b64 s6, s[20:21]
	s_mul_i32 s6, s1, s6
	v_mov_b32_e32 v9, s6
	ds_add_rtn_u32 v9, v3, v9 offset:5144
; %bb.22:                               ;   in Loop: Header=BB171_17 Depth=2
	s_or_b64 exec, exec, s[12:13]
	s_waitcnt lgkmcnt(0)
	v_readfirstlane_b32 s6, v9
	v_mov_b32_e32 v9, s6
	v_mad_u32_u24 v8, s1, v8, v9
.LBB171_23:                             ;   in Loop: Header=BB171_17 Depth=2
	s_or_b64 exec, exec, s[10:11]
	ds_bpermute_b32 v8, v23, v8
	s_and_b64 s[6:7], exec, vcc
	s_or_b64 s[8:9], s[6:7], s[8:9]
	s_and_saveexec_b64 s[6:7], s[18:19]
	s_cbranch_execz .LBB171_16
; %bb.24:                               ;   in Loop: Header=BB171_17 Depth=2
	v_and_b32_e32 v10, s18, v25
	v_and_b32_e32 v9, s19, v24
	v_bcnt_u32_b32 v10, v10, 0
	v_bcnt_u32_b32 v9, v9, v10
	v_lshlrev_b32_e32 v9, 1, v9
	s_waitcnt lgkmcnt(0)
	v_lshl_add_u32 v8, v8, 1, v9
	ds_write_b16 v8, v6
	s_branch .LBB171_16
.LBB171_25:                             ;   in Loop: Header=BB171_12 Depth=1
	s_mov_b64 s[4:5], -1
	s_mov_b64 s[6:7], 0
.LBB171_26:                             ;   in Loop: Header=BB171_12 Depth=1
	s_and_b64 vcc, exec, s[4:5]
	s_cbranch_vccz .LBB171_42
.LBB171_27:                             ;   in Loop: Header=BB171_12 Depth=1
	s_mov_b64 s[4:5], exec
	v_readlane_b32 s6, v50, 26
	v_readlane_b32 s7, v50, 27
	s_and_b64 s[6:7], s[4:5], s[6:7]
	s_mov_b64 exec, s[6:7]
	s_cbranch_execz .LBB171_39
; %bb.28:                               ;   in Loop: Header=BB171_12 Depth=1
	v_readlane_b32 s6, v50, 35
	v_readlane_b32 s7, v50, 36
	s_nop 4
	global_load_ushort v2, v3, s[6:7]
	global_load_ushort v10, v[12:13], off
	v_mov_b32_e32 v4, v0
	s_waitcnt vmcnt(1)
	v_readfirstlane_b32 s1, v2
	v_add_u32_sdwa v2, v2, v0 dst_sel:DWORD dst_unused:UNUSED_PAD src0_sel:WORD_0 src1_sel:DWORD
	v_cmp_gt_u64_e32 vcc, s[64:65], v[2:3]
	s_and_saveexec_b64 s[8:9], vcc
	s_cbranch_execz .LBB171_38
; %bb.29:                               ;   in Loop: Header=BB171_12 Depth=1
	s_and_b32 s1, s1, 0xffff
	s_cmp_eq_u32 s1, 1
	v_readlane_b32 s10, v50, 37
                                        ; implicit-def: $vgpr4_vgpr5
	s_cselect_b64 s[6:7], -1, 0
	v_readlane_b32 s11, v50, 38
	v_mov_b32_e32 v6, v1
	v_mov_b32_e32 v8, v3
	s_and_b64 s[10:11], s[10:11], s[6:7]
	s_mov_b64 s[12:13], -1
	v_mov_b32_e32 v5, v0
	v_mov_b32_e32 v7, v2
	s_and_saveexec_b64 s[6:7], s[10:11]
	s_cbranch_execz .LBB171_33
; %bb.30:                               ;   in Loop: Header=BB171_12 Depth=1
	v_add_co_u32_e32 v4, vcc, 1, v2
	v_addc_co_u32_e64 v5, s[10:11], 0, 0, vcc
	v_mov_b32_e32 v8, v16
	v_mov_b32_e32 v7, v5
	s_waitcnt vmcnt(0)
	v_lshlrev_b32_e32 v21, 16, v10
	s_mov_b64 s[10:11], 0
	v_mov_b32_e32 v9, v17
	v_mov_b32_e32 v11, v27
	;; [unrolled: 1-line block ×5, first 2 shown]
.LBB171_31:                             ;   Parent Loop BB171_12 Depth=1
                                        ; =>  This Inner Loop Header: Depth=2
	v_mul_lo_u32 v41, v5, s14
	v_mul_lo_u32 v42, v4, s15
	v_mad_u64_u32 v[39:40], s[12:13], v4, s14, 0
	v_mul_lo_u32 v10, v7, s62
	v_mul_lo_u32 v22, v6, s63
	v_mad_u64_u32 v[37:38], s[12:13], v6, s62, 0
	v_add3_u32 v40, v40, v42, v41
	v_lshlrev_b64 v[39:40], 1, v[39:40]
	v_add3_u32 v38, v38, v22, v10
	v_mov_b32_e32 v43, s86
	v_lshlrev_b64 v[37:38], 1, v[37:38]
	v_add_co_u32_e32 v39, vcc, s33, v39
	v_addc_co_u32_e32 v40, vcc, v43, v40, vcc
	v_add_co_u32_e32 v37, vcc, s33, v37
	v_addc_co_u32_e32 v38, vcc, v43, v38, vcc
	global_load_ushort v22, v[39:40], off
	global_load_ushort v10, v[37:38], off
	v_add_co_u32_e32 v6, vcc, 2, v6
	v_addc_co_u32_e32 v7, vcc, 0, v7, vcc
	v_add_co_u32_e32 v4, vcc, 2, v4
	v_addc_co_u32_e32 v5, vcc, 0, v5, vcc
	v_add_co_u32_e32 v8, vcc, -2, v8
	v_addc_co_u32_e32 v9, vcc, -1, v9, vcc
	s_mov_b32 s12, 0x5040100
	v_cmp_eq_u64_e32 vcc, 0, v[8:9]
	s_or_b64 s[10:11], vcc, s[10:11]
	s_waitcnt vmcnt(1)
	v_alignbit_b32 v21, v22, v21, 16
	s_waitcnt vmcnt(0)
	v_perm_b32 v37, v10, v22, s12
	ds_write_b32 v11, v21
	v_add_u32_e32 v11, 4, v11
	v_mov_b32_e32 v21, v37
	s_andn2_b64 exec, exec, s[10:11]
	s_cbranch_execnz .LBB171_31
; %bb.32:                               ;   in Loop: Header=BB171_12 Depth=1
	s_or_b64 exec, exec, s[10:11]
	v_readlane_b32 s10, v50, 39
	v_add_co_u32_e32 v7, vcc, v2, v16
	v_readlane_b32 s11, v50, 40
	v_addc_co_u32_e32 v8, vcc, 0, v17, vcc
	v_add_co_u32_e32 v4, vcc, -1, v7
	s_orn2_b64 s[12:13], s[10:11], exec
	v_mov_b32_e32 v5, v18
	v_mov_b32_e32 v6, v19
.LBB171_33:                             ;   in Loop: Header=BB171_12 Depth=1
	s_or_b64 exec, exec, s[6:7]
	s_and_saveexec_b64 s[10:11], s[12:13]
	s_cbranch_execz .LBB171_37
; %bb.34:                               ;   in Loop: Header=BB171_12 Depth=1
	s_mov_b64 s[12:13], 0
	s_sub_u32 s18, 0, s1
.LBB171_35:                             ;   Parent Loop BB171_12 Depth=1
                                        ; =>  This Inner Loop Header: Depth=2
	v_mul_lo_u32 v2, v8, s62
	v_mul_lo_u32 v4, v7, s63
	v_mad_u64_u32 v[21:22], s[6:7], v7, s62, 0
	v_mov_b32_e32 v6, s86
	v_add3_u32 v22, v22, v4, v2
	v_lshlrev_b64 v[21:22], 1, v[21:22]
	v_lshlrev_b32_e32 v4, 1, v5
	v_add_co_u32_e32 v21, vcc, s33, v21
	v_addc_co_u32_e32 v22, vcc, v6, v22, vcc
	global_load_ushort v2, v[21:22], off
	v_mov_b32_e32 v5, v7
	v_mov_b32_e32 v6, v8
	v_add_co_u32_e32 v7, vcc, s1, v7
	v_addc_co_u32_e32 v8, vcc, 0, v8, vcc
	v_cmp_le_u64_e32 vcc, s[64:65], v[7:8]
	s_waitcnt vmcnt(1)
	ds_write_b16 v4, v10
	v_add_co_u32_e64 v4, s[6:7], s18, v7
	s_or_b64 s[12:13], vcc, s[12:13]
	s_waitcnt vmcnt(0)
	v_mov_b32_e32 v10, v2
	s_andn2_b64 exec, exec, s[12:13]
	s_cbranch_execnz .LBB171_35
; %bb.36:                               ;   in Loop: Header=BB171_12 Depth=1
	s_or_b64 exec, exec, s[12:13]
	v_mov_b32_e32 v10, v2
.LBB171_37:                             ;   in Loop: Header=BB171_12 Depth=1
	s_or_b64 exec, exec, s[10:11]
.LBB171_38:                             ;   in Loop: Header=BB171_12 Depth=1
	s_or_b64 exec, exec, s[8:9]
	v_lshlrev_b32_e32 v2, 1, v4
	s_waitcnt vmcnt(0)
	ds_write_b16 v2, v10
.LBB171_39:                             ;   in Loop: Header=BB171_12 Depth=1
	s_or_b64 exec, exec, s[4:5]
	s_waitcnt lgkmcnt(0)
	s_barrier
	s_mov_b64 s[4:5], exec
	v_readlane_b32 s6, v50, 12
	v_readlane_b32 s7, v50, 13
	s_and_b64 s[6:7], s[4:5], s[6:7]
	s_mov_b64 exec, s[6:7]
; %bb.40:                               ;   in Loop: Header=BB171_12 Depth=1
	v_mov_b32_e32 v4, s64
	v_mov_b32_e32 v5, s65
	ds_write_b64 v3, v[4:5] offset:5120
; %bb.41:                               ;   in Loop: Header=BB171_12 Depth=1
	s_or_b64 exec, exec, s[4:5]
	s_mov_b64 s[6:7], -1
	s_waitcnt lgkmcnt(0)
	s_barrier
.LBB171_42:                             ;   in Loop: Header=BB171_12 Depth=1
	s_mov_b64 s[70:71], 0
	s_and_b64 vcc, exec, s[6:7]
	s_cbranch_vccz .LBB171_44
; %bb.43:                               ;   in Loop: Header=BB171_12 Depth=1
	ds_read_b64 v[4:5], v3 offset:5120
	s_waitcnt lgkmcnt(0)
	v_readfirstlane_b32 s70, v4
.LBB171_44:                             ;   in Loop: Header=BB171_12 Depth=1
	v_writelane_b32 v50, s22, 57
	v_writelane_b32 v50, s23, 58
	s_cmp_lt_i32 s70, 1
	s_mov_b64 s[4:5], -1
	v_writelane_b32 v50, s24, 59
                                        ; implicit-def: $vgpr4_vgpr5
                                        ; implicit-def: $vgpr8_vgpr9
	v_writelane_b32 v50, s25, 60
	s_cbranch_scc0 .LBB171_59
; %bb.45:                               ;   in Loop: Header=BB171_12 Depth=1
	v_readlane_b32 s4, v50, 35
	v_readlane_b32 s5, v50, 36
	s_nop 4
	global_load_ushort v2, v3, s[4:5]
	s_mov_b32 s4, s89
	s_mov_b32 s5, s65
	s_waitcnt vmcnt(0)
	v_readfirstlane_b32 s1, v2
	s_and_b32 s1, 0xffff, s1
	s_lshl_b32 s1, s1, 2
	s_cmp_lg_u64 s[4:5], 0
	s_cbranch_scc0 .LBB171_77
; %bb.46:                               ;   in Loop: Header=BB171_12 Depth=1
	v_cvt_f32_u32_e32 v4, s1
	s_sub_u32 s6, 0, s1
	s_subb_u32 s7, 0, 0
	v_mac_f32_e32 v4, 0, v33
	v_rcp_f32_e32 v4, v4
	v_mul_f32_e32 v4, 0x5f7ffffc, v4
	v_mul_f32_e32 v5, 0x2f800000, v4
	v_trunc_f32_e32 v5, v5
	v_mac_f32_e32 v4, 0xcf800000, v5
	v_cvt_u32_f32_e32 v5, v5
	v_cvt_u32_f32_e32 v4, v4
	v_readfirstlane_b32 s8, v5
	v_readfirstlane_b32 s4, v4
	s_mul_i32 s5, s6, s8
	s_mul_hi_u32 s10, s6, s4
	s_mul_i32 s9, s7, s4
	s_add_i32 s5, s10, s5
	s_mul_i32 s11, s6, s4
	s_add_i32 s5, s5, s9
	s_mul_hi_u32 s10, s4, s11
	s_mul_i32 s12, s4, s5
	s_mul_hi_u32 s9, s4, s5
	s_add_u32 s10, s10, s12
	s_addc_u32 s9, 0, s9
	s_mul_hi_u32 s13, s8, s11
	s_mul_i32 s11, s8, s11
	s_add_u32 s10, s10, s11
	s_mul_hi_u32 s12, s8, s5
	s_addc_u32 s9, s9, s13
	s_addc_u32 s10, s12, 0
	s_mul_i32 s5, s8, s5
	s_add_u32 s5, s9, s5
	s_addc_u32 s9, 0, s10
	s_add_u32 s10, s4, s5
	s_cselect_b64 s[4:5], -1, 0
	s_cmp_lg_u64 s[4:5], 0
	s_addc_u32 s8, s8, s9
	s_mul_i32 s4, s6, s8
	s_mul_hi_u32 s5, s6, s10
	s_add_i32 s4, s5, s4
	s_mul_i32 s7, s7, s10
	s_add_i32 s4, s4, s7
	s_mul_i32 s6, s6, s10
	s_mul_hi_u32 s7, s8, s6
	s_mul_i32 s9, s8, s6
	s_mul_i32 s12, s10, s4
	s_mul_hi_u32 s6, s10, s6
	s_mul_hi_u32 s11, s10, s4
	s_add_u32 s6, s6, s12
	s_addc_u32 s11, 0, s11
	s_add_u32 s6, s6, s9
	s_mul_hi_u32 s5, s8, s4
	s_addc_u32 s6, s11, s7
	s_addc_u32 s5, s5, 0
	s_mul_i32 s4, s8, s4
	s_add_u32 s4, s6, s4
	s_addc_u32 s6, 0, s5
	s_add_u32 s7, s10, s4
	s_cselect_b64 s[4:5], -1, 0
	s_cmp_lg_u64 s[4:5], 0
	s_addc_u32 s4, s8, s6
	s_mul_i32 s6, s64, s4
	s_mul_hi_u32 s8, s64, s7
	s_mul_hi_u32 s5, s64, s4
	s_add_u32 s6, s8, s6
	s_addc_u32 s5, 0, s5
	s_mul_hi_u32 s9, s65, s7
	s_mul_i32 s7, s65, s7
	s_add_u32 s6, s6, s7
	s_mul_hi_u32 s8, s65, s4
	s_addc_u32 s5, s5, s9
	s_addc_u32 s6, s8, 0
	s_mul_i32 s4, s65, s4
	s_add_u32 s4, s5, s4
	s_addc_u32 s5, 0, s6
	s_mul_i32 s5, s1, s5
	s_mul_hi_u32 s6, s1, s4
	s_add_i32 s6, s6, s5
	s_mul_i32 s4, s1, s4
	s_sub_u32 s7, s64, s4
	s_cselect_b64 s[4:5], -1, 0
	s_cmp_lg_u64 s[4:5], 0
	s_subb_u32 s6, s65, s6
	s_sub_u32 s8, s7, s1
	s_cselect_b64 s[4:5], -1, 0
	s_cmp_lg_u64 s[4:5], 0
	s_subb_u32 s9, s6, 0
	;; [unrolled: 4-line block ×3, first 2 shown]
	s_cmp_ge_u32 s8, s1
	s_cselect_b32 s5, -1, 0
	s_cmp_eq_u32 s9, 0
	s_cselect_b32 s5, s5, -1
	s_cmp_lg_u32 s5, 0
	s_cselect_b32 s4, s4, s9
	s_cselect_b32 s8, s10, s8
	s_cmp_ge_u32 s7, s1
	s_cselect_b32 s5, -1, 0
	s_cmp_eq_u32 s6, 0
	s_cselect_b32 s5, s5, -1
	s_cmp_lg_u32 s5, 0
	s_cselect_b32 s5, s4, s6
	s_cselect_b32 s4, s8, s7
	s_cbranch_execnz .LBB171_48
.LBB171_47:                             ;   in Loop: Header=BB171_12 Depth=1
	v_cvt_f32_u32_e32 v4, s1
	s_sub_i32 s4, 0, s1
	v_rcp_iflag_f32_e32 v4, v4
	v_mul_f32_e32 v4, 0x4f7ffffe, v4
	v_cvt_u32_f32_e32 v4, v4
	v_readfirstlane_b32 s5, v4
	s_mul_i32 s4, s4, s5
	s_mul_hi_u32 s4, s5, s4
	s_add_i32 s5, s5, s4
	s_mul_hi_u32 s4, s64, s5
	s_mul_i32 s4, s4, s1
	s_sub_i32 s4, s64, s4
	s_sub_i32 s5, s4, s1
	s_cmp_ge_u32 s4, s1
	s_cselect_b32 s4, s5, s4
	s_sub_i32 s5, s4, s1
	s_cmp_ge_u32 s4, s1
	s_cselect_b32 s88, s5, s4
	s_mov_b64 s[4:5], s[88:89]
.LBB171_48:                             ;   in Loop: Header=BB171_12 Depth=1
	s_sub_u32 s58, s64, s4
	s_subb_u32 s59, s65, s5
	v_cmp_gt_u64_e32 vcc, s[58:59], v[14:15]
	v_mov_b32_e32 v4, 0
	v_mov_b32_e32 v6, 0
	;; [unrolled: 1-line block ×8, first 2 shown]
	s_and_saveexec_b64 s[8:9], vcc
	s_cbranch_execz .LBB171_52
; %bb.49:                               ;   in Loop: Header=BB171_12 Depth=1
	v_mov_b32_e32 v22, v15
	s_mov_b32 s79, s77
	s_mov_b64 s[10:11], 0
	s_mov_b64 s[76:77], 0
	;; [unrolled: 1-line block ×5, first 2 shown]
	v_mov_b32_e32 v21, v14
.LBB171_50:                             ;   Parent Loop BB171_12 Depth=1
                                        ; =>  This Inner Loop Header: Depth=2
	v_mul_lo_u32 v6, v22, s62
	v_mul_lo_u32 v7, v21, s63
	v_mad_u64_u32 v[4:5], s[6:7], v21, s62, 0
	v_mov_b32_e32 v8, s86
	s_lshl_b64 s[18:19], s[62:63], 1
	v_add3_u32 v5, v5, v7, v6
	v_lshlrev_b64 v[4:5], 1, v[4:5]
	v_mov_b32_e32 v9, s19
	v_add_co_u32_e64 v4, s[6:7], s33, v4
	v_addc_co_u32_e64 v5, s[6:7], v8, v5, s[6:7]
	v_add_co_u32_e64 v6, s[6:7], s18, v4
	v_addc_co_u32_e64 v7, s[6:7], v5, v9, s[6:7]
	global_load_sshort v8, v[4:5], off
	global_load_sshort v10, v[6:7], off
	v_add_co_u32_e64 v4, s[6:7], s18, v6
	v_addc_co_u32_e64 v5, s[6:7], v7, v9, s[6:7]
	global_load_sshort v6, v[4:5], off
	v_add_co_u32_e64 v4, s[6:7], s18, v4
	v_addc_co_u32_e64 v5, s[6:7], v5, v9, s[6:7]
	global_load_sshort v4, v[4:5], off
	v_add_co_u32_e32 v21, vcc, s1, v21
	v_addc_co_u32_e32 v22, vcc, 0, v22, vcc
	v_cmp_le_u64_e32 vcc, s[58:59], v[21:22]
	s_waitcnt vmcnt(3)
	v_add_u32_e32 v5, 0x8000, v8
	s_waitcnt vmcnt(2)
	v_add_u32_e32 v7, 0x8000, v10
	v_and_b32_e32 v8, v5, v35
	v_bfe_u32 v5, v5, s0, 2
	v_cmp_eq_u32_e64 s[18:19], v8, v30
	v_and_b32_e32 v8, v7, v35
	v_bfe_u32 v7, v7, s0, 2
	v_cmp_eq_u32_e64 s[6:7], 0, v5
	s_waitcnt vmcnt(1)
	v_add_u32_e32 v6, 0x8000, v6
	v_cmp_eq_u32_e64 s[20:21], v8, v30
	v_cmp_eq_u32_e64 s[30:31], 0, v7
	s_and_b64 s[6:7], s[18:19], s[6:7]
	v_cmp_eq_u32_e64 s[38:39], 1, v5
	v_cmp_eq_u32_e64 s[40:41], 2, v5
	;; [unrolled: 1-line block ×3, first 2 shown]
	s_waitcnt vmcnt(0)
	v_add_u32_e32 v4, 0x8000, v4
	v_and_b32_e32 v5, v6, v35
	v_bfe_u32 v6, v6, s0, 2
	v_cmp_eq_u32_e64 s[42:43], 1, v7
	v_cmp_eq_u32_e64 s[44:45], 2, v7
	;; [unrolled: 1-line block ×3, first 2 shown]
	v_cndmask_b32_e64 v7, 0, 1, s[6:7]
	s_and_b64 s[30:31], s[20:21], s[30:31]
	v_cmp_eq_u32_e64 s[26:27], v5, v30
	v_and_b32_e32 v5, v4, v35
	v_bfe_u32 v4, v4, s0, 2
	v_cmp_eq_u32_e64 s[6:7], 0, v6
	v_cmp_eq_u32_e64 s[46:47], 1, v6
	;; [unrolled: 1-line block ×4, first 2 shown]
	v_cmp_ne_u32_e64 s[50:51], 0, v7
	v_cndmask_b32_e64 v6, 0, 1, s[30:31]
	v_cmp_eq_u32_e64 s[30:31], v5, v30
	v_cmp_eq_u32_e64 s[52:53], 0, v4
	s_bcnt1_i32_b64 s71, s[50:51]
	v_cmp_ne_u32_e64 s[50:51], 0, v6
	s_and_b64 s[6:7], s[26:27], s[6:7]
	v_cmp_eq_u32_e64 s[54:55], 1, v4
	v_cmp_eq_u32_e64 s[56:57], 2, v4
	;; [unrolled: 1-line block ×3, first 2 shown]
	v_cndmask_b32_e64 v4, 0, 1, s[6:7]
	s_bcnt1_i32_b64 s88, s[50:51]
	s_and_b64 s[50:51], s[30:31], s[52:53]
	v_cmp_ne_u32_e64 s[6:7], 0, v4
	v_cndmask_b32_e64 v4, 0, 1, s[50:51]
	s_bcnt1_i32_b64 s50, s[6:7]
	v_cmp_ne_u32_e64 s[6:7], 0, v4
	s_bcnt1_i32_b64 s6, s[6:7]
	s_add_u32 s4, s71, s4
	s_addc_u32 s5, 0, s5
	s_add_u32 s4, s4, s88
	s_addc_u32 s5, s5, 0
	s_add_u32 s4, s4, s50
	s_addc_u32 s5, s5, 0
	s_add_u32 s4, s4, s6
	s_addc_u32 s5, s5, 0
	s_and_b64 s[6:7], s[18:19], s[38:39]
	v_cndmask_b32_e64 v6, 0, 1, s[6:7]
	s_and_b64 s[6:7], s[20:21], s[42:43]
	v_cndmask_b32_e64 v7, 0, 1, s[6:7]
	s_and_b64 s[6:7], s[26:27], s[46:47]
	v_cndmask_b32_e64 v8, 0, 1, s[6:7]
	s_and_b64 s[6:7], s[30:31], s[54:55]
	v_cndmask_b32_e64 v9, 0, 1, s[6:7]
	v_cmp_ne_u32_e64 s[6:7], 0, v6
	v_cmp_ne_u32_e64 s[38:39], 0, v7
	v_cmp_ne_u32_e64 s[42:43], 0, v8
	v_cmp_ne_u32_e64 s[46:47], 0, v9
	s_bcnt1_i32_b64 s6, s[6:7]
	s_bcnt1_i32_b64 s7, s[38:39]
	s_bcnt1_i32_b64 s38, s[42:43]
	s_bcnt1_i32_b64 s39, s[46:47]
	s_add_u32 s6, s6, s12
	s_addc_u32 s12, 0, s13
	s_add_u32 s6, s6, s7
	s_addc_u32 s7, s12, 0
	s_add_u32 s6, s6, s38
	s_addc_u32 s7, s7, 0
	s_add_u32 s12, s6, s39
	s_addc_u32 s13, s7, 0
	s_and_b64 s[6:7], s[18:19], s[40:41]
	v_cndmask_b32_e64 v8, 0, 1, s[6:7]
	s_and_b64 s[6:7], s[20:21], s[44:45]
	v_cndmask_b32_e64 v9, 0, 1, s[6:7]
	s_and_b64 s[6:7], s[26:27], s[48:49]
	v_cndmask_b32_e64 v10, 0, 1, s[6:7]
	s_and_b64 s[6:7], s[30:31], s[56:57]
	v_cndmask_b32_e64 v11, 0, 1, s[6:7]
	v_cmp_ne_u32_e64 s[6:7], 0, v8
	v_cmp_ne_u32_e64 s[38:39], 0, v9
	v_cmp_ne_u32_e64 s[40:41], 0, v10
	v_cmp_ne_u32_e64 s[42:43], 0, v11
	s_bcnt1_i32_b64 s6, s[6:7]
	s_bcnt1_i32_b64 s7, s[38:39]
	s_bcnt1_i32_b64 s38, s[40:41]
	;; [unrolled: 24-line block ×3, first 2 shown]
	s_bcnt1_i32_b64 s19, s[22:23]
	s_add_u32 s6, s6, s76
	s_addc_u32 s20, 0, s77
	s_add_u32 s6, s6, s7
	s_addc_u32 s7, s20, 0
	;; [unrolled: 2-line block ×3, first 2 shown]
	s_add_u32 s76, s6, s19
	v_mov_b32_e32 v4, s4
	v_mov_b32_e32 v6, s12
	;; [unrolled: 1-line block ×3, first 2 shown]
	s_addc_u32 s77, s7, 0
	v_mov_b32_e32 v10, s76
	v_mov_b32_e32 v5, s5
	v_mov_b32_e32 v7, s13
	v_mov_b32_e32 v9, s95
	s_or_b64 s[10:11], vcc, s[10:11]
	v_mov_b32_e32 v11, s77
	s_andn2_b64 exec, exec, s[10:11]
	s_cbranch_execnz .LBB171_50
; %bb.51:                               ;   in Loop: Header=BB171_12 Depth=1
	s_or_b64 exec, exec, s[10:11]
	v_readlane_b32 s94, v50, 53
	v_readlane_b32 s95, v50, 54
	s_mov_b32 s77, s79
	v_readlane_b32 s15, v50, 55
	v_readlane_b32 s76, v50, 56
.LBB171_52:                             ;   in Loop: Header=BB171_12 Depth=1
	s_or_b64 exec, exec, s[8:9]
	v_mov_b32_e32 v22, s59
	v_add_co_u32_e32 v21, vcc, s58, v0
	v_addc_co_u32_e32 v22, vcc, 0, v22, vcc
	v_cmp_gt_u64_e32 vcc, s[64:65], v[21:22]
	s_and_saveexec_b64 s[4:5], vcc
	s_cbranch_execz .LBB171_58
; %bb.53:                               ;   in Loop: Header=BB171_12 Depth=1
	v_mul_lo_u32 v39, v22, s62
	v_mul_lo_u32 v40, v21, s63
	v_mad_u64_u32 v[37:38], s[6:7], v21, s62, 0
	s_mov_b64 s[8:9], 0
	v_add3_u32 v38, v38, v40, v39
	v_lshlrev_b64 v[37:38], 1, v[37:38]
	v_mov_b32_e32 v39, s86
	v_add_co_u32_e32 v37, vcc, s33, v37
	v_addc_co_u32_e32 v38, vcc, v39, v38, vcc
	global_load_ushort v38, v[37:38], off
	s_branch .LBB171_55
.LBB171_54:                             ;   in Loop: Header=BB171_55 Depth=2
	s_or_b64 exec, exec, s[10:11]
	s_waitcnt vmcnt(0)
	v_add_u32_sdwa v38, sext(v38), s85 dst_sel:DWORD dst_unused:UNUSED_PAD src0_sel:WORD_0 src1_sel:DWORD
	s_and_b64 s[6:7], exec, vcc
	v_and_b32_e32 v39, v38, v35
	v_bfe_u32 v38, v38, s0, 2
	s_or_b64 s[8:9], s[6:7], s[8:9]
	v_cmp_eq_u32_e32 vcc, v39, v30
	v_cmp_eq_u32_e64 s[6:7], 0, v38
	s_and_b64 s[6:7], vcc, s[6:7]
	v_cndmask_b32_e64 v39, 0, 1, s[6:7]
	v_cmp_ne_u32_e64 s[6:7], 0, v39
	s_bcnt1_i32_b64 s1, s[6:7]
	v_add_co_u32_e64 v4, s[6:7], s1, v4
	v_addc_co_u32_e64 v5, s[6:7], 0, v5, s[6:7]
	v_cmp_eq_u32_e64 s[6:7], 1, v38
	s_and_b64 s[6:7], vcc, s[6:7]
	v_cndmask_b32_e64 v39, 0, 1, s[6:7]
	v_cmp_ne_u32_e64 s[6:7], 0, v39
	s_bcnt1_i32_b64 s1, s[6:7]
	v_add_co_u32_e64 v6, s[6:7], s1, v6
	v_addc_co_u32_e64 v7, s[6:7], 0, v7, s[6:7]
	;; [unrolled: 7-line block ×3, first 2 shown]
	v_cmp_eq_u32_e64 s[6:7], 3, v38
	s_and_b64 s[6:7], vcc, s[6:7]
	v_cndmask_b32_e64 v38, 0, 1, s[6:7]
	v_cmp_ne_u32_e32 vcc, 0, v38
	s_bcnt1_i32_b64 s1, vcc
	v_add_co_u32_e32 v10, vcc, s1, v10
	v_addc_co_u32_e32 v11, vcc, 0, v11, vcc
	v_mov_b32_e32 v38, v37
	s_andn2_b64 exec, exec, s[8:9]
	s_cbranch_execz .LBB171_57
.LBB171_55:                             ;   Parent Loop BB171_12 Depth=1
                                        ; =>  This Inner Loop Header: Depth=2
	v_add_co_u32_sdwa v21, vcc, v21, v2 dst_sel:DWORD dst_unused:UNUSED_PAD src0_sel:DWORD src1_sel:WORD_0
	v_addc_co_u32_e32 v22, vcc, 0, v22, vcc
	v_cmp_gt_u64_e64 s[6:7], s[64:65], v[21:22]
	v_cmp_le_u64_e32 vcc, s[64:65], v[21:22]
	v_mov_b32_e32 v37, 0
	s_and_saveexec_b64 s[10:11], s[6:7]
	s_cbranch_execz .LBB171_54
; %bb.56:                               ;   in Loop: Header=BB171_55 Depth=2
	v_mul_lo_u32 v37, v22, s62
	v_mul_lo_u32 v41, v21, s63
	v_mad_u64_u32 v[39:40], s[6:7], v21, s62, 0
	v_add3_u32 v40, v40, v41, v37
	v_lshlrev_b64 v[39:40], 1, v[39:40]
	v_mov_b32_e32 v37, s86
	v_add_co_u32_e64 v39, s[6:7], s33, v39
	v_addc_co_u32_e64 v40, s[6:7], v37, v40, s[6:7]
	global_load_ushort v37, v[39:40], off
	s_branch .LBB171_54
.LBB171_57:                             ;   in Loop: Header=BB171_12 Depth=1
	s_or_b64 exec, exec, s[8:9]
.LBB171_58:                             ;   in Loop: Header=BB171_12 Depth=1
	s_or_b64 exec, exec, s[4:5]
	s_mov_b64 s[4:5], 0
.LBB171_59:                             ;   in Loop: Header=BB171_12 Depth=1
	s_and_b64 vcc, exec, s[4:5]
	s_cbranch_vccz .LBB171_69
; %bb.60:                               ;   in Loop: Header=BB171_12 Depth=1
	v_readlane_b32 s4, v50, 35
	v_readlane_b32 s5, v50, 36
	v_mov_b32_e32 v8, 0
	v_mov_b32_e32 v9, 0
	s_nop 2
	global_load_ushort v2, v3, s[4:5]
	s_waitcnt vmcnt(0)
	v_readfirstlane_b32 s1, v2
	s_and_b32 s1, 0xffff, s1
	s_lshl_b32 s71, s1, 2
	v_cvt_f32_u32_e32 v4, s71
	s_sub_i32 s4, 0, s71
	v_rcp_iflag_f32_e32 v6, v4
	v_mov_b32_e32 v4, 0
	v_mov_b32_e32 v5, 0
	v_mul_f32_e32 v6, 0x4f7ffffe, v6
	v_cvt_u32_f32_e32 v10, v6
	v_mov_b32_e32 v6, 0
	v_mov_b32_e32 v7, 0
	v_readfirstlane_b32 s5, v10
	s_mul_i32 s4, s4, s5
	s_mul_hi_u32 s4, s5, s4
	s_add_i32 s5, s5, s4
	s_mul_hi_u32 s4, s70, s5
	s_mul_i32 s5, s4, s71
	s_sub_i32 s5, s70, s5
	s_add_i32 s6, s4, 1
	s_sub_i32 s7, s5, s71
	s_cmp_ge_u32 s5, s71
	s_cselect_b32 s4, s6, s4
	s_cselect_b32 s5, s7, s5
	s_add_i32 s6, s4, 1
	s_cmp_ge_u32 s5, s71
	s_cselect_b32 s4, s6, s4
	s_mul_hi_u32 s9, s1, s4
	s_mul_i32 s8, s1, s4
	s_lshl_b64 s[4:5], s[8:9], 2
	v_cmp_gt_u64_e32 vcc, s[4:5], v[14:15]
	v_mov_b32_e32 v10, 0
	v_mov_b32_e32 v11, 0
	s_and_saveexec_b64 s[10:11], vcc
	s_cbranch_execz .LBB171_64
; %bb.61:                               ;   in Loop: Header=BB171_12 Depth=1
	v_mov_b32_e32 v22, v15
	s_mov_b32 s15, s77
	s_mov_b64 s[78:79], s[92:93]
	s_lshl_b32 s9, s1, 3
	s_mov_b64 s[12:13], 0
	v_mov_b32_e32 v37, v31
	s_mov_b64 s[76:77], 0
	s_mov_b64 s[94:95], 0
	;; [unrolled: 1-line block ×4, first 2 shown]
	v_mov_b32_e32 v21, v14
.LBB171_62:                             ;   Parent Loop BB171_12 Depth=1
                                        ; =>  This Inner Loop Header: Depth=2
	ds_read_b64 v[4:5], v37
	v_add_co_u32_e32 v21, vcc, s71, v21
	v_addc_co_u32_e32 v22, vcc, 0, v22, vcc
	s_waitcnt lgkmcnt(0)
	v_add_u32_sdwa v6, sext(v4), s85 dst_sel:DWORD dst_unused:UNUSED_PAD src0_sel:WORD_0 src1_sel:DWORD
	v_add_u32_sdwa v4, sext(v4), s85 dst_sel:DWORD dst_unused:UNUSED_PAD src0_sel:WORD_1 src1_sel:DWORD
	v_and_b32_e32 v8, v6, v35
	v_bfe_u32 v6, v6, s0, 2
	v_add_u32_sdwa v7, sext(v5), s85 dst_sel:DWORD dst_unused:UNUSED_PAD src0_sel:WORD_0 src1_sel:DWORD
	v_and_b32_e32 v9, v4, v35
	v_bfe_u32 v4, v4, s0, 2
	v_cmp_eq_u32_e64 s[24:25], v8, v30
	v_cmp_eq_u32_e64 s[6:7], 0, v6
	v_add_u32_sdwa v5, sext(v5), s85 dst_sel:DWORD dst_unused:UNUSED_PAD src0_sel:WORD_1 src1_sel:DWORD
	v_and_b32_e32 v10, v7, v35
	v_bfe_u32 v7, v7, s0, 2
	v_cmp_eq_u32_e64 s[22:23], v9, v30
	v_cmp_eq_u32_e64 s[38:39], 0, v4
	s_and_b64 s[6:7], s[24:25], s[6:7]
	v_and_b32_e32 v11, v5, v35
	v_bfe_u32 v5, v5, s0, 2
	v_cmp_eq_u32_e64 s[20:21], v10, v30
	v_cmp_eq_u32_e64 s[40:41], 0, v7
	;; [unrolled: 1-line block ×5, first 2 shown]
	v_cndmask_b32_e64 v4, 0, 1, s[6:7]
	s_and_b64 s[6:7], s[22:23], s[38:39]
	v_cmp_eq_u32_e64 s[18:19], v11, v30
	v_cmp_eq_u32_e64 s[42:43], 0, v5
	v_cmp_eq_u32_e64 s[50:51], 1, v5
	v_cmp_eq_u32_e64 s[58:59], 2, v5
	v_cmp_eq_u32_e64 s[26:27], 3, v5
	v_cndmask_b32_e64 v5, 0, 1, s[6:7]
	s_and_b64 s[6:7], s[20:21], s[40:41]
	v_cmp_eq_u32_e64 s[44:45], 1, v6
	v_cmp_eq_u32_e64 s[52:53], 2, v6
	;; [unrolled: 1-line block ×3, first 2 shown]
	v_cndmask_b32_e64 v6, 0, 1, s[6:7]
	s_and_b64 s[6:7], s[18:19], s[42:43]
	v_cmp_eq_u32_e64 s[48:49], 1, v7
	v_cmp_eq_u32_e64 s[56:57], 2, v7
	;; [unrolled: 1-line block ×3, first 2 shown]
	v_cndmask_b32_e64 v7, 0, 1, s[6:7]
	v_cmp_ne_u32_e64 s[6:7], 0, v4
	v_cmp_ne_u32_e64 s[38:39], 0, v5
	v_cmp_ne_u32_e64 s[40:41], 0, v6
	v_cmp_ne_u32_e64 s[42:43], 0, v7
	s_bcnt1_i32_b64 s6, s[6:7]
	s_bcnt1_i32_b64 s7, s[38:39]
	s_bcnt1_i32_b64 s38, s[40:41]
	s_bcnt1_i32_b64 s39, s[42:43]
	s_add_u32 s6, s6, s92
	s_addc_u32 s40, 0, s93
	s_add_u32 s6, s6, s7
	s_addc_u32 s7, s40, 0
	s_add_u32 s6, s6, s38
	s_addc_u32 s7, s7, 0
	s_add_u32 s92, s6, s39
	s_addc_u32 s93, s7, 0
	s_and_b64 s[6:7], s[24:25], s[44:45]
	v_cndmask_b32_e64 v6, 0, 1, s[6:7]
	s_and_b64 s[6:7], s[22:23], s[46:47]
	v_cndmask_b32_e64 v7, 0, 1, s[6:7]
	s_and_b64 s[6:7], s[20:21], s[48:49]
	v_cndmask_b32_e64 v8, 0, 1, s[6:7]
	s_and_b64 s[6:7], s[18:19], s[50:51]
	v_cndmask_b32_e64 v9, 0, 1, s[6:7]
	v_cmp_ne_u32_e64 s[6:7], 0, v6
	v_cmp_ne_u32_e64 s[38:39], 0, v7
	v_cmp_ne_u32_e64 s[40:41], 0, v8
	v_cmp_ne_u32_e64 s[42:43], 0, v9
	s_bcnt1_i32_b64 s6, s[6:7]
	s_bcnt1_i32_b64 s7, s[38:39]
	s_bcnt1_i32_b64 s38, s[40:41]
	s_bcnt1_i32_b64 s39, s[42:43]
	s_add_u32 s6, s6, s90
	s_addc_u32 s40, 0, s91
	s_add_u32 s6, s6, s7
	s_addc_u32 s7, s40, 0
	s_add_u32 s6, s6, s38
	s_addc_u32 s7, s7, 0
	s_add_u32 s90, s6, s39
	s_addc_u32 s91, s7, 0
	s_and_b64 s[6:7], s[24:25], s[52:53]
	v_cndmask_b32_e64 v8, 0, 1, s[6:7]
	s_and_b64 s[6:7], s[22:23], s[54:55]
	v_cndmask_b32_e64 v9, 0, 1, s[6:7]
	s_and_b64 s[6:7], s[20:21], s[56:57]
	v_cndmask_b32_e64 v10, 0, 1, s[6:7]
	s_and_b64 s[6:7], s[18:19], s[58:59]
	;; [unrolled: 24-line block ×3, first 2 shown]
	v_cndmask_b32_e64 v39, 0, 1, s[6:7]
	v_cmp_ne_u32_e64 s[6:7], 0, v10
	v_cmp_ne_u32_e64 s[18:19], 0, v11
	;; [unrolled: 1-line block ×4, first 2 shown]
	s_bcnt1_i32_b64 s6, s[6:7]
	s_bcnt1_i32_b64 s7, s[18:19]
	;; [unrolled: 1-line block ×4, first 2 shown]
	s_add_u32 s6, s6, s76
	s_addc_u32 s20, 0, s77
	s_add_u32 s6, s6, s7
	s_addc_u32 s7, s20, 0
	;; [unrolled: 2-line block ×3, first 2 shown]
	v_cmp_le_u64_e32 vcc, s[4:5], v[21:22]
	s_add_u32 s76, s6, s19
	v_mov_b32_e32 v4, s92
	v_mov_b32_e32 v6, s90
	;; [unrolled: 1-line block ×3, first 2 shown]
	s_addc_u32 s77, s7, 0
	v_mov_b32_e32 v10, s76
	v_add_u32_e32 v37, s9, v37
	v_mov_b32_e32 v5, s93
	v_mov_b32_e32 v7, s91
	;; [unrolled: 1-line block ×3, first 2 shown]
	s_or_b64 s[12:13], vcc, s[12:13]
	v_mov_b32_e32 v11, s77
	s_andn2_b64 exec, exec, s[12:13]
	s_cbranch_execnz .LBB171_62
; %bb.63:                               ;   in Loop: Header=BB171_12 Depth=1
	s_or_b64 exec, exec, s[12:13]
	v_readlane_b32 s94, v50, 53
	s_mov_b64 s[92:93], s[78:79]
	v_readlane_b32 s95, v50, 54
	s_mov_b32 s77, s15
	v_readlane_b32 s15, v50, 55
	v_readlane_b32 s76, v50, 56
.LBB171_64:                             ;   in Loop: Header=BB171_12 Depth=1
	s_or_b64 exec, exec, s[10:11]
	v_mov_b32_e32 v22, s5
	v_add_co_u32_e32 v21, vcc, s4, v0
	s_and_b32 s88, s70, 0x7fffffff
	v_addc_co_u32_e32 v22, vcc, 0, v22, vcc
	v_cmp_gt_u64_e32 vcc, s[88:89], v[21:22]
	s_and_saveexec_b64 s[4:5], vcc
	s_cbranch_execz .LBB171_68
; %bb.65:                               ;   in Loop: Header=BB171_12 Depth=1
	v_lshl_add_u32 v37, s8, 3, v27
	s_lshl_b32 s1, s1, 1
	s_mov_b64 s[8:9], 0
.LBB171_66:                             ;   Parent Loop BB171_12 Depth=1
                                        ; =>  This Inner Loop Header: Depth=2
	ds_read_i16 v38, v37
	v_add_co_u32_sdwa v21, vcc, v21, v2 dst_sel:DWORD dst_unused:UNUSED_PAD src0_sel:DWORD src1_sel:WORD_0
	v_addc_co_u32_e32 v22, vcc, 0, v22, vcc
	s_waitcnt lgkmcnt(0)
	v_add_u32_e32 v38, 0x8000, v38
	v_and_b32_e32 v39, v38, v35
	v_bfe_u32 v38, v38, s0, 2
	v_cmp_eq_u32_e64 s[6:7], v39, v30
	v_cmp_eq_u32_e64 s[18:19], 0, v38
	;; [unrolled: 1-line block ×3, first 2 shown]
	s_and_b64 s[10:11], s[6:7], s[18:19]
	v_cmp_eq_u32_e64 s[22:23], 2, v38
	v_cmp_eq_u32_e64 s[24:25], 3, v38
	v_cndmask_b32_e64 v38, 0, 1, s[10:11]
	s_and_b64 s[10:11], s[6:7], s[20:21]
	v_cndmask_b32_e64 v39, 0, 1, s[10:11]
	s_and_b64 s[10:11], s[6:7], s[22:23]
	s_and_b64 s[6:7], s[6:7], s[24:25]
	v_cndmask_b32_e64 v40, 0, 1, s[10:11]
	v_cndmask_b32_e64 v41, 0, 1, s[6:7]
	v_cmp_le_u64_e32 vcc, s[88:89], v[21:22]
	v_cmp_ne_u32_e64 s[6:7], 0, v38
	v_cmp_ne_u32_e64 s[18:19], 0, v39
	;; [unrolled: 1-line block ×4, first 2 shown]
	s_bcnt1_i32_b64 s6, s[6:7]
	s_bcnt1_i32_b64 s7, s[18:19]
	;; [unrolled: 1-line block ×4, first 2 shown]
	s_or_b64 s[8:9], vcc, s[8:9]
	v_add_co_u32_e32 v4, vcc, s6, v4
	v_addc_co_u32_e32 v5, vcc, 0, v5, vcc
	v_add_co_u32_e32 v6, vcc, s7, v6
	v_addc_co_u32_e32 v7, vcc, 0, v7, vcc
	;; [unrolled: 2-line block ×3, first 2 shown]
	v_add_co_u32_e32 v10, vcc, s11, v10
	v_add_u32_e32 v37, s1, v37
	v_addc_co_u32_e32 v11, vcc, 0, v11, vcc
	s_andn2_b64 exec, exec, s[8:9]
	s_cbranch_execnz .LBB171_66
; %bb.67:                               ;   in Loop: Header=BB171_12 Depth=1
	s_or_b64 exec, exec, s[8:9]
.LBB171_68:                             ;   in Loop: Header=BB171_12 Depth=1
	s_or_b64 exec, exec, s[4:5]
.LBB171_69:                             ;   in Loop: Header=BB171_12 Depth=1
	v_readlane_b32 s1, v50, 52
	s_lshl_b32 s1, s1, 6
	s_and_saveexec_b64 s[4:5], s[92:93]
	s_cbranch_execz .LBB171_71
; %bb.70:                               ;   in Loop: Header=BB171_12 Depth=1
	v_lshl_add_u32 v2, s1, 3, v29
	ds_write_b128 v2, v[4:7]
	ds_write_b128 v2, v[8:11] offset:16
.LBB171_71:                             ;   in Loop: Header=BB171_12 Depth=1
	s_or_b64 exec, exec, s[4:5]
	s_waitcnt lgkmcnt(0)
	s_barrier
	s_mov_b64 s[4:5], exec
	v_readlane_b32 s6, v50, 22
	v_readlane_b32 s7, v50, 23
	s_and_b64 s[6:7], s[4:5], s[6:7]
	s_mov_b64 exec, s[6:7]
	s_cbranch_execz .LBB171_83
; %bb.72:                               ;   in Loop: Header=BB171_12 Depth=1
	v_readlane_b32 s6, v50, 30
	v_mov_b32_e32 v4, 0
	v_readlane_b32 s7, v50, 31
	v_mov_b32_e32 v5, 0
	s_andn2_b64 vcc, exec, s[6:7]
	s_cbranch_vccnz .LBB171_82
; %bb.73:                               ;   in Loop: Header=BB171_12 Depth=1
	v_readlane_b32 s6, v50, 41
	v_readlane_b32 s7, v50, 42
	s_andn2_b64 vcc, exec, s[6:7]
	s_cbranch_vccnz .LBB171_78
; %bb.74:                               ;   in Loop: Header=BB171_12 Depth=1
	v_readlane_b32 s6, v50, 52
	v_mov_b32_e32 v4, 0
	v_lshl_add_u32 v2, s6, 9, v32
	v_mov_b32_e32 v5, 0
	s_mov_b32 s6, 0
.LBB171_75:                             ;   Parent Loop BB171_12 Depth=1
                                        ; =>  This Inner Loop Header: Depth=2
	ds_read2_b64 v[6:9], v2 offset1:4
	ds_read2_b64 v[37:40], v2 offset0:8 offset1:12
	ds_read2_b64 v[41:44], v2 offset0:16 offset1:20
	;; [unrolled: 1-line block ×3, first 2 shown]
	s_add_i32 s6, s6, 8
	s_waitcnt lgkmcnt(3)
	v_add_co_u32_e32 v4, vcc, v6, v4
	v_addc_co_u32_e32 v5, vcc, v7, v5, vcc
	v_add_co_u32_e32 v4, vcc, v8, v4
	v_addc_co_u32_e32 v5, vcc, v9, v5, vcc
	s_waitcnt lgkmcnt(2)
	v_add_co_u32_e32 v4, vcc, v37, v4
	v_addc_co_u32_e32 v5, vcc, v38, v5, vcc
	v_add_co_u32_e32 v4, vcc, v39, v4
	v_addc_co_u32_e32 v5, vcc, v40, v5, vcc
	;; [unrolled: 5-line block ×3, first 2 shown]
	s_waitcnt lgkmcnt(0)
	v_add_co_u32_e32 v4, vcc, v45, v4
	v_addc_co_u32_e32 v5, vcc, v46, v5, vcc
	v_add_co_u32_e32 v4, vcc, v47, v4
	v_add_u32_e32 v2, 0x100, v2
	s_cmp_eq_u32 s84, s6
	v_addc_co_u32_e32 v5, vcc, v48, v5, vcc
	s_cbranch_scc0 .LBB171_75
; %bb.76:                               ;   in Loop: Header=BB171_12 Depth=1
	s_mov_b32 s6, s84
	s_branch .LBB171_79
.LBB171_77:                             ;   in Loop: Header=BB171_12 Depth=1
                                        ; implicit-def: $sgpr4_sgpr5
	s_branch .LBB171_47
.LBB171_78:                             ;   in Loop: Header=BB171_12 Depth=1
	v_mov_b32_e32 v4, 0
	v_mov_b32_e32 v5, 0
	s_mov_b32 s6, 0
.LBB171_79:                             ;   in Loop: Header=BB171_12 Depth=1
	v_readlane_b32 s8, v50, 44
	v_readlane_b32 s9, v50, 45
	s_andn2_b64 vcc, exec, s[8:9]
	s_cbranch_vccnz .LBB171_82
; %bb.80:                               ;   in Loop: Header=BB171_12 Depth=1
	v_readlane_b32 s7, v50, 52
	s_lshl_b32 s7, s7, 9
	s_lshl_b32 s6, s6, 5
	s_add_i32 s7, s7, s6
	v_add_u32_e32 v2, s7, v32
	v_readlane_b32 s6, v50, 43
.LBB171_81:                             ;   Parent Loop BB171_12 Depth=1
                                        ; =>  This Inner Loop Header: Depth=2
	ds_read_b64 v[6:7], v2
	s_add_i32 s6, s6, -1
	v_add_u32_e32 v2, 32, v2
	s_cmp_lg_u32 s6, 0
	s_waitcnt lgkmcnt(0)
	v_add_co_u32_e32 v4, vcc, v6, v4
	v_addc_co_u32_e32 v5, vcc, v7, v5, vcc
	s_cbranch_scc1 .LBB171_81
.LBB171_82:                             ;   in Loop: Header=BB171_12 Depth=1
	v_add_lshl_u32 v2, s1, v26, 3
	ds_write_b64 v2, v[4:5] offset:3072
.LBB171_83:                             ;   in Loop: Header=BB171_12 Depth=1
	s_or_b64 exec, exec, s[4:5]
	s_lshl_b32 s1, s1, 3
	v_mov_b32_e32 v2, s1
	s_waitcnt lgkmcnt(0)
	s_barrier
	ds_read_b128 v[4:7], v2 offset:3072
	ds_read_b128 v[8:11], v2 offset:3088
	s_lshl_b32 s1, 3, s0
	v_cmp_eq_u64_e64 s[18:19], 1, v[19:20]
	s_not_b32 s88, s1
	s_waitcnt lgkmcnt(1)
	v_readfirstlane_b32 s21, v5
	v_readfirstlane_b32 s20, v4
	;; [unrolled: 1-line block ×4, first 2 shown]
	s_waitcnt lgkmcnt(0)
	v_readfirstlane_b32 s27, v9
	v_readfirstlane_b32 s26, v8
	;; [unrolled: 1-line block ×4, first 2 shown]
	s_mov_b64 s[42:43], -1
	s_mov_b64 s[22:23], 0
	s_andn2_b64 vcc, exec, s[94:95]
	s_mov_b64 s[34:35], 0
	s_mov_b64 s[30:31], 0
                                        ; implicit-def: $sgpr38_sgpr39
                                        ; implicit-def: $sgpr40_sgpr41
                                        ; implicit-def: $vgpr4_vgpr5
                                        ; implicit-def: $vgpr2
                                        ; implicit-def: $vgpr9
                                        ; implicit-def: $vgpr8
                                        ; implicit-def: $vgpr10
	s_cbranch_vccnz .LBB171_281
; %bb.84:                               ;   in Loop: Header=BB171_12 Depth=1
	s_cmp_eq_u64 s[20:21], 1
	s_cselect_b64 s[4:5], -1, 0
	s_and_b64 s[6:7], s[4:5], s[18:19]
	s_mov_b64 s[4:5], -1
	v_mov_b32_e32 v9, v30
	v_mov_b32_e32 v8, v35
	;; [unrolled: 1-line block ×3, first 2 shown]
                                        ; implicit-def: $sgpr40_sgpr41
                                        ; implicit-def: $sgpr38_sgpr39
	s_and_saveexec_b64 s[30:31], s[6:7]
	s_cbranch_execz .LBB171_122
; %bb.85:                               ;   in Loop: Header=BB171_12 Depth=1
	ds_read_b64 v[4:5], v3 offset:5120
	s_waitcnt lgkmcnt(0)
	s_barrier
	v_readfirstlane_b32 s8, v4
	v_readfirstlane_b32 s9, v5
	s_mov_b64 s[4:5], exec
	v_readlane_b32 s10, v50, 28
	v_readlane_b32 s11, v50, 29
	s_and_b64 s[10:11], s[4:5], s[10:11]
	s_mov_b64 exec, s[10:11]
; %bb.86:                               ;   in Loop: Header=BB171_12 Depth=1
	ds_write_b16 v28, v3
; %bb.87:                               ;   in Loop: Header=BB171_12 Depth=1
	s_or_b64 exec, exec, s[4:5]
	v_and_b32_e32 v9, s88, v30
	v_or_b32_e32 v8, s1, v35
	s_mov_b64 s[38:39], -1
	s_mov_b64 s[40:41], 0
	s_cmp_eq_u64 s[8:9], 0
	s_mov_b64 s[4:5], 0
	s_mov_b64 s[10:11], -1
	s_waitcnt lgkmcnt(0)
	s_barrier
                                        ; implicit-def: $vgpr10
	s_cbranch_scc1 .LBB171_104
; %bb.88:                               ;   in Loop: Header=BB171_12 Depth=1
	v_readlane_b32 s4, v50, 32
	s_add_u32 s34, s8, s4
	v_readlane_b32 s4, v50, 34
	s_addc_u32 s5, s9, s4
	s_mov_b32 s4, s89
	s_cmp_lg_u64 s[4:5], 0
	s_cbranch_scc0 .LBB171_107
; %bb.89:                               ;   in Loop: Header=BB171_12 Depth=1
	v_cvt_f32_u32_e32 v2, s87
	s_sub_u32 s4, 0, s87
	s_subb_u32 s12, 0, 0
	v_mac_f32_e32 v2, 0, v33
	v_rcp_f32_e32 v2, v2
	v_mul_f32_e32 v2, 0x5f7ffffc, v2
	v_mul_f32_e32 v4, 0x2f800000, v2
	v_trunc_f32_e32 v4, v4
	v_mac_f32_e32 v2, 0xcf800000, v4
	v_cvt_u32_f32_e32 v4, v4
	v_cvt_u32_f32_e32 v2, v2
	v_readfirstlane_b32 s13, v4
	v_readfirstlane_b32 s10, v2
	s_mul_i32 s11, s4, s13
	s_mul_hi_u32 s42, s4, s10
	s_mul_i32 s35, s12, s10
	s_add_i32 s11, s42, s11
	s_mul_i32 s43, s4, s10
	s_add_i32 s11, s11, s35
	s_mul_hi_u32 s42, s10, s43
	s_mul_i32 s44, s10, s11
	s_mul_hi_u32 s35, s10, s11
	s_add_u32 s42, s42, s44
	s_addc_u32 s35, 0, s35
	s_mul_hi_u32 s45, s13, s43
	s_mul_i32 s43, s13, s43
	s_add_u32 s42, s42, s43
	s_mul_hi_u32 s44, s13, s11
	s_addc_u32 s35, s35, s45
	s_addc_u32 s42, s44, 0
	s_mul_i32 s11, s13, s11
	s_add_u32 s11, s35, s11
	s_addc_u32 s35, 0, s42
	s_add_u32 s42, s10, s11
	s_cselect_b64 s[10:11], -1, 0
	s_cmp_lg_u64 s[10:11], 0
	s_addc_u32 s13, s13, s35
	s_mul_i32 s10, s4, s13
	s_mul_hi_u32 s11, s4, s42
	s_add_i32 s10, s11, s10
	s_mul_i32 s12, s12, s42
	s_add_i32 s10, s10, s12
	s_mul_i32 s4, s4, s42
	s_mul_hi_u32 s12, s13, s4
	s_mul_i32 s35, s13, s4
	s_mul_i32 s44, s42, s10
	s_mul_hi_u32 s4, s42, s4
	s_mul_hi_u32 s43, s42, s10
	s_add_u32 s4, s4, s44
	s_addc_u32 s43, 0, s43
	s_add_u32 s4, s4, s35
	s_mul_hi_u32 s11, s13, s10
	s_addc_u32 s4, s43, s12
	s_addc_u32 s11, s11, 0
	s_mul_i32 s10, s13, s10
	s_add_u32 s4, s4, s10
	s_addc_u32 s12, 0, s11
	s_add_u32 s4, s42, s4
	s_cselect_b64 s[10:11], -1, 0
	s_cmp_lg_u64 s[10:11], 0
	s_addc_u32 s10, s13, s12
	s_mul_i32 s12, s34, s10
	s_mul_hi_u32 s13, s34, s4
	s_mul_hi_u32 s11, s34, s10
	s_add_u32 s12, s13, s12
	s_addc_u32 s11, 0, s11
	s_mul_hi_u32 s35, s5, s4
	s_mul_i32 s4, s5, s4
	s_add_u32 s4, s12, s4
	s_mul_hi_u32 s13, s5, s10
	s_addc_u32 s4, s11, s35
	s_addc_u32 s11, s13, 0
	s_mul_i32 s10, s5, s10
	s_add_u32 s4, s4, s10
	s_addc_u32 s10, 0, s11
	s_mul_i32 s10, s87, s10
	s_mul_hi_u32 s11, s87, s4
	s_add_i32 s12, s11, s10
	s_mul_i32 s4, s87, s4
	s_sub_u32 s4, s34, s4
	s_cselect_b64 s[10:11], -1, 0
	s_cmp_lg_u64 s[10:11], 0
	s_subb_u32 s12, s5, s12
	s_sub_u32 s13, s4, s87
	s_cselect_b64 s[10:11], -1, 0
	s_cmp_lg_u64 s[10:11], 0
	s_subb_u32 s35, s12, 0
	s_sub_u32 s42, s13, s87
	s_cselect_b64 s[10:11], -1, 0
	s_cmp_lg_u64 s[10:11], 0
	s_subb_u32 s10, s35, 0
	s_cmp_ge_u32 s13, s87
	s_cselect_b32 s11, -1, 0
	s_cmp_eq_u32 s35, 0
	s_cselect_b32 s11, s11, -1
	s_cmp_lg_u32 s11, 0
	s_cselect_b32 s10, s10, s35
	s_cselect_b32 s13, s42, s13
	s_cmp_ge_u32 s4, s87
	s_cselect_b32 s11, -1, 0
	s_cmp_eq_u32 s12, 0
	s_cselect_b32 s11, s11, -1
	s_cmp_lg_u32 s11, 0
	s_cselect_b32 s11, s10, s12
	s_cselect_b32 s10, s13, s4
	s_cbranch_execnz .LBB171_91
.LBB171_90:                             ;   in Loop: Header=BB171_12 Depth=1
	v_cvt_f32_u32_e32 v2, s87
	s_sub_i32 s4, 0, s87
	s_mov_b32 s12, s88
	v_rcp_iflag_f32_e32 v2, v2
	v_mul_f32_e32 v2, 0x4f7ffffe, v2
	v_cvt_u32_f32_e32 v2, v2
	v_readfirstlane_b32 s10, v2
	s_mul_i32 s4, s4, s10
	s_mul_hi_u32 s4, s10, s4
	s_add_i32 s10, s10, s4
	s_mul_hi_u32 s4, s34, s10
	s_mul_i32 s4, s4, s87
	s_sub_i32 s4, s34, s4
	s_sub_i32 s10, s4, s87
	s_cmp_ge_u32 s4, s87
	s_cselect_b32 s4, s10, s4
	s_sub_i32 s10, s4, s87
	s_cmp_ge_u32 s4, s87
	s_cselect_b32 s88, s10, s4
	s_mov_b64 s[10:11], s[88:89]
	s_mov_b32 s88, s12
.LBB171_91:                             ;   in Loop: Header=BB171_12 Depth=1
	s_sub_u32 s34, s34, s10
	s_subb_u32 s35, s5, s11
	v_cmp_gt_u64_e32 vcc, s[34:35], v[0:1]
	s_mov_b64 s[10:11], 0
	s_mov_b64 s[4:5], 0
                                        ; implicit-def: $vgpr10
	s_and_saveexec_b64 s[12:13], vcc
	s_cbranch_execz .LBB171_103
; %bb.92:                               ;   in Loop: Header=BB171_12 Depth=1
	v_mov_b32_e32 v5, v1
	v_mov_b32_e32 v2, v27
	;; [unrolled: 1-line block ×3, first 2 shown]
                                        ; implicit-def: $sgpr42_sgpr43
	s_branch .LBB171_95
.LBB171_93:                             ;   in Loop: Header=BB171_95 Depth=2
	s_or_b64 exec, exec, s[44:45]
	s_waitcnt lgkmcnt(0)
	s_barrier
	ds_read_b32 v6, v3 offset:3072
	s_mov_b64 s[44:45], -1
	s_waitcnt lgkmcnt(0)
	s_barrier
	v_cmp_ne_u32_sdwa s[46:47], v6, v3 src0_sel:WORD_0 src1_sel:DWORD
	s_and_b64 vcc, exec, s[46:47]
	s_mov_b64 s[46:47], -1
	s_cbranch_vccz .LBB171_98
.LBB171_94:                             ;   in Loop: Header=BB171_95 Depth=2
	s_and_b64 s[44:45], exec, s[44:45]
	s_or_b64 s[4:5], s[44:45], s[4:5]
	s_andn2_b64 s[42:43], s[42:43], exec
	s_and_b64 s[44:45], s[46:47], exec
	s_or_b64 s[42:43], s[42:43], s[44:45]
	s_andn2_b64 exec, exec, s[4:5]
	s_cbranch_execz .LBB171_102
.LBB171_95:                             ;   Parent Loop BB171_12 Depth=1
                                        ; =>  This Inner Loop Header: Depth=2
	v_cmp_gt_u64_e32 vcc, s[8:9], v[4:5]
	s_and_saveexec_b64 s[44:45], vcc
	s_cbranch_execz .LBB171_93
; %bb.96:                               ;   in Loop: Header=BB171_95 Depth=2
	ds_read_u16 v6, v2
	s_waitcnt lgkmcnt(0)
	v_add_u32_sdwa v7, sext(v6), s85 dst_sel:DWORD dst_unused:UNUSED_PAD src0_sel:WORD_0 src1_sel:DWORD
	v_and_b32_e32 v7, v7, v8
	v_cmp_eq_u32_e32 vcc, v7, v9
	s_and_b64 exec, exec, vcc
	s_cbranch_execz .LBB171_93
; %bb.97:                               ;   in Loop: Header=BB171_95 Depth=2
	v_perm_b32 v6, v6, 1, v34
	ds_write_b32 v3, v6 offset:3072
	s_branch .LBB171_93
.LBB171_98:                             ;   in Loop: Header=BB171_95 Depth=2
	v_add_co_u32_e32 v4, vcc, s87, v4
	v_addc_co_u32_e32 v5, vcc, 0, v5, vcc
	v_cmp_le_u64_e32 vcc, s[34:35], v[4:5]
	v_add_u32_e32 v2, s76, v2
	s_mov_b64 s[46:47], 0
	s_orn2_b64 s[44:45], vcc, exec
	s_branch .LBB171_94
.LBB171_99:                             ;   in Loop: Header=BB171_12 Depth=1
	s_or_b64 exec, exec, s[8:9]
	s_waitcnt lgkmcnt(0)
	s_barrier
	s_mov_b64 s[6:7], exec
	v_readlane_b32 s8, v50, 12
	v_readlane_b32 s9, v50, 13
	s_and_b64 s[8:9], s[6:7], s[8:9]
	s_mov_b64 exec, s[8:9]
	s_cbranch_execz .LBB171_101
; %bb.100:                              ;   in Loop: Header=BB171_12 Depth=1
	ds_read_b32 v4, v3 offset:5144
	s_waitcnt lgkmcnt(0)
	v_ashrrev_i32_e32 v5, 31, v4
	ds_write_b64 v3, v[4:5] offset:5120
.LBB171_101:                            ;   in Loop: Header=BB171_12 Depth=1
	s_or_b64 exec, exec, s[6:7]
	s_waitcnt lgkmcnt(0)
	s_barrier
	s_mov_b64 s[6:7], -1
	s_and_b64 vcc, exec, s[4:5]
	s_cbranch_vccnz .LBB171_27
	s_branch .LBB171_42
.LBB171_102:                            ;   in Loop: Header=BB171_12 Depth=1
	s_or_b64 exec, exec, s[4:5]
	v_lshrrev_b32_e32 v10, 16, v6
	s_and_b64 s[4:5], s[42:43], exec
.LBB171_103:                            ;   in Loop: Header=BB171_12 Depth=1
	s_or_b64 exec, exec, s[12:13]
.LBB171_104:                            ;   in Loop: Header=BB171_12 Depth=1
	s_and_b64 vcc, exec, s[10:11]
	s_cbranch_vccz .LBB171_121
; %bb.105:                              ;   in Loop: Header=BB171_12 Depth=1
	s_mov_b32 s76, s89
	s_cmp_lg_u64 s[76:77], 0
	s_cbranch_scc0 .LBB171_108
; %bb.106:                              ;   in Loop: Header=BB171_12 Depth=1
	v_cvt_f32_u32_e32 v2, s87
	s_sub_u32 s10, 0, s87
	s_subb_u32 s11, 0, 0
	v_mac_f32_e32 v2, 0, v33
	v_rcp_f32_e32 v2, v2
	v_mul_f32_e32 v2, 0x5f7ffffc, v2
	v_mul_f32_e32 v4, 0x2f800000, v2
	v_trunc_f32_e32 v4, v4
	v_mac_f32_e32 v2, 0xcf800000, v4
	v_cvt_u32_f32_e32 v4, v4
	v_cvt_u32_f32_e32 v2, v2
	v_readfirstlane_b32 s12, v4
	v_readfirstlane_b32 s8, v2
	s_mul_i32 s9, s10, s12
	s_mul_hi_u32 s34, s10, s8
	s_mul_i32 s13, s11, s8
	s_add_i32 s9, s34, s9
	s_mul_i32 s35, s10, s8
	s_add_i32 s9, s9, s13
	s_mul_hi_u32 s34, s8, s35
	s_mul_i32 s38, s8, s9
	s_mul_hi_u32 s13, s8, s9
	s_add_u32 s34, s34, s38
	s_addc_u32 s13, 0, s13
	s_mul_hi_u32 s39, s12, s35
	s_mul_i32 s35, s12, s35
	s_add_u32 s34, s34, s35
	s_mul_hi_u32 s38, s12, s9
	s_addc_u32 s13, s13, s39
	s_addc_u32 s34, s38, 0
	s_mul_i32 s9, s12, s9
	s_add_u32 s9, s13, s9
	s_addc_u32 s13, 0, s34
	s_add_u32 s34, s8, s9
	s_cselect_b64 s[8:9], -1, 0
	s_cmp_lg_u64 s[8:9], 0
	s_addc_u32 s12, s12, s13
	s_mul_i32 s8, s10, s12
	s_mul_hi_u32 s9, s10, s34
	s_add_i32 s8, s9, s8
	s_mul_i32 s11, s11, s34
	s_add_i32 s8, s8, s11
	s_mul_i32 s10, s10, s34
	s_mul_hi_u32 s11, s12, s10
	s_mul_i32 s13, s12, s10
	s_mul_i32 s38, s34, s8
	s_mul_hi_u32 s10, s34, s10
	s_mul_hi_u32 s35, s34, s8
	s_add_u32 s10, s10, s38
	s_addc_u32 s35, 0, s35
	s_add_u32 s10, s10, s13
	s_mul_hi_u32 s9, s12, s8
	s_addc_u32 s10, s35, s11
	s_addc_u32 s9, s9, 0
	s_mul_i32 s8, s12, s8
	s_add_u32 s8, s10, s8
	s_addc_u32 s10, 0, s9
	s_add_u32 s11, s34, s8
	s_cselect_b64 s[8:9], -1, 0
	s_cmp_lg_u64 s[8:9], 0
	s_addc_u32 s8, s12, s10
	v_readlane_b32 s34, v50, 33
	s_mul_i32 s10, s34, s8
	s_mul_hi_u32 s12, s34, s11
	s_mul_hi_u32 s9, s34, s8
	s_add_u32 s10, s12, s10
	s_addc_u32 s9, 0, s9
	s_mul_hi_u32 s13, s77, s11
	s_mul_i32 s11, s77, s11
	s_add_u32 s10, s10, s11
	s_mul_hi_u32 s12, s77, s8
	s_addc_u32 s9, s9, s13
	s_addc_u32 s10, s12, 0
	s_mul_i32 s8, s77, s8
	s_add_u32 s8, s9, s8
	s_addc_u32 s9, 0, s10
	s_mul_i32 s9, s87, s9
	s_mul_hi_u32 s10, s87, s8
	s_add_i32 s10, s10, s9
	s_mul_i32 s8, s87, s8
	s_sub_u32 s11, s34, s8
	s_cselect_b64 s[8:9], -1, 0
	s_cmp_lg_u64 s[8:9], 0
	s_subb_u32 s10, s77, s10
	s_sub_u32 s12, s11, s87
	s_cselect_b64 s[8:9], -1, 0
	s_cmp_lg_u64 s[8:9], 0
	s_subb_u32 s13, s10, 0
	;; [unrolled: 4-line block ×3, first 2 shown]
	s_cmp_ge_u32 s12, s87
	s_cselect_b32 s9, -1, 0
	s_cmp_eq_u32 s13, 0
	s_cselect_b32 s9, s9, -1
	s_cmp_lg_u32 s9, 0
	s_cselect_b32 s8, s8, s13
	s_cselect_b32 s12, s34, s12
	s_cmp_ge_u32 s11, s87
	s_cselect_b32 s9, -1, 0
	s_cmp_eq_u32 s10, 0
	s_cselect_b32 s9, s9, -1
	s_cmp_lg_u32 s9, 0
	s_cselect_b32 s9, s8, s10
	s_cselect_b32 s8, s12, s11
	s_mov_b64 s[10:11], 0
	s_branch .LBB171_109
.LBB171_107:                            ;   in Loop: Header=BB171_12 Depth=1
                                        ; implicit-def: $sgpr10_sgpr11
	s_branch .LBB171_90
.LBB171_108:                            ;   in Loop: Header=BB171_12 Depth=1
	s_mov_b64 s[10:11], -1
                                        ; implicit-def: $sgpr8_sgpr9
.LBB171_109:                            ;   in Loop: Header=BB171_12 Depth=1
	s_andn2_b64 vcc, exec, s[10:11]
	v_readlane_b32 s15, v50, 55
	v_readlane_b32 s76, v50, 56
	s_cbranch_vccnz .LBB171_111
; %bb.110:                              ;   in Loop: Header=BB171_12 Depth=1
	v_cvt_f32_u32_e32 v2, s87
	s_sub_i32 s8, 0, s87
	v_readlane_b32 s10, v50, 33
	v_rcp_iflag_f32_e32 v2, v2
	v_mul_f32_e32 v2, 0x4f7ffffe, v2
	v_cvt_u32_f32_e32 v2, v2
	v_readfirstlane_b32 s9, v2
	s_mul_i32 s8, s8, s9
	s_mul_hi_u32 s8, s9, s8
	s_add_i32 s9, s9, s8
	s_mul_hi_u32 s8, s10, s9
	s_mul_i32 s8, s8, s87
	s_sub_i32 s8, s10, s8
	s_sub_i32 s9, s8, s87
	s_cmp_ge_u32 s8, s87
	s_cselect_b32 s8, s9, s8
	s_sub_i32 s9, s8, s87
	s_cmp_ge_u32 s8, s87
	s_mov_b32 s10, s88
	s_cselect_b32 s88, s9, s8
	s_mov_b64 s[8:9], s[88:89]
	s_mov_b32 s88, s10
.LBB171_111:                            ;   in Loop: Header=BB171_12 Depth=1
	v_readlane_b32 s10, v50, 33
	s_sub_u32 s10, s10, s8
	s_subb_u32 s11, s77, s9
	v_cmp_gt_u64_e32 vcc, s[10:11], v[0:1]
                                        ; implicit-def: $vgpr10
	s_and_saveexec_b64 s[8:9], vcc
	s_cbranch_execz .LBB171_120
; %bb.112:                              ;   in Loop: Header=BB171_12 Depth=1
	v_mov_b32_e32 v5, v1
	s_mov_b64 s[12:13], 0
	v_mov_b32_e32 v4, v0
                                        ; implicit-def: $sgpr34_sgpr35
	s_branch .LBB171_115
.LBB171_113:                            ;   in Loop: Header=BB171_115 Depth=2
	s_or_b64 exec, exec, s[38:39]
	s_waitcnt lgkmcnt(0)
	s_barrier
	ds_read_b32 v2, v3 offset:3072
	s_mov_b64 s[38:39], -1
	s_waitcnt lgkmcnt(0)
	s_barrier
	v_cmp_ne_u32_sdwa s[40:41], v2, v3 src0_sel:WORD_0 src1_sel:DWORD
	s_and_b64 vcc, exec, s[40:41]
	s_mov_b64 s[40:41], -1
	s_cbranch_vccz .LBB171_118
.LBB171_114:                            ;   in Loop: Header=BB171_115 Depth=2
	s_and_b64 s[38:39], exec, s[38:39]
	s_or_b64 s[12:13], s[38:39], s[12:13]
	s_andn2_b64 s[34:35], s[34:35], exec
	s_and_b64 s[38:39], s[40:41], exec
	s_or_b64 s[34:35], s[34:35], s[38:39]
	s_andn2_b64 exec, exec, s[12:13]
	s_cbranch_execz .LBB171_119
.LBB171_115:                            ;   Parent Loop BB171_12 Depth=1
                                        ; =>  This Inner Loop Header: Depth=2
	v_cmp_gt_u64_e32 vcc, s[64:65], v[4:5]
	s_and_saveexec_b64 s[38:39], vcc
	s_cbranch_execz .LBB171_113
; %bb.116:                              ;   in Loop: Header=BB171_115 Depth=2
	v_mul_lo_u32 v2, v5, s62
	v_mul_lo_u32 v10, v4, s63
	v_mad_u64_u32 v[6:7], s[40:41], v4, s62, 0
	v_add3_u32 v7, v7, v10, v2
	v_lshlrev_b64 v[6:7], 1, v[6:7]
	v_mov_b32_e32 v2, s86
	v_add_co_u32_e32 v6, vcc, s33, v6
	v_addc_co_u32_e32 v7, vcc, v2, v7, vcc
	global_load_ushort v2, v[6:7], off
	s_waitcnt vmcnt(0)
	v_add_u32_sdwa v6, sext(v2), s85 dst_sel:DWORD dst_unused:UNUSED_PAD src0_sel:WORD_0 src1_sel:DWORD
	v_and_b32_e32 v6, v6, v8
	v_cmp_eq_u32_e32 vcc, v6, v9
	s_and_b64 exec, exec, vcc
	s_cbranch_execz .LBB171_113
; %bb.117:                              ;   in Loop: Header=BB171_115 Depth=2
	v_perm_b32 v2, v2, 1, v34
	ds_write_b32 v3, v2 offset:3072
	s_branch .LBB171_113
.LBB171_118:                            ;   in Loop: Header=BB171_115 Depth=2
	v_add_co_u32_e32 v4, vcc, s87, v4
	v_addc_co_u32_e32 v5, vcc, 0, v5, vcc
	v_cmp_le_u64_e32 vcc, s[10:11], v[4:5]
	s_mov_b64 s[40:41], 0
	s_orn2_b64 s[38:39], vcc, exec
	s_branch .LBB171_114
.LBB171_119:                            ;   in Loop: Header=BB171_12 Depth=1
	s_or_b64 exec, exec, s[12:13]
	s_andn2_b64 s[4:5], s[4:5], exec
	s_and_b64 s[10:11], s[34:35], exec
	v_lshrrev_b32_e32 v10, 16, v2
	s_or_b64 s[4:5], s[4:5], s[10:11]
.LBB171_120:                            ;   in Loop: Header=BB171_12 Depth=1
	s_or_b64 exec, exec, s[8:9]
	s_mov_b64 s[38:39], 0
	s_mov_b64 s[40:41], -1
.LBB171_121:                            ;   in Loop: Header=BB171_12 Depth=1
	s_orn2_b64 s[4:5], s[4:5], exec
.LBB171_122:                            ;   in Loop: Header=BB171_12 Depth=1
	s_or_b64 exec, exec, s[30:31]
	s_mov_b64 s[42:43], 0
	s_mov_b64 s[34:35], 0
	;; [unrolled: 1-line block ×3, first 2 shown]
                                        ; implicit-def: $vgpr4_vgpr5
                                        ; implicit-def: $vgpr2
	s_and_saveexec_b64 s[44:45], s[4:5]
	s_cbranch_execz .LBB171_280
; %bb.123:                              ;   in Loop: Header=BB171_12 Depth=1
	v_mov_b32_e32 v4, 1
	s_xor_b64 s[8:9], s[6:7], -1
	v_mov_b32_e32 v2, 1
	v_mov_b32_e32 v5, 0
	s_mov_b64 s[6:7], 0
	s_and_saveexec_b64 s[4:5], s[8:9]
	s_cbranch_execz .LBB171_132
; %bb.124:                              ;   in Loop: Header=BB171_12 Depth=1
	v_cmp_ge_u64_e32 vcc, s[20:21], v[19:20]
	s_and_saveexec_b64 s[6:7], vcc
	s_xor_b64 s[6:7], exec, s[6:7]
	s_cbranch_execz .LBB171_129
; %bb.125:                              ;   in Loop: Header=BB171_12 Depth=1
	ds_read_b64 v[4:5], v3 offset:5120
	v_and_b32_e32 v9, s88, v9
	v_or_b32_e32 v8, s1, v8
	s_waitcnt lgkmcnt(0)
	v_cmp_ne_u64_e32 vcc, 0, v[4:5]
	s_cbranch_vccnz .LBB171_129
; %bb.126:                              ;   in Loop: Header=BB171_12 Depth=1
	s_mov_b64 s[8:9], exec
	v_readlane_b32 s10, v50, 12
	v_readlane_b32 s11, v50, 13
	s_and_b64 s[10:11], s[8:9], s[10:11]
	s_mov_b64 exec, s[10:11]
; %bb.127:                              ;   in Loop: Header=BB171_12 Depth=1
	v_mov_b32_e32 v4, s20
	v_mov_b32_e32 v5, s21
	ds_write_b64 v3, v[4:5] offset:5128
; %bb.128:                              ;   in Loop: Header=BB171_12 Depth=1
	s_or_b64 exec, exec, s[8:9]
	s_waitcnt lgkmcnt(0)
	s_barrier
.LBB171_129:                            ;   in Loop: Header=BB171_12 Depth=1
	s_or_saveexec_b64 s[6:7], s[6:7]
	v_mov_b32_e32 v4, v19
	s_mov_b64 s[8:9], 0
	v_mov_b32_e32 v2, 8
	v_mov_b32_e32 v5, v20
	s_xor_b64 exec, exec, s[6:7]
; %bb.130:                              ;   in Loop: Header=BB171_12 Depth=1
	v_mov_b32_e32 v2, s21
	v_subrev_co_u32_e32 v4, vcc, s20, v19
	s_mov_b64 s[8:9], exec
	v_subb_co_u32_e32 v5, vcc, v20, v2, vcc
	v_mov_b32_e32 v2, 0
; %bb.131:                              ;   in Loop: Header=BB171_12 Depth=1
	s_or_b64 exec, exec, s[6:7]
	s_and_b64 s[6:7], s[8:9], exec
.LBB171_132:                            ;   in Loop: Header=BB171_12 Depth=1
	s_or_b64 exec, exec, s[4:5]
	s_mov_b64 s[4:5], -1
                                        ; implicit-def: $sgpr30_sgpr31
                                        ; implicit-def: $sgpr34_sgpr35
	s_and_saveexec_b64 s[8:9], s[6:7]
	s_xor_b64 s[6:7], exec, s[8:9]
	s_cbranch_execz .LBB171_277
; %bb.133:                              ;   in Loop: Header=BB171_12 Depth=1
	s_cmp_eq_u64 s[24:25], 1
	v_cmp_eq_u64_e32 vcc, 1, v[4:5]
	s_cselect_b64 s[4:5], -1, 0
	s_and_b64 s[48:49], s[4:5], vcc
	s_mov_b64 s[4:5], -1
                                        ; implicit-def: $sgpr34_sgpr35
                                        ; implicit-def: $sgpr30_sgpr31
	s_and_saveexec_b64 s[46:47], s[48:49]
	s_cbranch_execz .LBB171_168
; %bb.134:                              ;   in Loop: Header=BB171_12 Depth=1
	ds_read_b64 v[6:7], v3 offset:5120
	s_waitcnt lgkmcnt(0)
	s_barrier
	v_readfirstlane_b32 s8, v6
	v_readfirstlane_b32 s9, v7
	s_mov_b64 s[4:5], exec
	v_readlane_b32 s10, v50, 28
	v_readlane_b32 s11, v50, 29
	s_and_b64 s[10:11], s[4:5], s[10:11]
	s_mov_b64 exec, s[10:11]
; %bb.135:                              ;   in Loop: Header=BB171_12 Depth=1
	ds_write_b16 v28, v3
; %bb.136:                              ;   in Loop: Header=BB171_12 Depth=1
	s_or_b64 exec, exec, s[4:5]
	v_and_b32_e32 v6, s88, v9
	v_lshl_or_b32 v9, 1, s0, v6
	v_or_b32_e32 v8, s1, v8
	s_mov_b64 s[30:31], -1
	s_mov_b64 s[34:35], 0
	s_cmp_eq_u64 s[8:9], 0
	s_mov_b64 s[4:5], 0
	s_mov_b64 s[10:11], -1
	s_waitcnt lgkmcnt(0)
	s_barrier
                                        ; implicit-def: $vgpr10
	s_cbranch_scc1 .LBB171_150
; %bb.137:                              ;   in Loop: Header=BB171_12 Depth=1
	v_readlane_b32 s4, v50, 32
	s_add_u32 s50, s8, s4
	v_readlane_b32 s4, v50, 34
	s_addc_u32 s5, s9, s4
	s_mov_b32 s4, s89
	s_cmp_lg_u64 s[4:5], 0
	s_cbranch_scc0 .LBB171_153
; %bb.138:                              ;   in Loop: Header=BB171_12 Depth=1
	v_cvt_f32_u32_e32 v6, s87
	s_sub_u32 s4, 0, s87
	s_subb_u32 s12, 0, 0
	v_mac_f32_e32 v6, 0, v33
	v_rcp_f32_e32 v6, v6
	v_mul_f32_e32 v6, 0x5f7ffffc, v6
	v_mul_f32_e32 v7, 0x2f800000, v6
	v_trunc_f32_e32 v7, v7
	v_mac_f32_e32 v6, 0xcf800000, v7
	v_cvt_u32_f32_e32 v7, v7
	v_cvt_u32_f32_e32 v6, v6
	v_readfirstlane_b32 s13, v7
	v_readfirstlane_b32 s10, v6
	s_mul_i32 s11, s4, s13
	s_mul_hi_u32 s52, s4, s10
	s_mul_i32 s51, s12, s10
	s_add_i32 s11, s52, s11
	s_mul_i32 s53, s4, s10
	s_add_i32 s11, s11, s51
	s_mul_hi_u32 s52, s10, s53
	s_mul_i32 s54, s10, s11
	s_mul_hi_u32 s51, s10, s11
	s_add_u32 s52, s52, s54
	s_addc_u32 s51, 0, s51
	s_mul_hi_u32 s55, s13, s53
	s_mul_i32 s53, s13, s53
	s_add_u32 s52, s52, s53
	s_mul_hi_u32 s54, s13, s11
	s_addc_u32 s51, s51, s55
	s_addc_u32 s52, s54, 0
	s_mul_i32 s11, s13, s11
	s_add_u32 s11, s51, s11
	s_addc_u32 s51, 0, s52
	s_add_u32 s52, s10, s11
	s_cselect_b64 s[10:11], -1, 0
	s_cmp_lg_u64 s[10:11], 0
	s_addc_u32 s13, s13, s51
	s_mul_i32 s10, s4, s13
	s_mul_hi_u32 s11, s4, s52
	s_add_i32 s10, s11, s10
	s_mul_i32 s12, s12, s52
	s_add_i32 s10, s10, s12
	s_mul_i32 s4, s4, s52
	s_mul_hi_u32 s12, s13, s4
	s_mul_i32 s51, s13, s4
	s_mul_i32 s54, s52, s10
	s_mul_hi_u32 s4, s52, s4
	s_mul_hi_u32 s53, s52, s10
	s_add_u32 s4, s4, s54
	s_addc_u32 s53, 0, s53
	s_add_u32 s4, s4, s51
	s_mul_hi_u32 s11, s13, s10
	s_addc_u32 s4, s53, s12
	s_addc_u32 s11, s11, 0
	s_mul_i32 s10, s13, s10
	s_add_u32 s4, s4, s10
	s_addc_u32 s12, 0, s11
	s_add_u32 s4, s52, s4
	s_cselect_b64 s[10:11], -1, 0
	s_cmp_lg_u64 s[10:11], 0
	s_addc_u32 s10, s13, s12
	s_mul_i32 s12, s50, s10
	s_mul_hi_u32 s13, s50, s4
	s_mul_hi_u32 s11, s50, s10
	s_add_u32 s12, s13, s12
	s_addc_u32 s11, 0, s11
	s_mul_hi_u32 s51, s5, s4
	s_mul_i32 s4, s5, s4
	s_add_u32 s4, s12, s4
	s_mul_hi_u32 s13, s5, s10
	s_addc_u32 s4, s11, s51
	s_addc_u32 s11, s13, 0
	s_mul_i32 s10, s5, s10
	s_add_u32 s4, s4, s10
	s_addc_u32 s10, 0, s11
	s_mul_i32 s10, s87, s10
	s_mul_hi_u32 s11, s87, s4
	s_add_i32 s12, s11, s10
	s_mul_i32 s4, s87, s4
	s_sub_u32 s4, s50, s4
	s_cselect_b64 s[10:11], -1, 0
	s_cmp_lg_u64 s[10:11], 0
	s_subb_u32 s12, s5, s12
	s_sub_u32 s13, s4, s87
	s_cselect_b64 s[10:11], -1, 0
	s_cmp_lg_u64 s[10:11], 0
	s_subb_u32 s51, s12, 0
	;; [unrolled: 4-line block ×3, first 2 shown]
	s_cmp_ge_u32 s13, s87
	s_cselect_b32 s11, -1, 0
	s_cmp_eq_u32 s51, 0
	s_cselect_b32 s11, s11, -1
	s_cmp_lg_u32 s11, 0
	s_cselect_b32 s10, s10, s51
	s_cselect_b32 s13, s52, s13
	s_cmp_ge_u32 s4, s87
	s_cselect_b32 s11, -1, 0
	s_cmp_eq_u32 s12, 0
	s_cselect_b32 s11, s11, -1
	s_cmp_lg_u32 s11, 0
	s_cselect_b32 s11, s10, s12
	s_cselect_b32 s10, s13, s4
	s_cbranch_execnz .LBB171_140
.LBB171_139:                            ;   in Loop: Header=BB171_12 Depth=1
	v_cvt_f32_u32_e32 v6, s87
	s_sub_i32 s4, 0, s87
	s_mov_b32 s12, s88
	v_rcp_iflag_f32_e32 v6, v6
	v_mul_f32_e32 v6, 0x4f7ffffe, v6
	v_cvt_u32_f32_e32 v6, v6
	v_readfirstlane_b32 s10, v6
	s_mul_i32 s4, s4, s10
	s_mul_hi_u32 s4, s10, s4
	s_add_i32 s10, s10, s4
	s_mul_hi_u32 s4, s50, s10
	s_mul_i32 s4, s4, s87
	s_sub_i32 s4, s50, s4
	s_sub_i32 s10, s4, s87
	s_cmp_ge_u32 s4, s87
	s_cselect_b32 s4, s10, s4
	s_sub_i32 s10, s4, s87
	s_cmp_ge_u32 s4, s87
	s_cselect_b32 s88, s10, s4
	s_mov_b64 s[10:11], s[88:89]
	s_mov_b32 s88, s12
.LBB171_140:                            ;   in Loop: Header=BB171_12 Depth=1
	s_sub_u32 s50, s50, s10
	s_subb_u32 s51, s5, s11
	v_cmp_gt_u64_e32 vcc, s[50:51], v[0:1]
	s_mov_b64 s[10:11], 0
	s_mov_b64 s[4:5], 0
                                        ; implicit-def: $vgpr10
	s_and_saveexec_b64 s[12:13], vcc
	s_cbranch_execz .LBB171_149
; %bb.141:                              ;   in Loop: Header=BB171_12 Depth=1
	v_mov_b32_e32 v7, v1
	v_mov_b32_e32 v10, v27
	;; [unrolled: 1-line block ×3, first 2 shown]
                                        ; implicit-def: $sgpr52_sgpr53
	s_branch .LBB171_144
.LBB171_142:                            ;   in Loop: Header=BB171_144 Depth=2
	s_or_b64 exec, exec, s[54:55]
	s_waitcnt lgkmcnt(0)
	s_barrier
	ds_read_b32 v11, v3 offset:3072
	s_mov_b64 s[54:55], -1
	s_waitcnt lgkmcnt(0)
	s_barrier
	v_cmp_ne_u32_sdwa s[56:57], v11, v3 src0_sel:WORD_0 src1_sel:DWORD
	s_and_b64 vcc, exec, s[56:57]
	s_mov_b64 s[56:57], -1
	s_cbranch_vccz .LBB171_147
.LBB171_143:                            ;   in Loop: Header=BB171_144 Depth=2
	s_and_b64 s[54:55], exec, s[54:55]
	s_or_b64 s[4:5], s[54:55], s[4:5]
	s_andn2_b64 s[52:53], s[52:53], exec
	s_and_b64 s[54:55], s[56:57], exec
	s_or_b64 s[52:53], s[52:53], s[54:55]
	s_andn2_b64 exec, exec, s[4:5]
	s_cbranch_execz .LBB171_148
.LBB171_144:                            ;   Parent Loop BB171_12 Depth=1
                                        ; =>  This Inner Loop Header: Depth=2
	v_cmp_gt_u64_e32 vcc, s[8:9], v[6:7]
	s_and_saveexec_b64 s[54:55], vcc
	s_cbranch_execz .LBB171_142
; %bb.145:                              ;   in Loop: Header=BB171_144 Depth=2
	ds_read_u16 v11, v10
	s_waitcnt lgkmcnt(0)
	v_add_u32_sdwa v21, sext(v11), s85 dst_sel:DWORD dst_unused:UNUSED_PAD src0_sel:WORD_0 src1_sel:DWORD
	v_and_b32_e32 v21, v21, v8
	v_cmp_eq_u32_e32 vcc, v21, v9
	s_and_b64 exec, exec, vcc
	s_cbranch_execz .LBB171_142
; %bb.146:                              ;   in Loop: Header=BB171_144 Depth=2
	v_perm_b32 v11, v11, 1, v34
	ds_write_b32 v3, v11 offset:3072
	s_branch .LBB171_142
.LBB171_147:                            ;   in Loop: Header=BB171_144 Depth=2
	v_add_co_u32_e32 v6, vcc, s87, v6
	v_addc_co_u32_e32 v7, vcc, 0, v7, vcc
	v_cmp_le_u64_e32 vcc, s[50:51], v[6:7]
	v_add_u32_e32 v10, s76, v10
	s_mov_b64 s[56:57], 0
	s_orn2_b64 s[54:55], vcc, exec
	s_branch .LBB171_143
.LBB171_148:                            ;   in Loop: Header=BB171_12 Depth=1
	s_or_b64 exec, exec, s[4:5]
	v_lshrrev_b32_e32 v10, 16, v11
	s_and_b64 s[4:5], s[52:53], exec
.LBB171_149:                            ;   in Loop: Header=BB171_12 Depth=1
	s_or_b64 exec, exec, s[12:13]
.LBB171_150:                            ;   in Loop: Header=BB171_12 Depth=1
	s_and_b64 vcc, exec, s[10:11]
	s_cbranch_vccz .LBB171_167
; %bb.151:                              ;   in Loop: Header=BB171_12 Depth=1
	s_mov_b32 s76, s89
	s_cmp_lg_u64 s[76:77], 0
	s_cbranch_scc0 .LBB171_154
; %bb.152:                              ;   in Loop: Header=BB171_12 Depth=1
	v_cvt_f32_u32_e32 v6, s87
	s_sub_u32 s10, 0, s87
	s_subb_u32 s11, 0, 0
	v_mac_f32_e32 v6, 0, v33
	v_rcp_f32_e32 v6, v6
	v_mul_f32_e32 v6, 0x5f7ffffc, v6
	v_mul_f32_e32 v7, 0x2f800000, v6
	v_trunc_f32_e32 v7, v7
	v_mac_f32_e32 v6, 0xcf800000, v7
	v_cvt_u32_f32_e32 v7, v7
	v_cvt_u32_f32_e32 v6, v6
	v_readfirstlane_b32 s12, v7
	v_readfirstlane_b32 s8, v6
	s_mul_i32 s9, s10, s12
	s_mul_hi_u32 s30, s10, s8
	s_mul_i32 s13, s11, s8
	s_add_i32 s9, s30, s9
	s_mul_i32 s31, s10, s8
	s_add_i32 s9, s9, s13
	s_mul_hi_u32 s30, s8, s31
	s_mul_i32 s34, s8, s9
	s_mul_hi_u32 s13, s8, s9
	s_add_u32 s30, s30, s34
	s_addc_u32 s13, 0, s13
	s_mul_hi_u32 s35, s12, s31
	s_mul_i32 s31, s12, s31
	s_add_u32 s30, s30, s31
	s_mul_hi_u32 s34, s12, s9
	s_addc_u32 s13, s13, s35
	s_addc_u32 s30, s34, 0
	s_mul_i32 s9, s12, s9
	s_add_u32 s9, s13, s9
	s_addc_u32 s13, 0, s30
	s_add_u32 s30, s8, s9
	s_cselect_b64 s[8:9], -1, 0
	s_cmp_lg_u64 s[8:9], 0
	s_addc_u32 s12, s12, s13
	s_mul_i32 s8, s10, s12
	s_mul_hi_u32 s9, s10, s30
	s_add_i32 s8, s9, s8
	s_mul_i32 s11, s11, s30
	s_add_i32 s8, s8, s11
	s_mul_i32 s10, s10, s30
	s_mul_hi_u32 s11, s12, s10
	s_mul_i32 s13, s12, s10
	s_mul_i32 s34, s30, s8
	s_mul_hi_u32 s10, s30, s10
	s_mul_hi_u32 s31, s30, s8
	s_add_u32 s10, s10, s34
	s_addc_u32 s31, 0, s31
	s_add_u32 s10, s10, s13
	s_mul_hi_u32 s9, s12, s8
	s_addc_u32 s10, s31, s11
	s_addc_u32 s9, s9, 0
	s_mul_i32 s8, s12, s8
	s_add_u32 s8, s10, s8
	s_addc_u32 s10, 0, s9
	s_add_u32 s11, s30, s8
	s_cselect_b64 s[8:9], -1, 0
	s_cmp_lg_u64 s[8:9], 0
	s_addc_u32 s8, s12, s10
	v_readlane_b32 s30, v50, 33
	s_mul_i32 s10, s30, s8
	s_mul_hi_u32 s12, s30, s11
	s_mul_hi_u32 s9, s30, s8
	s_add_u32 s10, s12, s10
	s_addc_u32 s9, 0, s9
	s_mul_hi_u32 s13, s77, s11
	s_mul_i32 s11, s77, s11
	s_add_u32 s10, s10, s11
	s_mul_hi_u32 s12, s77, s8
	s_addc_u32 s9, s9, s13
	s_addc_u32 s10, s12, 0
	s_mul_i32 s8, s77, s8
	s_add_u32 s8, s9, s8
	s_addc_u32 s9, 0, s10
	s_mul_i32 s9, s87, s9
	s_mul_hi_u32 s10, s87, s8
	s_add_i32 s10, s10, s9
	s_mul_i32 s8, s87, s8
	s_sub_u32 s11, s30, s8
	s_cselect_b64 s[8:9], -1, 0
	s_cmp_lg_u64 s[8:9], 0
	s_subb_u32 s10, s77, s10
	s_sub_u32 s12, s11, s87
	s_cselect_b64 s[8:9], -1, 0
	s_cmp_lg_u64 s[8:9], 0
	s_subb_u32 s13, s10, 0
	;; [unrolled: 4-line block ×3, first 2 shown]
	s_cmp_ge_u32 s12, s87
	s_cselect_b32 s9, -1, 0
	s_cmp_eq_u32 s13, 0
	s_cselect_b32 s9, s9, -1
	s_cmp_lg_u32 s9, 0
	s_cselect_b32 s8, s8, s13
	s_cselect_b32 s12, s30, s12
	s_cmp_ge_u32 s11, s87
	s_cselect_b32 s9, -1, 0
	s_cmp_eq_u32 s10, 0
	s_cselect_b32 s9, s9, -1
	s_cmp_lg_u32 s9, 0
	s_cselect_b32 s9, s8, s10
	s_cselect_b32 s8, s12, s11
	s_mov_b64 s[10:11], 0
	s_branch .LBB171_155
.LBB171_153:                            ;   in Loop: Header=BB171_12 Depth=1
                                        ; implicit-def: $sgpr10_sgpr11
	s_branch .LBB171_139
.LBB171_154:                            ;   in Loop: Header=BB171_12 Depth=1
	s_mov_b64 s[10:11], -1
                                        ; implicit-def: $sgpr8_sgpr9
.LBB171_155:                            ;   in Loop: Header=BB171_12 Depth=1
	s_andn2_b64 vcc, exec, s[10:11]
	v_readlane_b32 s15, v50, 55
	v_readlane_b32 s76, v50, 56
	s_cbranch_vccnz .LBB171_157
; %bb.156:                              ;   in Loop: Header=BB171_12 Depth=1
	v_cvt_f32_u32_e32 v6, s87
	s_sub_i32 s8, 0, s87
	v_readlane_b32 s10, v50, 33
	v_rcp_iflag_f32_e32 v6, v6
	v_mul_f32_e32 v6, 0x4f7ffffe, v6
	v_cvt_u32_f32_e32 v6, v6
	v_readfirstlane_b32 s9, v6
	s_mul_i32 s8, s8, s9
	s_mul_hi_u32 s8, s9, s8
	s_add_i32 s9, s9, s8
	s_mul_hi_u32 s8, s10, s9
	s_mul_i32 s8, s8, s87
	s_sub_i32 s8, s10, s8
	s_sub_i32 s9, s8, s87
	s_cmp_ge_u32 s8, s87
	s_cselect_b32 s8, s9, s8
	s_sub_i32 s9, s8, s87
	s_cmp_ge_u32 s8, s87
	s_mov_b32 s10, s88
	s_cselect_b32 s88, s9, s8
	s_mov_b64 s[8:9], s[88:89]
	s_mov_b32 s88, s10
.LBB171_157:                            ;   in Loop: Header=BB171_12 Depth=1
	v_readlane_b32 s10, v50, 33
	s_sub_u32 s10, s10, s8
	s_subb_u32 s11, s77, s9
	v_cmp_gt_u64_e32 vcc, s[10:11], v[0:1]
                                        ; implicit-def: $vgpr10
	s_and_saveexec_b64 s[8:9], vcc
	s_cbranch_execz .LBB171_166
; %bb.158:                              ;   in Loop: Header=BB171_12 Depth=1
	v_mov_b32_e32 v7, v1
	s_mov_b64 s[12:13], 0
	v_mov_b32_e32 v6, v0
                                        ; implicit-def: $sgpr30_sgpr31
	s_branch .LBB171_161
.LBB171_159:                            ;   in Loop: Header=BB171_161 Depth=2
	s_or_b64 exec, exec, s[34:35]
	s_waitcnt lgkmcnt(0)
	s_barrier
	ds_read_b32 v10, v3 offset:3072
	s_mov_b64 s[34:35], -1
	s_waitcnt lgkmcnt(0)
	s_barrier
	v_cmp_eq_u32_sdwa s[50:51], v10, v3 src0_sel:WORD_0 src1_sel:DWORD
	s_and_b64 vcc, exec, s[50:51]
	s_mov_b64 s[50:51], -1
	s_cbranch_vccnz .LBB171_164
.LBB171_160:                            ;   in Loop: Header=BB171_161 Depth=2
	s_and_b64 s[34:35], exec, s[34:35]
	s_or_b64 s[12:13], s[34:35], s[12:13]
	s_andn2_b64 s[30:31], s[30:31], exec
	s_and_b64 s[34:35], s[50:51], exec
	s_or_b64 s[30:31], s[30:31], s[34:35]
	s_andn2_b64 exec, exec, s[12:13]
	s_cbranch_execz .LBB171_165
.LBB171_161:                            ;   Parent Loop BB171_12 Depth=1
                                        ; =>  This Inner Loop Header: Depth=2
	v_cmp_gt_u64_e32 vcc, s[64:65], v[6:7]
	s_and_saveexec_b64 s[34:35], vcc
	s_cbranch_execz .LBB171_159
; %bb.162:                              ;   in Loop: Header=BB171_161 Depth=2
	v_mul_lo_u32 v21, v7, s62
	v_mul_lo_u32 v22, v6, s63
	v_mad_u64_u32 v[10:11], s[50:51], v6, s62, 0
	v_add3_u32 v11, v11, v22, v21
	v_lshlrev_b64 v[10:11], 1, v[10:11]
	v_mov_b32_e32 v21, s86
	v_add_co_u32_e32 v10, vcc, s33, v10
	v_addc_co_u32_e32 v11, vcc, v21, v11, vcc
	global_load_ushort v10, v[10:11], off
	s_waitcnt vmcnt(0)
	v_add_u32_sdwa v11, sext(v10), s85 dst_sel:DWORD dst_unused:UNUSED_PAD src0_sel:WORD_0 src1_sel:DWORD
	v_and_b32_e32 v11, v11, v8
	v_cmp_eq_u32_e32 vcc, v11, v9
	s_and_b64 exec, exec, vcc
	s_cbranch_execz .LBB171_159
; %bb.163:                              ;   in Loop: Header=BB171_161 Depth=2
	v_perm_b32 v10, v10, 1, v34
	ds_write_b32 v3, v10 offset:3072
	s_branch .LBB171_159
.LBB171_164:                            ;   in Loop: Header=BB171_161 Depth=2
	v_add_co_u32_e32 v6, vcc, s87, v6
	v_addc_co_u32_e32 v7, vcc, 0, v7, vcc
	v_cmp_le_u64_e32 vcc, s[10:11], v[6:7]
	s_mov_b64 s[50:51], 0
	s_orn2_b64 s[34:35], vcc, exec
	s_branch .LBB171_160
.LBB171_165:                            ;   in Loop: Header=BB171_12 Depth=1
	s_or_b64 exec, exec, s[12:13]
	s_andn2_b64 s[4:5], s[4:5], exec
	s_and_b64 s[10:11], s[30:31], exec
	v_lshrrev_b32_e32 v10, 16, v10
	s_or_b64 s[4:5], s[4:5], s[10:11]
.LBB171_166:                            ;   in Loop: Header=BB171_12 Depth=1
	s_or_b64 exec, exec, s[8:9]
	s_mov_b64 s[30:31], 0
	s_mov_b64 s[34:35], -1
.LBB171_167:                            ;   in Loop: Header=BB171_12 Depth=1
	s_orn2_b64 s[4:5], s[4:5], exec
.LBB171_168:                            ;   in Loop: Header=BB171_12 Depth=1
	s_or_b64 exec, exec, s[46:47]
	s_mov_b64 s[8:9], 0
	s_and_saveexec_b64 s[46:47], s[4:5]
	s_cbranch_execz .LBB171_276
; %bb.169:                              ;   in Loop: Header=BB171_12 Depth=1
	v_mov_b32_e32 v6, 1
	s_xor_b64 s[10:11], s[48:49], -1
	v_mov_b32_e32 v2, 1
	v_mov_b32_e32 v7, 0
	s_and_saveexec_b64 s[4:5], s[10:11]
	s_cbranch_execz .LBB171_178
; %bb.170:                              ;   in Loop: Header=BB171_12 Depth=1
	v_cmp_ge_u64_e32 vcc, s[24:25], v[4:5]
	s_and_saveexec_b64 s[8:9], vcc
	s_xor_b64 s[8:9], exec, s[8:9]
	s_cbranch_execz .LBB171_175
; %bb.171:                              ;   in Loop: Header=BB171_12 Depth=1
	ds_read_b64 v[6:7], v3 offset:5120
	v_and_b32_e32 v2, s88, v9
	v_lshl_or_b32 v9, 1, s0, v2
	v_or_b32_e32 v8, s1, v8
	s_waitcnt lgkmcnt(0)
	v_cmp_ne_u64_e32 vcc, 0, v[6:7]
	s_cbranch_vccnz .LBB171_175
; %bb.172:                              ;   in Loop: Header=BB171_12 Depth=1
	s_mov_b64 s[10:11], exec
	v_readlane_b32 s12, v50, 12
	v_readlane_b32 s13, v50, 13
	s_and_b64 s[12:13], s[10:11], s[12:13]
	s_mov_b64 exec, s[12:13]
; %bb.173:                              ;   in Loop: Header=BB171_12 Depth=1
	v_mov_b32_e32 v6, s24
	v_mov_b32_e32 v7, s25
	ds_write_b64 v3, v[6:7] offset:5128
; %bb.174:                              ;   in Loop: Header=BB171_12 Depth=1
	s_or_b64 exec, exec, s[10:11]
	s_waitcnt lgkmcnt(0)
	s_barrier
.LBB171_175:                            ;   in Loop: Header=BB171_12 Depth=1
	s_or_saveexec_b64 s[8:9], s[8:9]
	s_mov_b64 s[10:11], 0
	v_mov_b32_e32 v2, 8
	s_xor_b64 exec, exec, s[8:9]
; %bb.176:                              ;   in Loop: Header=BB171_12 Depth=1
	v_mov_b32_e32 v2, s25
	v_subrev_co_u32_e32 v4, vcc, s24, v4
	s_mov_b64 s[10:11], exec
	v_subb_co_u32_e32 v5, vcc, v5, v2, vcc
	v_mov_b32_e32 v2, 0
; %bb.177:                              ;   in Loop: Header=BB171_12 Depth=1
	s_or_b64 exec, exec, s[8:9]
	v_mov_b32_e32 v7, v5
	s_and_b64 s[8:9], s[10:11], exec
	v_mov_b32_e32 v6, v4
.LBB171_178:                            ;   in Loop: Header=BB171_12 Depth=1
	s_or_b64 exec, exec, s[4:5]
	s_mov_b64 s[4:5], -1
                                        ; implicit-def: $sgpr50_sgpr51
                                        ; implicit-def: $sgpr52_sgpr53
	s_and_saveexec_b64 s[48:49], s[8:9]
	s_cbranch_execz .LBB171_275
; %bb.179:                              ;   in Loop: Header=BB171_12 Depth=1
	s_cmp_eq_u64 s[26:27], 1
	v_cmp_eq_u64_e32 vcc, 1, v[6:7]
	s_cselect_b64 s[4:5], -1, 0
	s_and_b64 s[56:57], s[4:5], vcc
	s_mov_b64 s[4:5], -1
                                        ; implicit-def: $sgpr52_sgpr53
                                        ; implicit-def: $sgpr50_sgpr51
	s_and_saveexec_b64 s[54:55], s[56:57]
	s_cbranch_execz .LBB171_214
; %bb.180:                              ;   in Loop: Header=BB171_12 Depth=1
	ds_read_b64 v[4:5], v3 offset:5120
	s_waitcnt lgkmcnt(0)
	s_barrier
	v_readfirstlane_b32 s8, v4
	v_readfirstlane_b32 s9, v5
	s_mov_b64 s[4:5], exec
	v_readlane_b32 s10, v50, 28
	v_readlane_b32 s11, v50, 29
	s_and_b64 s[10:11], s[4:5], s[10:11]
	s_mov_b64 exec, s[10:11]
; %bb.181:                              ;   in Loop: Header=BB171_12 Depth=1
	ds_write_b16 v28, v3
; %bb.182:                              ;   in Loop: Header=BB171_12 Depth=1
	s_or_b64 exec, exec, s[4:5]
	v_and_b32_e32 v4, s88, v9
	v_lshl_or_b32 v9, 2, s0, v4
	v_or_b32_e32 v8, s1, v8
	s_mov_b64 s[50:51], -1
	s_mov_b64 s[52:53], 0
	s_cmp_eq_u64 s[8:9], 0
	s_mov_b64 s[4:5], 0
	s_mov_b64 s[10:11], -1
	s_waitcnt lgkmcnt(0)
	s_barrier
                                        ; implicit-def: $vgpr10
	s_cbranch_scc1 .LBB171_196
; %bb.183:                              ;   in Loop: Header=BB171_12 Depth=1
	v_readlane_b32 s4, v50, 32
	s_add_u32 s58, s8, s4
	v_readlane_b32 s4, v50, 34
	s_addc_u32 s5, s9, s4
	s_mov_b32 s4, s89
	s_mov_b32 s15, s77
	s_cmp_lg_u64 s[4:5], 0
	s_cbranch_scc0 .LBB171_199
; %bb.184:                              ;   in Loop: Header=BB171_12 Depth=1
	v_cvt_f32_u32_e32 v4, s87
	s_sub_u32 s4, 0, s87
	s_subb_u32 s12, 0, 0
	v_mac_f32_e32 v4, 0, v33
	v_rcp_f32_e32 v4, v4
	v_mul_f32_e32 v4, 0x5f7ffffc, v4
	v_mul_f32_e32 v5, 0x2f800000, v4
	v_trunc_f32_e32 v5, v5
	v_mac_f32_e32 v4, 0xcf800000, v5
	v_cvt_u32_f32_e32 v5, v5
	v_cvt_u32_f32_e32 v4, v4
	v_readfirstlane_b32 s13, v5
	v_readfirstlane_b32 s10, v4
	s_mul_i32 s11, s4, s13
	s_mul_hi_u32 s70, s4, s10
	s_mul_i32 s59, s12, s10
	s_add_i32 s11, s70, s11
	s_mul_i32 s71, s4, s10
	s_add_i32 s11, s11, s59
	s_mul_hi_u32 s70, s10, s71
	s_mul_i32 s76, s10, s11
	s_mul_hi_u32 s59, s10, s11
	s_add_u32 s70, s70, s76
	s_addc_u32 s59, 0, s59
	s_mul_hi_u32 s77, s13, s71
	s_mul_i32 s71, s13, s71
	s_add_u32 s70, s70, s71
	s_mul_hi_u32 s76, s13, s11
	s_addc_u32 s59, s59, s77
	s_addc_u32 s70, s76, 0
	s_mul_i32 s11, s13, s11
	s_add_u32 s11, s59, s11
	s_addc_u32 s59, 0, s70
	s_add_u32 s70, s10, s11
	s_cselect_b64 s[10:11], -1, 0
	s_cmp_lg_u64 s[10:11], 0
	s_addc_u32 s13, s13, s59
	s_mul_i32 s10, s4, s13
	s_mul_hi_u32 s11, s4, s70
	s_add_i32 s10, s11, s10
	s_mul_i32 s12, s12, s70
	s_add_i32 s10, s10, s12
	s_mul_i32 s4, s4, s70
	s_mul_hi_u32 s12, s13, s4
	s_mul_i32 s59, s13, s4
	s_mul_i32 s76, s70, s10
	s_mul_hi_u32 s4, s70, s4
	s_mul_hi_u32 s71, s70, s10
	s_add_u32 s4, s4, s76
	s_addc_u32 s71, 0, s71
	s_add_u32 s4, s4, s59
	s_mul_hi_u32 s11, s13, s10
	s_addc_u32 s4, s71, s12
	s_addc_u32 s11, s11, 0
	s_mul_i32 s10, s13, s10
	s_add_u32 s4, s4, s10
	s_addc_u32 s12, 0, s11
	s_add_u32 s4, s70, s4
	s_cselect_b64 s[10:11], -1, 0
	s_cmp_lg_u64 s[10:11], 0
	s_addc_u32 s10, s13, s12
	s_mul_i32 s12, s58, s10
	s_mul_hi_u32 s13, s58, s4
	s_mul_hi_u32 s11, s58, s10
	s_add_u32 s12, s13, s12
	s_addc_u32 s11, 0, s11
	s_mul_hi_u32 s59, s5, s4
	s_mul_i32 s4, s5, s4
	s_add_u32 s4, s12, s4
	s_mul_hi_u32 s13, s5, s10
	s_addc_u32 s4, s11, s59
	s_addc_u32 s11, s13, 0
	s_mul_i32 s10, s5, s10
	s_add_u32 s4, s4, s10
	s_addc_u32 s10, 0, s11
	s_mul_i32 s10, s87, s10
	s_mul_hi_u32 s11, s87, s4
	s_add_i32 s12, s11, s10
	s_mul_i32 s4, s87, s4
	s_sub_u32 s4, s58, s4
	s_cselect_b64 s[10:11], -1, 0
	s_cmp_lg_u64 s[10:11], 0
	s_subb_u32 s12, s5, s12
	s_sub_u32 s13, s4, s87
	s_cselect_b64 s[10:11], -1, 0
	s_cmp_lg_u64 s[10:11], 0
	s_subb_u32 s59, s12, 0
	;; [unrolled: 4-line block ×3, first 2 shown]
	s_cmp_ge_u32 s13, s87
	s_cselect_b32 s11, -1, 0
	s_cmp_eq_u32 s59, 0
	s_cselect_b32 s11, s11, -1
	s_cmp_lg_u32 s11, 0
	s_cselect_b32 s10, s10, s59
	s_cselect_b32 s13, s70, s13
	s_cmp_ge_u32 s4, s87
	s_cselect_b32 s11, -1, 0
	s_cmp_eq_u32 s12, 0
	s_cselect_b32 s11, s11, -1
	s_cmp_lg_u32 s11, 0
	s_cselect_b32 s11, s10, s12
	s_cselect_b32 s10, s13, s4
	s_cbranch_execnz .LBB171_186
.LBB171_185:                            ;   in Loop: Header=BB171_12 Depth=1
	v_cvt_f32_u32_e32 v4, s87
	s_sub_i32 s4, 0, s87
	s_mov_b32 s12, s88
	v_rcp_iflag_f32_e32 v4, v4
	v_mul_f32_e32 v4, 0x4f7ffffe, v4
	v_cvt_u32_f32_e32 v4, v4
	v_readfirstlane_b32 s10, v4
	s_mul_i32 s4, s4, s10
	s_mul_hi_u32 s4, s10, s4
	s_add_i32 s10, s10, s4
	s_mul_hi_u32 s4, s58, s10
	s_mul_i32 s4, s4, s87
	s_sub_i32 s4, s58, s4
	s_sub_i32 s10, s4, s87
	s_cmp_ge_u32 s4, s87
	s_cselect_b32 s4, s10, s4
	s_sub_i32 s10, s4, s87
	s_cmp_ge_u32 s4, s87
	s_cselect_b32 s88, s10, s4
	s_mov_b64 s[10:11], s[88:89]
	s_mov_b32 s88, s12
.LBB171_186:                            ;   in Loop: Header=BB171_12 Depth=1
	s_sub_u32 s58, s58, s10
	s_subb_u32 s59, s5, s11
	v_cmp_gt_u64_e32 vcc, s[58:59], v[0:1]
	s_mov_b64 s[10:11], 0
	s_mov_b64 s[4:5], 0
                                        ; implicit-def: $vgpr10
	s_and_saveexec_b64 s[12:13], vcc
	s_cbranch_execz .LBB171_195
; %bb.187:                              ;   in Loop: Header=BB171_12 Depth=1
	v_mov_b32_e32 v5, v1
	v_mov_b32_e32 v10, v27
	;; [unrolled: 1-line block ×3, first 2 shown]
                                        ; implicit-def: $sgpr70_sgpr71
	s_branch .LBB171_190
.LBB171_188:                            ;   in Loop: Header=BB171_190 Depth=2
	s_or_b64 exec, exec, s[76:77]
	s_waitcnt lgkmcnt(0)
	s_barrier
	ds_read_b32 v11, v3 offset:3072
	s_mov_b64 s[76:77], -1
	s_waitcnt lgkmcnt(0)
	s_barrier
	v_cmp_ne_u32_sdwa s[90:91], v11, v3 src0_sel:WORD_0 src1_sel:DWORD
	s_and_b64 vcc, exec, s[90:91]
	s_mov_b64 s[90:91], -1
	s_cbranch_vccz .LBB171_193
.LBB171_189:                            ;   in Loop: Header=BB171_190 Depth=2
	s_and_b64 s[76:77], exec, s[76:77]
	s_or_b64 s[4:5], s[76:77], s[4:5]
	s_andn2_b64 s[70:71], s[70:71], exec
	s_and_b64 s[76:77], s[90:91], exec
	s_or_b64 s[70:71], s[70:71], s[76:77]
	s_andn2_b64 exec, exec, s[4:5]
	s_cbranch_execz .LBB171_194
.LBB171_190:                            ;   Parent Loop BB171_12 Depth=1
                                        ; =>  This Inner Loop Header: Depth=2
	v_cmp_gt_u64_e32 vcc, s[8:9], v[4:5]
	s_and_saveexec_b64 s[76:77], vcc
	s_cbranch_execz .LBB171_188
; %bb.191:                              ;   in Loop: Header=BB171_190 Depth=2
	ds_read_u16 v11, v10
	s_waitcnt lgkmcnt(0)
	v_add_u32_sdwa v21, sext(v11), s85 dst_sel:DWORD dst_unused:UNUSED_PAD src0_sel:WORD_0 src1_sel:DWORD
	v_and_b32_e32 v21, v21, v8
	v_cmp_eq_u32_e32 vcc, v21, v9
	s_and_b64 exec, exec, vcc
	s_cbranch_execz .LBB171_188
; %bb.192:                              ;   in Loop: Header=BB171_190 Depth=2
	v_perm_b32 v11, v11, 1, v34
	ds_write_b32 v3, v11 offset:3072
	s_branch .LBB171_188
.LBB171_193:                            ;   in Loop: Header=BB171_190 Depth=2
	v_add_co_u32_e32 v4, vcc, s87, v4
	v_addc_co_u32_e32 v5, vcc, 0, v5, vcc
	v_cmp_le_u64_e32 vcc, s[58:59], v[4:5]
	v_readlane_b32 s76, v50, 56
	v_add_u32_e32 v10, s76, v10
	s_mov_b64 s[90:91], 0
	s_orn2_b64 s[76:77], vcc, exec
	s_branch .LBB171_189
.LBB171_194:                            ;   in Loop: Header=BB171_12 Depth=1
	s_or_b64 exec, exec, s[4:5]
	v_lshrrev_b32_e32 v10, 16, v11
	s_and_b64 s[4:5], s[70:71], exec
.LBB171_195:                            ;   in Loop: Header=BB171_12 Depth=1
	s_or_b64 exec, exec, s[12:13]
	s_mov_b32 s77, s15
	v_readlane_b32 s15, v50, 55
	v_readlane_b32 s76, v50, 56
.LBB171_196:                            ;   in Loop: Header=BB171_12 Depth=1
	s_and_b64 vcc, exec, s[10:11]
	s_cbranch_vccz .LBB171_213
; %bb.197:                              ;   in Loop: Header=BB171_12 Depth=1
	s_mov_b32 s76, s89
	s_cmp_lg_u64 s[76:77], 0
	s_cbranch_scc0 .LBB171_200
; %bb.198:                              ;   in Loop: Header=BB171_12 Depth=1
	v_cvt_f32_u32_e32 v4, s87
	s_sub_u32 s10, 0, s87
	s_subb_u32 s11, 0, 0
	v_mac_f32_e32 v4, 0, v33
	v_rcp_f32_e32 v4, v4
	v_mul_f32_e32 v4, 0x5f7ffffc, v4
	v_mul_f32_e32 v5, 0x2f800000, v4
	v_trunc_f32_e32 v5, v5
	v_mac_f32_e32 v4, 0xcf800000, v5
	v_cvt_u32_f32_e32 v5, v5
	v_cvt_u32_f32_e32 v4, v4
	v_readfirstlane_b32 s12, v5
	v_readfirstlane_b32 s8, v4
	s_mul_i32 s9, s10, s12
	s_mul_hi_u32 s50, s10, s8
	s_mul_i32 s13, s11, s8
	s_add_i32 s9, s50, s9
	s_mul_i32 s51, s10, s8
	s_add_i32 s9, s9, s13
	s_mul_hi_u32 s50, s8, s51
	s_mul_i32 s52, s8, s9
	s_mul_hi_u32 s13, s8, s9
	s_add_u32 s50, s50, s52
	s_addc_u32 s13, 0, s13
	s_mul_hi_u32 s53, s12, s51
	s_mul_i32 s51, s12, s51
	s_add_u32 s50, s50, s51
	s_mul_hi_u32 s52, s12, s9
	s_addc_u32 s13, s13, s53
	s_addc_u32 s50, s52, 0
	s_mul_i32 s9, s12, s9
	s_add_u32 s9, s13, s9
	s_addc_u32 s13, 0, s50
	s_add_u32 s50, s8, s9
	s_cselect_b64 s[8:9], -1, 0
	s_cmp_lg_u64 s[8:9], 0
	s_addc_u32 s12, s12, s13
	s_mul_i32 s8, s10, s12
	s_mul_hi_u32 s9, s10, s50
	s_add_i32 s8, s9, s8
	s_mul_i32 s11, s11, s50
	s_add_i32 s8, s8, s11
	s_mul_i32 s10, s10, s50
	s_mul_hi_u32 s11, s12, s10
	s_mul_i32 s13, s12, s10
	s_mul_i32 s52, s50, s8
	s_mul_hi_u32 s10, s50, s10
	s_mul_hi_u32 s51, s50, s8
	s_add_u32 s10, s10, s52
	s_addc_u32 s51, 0, s51
	s_add_u32 s10, s10, s13
	s_mul_hi_u32 s9, s12, s8
	s_addc_u32 s10, s51, s11
	s_addc_u32 s9, s9, 0
	s_mul_i32 s8, s12, s8
	s_add_u32 s8, s10, s8
	s_addc_u32 s10, 0, s9
	s_add_u32 s11, s50, s8
	s_cselect_b64 s[8:9], -1, 0
	s_cmp_lg_u64 s[8:9], 0
	s_addc_u32 s8, s12, s10
	v_readlane_b32 s50, v50, 33
	s_mul_i32 s10, s50, s8
	s_mul_hi_u32 s12, s50, s11
	s_mul_hi_u32 s9, s50, s8
	s_add_u32 s10, s12, s10
	s_addc_u32 s9, 0, s9
	s_mul_hi_u32 s13, s77, s11
	s_mul_i32 s11, s77, s11
	s_add_u32 s10, s10, s11
	s_mul_hi_u32 s12, s77, s8
	s_addc_u32 s9, s9, s13
	s_addc_u32 s10, s12, 0
	s_mul_i32 s8, s77, s8
	s_add_u32 s8, s9, s8
	s_addc_u32 s9, 0, s10
	s_mul_i32 s9, s87, s9
	s_mul_hi_u32 s10, s87, s8
	s_add_i32 s10, s10, s9
	s_mul_i32 s8, s87, s8
	s_sub_u32 s11, s50, s8
	s_cselect_b64 s[8:9], -1, 0
	s_cmp_lg_u64 s[8:9], 0
	s_subb_u32 s10, s77, s10
	s_sub_u32 s12, s11, s87
	s_cselect_b64 s[8:9], -1, 0
	s_cmp_lg_u64 s[8:9], 0
	s_subb_u32 s13, s10, 0
	;; [unrolled: 4-line block ×3, first 2 shown]
	s_cmp_ge_u32 s12, s87
	s_cselect_b32 s9, -1, 0
	s_cmp_eq_u32 s13, 0
	s_cselect_b32 s9, s9, -1
	s_cmp_lg_u32 s9, 0
	s_cselect_b32 s8, s8, s13
	s_cselect_b32 s12, s50, s12
	s_cmp_ge_u32 s11, s87
	s_cselect_b32 s9, -1, 0
	s_cmp_eq_u32 s10, 0
	s_cselect_b32 s9, s9, -1
	s_cmp_lg_u32 s9, 0
	s_cselect_b32 s9, s8, s10
	s_cselect_b32 s8, s12, s11
	s_mov_b64 s[10:11], 0
	s_branch .LBB171_201
.LBB171_199:                            ;   in Loop: Header=BB171_12 Depth=1
                                        ; implicit-def: $sgpr10_sgpr11
	s_branch .LBB171_185
.LBB171_200:                            ;   in Loop: Header=BB171_12 Depth=1
	s_mov_b64 s[10:11], -1
                                        ; implicit-def: $sgpr8_sgpr9
.LBB171_201:                            ;   in Loop: Header=BB171_12 Depth=1
	s_andn2_b64 vcc, exec, s[10:11]
	v_readlane_b32 s15, v50, 55
	v_readlane_b32 s76, v50, 56
	s_cbranch_vccnz .LBB171_203
; %bb.202:                              ;   in Loop: Header=BB171_12 Depth=1
	v_cvt_f32_u32_e32 v4, s87
	s_sub_i32 s8, 0, s87
	v_readlane_b32 s10, v50, 33
	v_rcp_iflag_f32_e32 v4, v4
	v_mul_f32_e32 v4, 0x4f7ffffe, v4
	v_cvt_u32_f32_e32 v4, v4
	v_readfirstlane_b32 s9, v4
	s_mul_i32 s8, s8, s9
	s_mul_hi_u32 s8, s9, s8
	s_add_i32 s9, s9, s8
	s_mul_hi_u32 s8, s10, s9
	s_mul_i32 s8, s8, s87
	s_sub_i32 s8, s10, s8
	s_sub_i32 s9, s8, s87
	s_cmp_ge_u32 s8, s87
	s_cselect_b32 s8, s9, s8
	s_sub_i32 s9, s8, s87
	s_cmp_ge_u32 s8, s87
	s_mov_b32 s10, s88
	s_cselect_b32 s88, s9, s8
	s_mov_b64 s[8:9], s[88:89]
	s_mov_b32 s88, s10
.LBB171_203:                            ;   in Loop: Header=BB171_12 Depth=1
	v_readlane_b32 s10, v50, 33
	s_sub_u32 s10, s10, s8
	s_subb_u32 s11, s77, s9
	v_cmp_gt_u64_e32 vcc, s[10:11], v[0:1]
                                        ; implicit-def: $vgpr10
	s_and_saveexec_b64 s[8:9], vcc
	s_cbranch_execz .LBB171_212
; %bb.204:                              ;   in Loop: Header=BB171_12 Depth=1
	v_mov_b32_e32 v5, v1
	s_mov_b64 s[12:13], 0
	v_mov_b32_e32 v4, v0
                                        ; implicit-def: $sgpr50_sgpr51
	s_branch .LBB171_207
.LBB171_205:                            ;   in Loop: Header=BB171_207 Depth=2
	s_or_b64 exec, exec, s[52:53]
	s_waitcnt lgkmcnt(0)
	s_barrier
	ds_read_b32 v10, v3 offset:3072
	s_mov_b64 s[52:53], -1
	s_waitcnt lgkmcnt(0)
	s_barrier
	v_cmp_eq_u32_sdwa s[58:59], v10, v3 src0_sel:WORD_0 src1_sel:DWORD
	s_and_b64 vcc, exec, s[58:59]
	s_mov_b64 s[58:59], -1
	s_cbranch_vccnz .LBB171_210
.LBB171_206:                            ;   in Loop: Header=BB171_207 Depth=2
	s_and_b64 s[52:53], exec, s[52:53]
	s_or_b64 s[12:13], s[52:53], s[12:13]
	s_andn2_b64 s[50:51], s[50:51], exec
	s_and_b64 s[52:53], s[58:59], exec
	s_or_b64 s[50:51], s[50:51], s[52:53]
	s_andn2_b64 exec, exec, s[12:13]
	s_cbranch_execz .LBB171_211
.LBB171_207:                            ;   Parent Loop BB171_12 Depth=1
                                        ; =>  This Inner Loop Header: Depth=2
	v_cmp_gt_u64_e32 vcc, s[64:65], v[4:5]
	s_and_saveexec_b64 s[52:53], vcc
	s_cbranch_execz .LBB171_205
; %bb.208:                              ;   in Loop: Header=BB171_207 Depth=2
	v_mul_lo_u32 v21, v5, s62
	v_mul_lo_u32 v22, v4, s63
	v_mad_u64_u32 v[10:11], s[58:59], v4, s62, 0
	v_add3_u32 v11, v11, v22, v21
	v_lshlrev_b64 v[10:11], 1, v[10:11]
	v_mov_b32_e32 v21, s86
	v_add_co_u32_e32 v10, vcc, s33, v10
	v_addc_co_u32_e32 v11, vcc, v21, v11, vcc
	global_load_ushort v10, v[10:11], off
	s_waitcnt vmcnt(0)
	v_add_u32_sdwa v11, sext(v10), s85 dst_sel:DWORD dst_unused:UNUSED_PAD src0_sel:WORD_0 src1_sel:DWORD
	v_and_b32_e32 v11, v11, v8
	v_cmp_eq_u32_e32 vcc, v11, v9
	s_and_b64 exec, exec, vcc
	s_cbranch_execz .LBB171_205
; %bb.209:                              ;   in Loop: Header=BB171_207 Depth=2
	v_perm_b32 v10, v10, 1, v34
	ds_write_b32 v3, v10 offset:3072
	s_branch .LBB171_205
.LBB171_210:                            ;   in Loop: Header=BB171_207 Depth=2
	v_add_co_u32_e32 v4, vcc, s87, v4
	v_addc_co_u32_e32 v5, vcc, 0, v5, vcc
	v_cmp_le_u64_e32 vcc, s[10:11], v[4:5]
	s_mov_b64 s[58:59], 0
	s_orn2_b64 s[52:53], vcc, exec
	s_branch .LBB171_206
.LBB171_211:                            ;   in Loop: Header=BB171_12 Depth=1
	s_or_b64 exec, exec, s[12:13]
	s_andn2_b64 s[4:5], s[4:5], exec
	s_and_b64 s[10:11], s[50:51], exec
	v_lshrrev_b32_e32 v10, 16, v10
	s_or_b64 s[4:5], s[4:5], s[10:11]
.LBB171_212:                            ;   in Loop: Header=BB171_12 Depth=1
	s_or_b64 exec, exec, s[8:9]
	s_mov_b64 s[50:51], 0
	s_mov_b64 s[52:53], -1
.LBB171_213:                            ;   in Loop: Header=BB171_12 Depth=1
	s_orn2_b64 s[4:5], s[4:5], exec
.LBB171_214:                            ;   in Loop: Header=BB171_12 Depth=1
	s_or_b64 exec, exec, s[54:55]
	s_mov_b64 s[8:9], 0
	s_and_saveexec_b64 s[54:55], s[4:5]
	s_cbranch_execz .LBB171_274
; %bb.215:                              ;   in Loop: Header=BB171_12 Depth=1
	v_mov_b32_e32 v4, 1
	s_xor_b64 s[10:11], s[56:57], -1
	v_mov_b32_e32 v2, 1
	v_mov_b32_e32 v5, 0
	s_and_saveexec_b64 s[4:5], s[10:11]
	s_cbranch_execz .LBB171_224
; %bb.216:                              ;   in Loop: Header=BB171_12 Depth=1
	v_cmp_ge_u64_e32 vcc, s[26:27], v[6:7]
	s_and_saveexec_b64 s[8:9], vcc
	s_xor_b64 s[8:9], exec, s[8:9]
	s_cbranch_execz .LBB171_221
; %bb.217:                              ;   in Loop: Header=BB171_12 Depth=1
	ds_read_b64 v[4:5], v3 offset:5120
	v_and_b32_e32 v2, s88, v9
	v_lshl_or_b32 v9, 2, s0, v2
	v_or_b32_e32 v8, s1, v8
	s_waitcnt lgkmcnt(0)
	v_cmp_ne_u64_e32 vcc, 0, v[4:5]
	s_cbranch_vccnz .LBB171_221
; %bb.218:                              ;   in Loop: Header=BB171_12 Depth=1
	s_mov_b64 s[10:11], exec
	v_readlane_b32 s12, v50, 12
	v_readlane_b32 s13, v50, 13
	s_and_b64 s[12:13], s[10:11], s[12:13]
	s_mov_b64 exec, s[12:13]
; %bb.219:                              ;   in Loop: Header=BB171_12 Depth=1
	v_mov_b32_e32 v4, s26
	v_mov_b32_e32 v5, s27
	ds_write_b64 v3, v[4:5] offset:5128
; %bb.220:                              ;   in Loop: Header=BB171_12 Depth=1
	s_or_b64 exec, exec, s[10:11]
	s_waitcnt lgkmcnt(0)
	s_barrier
.LBB171_221:                            ;   in Loop: Header=BB171_12 Depth=1
	s_or_saveexec_b64 s[8:9], s[8:9]
	s_mov_b64 s[10:11], 0
	v_mov_b32_e32 v2, 8
	s_xor_b64 exec, exec, s[8:9]
; %bb.222:                              ;   in Loop: Header=BB171_12 Depth=1
	v_mov_b32_e32 v2, s27
	v_subrev_co_u32_e32 v6, vcc, s26, v6
	s_mov_b64 s[10:11], exec
	v_subb_co_u32_e32 v7, vcc, v7, v2, vcc
	v_mov_b32_e32 v2, 0
; %bb.223:                              ;   in Loop: Header=BB171_12 Depth=1
	s_or_b64 exec, exec, s[8:9]
	v_mov_b32_e32 v4, v6
	s_and_b64 s[8:9], s[10:11], exec
	v_mov_b32_e32 v5, v7
.LBB171_224:                            ;   in Loop: Header=BB171_12 Depth=1
	s_or_b64 exec, exec, s[4:5]
	s_mov_b64 s[4:5], -1
                                        ; implicit-def: $sgpr70_sgpr71
                                        ; implicit-def: $sgpr58_sgpr59
	s_and_saveexec_b64 s[56:57], s[8:9]
	s_cbranch_execz .LBB171_273
; %bb.225:                              ;   in Loop: Header=BB171_12 Depth=1
	s_cmp_eq_u64 s[28:29], 1
	v_cmp_eq_u64_e32 vcc, 1, v[4:5]
	s_cselect_b64 s[4:5], -1, 0
	s_mov_b64 s[8:9], -1
	s_and_b64 s[4:5], s[4:5], vcc
                                        ; implicit-def: $sgpr70_sgpr71
                                        ; implicit-def: $sgpr58_sgpr59
	s_mov_b64 s[10:11], exec
	v_writelane_b32 v50, s4, 61
	v_writelane_b32 v50, s5, 62
	s_mov_b64 s[78:79], s[10:11]
	s_and_b64 s[4:5], s[10:11], s[4:5]
	s_mov_b64 exec, s[4:5]
	s_cbranch_execz .LBB171_261
; %bb.226:                              ;   in Loop: Header=BB171_12 Depth=1
	ds_read_b64 v[6:7], v3 offset:5120
	s_waitcnt lgkmcnt(0)
	s_barrier
	v_readfirstlane_b32 s8, v6
	v_readfirstlane_b32 s9, v7
	s_mov_b64 s[4:5], exec
	v_readlane_b32 s10, v50, 28
	v_readlane_b32 s11, v50, 29
	s_and_b64 s[10:11], s[4:5], s[10:11]
	s_mov_b64 exec, s[10:11]
; %bb.227:                              ;   in Loop: Header=BB171_12 Depth=1
	ds_write_b16 v28, v3
; %bb.228:                              ;   in Loop: Header=BB171_12 Depth=1
	s_or_b64 exec, exec, s[4:5]
	v_or_b32_e32 v9, s1, v9
	v_or_b32_e32 v8, s1, v8
	s_mov_b64 s[58:59], -1
	s_mov_b64 s[70:71], 0
	s_cmp_eq_u64 s[8:9], 0
	s_mov_b64 s[4:5], 0
	s_mov_b64 s[10:11], -1
	s_waitcnt lgkmcnt(0)
	s_barrier
                                        ; implicit-def: $vgpr10
	s_cbranch_scc1 .LBB171_244
; %bb.229:                              ;   in Loop: Header=BB171_12 Depth=1
	v_writelane_b32 v50, s76, 63
                                        ; implicit-def: $vgpr49 : SGPR spill to VGPR lane
	v_readlane_b32 s4, v50, 32
	v_writelane_b32 v49, s77, 0
	s_add_u32 s76, s8, s4
	v_readlane_b32 s4, v50, 34
	s_addc_u32 s5, s9, s4
	s_mov_b32 s4, s89
	s_mov_b32 s15, s88
	v_writelane_b32 v49, s92, 1
	s_cmp_lg_u64 s[4:5], 0
	v_writelane_b32 v49, s93, 2
	s_cbranch_scc0 .LBB171_231
; %bb.230:                              ;   in Loop: Header=BB171_12 Depth=1
	v_cvt_f32_u32_e32 v6, s87
	s_sub_u32 s4, 0, s87
	s_subb_u32 s12, 0, 0
	v_mac_f32_e32 v6, 0, v33
	v_rcp_f32_e32 v6, v6
	v_mul_f32_e32 v6, 0x5f7ffffc, v6
	v_mul_f32_e32 v7, 0x2f800000, v6
	v_trunc_f32_e32 v7, v7
	v_mac_f32_e32 v6, 0xcf800000, v7
	v_cvt_u32_f32_e32 v7, v7
	v_cvt_u32_f32_e32 v6, v6
	v_readfirstlane_b32 s13, v7
	v_readfirstlane_b32 s10, v6
	s_mul_i32 s11, s4, s13
	s_mul_hi_u32 s88, s4, s10
	s_mul_i32 s77, s12, s10
	s_add_i32 s11, s88, s11
	s_mul_i32 s90, s4, s10
	s_add_i32 s11, s11, s77
	s_mul_hi_u32 s88, s10, s90
	s_mul_i32 s91, s10, s11
	s_mul_hi_u32 s77, s10, s11
	s_add_u32 s88, s88, s91
	s_addc_u32 s77, 0, s77
	s_mul_hi_u32 s92, s13, s90
	s_mul_i32 s90, s13, s90
	s_add_u32 s88, s88, s90
	s_mul_hi_u32 s91, s13, s11
	s_addc_u32 s77, s77, s92
	s_addc_u32 s88, s91, 0
	s_mul_i32 s11, s13, s11
	s_add_u32 s11, s77, s11
	s_addc_u32 s77, 0, s88
	s_add_u32 s88, s10, s11
	s_cselect_b64 s[10:11], -1, 0
	s_cmp_lg_u64 s[10:11], 0
	s_addc_u32 s13, s13, s77
	s_mul_i32 s10, s4, s13
	s_mul_hi_u32 s11, s4, s88
	s_add_i32 s10, s11, s10
	s_mul_i32 s12, s12, s88
	s_add_i32 s10, s10, s12
	s_mul_i32 s4, s4, s88
	s_mul_hi_u32 s12, s13, s4
	s_mul_i32 s77, s13, s4
	s_mul_i32 s91, s88, s10
	s_mul_hi_u32 s4, s88, s4
	s_mul_hi_u32 s90, s88, s10
	s_add_u32 s4, s4, s91
	s_addc_u32 s90, 0, s90
	s_add_u32 s4, s4, s77
	s_mul_hi_u32 s11, s13, s10
	s_addc_u32 s4, s90, s12
	s_addc_u32 s11, s11, 0
	s_mul_i32 s10, s13, s10
	s_add_u32 s4, s4, s10
	s_addc_u32 s12, 0, s11
	s_add_u32 s4, s88, s4
	s_cselect_b64 s[10:11], -1, 0
	s_cmp_lg_u64 s[10:11], 0
	s_addc_u32 s10, s13, s12
	s_mul_i32 s12, s76, s10
	s_mul_hi_u32 s13, s76, s4
	s_mul_hi_u32 s11, s76, s10
	s_add_u32 s12, s13, s12
	s_addc_u32 s11, 0, s11
	s_mul_hi_u32 s77, s5, s4
	s_mul_i32 s4, s5, s4
	s_add_u32 s4, s12, s4
	s_mul_hi_u32 s13, s5, s10
	s_addc_u32 s4, s11, s77
	s_addc_u32 s11, s13, 0
	s_mul_i32 s10, s5, s10
	s_add_u32 s4, s4, s10
	s_addc_u32 s10, 0, s11
	s_mul_i32 s10, s87, s10
	s_mul_hi_u32 s11, s87, s4
	s_add_i32 s12, s11, s10
	s_mul_i32 s4, s87, s4
	s_sub_u32 s4, s76, s4
	s_cselect_b64 s[10:11], -1, 0
	s_cmp_lg_u64 s[10:11], 0
	s_subb_u32 s12, s5, s12
	s_sub_u32 s13, s4, s87
	s_cselect_b64 s[10:11], -1, 0
	s_cmp_lg_u64 s[10:11], 0
	s_subb_u32 s77, s12, 0
	;; [unrolled: 4-line block ×3, first 2 shown]
	s_cmp_ge_u32 s13, s87
	s_cselect_b32 s11, -1, 0
	s_cmp_eq_u32 s77, 0
	s_cselect_b32 s11, s11, -1
	s_cmp_lg_u32 s11, 0
	s_cselect_b32 s10, s10, s77
	s_cselect_b32 s13, s88, s13
	s_cmp_ge_u32 s4, s87
	s_cselect_b32 s11, -1, 0
	s_cmp_eq_u32 s12, 0
	s_cselect_b32 s11, s11, -1
	s_cmp_lg_u32 s11, 0
	s_cselect_b32 s11, s10, s12
	s_cselect_b32 s10, s13, s4
	s_mov_b64 s[12:13], 0
	s_branch .LBB171_232
.LBB171_231:                            ;   in Loop: Header=BB171_12 Depth=1
	s_mov_b64 s[12:13], -1
                                        ; implicit-def: $sgpr10_sgpr11
.LBB171_232:                            ;   in Loop: Header=BB171_12 Depth=1
	s_andn2_b64 vcc, exec, s[12:13]
	s_cbranch_vccnz .LBB171_234
; %bb.233:                              ;   in Loop: Header=BB171_12 Depth=1
	v_cvt_f32_u32_e32 v6, s87
	s_sub_i32 s4, 0, s87
	v_rcp_iflag_f32_e32 v6, v6
	v_mul_f32_e32 v6, 0x4f7ffffe, v6
	v_cvt_u32_f32_e32 v6, v6
	v_readfirstlane_b32 s10, v6
	s_mul_i32 s4, s4, s10
	s_mul_hi_u32 s4, s10, s4
	s_add_i32 s10, s10, s4
	s_mul_hi_u32 s4, s76, s10
	s_mul_i32 s4, s4, s87
	s_sub_i32 s4, s76, s4
	s_sub_i32 s10, s4, s87
	s_cmp_ge_u32 s4, s87
	s_cselect_b32 s4, s10, s4
	s_sub_i32 s10, s4, s87
	s_cmp_ge_u32 s4, s87
	s_cselect_b32 s88, s10, s4
	s_mov_b64 s[10:11], s[88:89]
.LBB171_234:                            ;   in Loop: Header=BB171_12 Depth=1
	s_sub_u32 s76, s76, s10
	s_subb_u32 s77, s5, s11
	v_cmp_gt_u64_e32 vcc, s[76:77], v[0:1]
	s_mov_b64 s[10:11], 0
	s_mov_b64 s[4:5], 0
                                        ; implicit-def: $vgpr10
	s_and_saveexec_b64 s[12:13], vcc
	s_mov_b32 s88, s15
	s_cbranch_execz .LBB171_243
; %bb.235:                              ;   in Loop: Header=BB171_12 Depth=1
	v_mov_b32_e32 v7, v1
	v_mov_b32_e32 v10, v27
	;; [unrolled: 1-line block ×3, first 2 shown]
                                        ; implicit-def: $sgpr90_sgpr91
	s_branch .LBB171_238
.LBB171_236:                            ;   in Loop: Header=BB171_238 Depth=2
	s_or_b64 exec, exec, s[92:93]
	s_waitcnt lgkmcnt(0)
	s_barrier
	ds_read_b32 v11, v3 offset:3072
	s_mov_b64 s[92:93], -1
	s_waitcnt lgkmcnt(0)
	s_barrier
	v_cmp_ne_u32_sdwa s[94:95], v11, v3 src0_sel:WORD_0 src1_sel:DWORD
	s_and_b64 vcc, exec, s[94:95]
	s_mov_b64 s[94:95], -1
	s_cbranch_vccz .LBB171_241
.LBB171_237:                            ;   in Loop: Header=BB171_238 Depth=2
	s_and_b64 s[92:93], exec, s[92:93]
	s_or_b64 s[4:5], s[92:93], s[4:5]
	s_andn2_b64 s[90:91], s[90:91], exec
	s_and_b64 s[92:93], s[94:95], exec
	s_or_b64 s[90:91], s[90:91], s[92:93]
	s_andn2_b64 exec, exec, s[4:5]
	s_cbranch_execz .LBB171_242
.LBB171_238:                            ;   Parent Loop BB171_12 Depth=1
                                        ; =>  This Inner Loop Header: Depth=2
	v_cmp_gt_u64_e32 vcc, s[8:9], v[6:7]
	s_and_saveexec_b64 s[92:93], vcc
	s_cbranch_execz .LBB171_236
; %bb.239:                              ;   in Loop: Header=BB171_238 Depth=2
	ds_read_u16 v11, v10
	s_waitcnt lgkmcnt(0)
	v_add_u32_sdwa v21, sext(v11), s85 dst_sel:DWORD dst_unused:UNUSED_PAD src0_sel:WORD_0 src1_sel:DWORD
	v_and_b32_e32 v21, v21, v8
	v_cmp_eq_u32_e32 vcc, v21, v9
	s_and_b64 exec, exec, vcc
	s_cbranch_execz .LBB171_236
; %bb.240:                              ;   in Loop: Header=BB171_238 Depth=2
	v_perm_b32 v11, v11, 1, v34
	ds_write_b32 v3, v11 offset:3072
	s_branch .LBB171_236
.LBB171_241:                            ;   in Loop: Header=BB171_238 Depth=2
	v_add_co_u32_e32 v6, vcc, s87, v6
	v_addc_co_u32_e32 v7, vcc, 0, v7, vcc
	v_cmp_le_u64_e32 vcc, s[76:77], v[6:7]
	v_readlane_b32 s88, v50, 56
	v_add_u32_e32 v10, s88, v10
	s_mov_b32 s88, s15
	s_mov_b64 s[94:95], 0
	s_orn2_b64 s[92:93], vcc, exec
	s_branch .LBB171_237
.LBB171_242:                            ;   in Loop: Header=BB171_12 Depth=1
	s_or_b64 exec, exec, s[4:5]
	v_readlane_b32 s94, v50, 53
	v_lshrrev_b32_e32 v10, 16, v11
	s_and_b64 s[4:5], s[90:91], exec
	v_readlane_b32 s95, v50, 54
.LBB171_243:                            ;   in Loop: Header=BB171_12 Depth=1
	s_or_b64 exec, exec, s[12:13]
	v_readlane_b32 s92, v49, 1
	v_readlane_b32 s76, v50, 63
	v_readlane_b32 s93, v49, 2
	v_readlane_b32 s77, v49, 0
	v_readlane_b32 s15, v50, 55
	v_readlane_b32 s76, v50, 56
.LBB171_244:                            ;   in Loop: Header=BB171_12 Depth=1
	s_and_b64 vcc, exec, s[10:11]
	s_cbranch_vccz .LBB171_260
; %bb.245:                              ;   in Loop: Header=BB171_12 Depth=1
	s_mov_b32 s76, s89
	s_cmp_lg_u64 s[76:77], 0
	s_cbranch_scc0 .LBB171_247
; %bb.246:                              ;   in Loop: Header=BB171_12 Depth=1
	v_cvt_f32_u32_e32 v6, s87
	s_sub_u32 s10, 0, s87
	s_subb_u32 s11, 0, 0
	v_mac_f32_e32 v6, 0, v33
	v_rcp_f32_e32 v6, v6
	v_mul_f32_e32 v6, 0x5f7ffffc, v6
	v_mul_f32_e32 v7, 0x2f800000, v6
	v_trunc_f32_e32 v7, v7
	v_mac_f32_e32 v6, 0xcf800000, v7
	v_cvt_u32_f32_e32 v7, v7
	v_cvt_u32_f32_e32 v6, v6
	v_readfirstlane_b32 s12, v7
	v_readfirstlane_b32 s8, v6
	s_mul_i32 s9, s10, s12
	s_mul_hi_u32 s58, s10, s8
	s_mul_i32 s13, s11, s8
	s_add_i32 s9, s58, s9
	s_mul_i32 s59, s10, s8
	s_add_i32 s9, s9, s13
	s_mul_hi_u32 s58, s8, s59
	s_mul_i32 s70, s8, s9
	s_mul_hi_u32 s13, s8, s9
	s_add_u32 s58, s58, s70
	s_addc_u32 s13, 0, s13
	s_mul_hi_u32 s71, s12, s59
	s_mul_i32 s59, s12, s59
	s_add_u32 s58, s58, s59
	s_mul_hi_u32 s70, s12, s9
	s_addc_u32 s13, s13, s71
	s_addc_u32 s58, s70, 0
	s_mul_i32 s9, s12, s9
	s_add_u32 s9, s13, s9
	s_addc_u32 s13, 0, s58
	s_add_u32 s58, s8, s9
	s_cselect_b64 s[8:9], -1, 0
	s_cmp_lg_u64 s[8:9], 0
	s_addc_u32 s12, s12, s13
	s_mul_i32 s8, s10, s12
	s_mul_hi_u32 s9, s10, s58
	s_add_i32 s8, s9, s8
	s_mul_i32 s11, s11, s58
	s_add_i32 s8, s8, s11
	s_mul_i32 s10, s10, s58
	s_mul_hi_u32 s11, s12, s10
	s_mul_i32 s13, s12, s10
	s_mul_i32 s70, s58, s8
	s_mul_hi_u32 s10, s58, s10
	s_mul_hi_u32 s59, s58, s8
	s_add_u32 s10, s10, s70
	s_addc_u32 s59, 0, s59
	s_add_u32 s10, s10, s13
	s_mul_hi_u32 s9, s12, s8
	s_addc_u32 s10, s59, s11
	s_addc_u32 s9, s9, 0
	s_mul_i32 s8, s12, s8
	s_add_u32 s8, s10, s8
	s_addc_u32 s10, 0, s9
	s_add_u32 s11, s58, s8
	s_cselect_b64 s[8:9], -1, 0
	s_cmp_lg_u64 s[8:9], 0
	s_addc_u32 s8, s12, s10
	v_readlane_b32 s58, v50, 33
	s_mul_i32 s10, s58, s8
	s_mul_hi_u32 s12, s58, s11
	s_mul_hi_u32 s9, s58, s8
	s_add_u32 s10, s12, s10
	s_addc_u32 s9, 0, s9
	s_mul_hi_u32 s13, s77, s11
	s_mul_i32 s11, s77, s11
	s_add_u32 s10, s10, s11
	s_mul_hi_u32 s12, s77, s8
	s_addc_u32 s9, s9, s13
	s_addc_u32 s10, s12, 0
	s_mul_i32 s8, s77, s8
	s_add_u32 s8, s9, s8
	s_addc_u32 s9, 0, s10
	s_mul_i32 s9, s87, s9
	s_mul_hi_u32 s10, s87, s8
	s_add_i32 s10, s10, s9
	s_mul_i32 s8, s87, s8
	s_sub_u32 s11, s58, s8
	s_cselect_b64 s[8:9], -1, 0
	s_cmp_lg_u64 s[8:9], 0
	s_subb_u32 s10, s77, s10
	s_sub_u32 s12, s11, s87
	s_cselect_b64 s[8:9], -1, 0
	s_cmp_lg_u64 s[8:9], 0
	s_subb_u32 s13, s10, 0
	;; [unrolled: 4-line block ×3, first 2 shown]
	s_cmp_ge_u32 s12, s87
	s_cselect_b32 s9, -1, 0
	s_cmp_eq_u32 s13, 0
	s_cselect_b32 s9, s9, -1
	s_cmp_lg_u32 s9, 0
	s_cselect_b32 s8, s8, s13
	s_cselect_b32 s12, s58, s12
	s_cmp_ge_u32 s11, s87
	s_cselect_b32 s9, -1, 0
	s_cmp_eq_u32 s10, 0
	s_cselect_b32 s9, s9, -1
	s_cmp_lg_u32 s9, 0
	s_cselect_b32 s9, s8, s10
	s_cselect_b32 s8, s12, s11
	s_mov_b64 s[10:11], 0
	s_branch .LBB171_248
.LBB171_247:                            ;   in Loop: Header=BB171_12 Depth=1
	s_mov_b64 s[10:11], -1
                                        ; implicit-def: $sgpr8_sgpr9
.LBB171_248:                            ;   in Loop: Header=BB171_12 Depth=1
	s_andn2_b64 vcc, exec, s[10:11]
	v_readlane_b32 s15, v50, 55
	v_readlane_b32 s76, v50, 56
	s_cbranch_vccnz .LBB171_250
; %bb.249:                              ;   in Loop: Header=BB171_12 Depth=1
	v_cvt_f32_u32_e32 v6, s87
	s_sub_i32 s8, 0, s87
	v_readlane_b32 s10, v50, 33
	v_rcp_iflag_f32_e32 v6, v6
	v_mul_f32_e32 v6, 0x4f7ffffe, v6
	v_cvt_u32_f32_e32 v6, v6
	v_readfirstlane_b32 s9, v6
	s_mul_i32 s8, s8, s9
	s_mul_hi_u32 s8, s9, s8
	s_add_i32 s9, s9, s8
	s_mul_hi_u32 s8, s10, s9
	s_mul_i32 s8, s8, s87
	s_sub_i32 s8, s10, s8
	s_sub_i32 s9, s8, s87
	s_cmp_ge_u32 s8, s87
	s_cselect_b32 s8, s9, s8
	s_sub_i32 s9, s8, s87
	s_cmp_ge_u32 s8, s87
	s_mov_b32 s10, s88
	s_cselect_b32 s88, s9, s8
	s_mov_b64 s[8:9], s[88:89]
	s_mov_b32 s88, s10
.LBB171_250:                            ;   in Loop: Header=BB171_12 Depth=1
	v_readlane_b32 s10, v50, 33
	s_sub_u32 s10, s10, s8
	s_subb_u32 s11, s77, s9
	v_cmp_gt_u64_e32 vcc, s[10:11], v[0:1]
                                        ; implicit-def: $vgpr10
	s_and_saveexec_b64 s[8:9], vcc
	s_cbranch_execz .LBB171_259
; %bb.251:                              ;   in Loop: Header=BB171_12 Depth=1
	v_mov_b32_e32 v7, v1
	s_mov_b32 s15, s77
	s_mov_b64 s[12:13], 0
	v_mov_b32_e32 v6, v0
                                        ; implicit-def: $sgpr58_sgpr59
	s_branch .LBB171_254
.LBB171_252:                            ;   in Loop: Header=BB171_254 Depth=2
	s_or_b64 exec, exec, s[70:71]
	s_waitcnt lgkmcnt(0)
	s_barrier
	ds_read_b32 v10, v3 offset:3072
	s_mov_b64 s[70:71], -1
	s_waitcnt lgkmcnt(0)
	s_barrier
	v_cmp_eq_u32_sdwa s[76:77], v10, v3 src0_sel:WORD_0 src1_sel:DWORD
	s_and_b64 vcc, exec, s[76:77]
	s_mov_b64 s[76:77], -1
	s_cbranch_vccnz .LBB171_257
.LBB171_253:                            ;   in Loop: Header=BB171_254 Depth=2
	s_and_b64 s[70:71], exec, s[70:71]
	s_or_b64 s[12:13], s[70:71], s[12:13]
	s_andn2_b64 s[58:59], s[58:59], exec
	s_and_b64 s[70:71], s[76:77], exec
	s_or_b64 s[58:59], s[58:59], s[70:71]
	s_andn2_b64 exec, exec, s[12:13]
	s_cbranch_execz .LBB171_258
.LBB171_254:                            ;   Parent Loop BB171_12 Depth=1
                                        ; =>  This Inner Loop Header: Depth=2
	v_cmp_gt_u64_e32 vcc, s[64:65], v[6:7]
	s_and_saveexec_b64 s[70:71], vcc
	s_cbranch_execz .LBB171_252
; %bb.255:                              ;   in Loop: Header=BB171_254 Depth=2
	v_mul_lo_u32 v21, v7, s62
	v_mul_lo_u32 v22, v6, s63
	v_mad_u64_u32 v[10:11], s[76:77], v6, s62, 0
	v_add3_u32 v11, v11, v22, v21
	v_lshlrev_b64 v[10:11], 1, v[10:11]
	v_mov_b32_e32 v21, s86
	v_add_co_u32_e32 v10, vcc, s33, v10
	v_addc_co_u32_e32 v11, vcc, v21, v11, vcc
	global_load_ushort v10, v[10:11], off
	s_waitcnt vmcnt(0)
	v_add_u32_sdwa v11, sext(v10), s85 dst_sel:DWORD dst_unused:UNUSED_PAD src0_sel:WORD_0 src1_sel:DWORD
	v_and_b32_e32 v11, v11, v8
	v_cmp_eq_u32_e32 vcc, v11, v9
	s_and_b64 exec, exec, vcc
	s_cbranch_execz .LBB171_252
; %bb.256:                              ;   in Loop: Header=BB171_254 Depth=2
	v_perm_b32 v10, v10, 1, v34
	ds_write_b32 v3, v10 offset:3072
	s_branch .LBB171_252
.LBB171_257:                            ;   in Loop: Header=BB171_254 Depth=2
	v_add_co_u32_e32 v6, vcc, s87, v6
	v_addc_co_u32_e32 v7, vcc, 0, v7, vcc
	v_cmp_le_u64_e32 vcc, s[10:11], v[6:7]
	s_mov_b64 s[76:77], 0
	s_orn2_b64 s[70:71], vcc, exec
	s_branch .LBB171_253
.LBB171_258:                            ;   in Loop: Header=BB171_12 Depth=1
	s_or_b64 exec, exec, s[12:13]
	s_andn2_b64 s[4:5], s[4:5], exec
	s_and_b64 s[10:11], s[58:59], exec
	v_lshrrev_b32_e32 v10, 16, v10
	s_or_b64 s[4:5], s[4:5], s[10:11]
	s_mov_b32 s77, s15
	v_readlane_b32 s15, v50, 55
	v_readlane_b32 s76, v50, 56
.LBB171_259:                            ;   in Loop: Header=BB171_12 Depth=1
	s_or_b64 exec, exec, s[8:9]
	s_mov_b64 s[58:59], 0
	s_mov_b64 s[70:71], -1
.LBB171_260:                            ;   in Loop: Header=BB171_12 Depth=1
	s_orn2_b64 s[8:9], s[4:5], exec
.LBB171_261:                            ;   in Loop: Header=BB171_12 Depth=1
	s_or_b64 exec, exec, s[78:79]
	s_mov_b64 s[10:11], 0
	s_and_saveexec_b64 s[4:5], s[8:9]
	s_cbranch_execz .LBB171_272
; %bb.262:                              ;   in Loop: Header=BB171_12 Depth=1
	v_readlane_b32 s8, v50, 61
	v_readlane_b32 s9, v50, 62
	v_mov_b32_e32 v6, 1
	s_xor_b64 s[10:11], s[8:9], -1
	v_mov_b32_e32 v7, 0
	v_mov_b32_e32 v2, 1
	s_and_saveexec_b64 s[8:9], s[10:11]
	s_cbranch_execz .LBB171_271
; %bb.263:                              ;   in Loop: Header=BB171_12 Depth=1
	v_cmp_ge_u64_e32 vcc, s[28:29], v[4:5]
	s_and_saveexec_b64 s[10:11], vcc
	s_xor_b64 s[10:11], exec, s[10:11]
	s_cbranch_execz .LBB171_268
; %bb.264:                              ;   in Loop: Header=BB171_12 Depth=1
	ds_read_b64 v[6:7], v3 offset:5120
	v_or_b32_e32 v9, s1, v9
	v_or_b32_e32 v8, s1, v8
	s_waitcnt lgkmcnt(0)
	v_cmp_ne_u64_e32 vcc, 0, v[6:7]
	s_cbranch_vccnz .LBB171_268
; %bb.265:                              ;   in Loop: Header=BB171_12 Depth=1
	s_mov_b32 s15, s77
	s_mov_b64 s[12:13], exec
	v_readlane_b32 s76, v50, 12
	v_readlane_b32 s77, v50, 13
	s_and_b64 s[76:77], s[12:13], s[76:77]
	s_mov_b64 exec, s[76:77]
; %bb.266:                              ;   in Loop: Header=BB171_12 Depth=1
	v_mov_b32_e32 v6, s28
	v_mov_b32_e32 v7, s29
	ds_write_b64 v3, v[6:7] offset:5128
; %bb.267:                              ;   in Loop: Header=BB171_12 Depth=1
	s_or_b64 exec, exec, s[12:13]
	s_mov_b32 s77, s15
	v_readlane_b32 s15, v50, 55
	v_readlane_b32 s76, v50, 56
	s_waitcnt lgkmcnt(0)
	s_barrier
.LBB171_268:                            ;   in Loop: Header=BB171_12 Depth=1
	s_andn2_saveexec_b64 s[10:11], s[10:11]
; %bb.269:                              ;   in Loop: Header=BB171_12 Depth=1
	v_mov_b32_e32 v2, s29
	v_subrev_co_u32_e32 v4, vcc, s28, v4
	v_subb_co_u32_e32 v5, vcc, v5, v2, vcc
; %bb.270:                              ;   in Loop: Header=BB171_12 Depth=1
	s_or_b64 exec, exec, s[10:11]
	v_mov_b32_e32 v7, v5
	v_mov_b32_e32 v2, 8
	;; [unrolled: 1-line block ×3, first 2 shown]
.LBB171_271:                            ;   in Loop: Header=BB171_12 Depth=1
	s_or_b64 exec, exec, s[8:9]
	v_mov_b32_e32 v4, v6
	s_mov_b64 s[10:11], exec
	v_mov_b32_e32 v5, v7
.LBB171_272:                            ;   in Loop: Header=BB171_12 Depth=1
	s_or_b64 exec, exec, s[4:5]
	s_orn2_b64 s[4:5], s[10:11], exec
.LBB171_273:                            ;   in Loop: Header=BB171_12 Depth=1
	s_or_b64 exec, exec, s[56:57]
	s_andn2_b64 s[8:9], s[52:53], exec
	s_and_b64 s[10:11], s[70:71], exec
	s_or_b64 s[52:53], s[8:9], s[10:11]
	s_andn2_b64 s[8:9], s[50:51], exec
	s_and_b64 s[10:11], s[58:59], exec
	v_mov_b32_e32 v7, v5
	s_or_b64 s[50:51], s[8:9], s[10:11]
	s_and_b64 s[8:9], s[4:5], exec
	v_mov_b32_e32 v6, v4
.LBB171_274:                            ;   in Loop: Header=BB171_12 Depth=1
	s_or_b64 exec, exec, s[54:55]
	s_orn2_b64 s[4:5], s[8:9], exec
.LBB171_275:                            ;   in Loop: Header=BB171_12 Depth=1
	s_or_b64 exec, exec, s[48:49]
	s_andn2_b64 s[8:9], s[34:35], exec
	s_and_b64 s[10:11], s[52:53], exec
	s_or_b64 s[34:35], s[8:9], s[10:11]
	s_andn2_b64 s[8:9], s[30:31], exec
	s_and_b64 s[10:11], s[50:51], exec
	v_mov_b32_e32 v4, v6
	s_or_b64 s[30:31], s[8:9], s[10:11]
	s_and_b64 s[8:9], s[4:5], exec
	v_mov_b32_e32 v5, v7
.LBB171_276:                            ;   in Loop: Header=BB171_12 Depth=1
	s_or_b64 exec, exec, s[46:47]
	s_orn2_b64 s[4:5], s[8:9], exec
.LBB171_277:                            ;   in Loop: Header=BB171_12 Depth=1
	s_or_b64 exec, exec, s[6:7]
	s_mov_b64 s[6:7], 0
	s_mov_b64 s[8:9], 0
	s_and_saveexec_b64 s[10:11], s[4:5]
	s_xor_b64 s[4:5], exec, s[10:11]
; %bb.278:                              ;   in Loop: Header=BB171_12 Depth=1
	v_cmp_eq_u32_e32 vcc, 8, v2
	v_cmp_ne_u32_e64 s[6:7], 8, v2
	s_and_b64 s[8:9], s[6:7], exec
	s_and_b64 s[6:7], vcc, exec
; %bb.279:                              ;   in Loop: Header=BB171_12 Depth=1
	s_or_b64 exec, exec, s[4:5]
	s_andn2_b64 s[4:5], s[40:41], exec
	s_and_b64 s[10:11], s[34:35], exec
	s_or_b64 s[40:41], s[4:5], s[10:11]
	s_andn2_b64 s[4:5], s[38:39], exec
	s_and_b64 s[10:11], s[30:31], exec
	s_or_b64 s[38:39], s[4:5], s[10:11]
	s_and_b64 s[30:31], s[8:9], exec
	s_and_b64 s[34:35], s[6:7], exec
.LBB171_280:                            ;   in Loop: Header=BB171_12 Depth=1
	s_or_b64 exec, exec, s[44:45]
.LBB171_281:                            ;   in Loop: Header=BB171_12 Depth=1
	s_and_b64 vcc, exec, s[42:43]
	s_cbranch_vccz .LBB171_297
; %bb.282:                              ;   in Loop: Header=BB171_12 Depth=1
	s_cmp_eq_u64 s[28:29], 1
	s_cselect_b64 s[4:5], -1, 0
	s_and_b64 s[6:7], s[4:5], s[18:19]
	s_mov_b64 s[4:5], -1
                                        ; implicit-def: $sgpr18_sgpr19
                                        ; implicit-def: $sgpr22_sgpr23
	s_and_saveexec_b64 s[38:39], s[6:7]
	s_cbranch_execz .LBB171_318
; %bb.283:                              ;   in Loop: Header=BB171_12 Depth=1
	ds_read_b64 v[4:5], v3 offset:5120
	s_waitcnt lgkmcnt(0)
	s_barrier
	v_readfirstlane_b32 s8, v4
	v_readfirstlane_b32 s9, v5
	s_mov_b64 s[4:5], exec
	v_readlane_b32 s10, v50, 28
	v_readlane_b32 s11, v50, 29
	s_and_b64 s[10:11], s[4:5], s[10:11]
	s_mov_b64 exec, s[10:11]
; %bb.284:                              ;   in Loop: Header=BB171_12 Depth=1
	ds_write_b16 v28, v3
; %bb.285:                              ;   in Loop: Header=BB171_12 Depth=1
	s_or_b64 exec, exec, s[4:5]
	v_or_b32_e32 v30, s1, v30
	v_or_b32_e32 v35, s1, v35
	s_mov_b64 s[22:23], -1
	s_mov_b64 s[18:19], 0
	s_cmp_eq_u64 s[8:9], 0
	s_mov_b64 s[4:5], 0
	s_mov_b64 s[10:11], -1
	s_waitcnt lgkmcnt(0)
	s_barrier
                                        ; implicit-def: $vgpr36
	s_cbranch_scc1 .LBB171_300
; %bb.286:                              ;   in Loop: Header=BB171_12 Depth=1
	v_readlane_b32 s4, v50, 32
	s_add_u32 s40, s8, s4
	v_readlane_b32 s4, v50, 34
	s_addc_u32 s5, s9, s4
	s_mov_b32 s4, s89
	s_cmp_lg_u64 s[4:5], 0
	s_cbranch_scc0 .LBB171_303
; %bb.287:                              ;   in Loop: Header=BB171_12 Depth=1
	v_cvt_f32_u32_e32 v2, s87
	s_sub_u32 s4, 0, s87
	s_subb_u32 s12, 0, 0
	v_mac_f32_e32 v2, 0, v33
	v_rcp_f32_e32 v2, v2
	v_mul_f32_e32 v2, 0x5f7ffffc, v2
	v_mul_f32_e32 v4, 0x2f800000, v2
	v_trunc_f32_e32 v4, v4
	v_mac_f32_e32 v2, 0xcf800000, v4
	v_cvt_u32_f32_e32 v4, v4
	v_cvt_u32_f32_e32 v2, v2
	v_readfirstlane_b32 s13, v4
	v_readfirstlane_b32 s10, v2
	s_mul_i32 s11, s4, s13
	s_mul_hi_u32 s42, s4, s10
	s_mul_i32 s41, s12, s10
	s_add_i32 s11, s42, s11
	s_mul_i32 s43, s4, s10
	s_add_i32 s11, s11, s41
	s_mul_hi_u32 s42, s10, s43
	s_mul_i32 s44, s10, s11
	s_mul_hi_u32 s41, s10, s11
	s_add_u32 s42, s42, s44
	s_addc_u32 s41, 0, s41
	s_mul_hi_u32 s45, s13, s43
	s_mul_i32 s43, s13, s43
	s_add_u32 s42, s42, s43
	s_mul_hi_u32 s44, s13, s11
	s_addc_u32 s41, s41, s45
	s_addc_u32 s42, s44, 0
	s_mul_i32 s11, s13, s11
	s_add_u32 s11, s41, s11
	s_addc_u32 s41, 0, s42
	s_add_u32 s42, s10, s11
	s_cselect_b64 s[10:11], -1, 0
	s_cmp_lg_u64 s[10:11], 0
	s_addc_u32 s13, s13, s41
	s_mul_i32 s10, s4, s13
	s_mul_hi_u32 s11, s4, s42
	s_add_i32 s10, s11, s10
	s_mul_i32 s12, s12, s42
	s_add_i32 s10, s10, s12
	s_mul_i32 s4, s4, s42
	s_mul_hi_u32 s12, s13, s4
	s_mul_i32 s41, s13, s4
	s_mul_i32 s44, s42, s10
	s_mul_hi_u32 s4, s42, s4
	s_mul_hi_u32 s43, s42, s10
	s_add_u32 s4, s4, s44
	s_addc_u32 s43, 0, s43
	s_add_u32 s4, s4, s41
	s_mul_hi_u32 s11, s13, s10
	s_addc_u32 s4, s43, s12
	s_addc_u32 s11, s11, 0
	s_mul_i32 s10, s13, s10
	s_add_u32 s4, s4, s10
	s_addc_u32 s12, 0, s11
	s_add_u32 s4, s42, s4
	s_cselect_b64 s[10:11], -1, 0
	s_cmp_lg_u64 s[10:11], 0
	s_addc_u32 s10, s13, s12
	s_mul_i32 s12, s40, s10
	s_mul_hi_u32 s13, s40, s4
	s_mul_hi_u32 s11, s40, s10
	s_add_u32 s12, s13, s12
	s_addc_u32 s11, 0, s11
	s_mul_hi_u32 s41, s5, s4
	s_mul_i32 s4, s5, s4
	s_add_u32 s4, s12, s4
	s_mul_hi_u32 s13, s5, s10
	s_addc_u32 s4, s11, s41
	s_addc_u32 s11, s13, 0
	s_mul_i32 s10, s5, s10
	s_add_u32 s4, s4, s10
	s_addc_u32 s10, 0, s11
	s_mul_i32 s10, s87, s10
	s_mul_hi_u32 s11, s87, s4
	s_add_i32 s12, s11, s10
	s_mul_i32 s4, s87, s4
	s_sub_u32 s4, s40, s4
	s_cselect_b64 s[10:11], -1, 0
	s_cmp_lg_u64 s[10:11], 0
	s_subb_u32 s12, s5, s12
	s_sub_u32 s13, s4, s87
	s_cselect_b64 s[10:11], -1, 0
	s_cmp_lg_u64 s[10:11], 0
	s_subb_u32 s41, s12, 0
	;; [unrolled: 4-line block ×3, first 2 shown]
	s_cmp_ge_u32 s13, s87
	s_cselect_b32 s11, -1, 0
	s_cmp_eq_u32 s41, 0
	s_cselect_b32 s11, s11, -1
	s_cmp_lg_u32 s11, 0
	s_cselect_b32 s10, s10, s41
	s_cselect_b32 s13, s42, s13
	s_cmp_ge_u32 s4, s87
	s_cselect_b32 s11, -1, 0
	s_cmp_eq_u32 s12, 0
	s_cselect_b32 s11, s11, -1
	s_cmp_lg_u32 s11, 0
	s_cselect_b32 s11, s10, s12
	s_cselect_b32 s10, s13, s4
	s_cbranch_execnz .LBB171_289
.LBB171_288:                            ;   in Loop: Header=BB171_12 Depth=1
	v_cvt_f32_u32_e32 v2, s87
	s_sub_i32 s4, 0, s87
	s_mov_b32 s12, s88
	v_rcp_iflag_f32_e32 v2, v2
	v_mul_f32_e32 v2, 0x4f7ffffe, v2
	v_cvt_u32_f32_e32 v2, v2
	v_readfirstlane_b32 s10, v2
	s_mul_i32 s4, s4, s10
	s_mul_hi_u32 s4, s10, s4
	s_add_i32 s10, s10, s4
	s_mul_hi_u32 s4, s40, s10
	s_mul_i32 s4, s4, s87
	s_sub_i32 s4, s40, s4
	s_sub_i32 s10, s4, s87
	s_cmp_ge_u32 s4, s87
	s_cselect_b32 s4, s10, s4
	s_sub_i32 s10, s4, s87
	s_cmp_ge_u32 s4, s87
	s_cselect_b32 s88, s10, s4
	s_mov_b64 s[10:11], s[88:89]
	s_mov_b32 s88, s12
.LBB171_289:                            ;   in Loop: Header=BB171_12 Depth=1
	s_sub_u32 s40, s40, s10
	s_subb_u32 s41, s5, s11
	v_cmp_gt_u64_e32 vcc, s[40:41], v[0:1]
	s_mov_b64 s[10:11], 0
	s_mov_b64 s[4:5], 0
                                        ; implicit-def: $vgpr36
	s_and_saveexec_b64 s[12:13], vcc
	s_cbranch_execz .LBB171_299
; %bb.290:                              ;   in Loop: Header=BB171_12 Depth=1
	v_mov_b32_e32 v5, v1
	v_mov_b32_e32 v2, v27
	;; [unrolled: 1-line block ×3, first 2 shown]
                                        ; implicit-def: $sgpr42_sgpr43
	s_branch .LBB171_293
.LBB171_291:                            ;   in Loop: Header=BB171_293 Depth=2
	s_or_b64 exec, exec, s[44:45]
	s_waitcnt lgkmcnt(0)
	s_barrier
	ds_read_b32 v6, v3 offset:3072
	s_mov_b64 s[44:45], -1
	s_waitcnt lgkmcnt(0)
	s_barrier
	v_cmp_ne_u32_sdwa s[46:47], v6, v3 src0_sel:WORD_0 src1_sel:DWORD
	s_and_b64 vcc, exec, s[46:47]
	s_mov_b64 s[46:47], -1
	s_cbranch_vccz .LBB171_296
.LBB171_292:                            ;   in Loop: Header=BB171_293 Depth=2
	s_and_b64 s[44:45], exec, s[44:45]
	s_or_b64 s[4:5], s[44:45], s[4:5]
	s_andn2_b64 s[42:43], s[42:43], exec
	s_and_b64 s[44:45], s[46:47], exec
	s_or_b64 s[42:43], s[42:43], s[44:45]
	s_andn2_b64 exec, exec, s[4:5]
	s_cbranch_execz .LBB171_298
.LBB171_293:                            ;   Parent Loop BB171_12 Depth=1
                                        ; =>  This Inner Loop Header: Depth=2
	v_cmp_gt_u64_e32 vcc, s[8:9], v[4:5]
	s_and_saveexec_b64 s[44:45], vcc
	s_cbranch_execz .LBB171_291
; %bb.294:                              ;   in Loop: Header=BB171_293 Depth=2
	ds_read_u16 v6, v2
	s_waitcnt lgkmcnt(0)
	v_add_u32_sdwa v7, sext(v6), s85 dst_sel:DWORD dst_unused:UNUSED_PAD src0_sel:WORD_0 src1_sel:DWORD
	v_and_b32_e32 v7, v7, v35
	v_cmp_eq_u32_e32 vcc, v7, v30
	s_and_b64 exec, exec, vcc
	s_cbranch_execz .LBB171_291
; %bb.295:                              ;   in Loop: Header=BB171_293 Depth=2
	v_perm_b32 v6, v6, 1, v34
	ds_write_b32 v3, v6 offset:3072
	s_branch .LBB171_291
.LBB171_296:                            ;   in Loop: Header=BB171_293 Depth=2
	v_add_co_u32_e32 v4, vcc, s87, v4
	v_addc_co_u32_e32 v5, vcc, 0, v5, vcc
	v_cmp_le_u64_e32 vcc, s[40:41], v[4:5]
	v_add_u32_e32 v2, s76, v2
	s_mov_b64 s[46:47], 0
	s_orn2_b64 s[44:45], vcc, exec
	s_branch .LBB171_292
.LBB171_297:                            ;   in Loop: Header=BB171_12 Depth=1
	s_mov_b64 s[18:19], 0
	v_mov_b32_e32 v30, v9
	v_mov_b32_e32 v35, v8
	;; [unrolled: 1-line block ×3, first 2 shown]
	s_and_saveexec_b64 s[4:5], s[34:35]
	s_cbranch_execnz .LBB171_477
	s_branch .LBB171_478
.LBB171_298:                            ;   in Loop: Header=BB171_12 Depth=1
	s_or_b64 exec, exec, s[4:5]
	v_lshrrev_b32_e32 v36, 16, v6
	s_and_b64 s[4:5], s[42:43], exec
.LBB171_299:                            ;   in Loop: Header=BB171_12 Depth=1
	s_or_b64 exec, exec, s[12:13]
.LBB171_300:                            ;   in Loop: Header=BB171_12 Depth=1
	s_and_b64 vcc, exec, s[10:11]
	s_cbranch_vccz .LBB171_317
; %bb.301:                              ;   in Loop: Header=BB171_12 Depth=1
	s_mov_b32 s76, s89
	s_cmp_lg_u64 s[76:77], 0
	s_cbranch_scc0 .LBB171_304
; %bb.302:                              ;   in Loop: Header=BB171_12 Depth=1
	v_cvt_f32_u32_e32 v2, s87
	s_sub_u32 s10, 0, s87
	s_subb_u32 s11, 0, 0
	v_mac_f32_e32 v2, 0, v33
	v_rcp_f32_e32 v2, v2
	v_mul_f32_e32 v2, 0x5f7ffffc, v2
	v_mul_f32_e32 v4, 0x2f800000, v2
	v_trunc_f32_e32 v4, v4
	v_mac_f32_e32 v2, 0xcf800000, v4
	v_cvt_u32_f32_e32 v4, v4
	v_cvt_u32_f32_e32 v2, v2
	v_readfirstlane_b32 s12, v4
	v_readfirstlane_b32 s8, v2
	s_mul_i32 s9, s10, s12
	s_mul_hi_u32 s18, s10, s8
	s_mul_i32 s13, s11, s8
	s_add_i32 s9, s18, s9
	s_mul_i32 s19, s10, s8
	s_add_i32 s9, s9, s13
	s_mul_hi_u32 s18, s8, s19
	s_mul_i32 s22, s8, s9
	s_mul_hi_u32 s13, s8, s9
	s_add_u32 s18, s18, s22
	s_addc_u32 s13, 0, s13
	s_mul_hi_u32 s23, s12, s19
	s_mul_i32 s19, s12, s19
	s_add_u32 s18, s18, s19
	s_mul_hi_u32 s22, s12, s9
	s_addc_u32 s13, s13, s23
	s_addc_u32 s18, s22, 0
	s_mul_i32 s9, s12, s9
	s_add_u32 s9, s13, s9
	s_addc_u32 s13, 0, s18
	s_add_u32 s18, s8, s9
	s_cselect_b64 s[8:9], -1, 0
	s_cmp_lg_u64 s[8:9], 0
	s_addc_u32 s12, s12, s13
	s_mul_i32 s8, s10, s12
	s_mul_hi_u32 s9, s10, s18
	s_add_i32 s8, s9, s8
	s_mul_i32 s11, s11, s18
	s_add_i32 s8, s8, s11
	s_mul_i32 s10, s10, s18
	s_mul_hi_u32 s11, s12, s10
	s_mul_i32 s13, s12, s10
	s_mul_i32 s22, s18, s8
	s_mul_hi_u32 s10, s18, s10
	s_mul_hi_u32 s19, s18, s8
	s_add_u32 s10, s10, s22
	s_addc_u32 s19, 0, s19
	s_add_u32 s10, s10, s13
	s_mul_hi_u32 s9, s12, s8
	s_addc_u32 s10, s19, s11
	s_addc_u32 s9, s9, 0
	s_mul_i32 s8, s12, s8
	s_add_u32 s8, s10, s8
	s_addc_u32 s10, 0, s9
	s_add_u32 s11, s18, s8
	s_cselect_b64 s[8:9], -1, 0
	s_cmp_lg_u64 s[8:9], 0
	s_addc_u32 s8, s12, s10
	v_readlane_b32 s18, v50, 33
	s_mul_i32 s10, s18, s8
	s_mul_hi_u32 s12, s18, s11
	s_mul_hi_u32 s9, s18, s8
	s_add_u32 s10, s12, s10
	s_addc_u32 s9, 0, s9
	s_mul_hi_u32 s13, s77, s11
	s_mul_i32 s11, s77, s11
	s_add_u32 s10, s10, s11
	s_mul_hi_u32 s12, s77, s8
	s_addc_u32 s9, s9, s13
	s_addc_u32 s10, s12, 0
	s_mul_i32 s8, s77, s8
	s_add_u32 s8, s9, s8
	s_addc_u32 s9, 0, s10
	s_mul_i32 s9, s87, s9
	s_mul_hi_u32 s10, s87, s8
	s_add_i32 s10, s10, s9
	s_mul_i32 s8, s87, s8
	s_sub_u32 s11, s18, s8
	s_cselect_b64 s[8:9], -1, 0
	s_cmp_lg_u64 s[8:9], 0
	s_subb_u32 s10, s77, s10
	s_sub_u32 s12, s11, s87
	s_cselect_b64 s[8:9], -1, 0
	s_cmp_lg_u64 s[8:9], 0
	s_subb_u32 s13, s10, 0
	;; [unrolled: 4-line block ×3, first 2 shown]
	s_cmp_ge_u32 s12, s87
	s_cselect_b32 s9, -1, 0
	s_cmp_eq_u32 s13, 0
	s_cselect_b32 s9, s9, -1
	s_cmp_lg_u32 s9, 0
	s_cselect_b32 s8, s8, s13
	s_cselect_b32 s12, s18, s12
	s_cmp_ge_u32 s11, s87
	s_cselect_b32 s9, -1, 0
	s_cmp_eq_u32 s10, 0
	s_cselect_b32 s9, s9, -1
	s_cmp_lg_u32 s9, 0
	s_cselect_b32 s9, s8, s10
	s_cselect_b32 s8, s12, s11
	s_mov_b64 s[10:11], 0
	s_branch .LBB171_305
.LBB171_303:                            ;   in Loop: Header=BB171_12 Depth=1
                                        ; implicit-def: $sgpr10_sgpr11
	s_branch .LBB171_288
.LBB171_304:                            ;   in Loop: Header=BB171_12 Depth=1
	s_mov_b64 s[10:11], -1
                                        ; implicit-def: $sgpr8_sgpr9
.LBB171_305:                            ;   in Loop: Header=BB171_12 Depth=1
	s_andn2_b64 vcc, exec, s[10:11]
	v_readlane_b32 s15, v50, 55
	v_readlane_b32 s76, v50, 56
	s_cbranch_vccnz .LBB171_307
; %bb.306:                              ;   in Loop: Header=BB171_12 Depth=1
	v_cvt_f32_u32_e32 v2, s87
	s_sub_i32 s8, 0, s87
	v_readlane_b32 s10, v50, 33
	v_rcp_iflag_f32_e32 v2, v2
	v_mul_f32_e32 v2, 0x4f7ffffe, v2
	v_cvt_u32_f32_e32 v2, v2
	v_readfirstlane_b32 s9, v2
	s_mul_i32 s8, s8, s9
	s_mul_hi_u32 s8, s9, s8
	s_add_i32 s9, s9, s8
	s_mul_hi_u32 s8, s10, s9
	s_mul_i32 s8, s8, s87
	s_sub_i32 s8, s10, s8
	s_sub_i32 s9, s8, s87
	s_cmp_ge_u32 s8, s87
	s_cselect_b32 s8, s9, s8
	s_sub_i32 s9, s8, s87
	s_cmp_ge_u32 s8, s87
	s_mov_b32 s10, s88
	s_cselect_b32 s88, s9, s8
	s_mov_b64 s[8:9], s[88:89]
	s_mov_b32 s88, s10
.LBB171_307:                            ;   in Loop: Header=BB171_12 Depth=1
	v_readlane_b32 s10, v50, 33
	s_sub_u32 s10, s10, s8
	s_subb_u32 s11, s77, s9
	v_cmp_gt_u64_e32 vcc, s[10:11], v[0:1]
                                        ; implicit-def: $vgpr36
	s_and_saveexec_b64 s[8:9], vcc
	s_cbranch_execz .LBB171_316
; %bb.308:                              ;   in Loop: Header=BB171_12 Depth=1
	v_mov_b32_e32 v5, v1
	s_mov_b64 s[12:13], 0
	v_mov_b32_e32 v4, v0
                                        ; implicit-def: $sgpr18_sgpr19
	s_branch .LBB171_311
.LBB171_309:                            ;   in Loop: Header=BB171_311 Depth=2
	s_or_b64 exec, exec, s[22:23]
	s_waitcnt lgkmcnt(0)
	s_barrier
	ds_read_b32 v2, v3 offset:3072
	s_mov_b64 s[22:23], -1
	s_waitcnt lgkmcnt(0)
	s_barrier
	v_cmp_ne_u32_sdwa s[40:41], v2, v3 src0_sel:WORD_0 src1_sel:DWORD
	s_and_b64 vcc, exec, s[40:41]
	s_mov_b64 s[40:41], -1
	s_cbranch_vccz .LBB171_314
.LBB171_310:                            ;   in Loop: Header=BB171_311 Depth=2
	s_and_b64 s[22:23], exec, s[22:23]
	s_or_b64 s[12:13], s[22:23], s[12:13]
	s_andn2_b64 s[18:19], s[18:19], exec
	s_and_b64 s[22:23], s[40:41], exec
	s_or_b64 s[18:19], s[18:19], s[22:23]
	s_andn2_b64 exec, exec, s[12:13]
	s_cbranch_execz .LBB171_315
.LBB171_311:                            ;   Parent Loop BB171_12 Depth=1
                                        ; =>  This Inner Loop Header: Depth=2
	v_cmp_gt_u64_e32 vcc, s[64:65], v[4:5]
	s_and_saveexec_b64 s[22:23], vcc
	s_cbranch_execz .LBB171_309
; %bb.312:                              ;   in Loop: Header=BB171_311 Depth=2
	v_mul_lo_u32 v2, v5, s62
	v_mul_lo_u32 v8, v4, s63
	v_mad_u64_u32 v[6:7], s[40:41], v4, s62, 0
	v_add3_u32 v7, v7, v8, v2
	v_lshlrev_b64 v[6:7], 1, v[6:7]
	v_mov_b32_e32 v2, s86
	v_add_co_u32_e32 v6, vcc, s33, v6
	v_addc_co_u32_e32 v7, vcc, v2, v7, vcc
	global_load_ushort v2, v[6:7], off
	s_waitcnt vmcnt(0)
	v_add_u32_sdwa v6, sext(v2), s85 dst_sel:DWORD dst_unused:UNUSED_PAD src0_sel:WORD_0 src1_sel:DWORD
	v_and_b32_e32 v6, v6, v35
	v_cmp_eq_u32_e32 vcc, v6, v30
	s_and_b64 exec, exec, vcc
	s_cbranch_execz .LBB171_309
; %bb.313:                              ;   in Loop: Header=BB171_311 Depth=2
	v_perm_b32 v2, v2, 1, v34
	ds_write_b32 v3, v2 offset:3072
	s_branch .LBB171_309
.LBB171_314:                            ;   in Loop: Header=BB171_311 Depth=2
	v_add_co_u32_e32 v4, vcc, s87, v4
	v_addc_co_u32_e32 v5, vcc, 0, v5, vcc
	v_cmp_le_u64_e32 vcc, s[10:11], v[4:5]
	s_mov_b64 s[40:41], 0
	s_orn2_b64 s[22:23], vcc, exec
	s_branch .LBB171_310
.LBB171_315:                            ;   in Loop: Header=BB171_12 Depth=1
	s_or_b64 exec, exec, s[12:13]
	s_andn2_b64 s[4:5], s[4:5], exec
	s_and_b64 s[10:11], s[18:19], exec
	v_lshrrev_b32_e32 v36, 16, v2
	s_or_b64 s[4:5], s[4:5], s[10:11]
.LBB171_316:                            ;   in Loop: Header=BB171_12 Depth=1
	s_or_b64 exec, exec, s[8:9]
	s_mov_b64 s[22:23], 0
	s_mov_b64 s[18:19], -1
.LBB171_317:                            ;   in Loop: Header=BB171_12 Depth=1
	s_orn2_b64 s[4:5], s[4:5], exec
.LBB171_318:                            ;   in Loop: Header=BB171_12 Depth=1
	s_or_b64 exec, exec, s[38:39]
                                        ; implicit-def: $vgpr4_vgpr5
                                        ; implicit-def: $vgpr2
	s_and_saveexec_b64 s[38:39], s[4:5]
	s_cbranch_execz .LBB171_476
; %bb.319:                              ;   in Loop: Header=BB171_12 Depth=1
	v_mov_b32_e32 v4, 1
	s_xor_b64 s[8:9], s[6:7], -1
	v_mov_b32_e32 v2, 1
	v_mov_b32_e32 v5, 0
	s_mov_b64 s[6:7], 0
	s_and_saveexec_b64 s[4:5], s[8:9]
	s_cbranch_execz .LBB171_328
; %bb.320:                              ;   in Loop: Header=BB171_12 Depth=1
	v_cmp_ge_u64_e32 vcc, s[28:29], v[19:20]
	s_and_saveexec_b64 s[6:7], vcc
	s_xor_b64 s[6:7], exec, s[6:7]
	s_cbranch_execz .LBB171_325
; %bb.321:                              ;   in Loop: Header=BB171_12 Depth=1
	ds_read_b64 v[4:5], v3 offset:5120
	v_or_b32_e32 v30, s1, v30
	v_or_b32_e32 v35, s1, v35
	s_waitcnt lgkmcnt(0)
	v_cmp_ne_u64_e32 vcc, 0, v[4:5]
	s_cbranch_vccnz .LBB171_325
; %bb.322:                              ;   in Loop: Header=BB171_12 Depth=1
	s_mov_b64 s[8:9], exec
	v_readlane_b32 s10, v50, 12
	v_readlane_b32 s11, v50, 13
	s_and_b64 s[10:11], s[8:9], s[10:11]
	s_mov_b64 exec, s[10:11]
; %bb.323:                              ;   in Loop: Header=BB171_12 Depth=1
	v_mov_b32_e32 v4, s28
	v_mov_b32_e32 v5, s29
	ds_write_b64 v3, v[4:5] offset:5128
; %bb.324:                              ;   in Loop: Header=BB171_12 Depth=1
	s_or_b64 exec, exec, s[8:9]
	s_waitcnt lgkmcnt(0)
	s_barrier
.LBB171_325:                            ;   in Loop: Header=BB171_12 Depth=1
	s_or_saveexec_b64 s[6:7], s[6:7]
	s_mov_b64 s[8:9], 0
	v_mov_b32_e32 v2, 5
	s_xor_b64 exec, exec, s[6:7]
; %bb.326:                              ;   in Loop: Header=BB171_12 Depth=1
	v_mov_b32_e32 v2, s29
	v_subrev_co_u32_e32 v19, vcc, s28, v19
	s_mov_b64 s[8:9], exec
	v_subb_co_u32_e32 v20, vcc, v20, v2, vcc
	v_mov_b32_e32 v2, 0
; %bb.327:                              ;   in Loop: Header=BB171_12 Depth=1
	s_or_b64 exec, exec, s[6:7]
	v_mov_b32_e32 v4, v19
	s_and_b64 s[6:7], s[8:9], exec
	v_mov_b32_e32 v5, v20
.LBB171_328:                            ;   in Loop: Header=BB171_12 Depth=1
	s_or_b64 exec, exec, s[4:5]
	s_mov_b64 s[4:5], -1
                                        ; implicit-def: $sgpr28_sgpr29
                                        ; implicit-def: $sgpr40_sgpr41
	s_and_saveexec_b64 s[8:9], s[6:7]
	s_xor_b64 s[6:7], exec, s[8:9]
	s_cbranch_execz .LBB171_473
; %bb.329:                              ;   in Loop: Header=BB171_12 Depth=1
	s_cmp_eq_u64 s[26:27], 1
	v_cmp_eq_u64_e32 vcc, 1, v[4:5]
	s_cselect_b64 s[4:5], -1, 0
	s_and_b64 s[44:45], s[4:5], vcc
	s_mov_b64 s[4:5], -1
                                        ; implicit-def: $sgpr40_sgpr41
                                        ; implicit-def: $sgpr28_sgpr29
	s_and_saveexec_b64 s[42:43], s[44:45]
	s_cbranch_execz .LBB171_364
; %bb.330:                              ;   in Loop: Header=BB171_12 Depth=1
	ds_read_b64 v[6:7], v3 offset:5120
	s_waitcnt lgkmcnt(0)
	s_barrier
	v_readfirstlane_b32 s8, v6
	v_readfirstlane_b32 s9, v7
	s_mov_b64 s[4:5], exec
	v_readlane_b32 s10, v50, 28
	v_readlane_b32 s11, v50, 29
	s_and_b64 s[10:11], s[4:5], s[10:11]
	s_mov_b64 exec, s[10:11]
; %bb.331:                              ;   in Loop: Header=BB171_12 Depth=1
	ds_write_b16 v28, v3
; %bb.332:                              ;   in Loop: Header=BB171_12 Depth=1
	s_or_b64 exec, exec, s[4:5]
	v_and_b32_e32 v6, s88, v30
	v_lshl_or_b32 v30, 2, s0, v6
	v_or_b32_e32 v35, s1, v35
	s_mov_b64 s[28:29], -1
	s_mov_b64 s[40:41], 0
	s_cmp_eq_u64 s[8:9], 0
	s_mov_b64 s[4:5], 0
	s_mov_b64 s[10:11], -1
	s_waitcnt lgkmcnt(0)
	s_barrier
                                        ; implicit-def: $vgpr36
	s_cbranch_scc1 .LBB171_346
; %bb.333:                              ;   in Loop: Header=BB171_12 Depth=1
	v_readlane_b32 s4, v50, 32
	s_add_u32 s46, s8, s4
	v_readlane_b32 s4, v50, 34
	s_addc_u32 s5, s9, s4
	s_mov_b32 s4, s89
	s_cmp_lg_u64 s[4:5], 0
	s_cbranch_scc0 .LBB171_349
; %bb.334:                              ;   in Loop: Header=BB171_12 Depth=1
	v_cvt_f32_u32_e32 v6, s87
	s_sub_u32 s4, 0, s87
	s_subb_u32 s12, 0, 0
	v_mac_f32_e32 v6, 0, v33
	v_rcp_f32_e32 v6, v6
	v_mul_f32_e32 v6, 0x5f7ffffc, v6
	v_mul_f32_e32 v7, 0x2f800000, v6
	v_trunc_f32_e32 v7, v7
	v_mac_f32_e32 v6, 0xcf800000, v7
	v_cvt_u32_f32_e32 v7, v7
	v_cvt_u32_f32_e32 v6, v6
	v_readfirstlane_b32 s13, v7
	v_readfirstlane_b32 s10, v6
	s_mul_i32 s11, s4, s13
	s_mul_hi_u32 s48, s4, s10
	s_mul_i32 s47, s12, s10
	s_add_i32 s11, s48, s11
	s_mul_i32 s49, s4, s10
	s_add_i32 s11, s11, s47
	s_mul_hi_u32 s48, s10, s49
	s_mul_i32 s50, s10, s11
	s_mul_hi_u32 s47, s10, s11
	s_add_u32 s48, s48, s50
	s_addc_u32 s47, 0, s47
	s_mul_hi_u32 s51, s13, s49
	s_mul_i32 s49, s13, s49
	s_add_u32 s48, s48, s49
	s_mul_hi_u32 s50, s13, s11
	s_addc_u32 s47, s47, s51
	s_addc_u32 s48, s50, 0
	s_mul_i32 s11, s13, s11
	s_add_u32 s11, s47, s11
	s_addc_u32 s47, 0, s48
	s_add_u32 s48, s10, s11
	s_cselect_b64 s[10:11], -1, 0
	s_cmp_lg_u64 s[10:11], 0
	s_addc_u32 s13, s13, s47
	s_mul_i32 s10, s4, s13
	s_mul_hi_u32 s11, s4, s48
	s_add_i32 s10, s11, s10
	s_mul_i32 s12, s12, s48
	s_add_i32 s10, s10, s12
	s_mul_i32 s4, s4, s48
	s_mul_hi_u32 s12, s13, s4
	s_mul_i32 s47, s13, s4
	s_mul_i32 s50, s48, s10
	s_mul_hi_u32 s4, s48, s4
	s_mul_hi_u32 s49, s48, s10
	s_add_u32 s4, s4, s50
	s_addc_u32 s49, 0, s49
	s_add_u32 s4, s4, s47
	s_mul_hi_u32 s11, s13, s10
	s_addc_u32 s4, s49, s12
	s_addc_u32 s11, s11, 0
	s_mul_i32 s10, s13, s10
	s_add_u32 s4, s4, s10
	s_addc_u32 s12, 0, s11
	s_add_u32 s4, s48, s4
	s_cselect_b64 s[10:11], -1, 0
	s_cmp_lg_u64 s[10:11], 0
	s_addc_u32 s10, s13, s12
	s_mul_i32 s12, s46, s10
	s_mul_hi_u32 s13, s46, s4
	s_mul_hi_u32 s11, s46, s10
	s_add_u32 s12, s13, s12
	s_addc_u32 s11, 0, s11
	s_mul_hi_u32 s47, s5, s4
	s_mul_i32 s4, s5, s4
	s_add_u32 s4, s12, s4
	s_mul_hi_u32 s13, s5, s10
	s_addc_u32 s4, s11, s47
	s_addc_u32 s11, s13, 0
	s_mul_i32 s10, s5, s10
	s_add_u32 s4, s4, s10
	s_addc_u32 s10, 0, s11
	s_mul_i32 s10, s87, s10
	s_mul_hi_u32 s11, s87, s4
	s_add_i32 s12, s11, s10
	s_mul_i32 s4, s87, s4
	s_sub_u32 s4, s46, s4
	s_cselect_b64 s[10:11], -1, 0
	s_cmp_lg_u64 s[10:11], 0
	s_subb_u32 s12, s5, s12
	s_sub_u32 s13, s4, s87
	s_cselect_b64 s[10:11], -1, 0
	s_cmp_lg_u64 s[10:11], 0
	s_subb_u32 s47, s12, 0
	;; [unrolled: 4-line block ×3, first 2 shown]
	s_cmp_ge_u32 s13, s87
	s_cselect_b32 s11, -1, 0
	s_cmp_eq_u32 s47, 0
	s_cselect_b32 s11, s11, -1
	s_cmp_lg_u32 s11, 0
	s_cselect_b32 s10, s10, s47
	s_cselect_b32 s13, s48, s13
	s_cmp_ge_u32 s4, s87
	s_cselect_b32 s11, -1, 0
	s_cmp_eq_u32 s12, 0
	s_cselect_b32 s11, s11, -1
	s_cmp_lg_u32 s11, 0
	s_cselect_b32 s11, s10, s12
	s_cselect_b32 s10, s13, s4
	s_cbranch_execnz .LBB171_336
.LBB171_335:                            ;   in Loop: Header=BB171_12 Depth=1
	v_cvt_f32_u32_e32 v6, s87
	s_sub_i32 s4, 0, s87
	s_mov_b32 s12, s88
	v_rcp_iflag_f32_e32 v6, v6
	v_mul_f32_e32 v6, 0x4f7ffffe, v6
	v_cvt_u32_f32_e32 v6, v6
	v_readfirstlane_b32 s10, v6
	s_mul_i32 s4, s4, s10
	s_mul_hi_u32 s4, s10, s4
	s_add_i32 s10, s10, s4
	s_mul_hi_u32 s4, s46, s10
	s_mul_i32 s4, s4, s87
	s_sub_i32 s4, s46, s4
	s_sub_i32 s10, s4, s87
	s_cmp_ge_u32 s4, s87
	s_cselect_b32 s4, s10, s4
	s_sub_i32 s10, s4, s87
	s_cmp_ge_u32 s4, s87
	s_cselect_b32 s88, s10, s4
	s_mov_b64 s[10:11], s[88:89]
	s_mov_b32 s88, s12
.LBB171_336:                            ;   in Loop: Header=BB171_12 Depth=1
	s_sub_u32 s46, s46, s10
	s_subb_u32 s47, s5, s11
	v_cmp_gt_u64_e32 vcc, s[46:47], v[0:1]
	s_mov_b64 s[10:11], 0
	s_mov_b64 s[4:5], 0
                                        ; implicit-def: $vgpr36
	s_and_saveexec_b64 s[12:13], vcc
	s_cbranch_execz .LBB171_345
; %bb.337:                              ;   in Loop: Header=BB171_12 Depth=1
	v_mov_b32_e32 v7, v1
	v_mov_b32_e32 v8, v27
	;; [unrolled: 1-line block ×3, first 2 shown]
                                        ; implicit-def: $sgpr48_sgpr49
	s_branch .LBB171_340
.LBB171_338:                            ;   in Loop: Header=BB171_340 Depth=2
	s_or_b64 exec, exec, s[50:51]
	s_waitcnt lgkmcnt(0)
	s_barrier
	ds_read_b32 v9, v3 offset:3072
	s_mov_b64 s[50:51], -1
	s_waitcnt lgkmcnt(0)
	s_barrier
	v_cmp_ne_u32_sdwa s[52:53], v9, v3 src0_sel:WORD_0 src1_sel:DWORD
	s_and_b64 vcc, exec, s[52:53]
	s_mov_b64 s[52:53], -1
	s_cbranch_vccz .LBB171_343
.LBB171_339:                            ;   in Loop: Header=BB171_340 Depth=2
	s_and_b64 s[50:51], exec, s[50:51]
	s_or_b64 s[4:5], s[50:51], s[4:5]
	s_andn2_b64 s[48:49], s[48:49], exec
	s_and_b64 s[50:51], s[52:53], exec
	s_or_b64 s[48:49], s[48:49], s[50:51]
	s_andn2_b64 exec, exec, s[4:5]
	s_cbranch_execz .LBB171_344
.LBB171_340:                            ;   Parent Loop BB171_12 Depth=1
                                        ; =>  This Inner Loop Header: Depth=2
	v_cmp_gt_u64_e32 vcc, s[8:9], v[6:7]
	s_and_saveexec_b64 s[50:51], vcc
	s_cbranch_execz .LBB171_338
; %bb.341:                              ;   in Loop: Header=BB171_340 Depth=2
	ds_read_u16 v9, v8
	s_waitcnt lgkmcnt(0)
	v_add_u32_sdwa v10, sext(v9), s85 dst_sel:DWORD dst_unused:UNUSED_PAD src0_sel:WORD_0 src1_sel:DWORD
	v_and_b32_e32 v10, v10, v35
	v_cmp_eq_u32_e32 vcc, v10, v30
	s_and_b64 exec, exec, vcc
	s_cbranch_execz .LBB171_338
; %bb.342:                              ;   in Loop: Header=BB171_340 Depth=2
	v_perm_b32 v9, v9, 1, v34
	ds_write_b32 v3, v9 offset:3072
	s_branch .LBB171_338
.LBB171_343:                            ;   in Loop: Header=BB171_340 Depth=2
	v_add_co_u32_e32 v6, vcc, s87, v6
	v_addc_co_u32_e32 v7, vcc, 0, v7, vcc
	v_cmp_le_u64_e32 vcc, s[46:47], v[6:7]
	v_add_u32_e32 v8, s76, v8
	s_mov_b64 s[52:53], 0
	s_orn2_b64 s[50:51], vcc, exec
	s_branch .LBB171_339
.LBB171_344:                            ;   in Loop: Header=BB171_12 Depth=1
	s_or_b64 exec, exec, s[4:5]
	v_lshrrev_b32_e32 v36, 16, v9
	s_and_b64 s[4:5], s[48:49], exec
.LBB171_345:                            ;   in Loop: Header=BB171_12 Depth=1
	s_or_b64 exec, exec, s[12:13]
.LBB171_346:                            ;   in Loop: Header=BB171_12 Depth=1
	s_and_b64 vcc, exec, s[10:11]
	s_cbranch_vccz .LBB171_363
; %bb.347:                              ;   in Loop: Header=BB171_12 Depth=1
	s_mov_b32 s76, s89
	s_cmp_lg_u64 s[76:77], 0
	s_cbranch_scc0 .LBB171_350
; %bb.348:                              ;   in Loop: Header=BB171_12 Depth=1
	v_cvt_f32_u32_e32 v6, s87
	s_sub_u32 s10, 0, s87
	s_subb_u32 s11, 0, 0
	v_mac_f32_e32 v6, 0, v33
	v_rcp_f32_e32 v6, v6
	v_mul_f32_e32 v6, 0x5f7ffffc, v6
	v_mul_f32_e32 v7, 0x2f800000, v6
	v_trunc_f32_e32 v7, v7
	v_mac_f32_e32 v6, 0xcf800000, v7
	v_cvt_u32_f32_e32 v7, v7
	v_cvt_u32_f32_e32 v6, v6
	v_readfirstlane_b32 s12, v7
	v_readfirstlane_b32 s8, v6
	s_mul_i32 s9, s10, s12
	s_mul_hi_u32 s28, s10, s8
	s_mul_i32 s13, s11, s8
	s_add_i32 s9, s28, s9
	s_mul_i32 s29, s10, s8
	s_add_i32 s9, s9, s13
	s_mul_hi_u32 s28, s8, s29
	s_mul_i32 s40, s8, s9
	s_mul_hi_u32 s13, s8, s9
	s_add_u32 s28, s28, s40
	s_addc_u32 s13, 0, s13
	s_mul_hi_u32 s41, s12, s29
	s_mul_i32 s29, s12, s29
	s_add_u32 s28, s28, s29
	s_mul_hi_u32 s40, s12, s9
	s_addc_u32 s13, s13, s41
	s_addc_u32 s28, s40, 0
	s_mul_i32 s9, s12, s9
	s_add_u32 s9, s13, s9
	s_addc_u32 s13, 0, s28
	s_add_u32 s28, s8, s9
	s_cselect_b64 s[8:9], -1, 0
	s_cmp_lg_u64 s[8:9], 0
	s_addc_u32 s12, s12, s13
	s_mul_i32 s8, s10, s12
	s_mul_hi_u32 s9, s10, s28
	s_add_i32 s8, s9, s8
	s_mul_i32 s11, s11, s28
	s_add_i32 s8, s8, s11
	s_mul_i32 s10, s10, s28
	s_mul_hi_u32 s11, s12, s10
	s_mul_i32 s13, s12, s10
	s_mul_i32 s40, s28, s8
	s_mul_hi_u32 s10, s28, s10
	s_mul_hi_u32 s29, s28, s8
	s_add_u32 s10, s10, s40
	s_addc_u32 s29, 0, s29
	s_add_u32 s10, s10, s13
	s_mul_hi_u32 s9, s12, s8
	s_addc_u32 s10, s29, s11
	s_addc_u32 s9, s9, 0
	s_mul_i32 s8, s12, s8
	s_add_u32 s8, s10, s8
	s_addc_u32 s10, 0, s9
	s_add_u32 s11, s28, s8
	s_cselect_b64 s[8:9], -1, 0
	s_cmp_lg_u64 s[8:9], 0
	s_addc_u32 s8, s12, s10
	v_readlane_b32 s28, v50, 33
	s_mul_i32 s10, s28, s8
	s_mul_hi_u32 s12, s28, s11
	s_mul_hi_u32 s9, s28, s8
	s_add_u32 s10, s12, s10
	s_addc_u32 s9, 0, s9
	s_mul_hi_u32 s13, s77, s11
	s_mul_i32 s11, s77, s11
	s_add_u32 s10, s10, s11
	s_mul_hi_u32 s12, s77, s8
	s_addc_u32 s9, s9, s13
	s_addc_u32 s10, s12, 0
	s_mul_i32 s8, s77, s8
	s_add_u32 s8, s9, s8
	s_addc_u32 s9, 0, s10
	s_mul_i32 s9, s87, s9
	s_mul_hi_u32 s10, s87, s8
	s_add_i32 s10, s10, s9
	s_mul_i32 s8, s87, s8
	s_sub_u32 s11, s28, s8
	s_cselect_b64 s[8:9], -1, 0
	s_cmp_lg_u64 s[8:9], 0
	s_subb_u32 s10, s77, s10
	s_sub_u32 s12, s11, s87
	s_cselect_b64 s[8:9], -1, 0
	s_cmp_lg_u64 s[8:9], 0
	s_subb_u32 s13, s10, 0
	;; [unrolled: 4-line block ×3, first 2 shown]
	s_cmp_ge_u32 s12, s87
	s_cselect_b32 s9, -1, 0
	s_cmp_eq_u32 s13, 0
	s_cselect_b32 s9, s9, -1
	s_cmp_lg_u32 s9, 0
	s_cselect_b32 s8, s8, s13
	s_cselect_b32 s12, s28, s12
	s_cmp_ge_u32 s11, s87
	s_cselect_b32 s9, -1, 0
	s_cmp_eq_u32 s10, 0
	s_cselect_b32 s9, s9, -1
	s_cmp_lg_u32 s9, 0
	s_cselect_b32 s9, s8, s10
	s_cselect_b32 s8, s12, s11
	s_mov_b64 s[10:11], 0
	s_branch .LBB171_351
.LBB171_349:                            ;   in Loop: Header=BB171_12 Depth=1
                                        ; implicit-def: $sgpr10_sgpr11
	s_branch .LBB171_335
.LBB171_350:                            ;   in Loop: Header=BB171_12 Depth=1
	s_mov_b64 s[10:11], -1
                                        ; implicit-def: $sgpr8_sgpr9
.LBB171_351:                            ;   in Loop: Header=BB171_12 Depth=1
	s_andn2_b64 vcc, exec, s[10:11]
	v_readlane_b32 s15, v50, 55
	v_readlane_b32 s76, v50, 56
	s_cbranch_vccnz .LBB171_353
; %bb.352:                              ;   in Loop: Header=BB171_12 Depth=1
	v_cvt_f32_u32_e32 v6, s87
	s_sub_i32 s8, 0, s87
	v_readlane_b32 s10, v50, 33
	v_rcp_iflag_f32_e32 v6, v6
	v_mul_f32_e32 v6, 0x4f7ffffe, v6
	v_cvt_u32_f32_e32 v6, v6
	v_readfirstlane_b32 s9, v6
	s_mul_i32 s8, s8, s9
	s_mul_hi_u32 s8, s9, s8
	s_add_i32 s9, s9, s8
	s_mul_hi_u32 s8, s10, s9
	s_mul_i32 s8, s8, s87
	s_sub_i32 s8, s10, s8
	s_sub_i32 s9, s8, s87
	s_cmp_ge_u32 s8, s87
	s_cselect_b32 s8, s9, s8
	s_sub_i32 s9, s8, s87
	s_cmp_ge_u32 s8, s87
	s_mov_b32 s10, s88
	s_cselect_b32 s88, s9, s8
	s_mov_b64 s[8:9], s[88:89]
	s_mov_b32 s88, s10
.LBB171_353:                            ;   in Loop: Header=BB171_12 Depth=1
	v_readlane_b32 s10, v50, 33
	s_sub_u32 s10, s10, s8
	s_subb_u32 s11, s77, s9
	v_cmp_gt_u64_e32 vcc, s[10:11], v[0:1]
                                        ; implicit-def: $vgpr36
	s_and_saveexec_b64 s[8:9], vcc
	s_cbranch_execz .LBB171_362
; %bb.354:                              ;   in Loop: Header=BB171_12 Depth=1
	v_mov_b32_e32 v7, v1
	s_mov_b64 s[12:13], 0
	v_mov_b32_e32 v6, v0
                                        ; implicit-def: $sgpr28_sgpr29
	s_branch .LBB171_357
.LBB171_355:                            ;   in Loop: Header=BB171_357 Depth=2
	s_or_b64 exec, exec, s[40:41]
	s_waitcnt lgkmcnt(0)
	s_barrier
	ds_read_b32 v8, v3 offset:3072
	s_mov_b64 s[40:41], -1
	s_waitcnt lgkmcnt(0)
	s_barrier
	v_cmp_eq_u32_sdwa s[46:47], v8, v3 src0_sel:WORD_0 src1_sel:DWORD
	s_and_b64 vcc, exec, s[46:47]
	s_mov_b64 s[46:47], -1
	s_cbranch_vccnz .LBB171_360
.LBB171_356:                            ;   in Loop: Header=BB171_357 Depth=2
	s_and_b64 s[40:41], exec, s[40:41]
	s_or_b64 s[12:13], s[40:41], s[12:13]
	s_andn2_b64 s[28:29], s[28:29], exec
	s_and_b64 s[40:41], s[46:47], exec
	s_or_b64 s[28:29], s[28:29], s[40:41]
	s_andn2_b64 exec, exec, s[12:13]
	s_cbranch_execz .LBB171_361
.LBB171_357:                            ;   Parent Loop BB171_12 Depth=1
                                        ; =>  This Inner Loop Header: Depth=2
	v_cmp_gt_u64_e32 vcc, s[64:65], v[6:7]
	s_and_saveexec_b64 s[40:41], vcc
	s_cbranch_execz .LBB171_355
; %bb.358:                              ;   in Loop: Header=BB171_357 Depth=2
	v_mul_lo_u32 v10, v7, s62
	v_mul_lo_u32 v11, v6, s63
	v_mad_u64_u32 v[8:9], s[46:47], v6, s62, 0
	v_add3_u32 v9, v9, v11, v10
	v_lshlrev_b64 v[8:9], 1, v[8:9]
	v_mov_b32_e32 v10, s86
	v_add_co_u32_e32 v8, vcc, s33, v8
	v_addc_co_u32_e32 v9, vcc, v10, v9, vcc
	global_load_ushort v8, v[8:9], off
	s_waitcnt vmcnt(0)
	v_add_u32_sdwa v9, sext(v8), s85 dst_sel:DWORD dst_unused:UNUSED_PAD src0_sel:WORD_0 src1_sel:DWORD
	v_and_b32_e32 v9, v9, v35
	v_cmp_eq_u32_e32 vcc, v9, v30
	s_and_b64 exec, exec, vcc
	s_cbranch_execz .LBB171_355
; %bb.359:                              ;   in Loop: Header=BB171_357 Depth=2
	v_perm_b32 v8, v8, 1, v34
	ds_write_b32 v3, v8 offset:3072
	s_branch .LBB171_355
.LBB171_360:                            ;   in Loop: Header=BB171_357 Depth=2
	v_add_co_u32_e32 v6, vcc, s87, v6
	v_addc_co_u32_e32 v7, vcc, 0, v7, vcc
	v_cmp_le_u64_e32 vcc, s[10:11], v[6:7]
	s_mov_b64 s[46:47], 0
	s_orn2_b64 s[40:41], vcc, exec
	s_branch .LBB171_356
.LBB171_361:                            ;   in Loop: Header=BB171_12 Depth=1
	s_or_b64 exec, exec, s[12:13]
	s_andn2_b64 s[4:5], s[4:5], exec
	s_and_b64 s[10:11], s[28:29], exec
	v_lshrrev_b32_e32 v36, 16, v8
	s_or_b64 s[4:5], s[4:5], s[10:11]
.LBB171_362:                            ;   in Loop: Header=BB171_12 Depth=1
	s_or_b64 exec, exec, s[8:9]
	s_mov_b64 s[28:29], 0
	s_mov_b64 s[40:41], -1
.LBB171_363:                            ;   in Loop: Header=BB171_12 Depth=1
	s_orn2_b64 s[4:5], s[4:5], exec
.LBB171_364:                            ;   in Loop: Header=BB171_12 Depth=1
	s_or_b64 exec, exec, s[42:43]
	s_mov_b64 s[8:9], 0
	s_and_saveexec_b64 s[42:43], s[4:5]
	s_cbranch_execz .LBB171_472
; %bb.365:                              ;   in Loop: Header=BB171_12 Depth=1
	v_mov_b32_e32 v6, 1
	s_xor_b64 s[10:11], s[44:45], -1
	v_mov_b32_e32 v2, 1
	v_mov_b32_e32 v7, 0
	s_and_saveexec_b64 s[4:5], s[10:11]
	s_cbranch_execz .LBB171_374
; %bb.366:                              ;   in Loop: Header=BB171_12 Depth=1
	v_cmp_ge_u64_e32 vcc, s[26:27], v[4:5]
	s_and_saveexec_b64 s[8:9], vcc
	s_xor_b64 s[8:9], exec, s[8:9]
	s_cbranch_execz .LBB171_371
; %bb.367:                              ;   in Loop: Header=BB171_12 Depth=1
	ds_read_b64 v[6:7], v3 offset:5120
	v_and_b32_e32 v2, s88, v30
	v_lshl_or_b32 v30, 2, s0, v2
	v_or_b32_e32 v35, s1, v35
	s_waitcnt lgkmcnt(0)
	v_cmp_ne_u64_e32 vcc, 0, v[6:7]
	s_cbranch_vccnz .LBB171_371
; %bb.368:                              ;   in Loop: Header=BB171_12 Depth=1
	s_mov_b64 s[10:11], exec
	v_readlane_b32 s12, v50, 12
	v_readlane_b32 s13, v50, 13
	s_and_b64 s[12:13], s[10:11], s[12:13]
	s_mov_b64 exec, s[12:13]
; %bb.369:                              ;   in Loop: Header=BB171_12 Depth=1
	v_mov_b32_e32 v6, s26
	v_mov_b32_e32 v7, s27
	ds_write_b64 v3, v[6:7] offset:5128
; %bb.370:                              ;   in Loop: Header=BB171_12 Depth=1
	s_or_b64 exec, exec, s[10:11]
	s_waitcnt lgkmcnt(0)
	s_barrier
.LBB171_371:                            ;   in Loop: Header=BB171_12 Depth=1
	s_or_saveexec_b64 s[8:9], s[8:9]
	s_mov_b64 s[10:11], 0
	v_mov_b32_e32 v2, 5
	s_xor_b64 exec, exec, s[8:9]
; %bb.372:                              ;   in Loop: Header=BB171_12 Depth=1
	v_mov_b32_e32 v2, s27
	v_subrev_co_u32_e32 v4, vcc, s26, v4
	s_mov_b64 s[10:11], exec
	v_subb_co_u32_e32 v5, vcc, v5, v2, vcc
	v_mov_b32_e32 v2, 0
; %bb.373:                              ;   in Loop: Header=BB171_12 Depth=1
	s_or_b64 exec, exec, s[8:9]
	v_mov_b32_e32 v7, v5
	s_and_b64 s[8:9], s[10:11], exec
	v_mov_b32_e32 v6, v4
.LBB171_374:                            ;   in Loop: Header=BB171_12 Depth=1
	s_or_b64 exec, exec, s[4:5]
	s_mov_b64 s[4:5], -1
                                        ; implicit-def: $sgpr44_sgpr45
                                        ; implicit-def: $sgpr46_sgpr47
	s_and_saveexec_b64 s[26:27], s[8:9]
	s_cbranch_execz .LBB171_471
; %bb.375:                              ;   in Loop: Header=BB171_12 Depth=1
	s_cmp_eq_u64 s[24:25], 1
	v_cmp_eq_u64_e32 vcc, 1, v[6:7]
	s_cselect_b64 s[4:5], -1, 0
	s_and_b64 s[50:51], s[4:5], vcc
	s_mov_b64 s[4:5], -1
                                        ; implicit-def: $sgpr46_sgpr47
                                        ; implicit-def: $sgpr44_sgpr45
	s_and_saveexec_b64 s[48:49], s[50:51]
	s_cbranch_execz .LBB171_410
; %bb.376:                              ;   in Loop: Header=BB171_12 Depth=1
	ds_read_b64 v[4:5], v3 offset:5120
	s_waitcnt lgkmcnt(0)
	s_barrier
	v_readfirstlane_b32 s8, v4
	v_readfirstlane_b32 s9, v5
	s_mov_b64 s[4:5], exec
	v_readlane_b32 s10, v50, 28
	v_readlane_b32 s11, v50, 29
	s_and_b64 s[10:11], s[4:5], s[10:11]
	s_mov_b64 exec, s[10:11]
; %bb.377:                              ;   in Loop: Header=BB171_12 Depth=1
	ds_write_b16 v28, v3
; %bb.378:                              ;   in Loop: Header=BB171_12 Depth=1
	s_or_b64 exec, exec, s[4:5]
	v_and_b32_e32 v4, s88, v30
	v_lshl_or_b32 v30, 1, s0, v4
	v_or_b32_e32 v35, s1, v35
	s_mov_b64 s[44:45], -1
	s_mov_b64 s[46:47], 0
	s_cmp_eq_u64 s[8:9], 0
	s_mov_b64 s[4:5], 0
	s_mov_b64 s[10:11], -1
	s_waitcnt lgkmcnt(0)
	s_barrier
                                        ; implicit-def: $vgpr36
	s_cbranch_scc1 .LBB171_392
; %bb.379:                              ;   in Loop: Header=BB171_12 Depth=1
	v_readlane_b32 s4, v50, 32
	s_add_u32 s52, s8, s4
	v_readlane_b32 s4, v50, 34
	s_addc_u32 s5, s9, s4
	s_mov_b32 s4, s89
	s_cmp_lg_u64 s[4:5], 0
	s_cbranch_scc0 .LBB171_395
; %bb.380:                              ;   in Loop: Header=BB171_12 Depth=1
	v_cvt_f32_u32_e32 v4, s87
	s_sub_u32 s4, 0, s87
	s_subb_u32 s12, 0, 0
	v_mac_f32_e32 v4, 0, v33
	v_rcp_f32_e32 v4, v4
	v_mul_f32_e32 v4, 0x5f7ffffc, v4
	v_mul_f32_e32 v5, 0x2f800000, v4
	v_trunc_f32_e32 v5, v5
	v_mac_f32_e32 v4, 0xcf800000, v5
	v_cvt_u32_f32_e32 v5, v5
	v_cvt_u32_f32_e32 v4, v4
	v_readfirstlane_b32 s13, v5
	v_readfirstlane_b32 s10, v4
	s_mul_i32 s11, s4, s13
	s_mul_hi_u32 s54, s4, s10
	s_mul_i32 s53, s12, s10
	s_add_i32 s11, s54, s11
	s_mul_i32 s55, s4, s10
	s_add_i32 s11, s11, s53
	s_mul_hi_u32 s54, s10, s55
	s_mul_i32 s56, s10, s11
	s_mul_hi_u32 s53, s10, s11
	s_add_u32 s54, s54, s56
	s_addc_u32 s53, 0, s53
	s_mul_hi_u32 s57, s13, s55
	s_mul_i32 s55, s13, s55
	s_add_u32 s54, s54, s55
	s_mul_hi_u32 s56, s13, s11
	s_addc_u32 s53, s53, s57
	s_addc_u32 s54, s56, 0
	s_mul_i32 s11, s13, s11
	s_add_u32 s11, s53, s11
	s_addc_u32 s53, 0, s54
	s_add_u32 s54, s10, s11
	s_cselect_b64 s[10:11], -1, 0
	s_cmp_lg_u64 s[10:11], 0
	s_addc_u32 s13, s13, s53
	s_mul_i32 s10, s4, s13
	s_mul_hi_u32 s11, s4, s54
	s_add_i32 s10, s11, s10
	s_mul_i32 s12, s12, s54
	s_add_i32 s10, s10, s12
	s_mul_i32 s4, s4, s54
	s_mul_hi_u32 s12, s13, s4
	s_mul_i32 s53, s13, s4
	s_mul_i32 s56, s54, s10
	s_mul_hi_u32 s4, s54, s4
	s_mul_hi_u32 s55, s54, s10
	s_add_u32 s4, s4, s56
	s_addc_u32 s55, 0, s55
	s_add_u32 s4, s4, s53
	s_mul_hi_u32 s11, s13, s10
	s_addc_u32 s4, s55, s12
	s_addc_u32 s11, s11, 0
	s_mul_i32 s10, s13, s10
	s_add_u32 s4, s4, s10
	s_addc_u32 s12, 0, s11
	s_add_u32 s4, s54, s4
	s_cselect_b64 s[10:11], -1, 0
	s_cmp_lg_u64 s[10:11], 0
	s_addc_u32 s10, s13, s12
	s_mul_i32 s12, s52, s10
	s_mul_hi_u32 s13, s52, s4
	s_mul_hi_u32 s11, s52, s10
	s_add_u32 s12, s13, s12
	s_addc_u32 s11, 0, s11
	s_mul_hi_u32 s53, s5, s4
	s_mul_i32 s4, s5, s4
	s_add_u32 s4, s12, s4
	s_mul_hi_u32 s13, s5, s10
	s_addc_u32 s4, s11, s53
	s_addc_u32 s11, s13, 0
	s_mul_i32 s10, s5, s10
	s_add_u32 s4, s4, s10
	s_addc_u32 s10, 0, s11
	s_mul_i32 s10, s87, s10
	s_mul_hi_u32 s11, s87, s4
	s_add_i32 s12, s11, s10
	s_mul_i32 s4, s87, s4
	s_sub_u32 s4, s52, s4
	s_cselect_b64 s[10:11], -1, 0
	s_cmp_lg_u64 s[10:11], 0
	s_subb_u32 s12, s5, s12
	s_sub_u32 s13, s4, s87
	s_cselect_b64 s[10:11], -1, 0
	s_cmp_lg_u64 s[10:11], 0
	s_subb_u32 s53, s12, 0
	s_sub_u32 s54, s13, s87
	s_cselect_b64 s[10:11], -1, 0
	s_cmp_lg_u64 s[10:11], 0
	s_subb_u32 s10, s53, 0
	s_cmp_ge_u32 s13, s87
	s_cselect_b32 s11, -1, 0
	s_cmp_eq_u32 s53, 0
	s_cselect_b32 s11, s11, -1
	s_cmp_lg_u32 s11, 0
	s_cselect_b32 s10, s10, s53
	s_cselect_b32 s13, s54, s13
	s_cmp_ge_u32 s4, s87
	s_cselect_b32 s11, -1, 0
	s_cmp_eq_u32 s12, 0
	s_cselect_b32 s11, s11, -1
	s_cmp_lg_u32 s11, 0
	s_cselect_b32 s11, s10, s12
	s_cselect_b32 s10, s13, s4
	s_cbranch_execnz .LBB171_382
.LBB171_381:                            ;   in Loop: Header=BB171_12 Depth=1
	v_cvt_f32_u32_e32 v4, s87
	s_sub_i32 s4, 0, s87
	s_mov_b32 s12, s88
	v_rcp_iflag_f32_e32 v4, v4
	v_mul_f32_e32 v4, 0x4f7ffffe, v4
	v_cvt_u32_f32_e32 v4, v4
	v_readfirstlane_b32 s10, v4
	s_mul_i32 s4, s4, s10
	s_mul_hi_u32 s4, s10, s4
	s_add_i32 s10, s10, s4
	s_mul_hi_u32 s4, s52, s10
	s_mul_i32 s4, s4, s87
	s_sub_i32 s4, s52, s4
	s_sub_i32 s10, s4, s87
	s_cmp_ge_u32 s4, s87
	s_cselect_b32 s4, s10, s4
	s_sub_i32 s10, s4, s87
	s_cmp_ge_u32 s4, s87
	s_cselect_b32 s88, s10, s4
	s_mov_b64 s[10:11], s[88:89]
	s_mov_b32 s88, s12
.LBB171_382:                            ;   in Loop: Header=BB171_12 Depth=1
	s_sub_u32 s52, s52, s10
	s_subb_u32 s53, s5, s11
	v_cmp_gt_u64_e32 vcc, s[52:53], v[0:1]
	s_mov_b64 s[10:11], 0
	s_mov_b64 s[4:5], 0
                                        ; implicit-def: $vgpr36
	s_and_saveexec_b64 s[12:13], vcc
	s_cbranch_execz .LBB171_391
; %bb.383:                              ;   in Loop: Header=BB171_12 Depth=1
	v_mov_b32_e32 v5, v1
	v_mov_b32_e32 v8, v27
	;; [unrolled: 1-line block ×3, first 2 shown]
                                        ; implicit-def: $sgpr54_sgpr55
	s_branch .LBB171_386
.LBB171_384:                            ;   in Loop: Header=BB171_386 Depth=2
	s_or_b64 exec, exec, s[56:57]
	s_waitcnt lgkmcnt(0)
	s_barrier
	ds_read_b32 v9, v3 offset:3072
	s_mov_b64 s[56:57], -1
	s_waitcnt lgkmcnt(0)
	s_barrier
	v_cmp_ne_u32_sdwa s[58:59], v9, v3 src0_sel:WORD_0 src1_sel:DWORD
	s_and_b64 vcc, exec, s[58:59]
	s_mov_b64 s[58:59], -1
	s_cbranch_vccz .LBB171_389
.LBB171_385:                            ;   in Loop: Header=BB171_386 Depth=2
	s_and_b64 s[56:57], exec, s[56:57]
	s_or_b64 s[4:5], s[56:57], s[4:5]
	s_andn2_b64 s[54:55], s[54:55], exec
	s_and_b64 s[56:57], s[58:59], exec
	s_or_b64 s[54:55], s[54:55], s[56:57]
	s_andn2_b64 exec, exec, s[4:5]
	s_cbranch_execz .LBB171_390
.LBB171_386:                            ;   Parent Loop BB171_12 Depth=1
                                        ; =>  This Inner Loop Header: Depth=2
	v_cmp_gt_u64_e32 vcc, s[8:9], v[4:5]
	s_and_saveexec_b64 s[56:57], vcc
	s_cbranch_execz .LBB171_384
; %bb.387:                              ;   in Loop: Header=BB171_386 Depth=2
	ds_read_u16 v9, v8
	s_waitcnt lgkmcnt(0)
	v_add_u32_sdwa v10, sext(v9), s85 dst_sel:DWORD dst_unused:UNUSED_PAD src0_sel:WORD_0 src1_sel:DWORD
	v_and_b32_e32 v10, v10, v35
	v_cmp_eq_u32_e32 vcc, v10, v30
	s_and_b64 exec, exec, vcc
	s_cbranch_execz .LBB171_384
; %bb.388:                              ;   in Loop: Header=BB171_386 Depth=2
	v_perm_b32 v9, v9, 1, v34
	ds_write_b32 v3, v9 offset:3072
	s_branch .LBB171_384
.LBB171_389:                            ;   in Loop: Header=BB171_386 Depth=2
	v_add_co_u32_e32 v4, vcc, s87, v4
	v_addc_co_u32_e32 v5, vcc, 0, v5, vcc
	v_cmp_le_u64_e32 vcc, s[52:53], v[4:5]
	v_add_u32_e32 v8, s76, v8
	s_mov_b64 s[58:59], 0
	s_orn2_b64 s[56:57], vcc, exec
	s_branch .LBB171_385
.LBB171_390:                            ;   in Loop: Header=BB171_12 Depth=1
	s_or_b64 exec, exec, s[4:5]
	v_lshrrev_b32_e32 v36, 16, v9
	s_and_b64 s[4:5], s[54:55], exec
.LBB171_391:                            ;   in Loop: Header=BB171_12 Depth=1
	s_or_b64 exec, exec, s[12:13]
.LBB171_392:                            ;   in Loop: Header=BB171_12 Depth=1
	s_and_b64 vcc, exec, s[10:11]
	s_cbranch_vccz .LBB171_409
; %bb.393:                              ;   in Loop: Header=BB171_12 Depth=1
	s_mov_b32 s76, s89
	s_cmp_lg_u64 s[76:77], 0
	s_cbranch_scc0 .LBB171_396
; %bb.394:                              ;   in Loop: Header=BB171_12 Depth=1
	v_cvt_f32_u32_e32 v4, s87
	s_sub_u32 s10, 0, s87
	s_subb_u32 s11, 0, 0
	v_mac_f32_e32 v4, 0, v33
	v_rcp_f32_e32 v4, v4
	v_mul_f32_e32 v4, 0x5f7ffffc, v4
	v_mul_f32_e32 v5, 0x2f800000, v4
	v_trunc_f32_e32 v5, v5
	v_mac_f32_e32 v4, 0xcf800000, v5
	v_cvt_u32_f32_e32 v5, v5
	v_cvt_u32_f32_e32 v4, v4
	v_readfirstlane_b32 s12, v5
	v_readfirstlane_b32 s8, v4
	s_mul_i32 s9, s10, s12
	s_mul_hi_u32 s44, s10, s8
	s_mul_i32 s13, s11, s8
	s_add_i32 s9, s44, s9
	s_mul_i32 s45, s10, s8
	s_add_i32 s9, s9, s13
	s_mul_hi_u32 s44, s8, s45
	s_mul_i32 s46, s8, s9
	s_mul_hi_u32 s13, s8, s9
	s_add_u32 s44, s44, s46
	s_addc_u32 s13, 0, s13
	s_mul_hi_u32 s47, s12, s45
	s_mul_i32 s45, s12, s45
	s_add_u32 s44, s44, s45
	s_mul_hi_u32 s46, s12, s9
	s_addc_u32 s13, s13, s47
	s_addc_u32 s44, s46, 0
	s_mul_i32 s9, s12, s9
	s_add_u32 s9, s13, s9
	s_addc_u32 s13, 0, s44
	s_add_u32 s44, s8, s9
	s_cselect_b64 s[8:9], -1, 0
	s_cmp_lg_u64 s[8:9], 0
	s_addc_u32 s12, s12, s13
	s_mul_i32 s8, s10, s12
	s_mul_hi_u32 s9, s10, s44
	s_add_i32 s8, s9, s8
	s_mul_i32 s11, s11, s44
	s_add_i32 s8, s8, s11
	s_mul_i32 s10, s10, s44
	s_mul_hi_u32 s11, s12, s10
	s_mul_i32 s13, s12, s10
	s_mul_i32 s46, s44, s8
	s_mul_hi_u32 s10, s44, s10
	s_mul_hi_u32 s45, s44, s8
	s_add_u32 s10, s10, s46
	s_addc_u32 s45, 0, s45
	s_add_u32 s10, s10, s13
	s_mul_hi_u32 s9, s12, s8
	s_addc_u32 s10, s45, s11
	s_addc_u32 s9, s9, 0
	s_mul_i32 s8, s12, s8
	s_add_u32 s8, s10, s8
	s_addc_u32 s10, 0, s9
	s_add_u32 s11, s44, s8
	s_cselect_b64 s[8:9], -1, 0
	s_cmp_lg_u64 s[8:9], 0
	s_addc_u32 s8, s12, s10
	v_readlane_b32 s44, v50, 33
	s_mul_i32 s10, s44, s8
	s_mul_hi_u32 s12, s44, s11
	s_mul_hi_u32 s9, s44, s8
	s_add_u32 s10, s12, s10
	s_addc_u32 s9, 0, s9
	s_mul_hi_u32 s13, s77, s11
	s_mul_i32 s11, s77, s11
	s_add_u32 s10, s10, s11
	s_mul_hi_u32 s12, s77, s8
	s_addc_u32 s9, s9, s13
	s_addc_u32 s10, s12, 0
	s_mul_i32 s8, s77, s8
	s_add_u32 s8, s9, s8
	s_addc_u32 s9, 0, s10
	s_mul_i32 s9, s87, s9
	s_mul_hi_u32 s10, s87, s8
	s_add_i32 s10, s10, s9
	s_mul_i32 s8, s87, s8
	s_sub_u32 s11, s44, s8
	s_cselect_b64 s[8:9], -1, 0
	s_cmp_lg_u64 s[8:9], 0
	s_subb_u32 s10, s77, s10
	s_sub_u32 s12, s11, s87
	s_cselect_b64 s[8:9], -1, 0
	s_cmp_lg_u64 s[8:9], 0
	s_subb_u32 s13, s10, 0
	;; [unrolled: 4-line block ×3, first 2 shown]
	s_cmp_ge_u32 s12, s87
	s_cselect_b32 s9, -1, 0
	s_cmp_eq_u32 s13, 0
	s_cselect_b32 s9, s9, -1
	s_cmp_lg_u32 s9, 0
	s_cselect_b32 s8, s8, s13
	s_cselect_b32 s12, s44, s12
	s_cmp_ge_u32 s11, s87
	s_cselect_b32 s9, -1, 0
	s_cmp_eq_u32 s10, 0
	s_cselect_b32 s9, s9, -1
	s_cmp_lg_u32 s9, 0
	s_cselect_b32 s9, s8, s10
	s_cselect_b32 s8, s12, s11
	s_mov_b64 s[10:11], 0
	s_branch .LBB171_397
.LBB171_395:                            ;   in Loop: Header=BB171_12 Depth=1
                                        ; implicit-def: $sgpr10_sgpr11
	s_branch .LBB171_381
.LBB171_396:                            ;   in Loop: Header=BB171_12 Depth=1
	s_mov_b64 s[10:11], -1
                                        ; implicit-def: $sgpr8_sgpr9
.LBB171_397:                            ;   in Loop: Header=BB171_12 Depth=1
	s_andn2_b64 vcc, exec, s[10:11]
	v_readlane_b32 s15, v50, 55
	v_readlane_b32 s76, v50, 56
	s_cbranch_vccnz .LBB171_399
; %bb.398:                              ;   in Loop: Header=BB171_12 Depth=1
	v_cvt_f32_u32_e32 v4, s87
	s_sub_i32 s8, 0, s87
	v_readlane_b32 s10, v50, 33
	v_rcp_iflag_f32_e32 v4, v4
	v_mul_f32_e32 v4, 0x4f7ffffe, v4
	v_cvt_u32_f32_e32 v4, v4
	v_readfirstlane_b32 s9, v4
	s_mul_i32 s8, s8, s9
	s_mul_hi_u32 s8, s9, s8
	s_add_i32 s9, s9, s8
	s_mul_hi_u32 s8, s10, s9
	s_mul_i32 s8, s8, s87
	s_sub_i32 s8, s10, s8
	s_sub_i32 s9, s8, s87
	s_cmp_ge_u32 s8, s87
	s_cselect_b32 s8, s9, s8
	s_sub_i32 s9, s8, s87
	s_cmp_ge_u32 s8, s87
	s_mov_b32 s10, s88
	s_cselect_b32 s88, s9, s8
	s_mov_b64 s[8:9], s[88:89]
	s_mov_b32 s88, s10
.LBB171_399:                            ;   in Loop: Header=BB171_12 Depth=1
	v_readlane_b32 s10, v50, 33
	s_sub_u32 s10, s10, s8
	s_subb_u32 s11, s77, s9
	v_cmp_gt_u64_e32 vcc, s[10:11], v[0:1]
                                        ; implicit-def: $vgpr36
	s_and_saveexec_b64 s[8:9], vcc
	s_cbranch_execz .LBB171_408
; %bb.400:                              ;   in Loop: Header=BB171_12 Depth=1
	v_mov_b32_e32 v5, v1
	s_mov_b64 s[12:13], 0
	v_mov_b32_e32 v4, v0
                                        ; implicit-def: $sgpr44_sgpr45
	s_branch .LBB171_403
.LBB171_401:                            ;   in Loop: Header=BB171_403 Depth=2
	s_or_b64 exec, exec, s[46:47]
	s_waitcnt lgkmcnt(0)
	s_barrier
	ds_read_b32 v8, v3 offset:3072
	s_mov_b64 s[46:47], -1
	s_waitcnt lgkmcnt(0)
	s_barrier
	v_cmp_eq_u32_sdwa s[52:53], v8, v3 src0_sel:WORD_0 src1_sel:DWORD
	s_and_b64 vcc, exec, s[52:53]
	s_mov_b64 s[52:53], -1
	s_cbranch_vccnz .LBB171_406
.LBB171_402:                            ;   in Loop: Header=BB171_403 Depth=2
	s_and_b64 s[46:47], exec, s[46:47]
	s_or_b64 s[12:13], s[46:47], s[12:13]
	s_andn2_b64 s[44:45], s[44:45], exec
	s_and_b64 s[46:47], s[52:53], exec
	s_or_b64 s[44:45], s[44:45], s[46:47]
	s_andn2_b64 exec, exec, s[12:13]
	s_cbranch_execz .LBB171_407
.LBB171_403:                            ;   Parent Loop BB171_12 Depth=1
                                        ; =>  This Inner Loop Header: Depth=2
	v_cmp_gt_u64_e32 vcc, s[64:65], v[4:5]
	s_and_saveexec_b64 s[46:47], vcc
	s_cbranch_execz .LBB171_401
; %bb.404:                              ;   in Loop: Header=BB171_403 Depth=2
	v_mul_lo_u32 v10, v5, s62
	v_mul_lo_u32 v11, v4, s63
	v_mad_u64_u32 v[8:9], s[52:53], v4, s62, 0
	v_add3_u32 v9, v9, v11, v10
	v_lshlrev_b64 v[8:9], 1, v[8:9]
	v_mov_b32_e32 v10, s86
	v_add_co_u32_e32 v8, vcc, s33, v8
	v_addc_co_u32_e32 v9, vcc, v10, v9, vcc
	global_load_ushort v8, v[8:9], off
	s_waitcnt vmcnt(0)
	v_add_u32_sdwa v9, sext(v8), s85 dst_sel:DWORD dst_unused:UNUSED_PAD src0_sel:WORD_0 src1_sel:DWORD
	v_and_b32_e32 v9, v9, v35
	v_cmp_eq_u32_e32 vcc, v9, v30
	s_and_b64 exec, exec, vcc
	s_cbranch_execz .LBB171_401
; %bb.405:                              ;   in Loop: Header=BB171_403 Depth=2
	v_perm_b32 v8, v8, 1, v34
	ds_write_b32 v3, v8 offset:3072
	s_branch .LBB171_401
.LBB171_406:                            ;   in Loop: Header=BB171_403 Depth=2
	v_add_co_u32_e32 v4, vcc, s87, v4
	v_addc_co_u32_e32 v5, vcc, 0, v5, vcc
	v_cmp_le_u64_e32 vcc, s[10:11], v[4:5]
	s_mov_b64 s[52:53], 0
	s_orn2_b64 s[46:47], vcc, exec
	s_branch .LBB171_402
.LBB171_407:                            ;   in Loop: Header=BB171_12 Depth=1
	s_or_b64 exec, exec, s[12:13]
	s_andn2_b64 s[4:5], s[4:5], exec
	s_and_b64 s[10:11], s[44:45], exec
	v_lshrrev_b32_e32 v36, 16, v8
	s_or_b64 s[4:5], s[4:5], s[10:11]
.LBB171_408:                            ;   in Loop: Header=BB171_12 Depth=1
	s_or_b64 exec, exec, s[8:9]
	s_mov_b64 s[44:45], 0
	s_mov_b64 s[46:47], -1
.LBB171_409:                            ;   in Loop: Header=BB171_12 Depth=1
	s_orn2_b64 s[4:5], s[4:5], exec
.LBB171_410:                            ;   in Loop: Header=BB171_12 Depth=1
	s_or_b64 exec, exec, s[48:49]
	s_mov_b64 s[8:9], 0
	s_and_saveexec_b64 s[48:49], s[4:5]
	s_cbranch_execz .LBB171_470
; %bb.411:                              ;   in Loop: Header=BB171_12 Depth=1
	v_mov_b32_e32 v4, 1
	s_xor_b64 s[10:11], s[50:51], -1
	v_mov_b32_e32 v2, 1
	v_mov_b32_e32 v5, 0
	s_and_saveexec_b64 s[4:5], s[10:11]
	s_cbranch_execz .LBB171_420
; %bb.412:                              ;   in Loop: Header=BB171_12 Depth=1
	v_cmp_ge_u64_e32 vcc, s[24:25], v[6:7]
	s_and_saveexec_b64 s[8:9], vcc
	s_xor_b64 s[8:9], exec, s[8:9]
	s_cbranch_execz .LBB171_417
; %bb.413:                              ;   in Loop: Header=BB171_12 Depth=1
	ds_read_b64 v[4:5], v3 offset:5120
	v_and_b32_e32 v2, s88, v30
	v_lshl_or_b32 v30, 1, s0, v2
	v_or_b32_e32 v35, s1, v35
	s_waitcnt lgkmcnt(0)
	v_cmp_ne_u64_e32 vcc, 0, v[4:5]
	s_cbranch_vccnz .LBB171_417
; %bb.414:                              ;   in Loop: Header=BB171_12 Depth=1
	s_mov_b64 s[10:11], exec
	v_readlane_b32 s12, v50, 12
	v_readlane_b32 s13, v50, 13
	s_and_b64 s[12:13], s[10:11], s[12:13]
	s_mov_b64 exec, s[12:13]
; %bb.415:                              ;   in Loop: Header=BB171_12 Depth=1
	v_mov_b32_e32 v4, s24
	v_mov_b32_e32 v5, s25
	ds_write_b64 v3, v[4:5] offset:5128
; %bb.416:                              ;   in Loop: Header=BB171_12 Depth=1
	s_or_b64 exec, exec, s[10:11]
	s_waitcnt lgkmcnt(0)
	s_barrier
.LBB171_417:                            ;   in Loop: Header=BB171_12 Depth=1
	s_or_saveexec_b64 s[8:9], s[8:9]
	s_mov_b64 s[10:11], 0
	v_mov_b32_e32 v2, 5
	s_xor_b64 exec, exec, s[8:9]
; %bb.418:                              ;   in Loop: Header=BB171_12 Depth=1
	v_mov_b32_e32 v2, s25
	v_subrev_co_u32_e32 v6, vcc, s24, v6
	s_mov_b64 s[10:11], exec
	v_subb_co_u32_e32 v7, vcc, v7, v2, vcc
	v_mov_b32_e32 v2, 0
; %bb.419:                              ;   in Loop: Header=BB171_12 Depth=1
	s_or_b64 exec, exec, s[8:9]
	v_mov_b32_e32 v4, v6
	s_and_b64 s[8:9], s[10:11], exec
	v_mov_b32_e32 v5, v7
.LBB171_420:                            ;   in Loop: Header=BB171_12 Depth=1
	s_or_b64 exec, exec, s[4:5]
	s_mov_b64 s[4:5], -1
                                        ; implicit-def: $sgpr56_sgpr57
                                        ; implicit-def: $sgpr54_sgpr55
	s_and_saveexec_b64 s[24:25], s[8:9]
	s_cbranch_execz .LBB171_469
; %bb.421:                              ;   in Loop: Header=BB171_12 Depth=1
	s_cmp_eq_u64 s[20:21], 1
	v_cmp_eq_u64_e32 vcc, 1, v[4:5]
	s_cselect_b64 s[4:5], -1, 0
	s_and_b64 s[50:51], s[4:5], vcc
	s_mov_b64 s[8:9], -1
                                        ; implicit-def: $sgpr56_sgpr57
                                        ; implicit-def: $sgpr54_sgpr55
	s_and_saveexec_b64 s[52:53], s[50:51]
	s_cbranch_execz .LBB171_457
; %bb.422:                              ;   in Loop: Header=BB171_12 Depth=1
	ds_read_b64 v[6:7], v3 offset:5120
	s_waitcnt lgkmcnt(0)
	s_barrier
	v_readfirstlane_b32 s8, v6
	v_readfirstlane_b32 s9, v7
	s_mov_b64 s[4:5], exec
	v_readlane_b32 s10, v50, 28
	v_readlane_b32 s11, v50, 29
	s_and_b64 s[10:11], s[4:5], s[10:11]
	s_mov_b64 exec, s[10:11]
; %bb.423:                              ;   in Loop: Header=BB171_12 Depth=1
	ds_write_b16 v28, v3
; %bb.424:                              ;   in Loop: Header=BB171_12 Depth=1
	s_or_b64 exec, exec, s[4:5]
	v_and_b32_e32 v30, s88, v30
	v_or_b32_e32 v35, s1, v35
	s_mov_b64 s[54:55], -1
	s_mov_b64 s[56:57], 0
	s_cmp_eq_u64 s[8:9], 0
	s_mov_b64 s[4:5], 0
	s_mov_b64 s[10:11], -1
	s_waitcnt lgkmcnt(0)
	s_barrier
                                        ; implicit-def: $vgpr36
	s_cbranch_scc1 .LBB171_440
; %bb.425:                              ;   in Loop: Header=BB171_12 Depth=1
	v_readlane_b32 s4, v50, 32
	s_add_u32 s58, s8, s4
	v_readlane_b32 s4, v50, 34
	s_addc_u32 s5, s9, s4
	s_mov_b32 s4, s89
	s_mov_b32 s15, s77
	s_cmp_lg_u64 s[4:5], 0
	s_cbranch_scc0 .LBB171_427
; %bb.426:                              ;   in Loop: Header=BB171_12 Depth=1
	v_cvt_f32_u32_e32 v6, s87
	s_sub_u32 s4, 0, s87
	s_subb_u32 s12, 0, 0
	v_mac_f32_e32 v6, 0, v33
	v_rcp_f32_e32 v6, v6
	v_mul_f32_e32 v6, 0x5f7ffffc, v6
	v_mul_f32_e32 v7, 0x2f800000, v6
	v_trunc_f32_e32 v7, v7
	v_mac_f32_e32 v6, 0xcf800000, v7
	v_cvt_u32_f32_e32 v7, v7
	v_cvt_u32_f32_e32 v6, v6
	v_readfirstlane_b32 s13, v7
	v_readfirstlane_b32 s10, v6
	s_mul_i32 s11, s4, s13
	s_mul_hi_u32 s70, s4, s10
	s_mul_i32 s59, s12, s10
	s_add_i32 s11, s70, s11
	s_mul_i32 s71, s4, s10
	s_add_i32 s11, s11, s59
	s_mul_hi_u32 s70, s10, s71
	s_mul_i32 s76, s10, s11
	s_mul_hi_u32 s59, s10, s11
	s_add_u32 s70, s70, s76
	s_addc_u32 s59, 0, s59
	s_mul_hi_u32 s77, s13, s71
	s_mul_i32 s71, s13, s71
	s_add_u32 s70, s70, s71
	s_mul_hi_u32 s76, s13, s11
	s_addc_u32 s59, s59, s77
	s_addc_u32 s70, s76, 0
	s_mul_i32 s11, s13, s11
	s_add_u32 s11, s59, s11
	s_addc_u32 s59, 0, s70
	s_add_u32 s70, s10, s11
	s_cselect_b64 s[10:11], -1, 0
	s_cmp_lg_u64 s[10:11], 0
	s_addc_u32 s13, s13, s59
	s_mul_i32 s10, s4, s13
	s_mul_hi_u32 s11, s4, s70
	s_add_i32 s10, s11, s10
	s_mul_i32 s12, s12, s70
	s_add_i32 s10, s10, s12
	s_mul_i32 s4, s4, s70
	s_mul_hi_u32 s12, s13, s4
	s_mul_i32 s59, s13, s4
	s_mul_i32 s76, s70, s10
	s_mul_hi_u32 s4, s70, s4
	s_mul_hi_u32 s71, s70, s10
	s_add_u32 s4, s4, s76
	s_addc_u32 s71, 0, s71
	s_add_u32 s4, s4, s59
	s_mul_hi_u32 s11, s13, s10
	s_addc_u32 s4, s71, s12
	s_addc_u32 s11, s11, 0
	s_mul_i32 s10, s13, s10
	s_add_u32 s4, s4, s10
	s_addc_u32 s12, 0, s11
	s_add_u32 s4, s70, s4
	s_cselect_b64 s[10:11], -1, 0
	s_cmp_lg_u64 s[10:11], 0
	s_addc_u32 s10, s13, s12
	s_mul_i32 s12, s58, s10
	s_mul_hi_u32 s13, s58, s4
	s_mul_hi_u32 s11, s58, s10
	s_add_u32 s12, s13, s12
	s_addc_u32 s11, 0, s11
	s_mul_hi_u32 s59, s5, s4
	s_mul_i32 s4, s5, s4
	s_add_u32 s4, s12, s4
	s_mul_hi_u32 s13, s5, s10
	s_addc_u32 s4, s11, s59
	s_addc_u32 s11, s13, 0
	s_mul_i32 s10, s5, s10
	s_add_u32 s4, s4, s10
	s_addc_u32 s10, 0, s11
	s_mul_i32 s10, s87, s10
	s_mul_hi_u32 s11, s87, s4
	s_add_i32 s12, s11, s10
	s_mul_i32 s4, s87, s4
	s_sub_u32 s4, s58, s4
	s_cselect_b64 s[10:11], -1, 0
	s_cmp_lg_u64 s[10:11], 0
	s_subb_u32 s12, s5, s12
	s_sub_u32 s13, s4, s87
	s_cselect_b64 s[10:11], -1, 0
	s_cmp_lg_u64 s[10:11], 0
	s_subb_u32 s59, s12, 0
	;; [unrolled: 4-line block ×3, first 2 shown]
	s_cmp_ge_u32 s13, s87
	s_cselect_b32 s11, -1, 0
	s_cmp_eq_u32 s59, 0
	s_cselect_b32 s11, s11, -1
	s_cmp_lg_u32 s11, 0
	s_cselect_b32 s10, s10, s59
	s_cselect_b32 s13, s70, s13
	s_cmp_ge_u32 s4, s87
	s_cselect_b32 s11, -1, 0
	s_cmp_eq_u32 s12, 0
	s_cselect_b32 s11, s11, -1
	s_cmp_lg_u32 s11, 0
	s_cselect_b32 s11, s10, s12
	s_cselect_b32 s10, s13, s4
	s_mov_b64 s[12:13], 0
	s_branch .LBB171_428
.LBB171_427:                            ;   in Loop: Header=BB171_12 Depth=1
	s_mov_b64 s[12:13], -1
                                        ; implicit-def: $sgpr10_sgpr11
.LBB171_428:                            ;   in Loop: Header=BB171_12 Depth=1
	s_andn2_b64 vcc, exec, s[12:13]
	s_cbranch_vccnz .LBB171_430
; %bb.429:                              ;   in Loop: Header=BB171_12 Depth=1
	v_cvt_f32_u32_e32 v6, s87
	s_sub_i32 s4, 0, s87
	s_mov_b32 s12, s88
	v_rcp_iflag_f32_e32 v6, v6
	v_mul_f32_e32 v6, 0x4f7ffffe, v6
	v_cvt_u32_f32_e32 v6, v6
	v_readfirstlane_b32 s10, v6
	s_mul_i32 s4, s4, s10
	s_mul_hi_u32 s4, s10, s4
	s_add_i32 s10, s10, s4
	s_mul_hi_u32 s4, s58, s10
	s_mul_i32 s4, s4, s87
	s_sub_i32 s4, s58, s4
	s_sub_i32 s10, s4, s87
	s_cmp_ge_u32 s4, s87
	s_cselect_b32 s4, s10, s4
	s_sub_i32 s10, s4, s87
	s_cmp_ge_u32 s4, s87
	s_cselect_b32 s88, s10, s4
	s_mov_b64 s[10:11], s[88:89]
	s_mov_b32 s88, s12
.LBB171_430:                            ;   in Loop: Header=BB171_12 Depth=1
	s_sub_u32 s58, s58, s10
	s_subb_u32 s59, s5, s11
	v_cmp_gt_u64_e32 vcc, s[58:59], v[0:1]
	s_mov_b64 s[10:11], 0
	s_mov_b64 s[4:5], 0
                                        ; implicit-def: $vgpr36
	s_and_saveexec_b64 s[12:13], vcc
	s_cbranch_execz .LBB171_439
; %bb.431:                              ;   in Loop: Header=BB171_12 Depth=1
	v_mov_b32_e32 v7, v1
	v_mov_b32_e32 v8, v27
	;; [unrolled: 1-line block ×3, first 2 shown]
                                        ; implicit-def: $sgpr70_sgpr71
	s_branch .LBB171_434
.LBB171_432:                            ;   in Loop: Header=BB171_434 Depth=2
	s_or_b64 exec, exec, s[76:77]
	s_waitcnt lgkmcnt(0)
	s_barrier
	ds_read_b32 v9, v3 offset:3072
	s_mov_b64 s[76:77], -1
	s_waitcnt lgkmcnt(0)
	s_barrier
	v_cmp_ne_u32_sdwa s[90:91], v9, v3 src0_sel:WORD_0 src1_sel:DWORD
	s_and_b64 vcc, exec, s[90:91]
	s_mov_b64 s[90:91], -1
	s_cbranch_vccz .LBB171_437
.LBB171_433:                            ;   in Loop: Header=BB171_434 Depth=2
	s_and_b64 s[76:77], exec, s[76:77]
	s_or_b64 s[4:5], s[76:77], s[4:5]
	s_andn2_b64 s[70:71], s[70:71], exec
	s_and_b64 s[76:77], s[90:91], exec
	s_or_b64 s[70:71], s[70:71], s[76:77]
	s_andn2_b64 exec, exec, s[4:5]
	s_cbranch_execz .LBB171_438
.LBB171_434:                            ;   Parent Loop BB171_12 Depth=1
                                        ; =>  This Inner Loop Header: Depth=2
	v_cmp_gt_u64_e32 vcc, s[8:9], v[6:7]
	s_and_saveexec_b64 s[76:77], vcc
	s_cbranch_execz .LBB171_432
; %bb.435:                              ;   in Loop: Header=BB171_434 Depth=2
	ds_read_u16 v9, v8
	s_waitcnt lgkmcnt(0)
	v_add_u32_sdwa v10, sext(v9), s85 dst_sel:DWORD dst_unused:UNUSED_PAD src0_sel:WORD_0 src1_sel:DWORD
	v_and_b32_e32 v10, v10, v35
	v_cmp_eq_u32_e32 vcc, v10, v30
	s_and_b64 exec, exec, vcc
	s_cbranch_execz .LBB171_432
; %bb.436:                              ;   in Loop: Header=BB171_434 Depth=2
	v_perm_b32 v9, v9, 1, v34
	ds_write_b32 v3, v9 offset:3072
	s_branch .LBB171_432
.LBB171_437:                            ;   in Loop: Header=BB171_434 Depth=2
	v_add_co_u32_e32 v6, vcc, s87, v6
	v_addc_co_u32_e32 v7, vcc, 0, v7, vcc
	v_cmp_le_u64_e32 vcc, s[58:59], v[6:7]
	v_readlane_b32 s76, v50, 56
	v_add_u32_e32 v8, s76, v8
	s_mov_b64 s[90:91], 0
	s_orn2_b64 s[76:77], vcc, exec
	s_branch .LBB171_433
.LBB171_438:                            ;   in Loop: Header=BB171_12 Depth=1
	s_or_b64 exec, exec, s[4:5]
	v_lshrrev_b32_e32 v36, 16, v9
	s_and_b64 s[4:5], s[70:71], exec
.LBB171_439:                            ;   in Loop: Header=BB171_12 Depth=1
	s_or_b64 exec, exec, s[12:13]
	s_mov_b32 s77, s15
	v_readlane_b32 s15, v50, 55
	v_readlane_b32 s76, v50, 56
.LBB171_440:                            ;   in Loop: Header=BB171_12 Depth=1
	s_and_b64 vcc, exec, s[10:11]
	s_cbranch_vccz .LBB171_456
; %bb.441:                              ;   in Loop: Header=BB171_12 Depth=1
	s_mov_b32 s76, s89
	s_cmp_lg_u64 s[76:77], 0
	s_cbranch_scc0 .LBB171_443
; %bb.442:                              ;   in Loop: Header=BB171_12 Depth=1
	v_cvt_f32_u32_e32 v6, s87
	s_sub_u32 s10, 0, s87
	s_subb_u32 s11, 0, 0
	v_mac_f32_e32 v6, 0, v33
	v_rcp_f32_e32 v6, v6
	v_mul_f32_e32 v6, 0x5f7ffffc, v6
	v_mul_f32_e32 v7, 0x2f800000, v6
	v_trunc_f32_e32 v7, v7
	v_mac_f32_e32 v6, 0xcf800000, v7
	v_cvt_u32_f32_e32 v7, v7
	v_cvt_u32_f32_e32 v6, v6
	v_readfirstlane_b32 s12, v7
	v_readfirstlane_b32 s8, v6
	s_mul_i32 s9, s10, s12
	s_mul_hi_u32 s54, s10, s8
	s_mul_i32 s13, s11, s8
	s_add_i32 s9, s54, s9
	s_mul_i32 s55, s10, s8
	s_add_i32 s9, s9, s13
	s_mul_hi_u32 s54, s8, s55
	s_mul_i32 s56, s8, s9
	s_mul_hi_u32 s13, s8, s9
	s_add_u32 s54, s54, s56
	s_addc_u32 s13, 0, s13
	s_mul_hi_u32 s57, s12, s55
	s_mul_i32 s55, s12, s55
	s_add_u32 s54, s54, s55
	s_mul_hi_u32 s56, s12, s9
	s_addc_u32 s13, s13, s57
	s_addc_u32 s54, s56, 0
	s_mul_i32 s9, s12, s9
	s_add_u32 s9, s13, s9
	s_addc_u32 s13, 0, s54
	s_add_u32 s54, s8, s9
	s_cselect_b64 s[8:9], -1, 0
	s_cmp_lg_u64 s[8:9], 0
	s_addc_u32 s12, s12, s13
	s_mul_i32 s8, s10, s12
	s_mul_hi_u32 s9, s10, s54
	s_add_i32 s8, s9, s8
	s_mul_i32 s11, s11, s54
	s_add_i32 s8, s8, s11
	s_mul_i32 s10, s10, s54
	s_mul_hi_u32 s11, s12, s10
	s_mul_i32 s13, s12, s10
	s_mul_i32 s56, s54, s8
	s_mul_hi_u32 s10, s54, s10
	s_mul_hi_u32 s55, s54, s8
	s_add_u32 s10, s10, s56
	s_addc_u32 s55, 0, s55
	s_add_u32 s10, s10, s13
	s_mul_hi_u32 s9, s12, s8
	s_addc_u32 s10, s55, s11
	s_addc_u32 s9, s9, 0
	s_mul_i32 s8, s12, s8
	s_add_u32 s8, s10, s8
	s_addc_u32 s10, 0, s9
	s_add_u32 s11, s54, s8
	s_cselect_b64 s[8:9], -1, 0
	s_cmp_lg_u64 s[8:9], 0
	s_addc_u32 s8, s12, s10
	v_readlane_b32 s54, v50, 33
	s_mul_i32 s10, s54, s8
	s_mul_hi_u32 s12, s54, s11
	s_mul_hi_u32 s9, s54, s8
	s_add_u32 s10, s12, s10
	s_addc_u32 s9, 0, s9
	s_mul_hi_u32 s13, s77, s11
	s_mul_i32 s11, s77, s11
	s_add_u32 s10, s10, s11
	s_mul_hi_u32 s12, s77, s8
	s_addc_u32 s9, s9, s13
	s_addc_u32 s10, s12, 0
	s_mul_i32 s8, s77, s8
	s_add_u32 s8, s9, s8
	s_addc_u32 s9, 0, s10
	s_mul_i32 s9, s87, s9
	s_mul_hi_u32 s10, s87, s8
	s_add_i32 s10, s10, s9
	s_mul_i32 s8, s87, s8
	s_sub_u32 s11, s54, s8
	s_cselect_b64 s[8:9], -1, 0
	s_cmp_lg_u64 s[8:9], 0
	s_subb_u32 s10, s77, s10
	s_sub_u32 s12, s11, s87
	s_cselect_b64 s[8:9], -1, 0
	s_cmp_lg_u64 s[8:9], 0
	s_subb_u32 s13, s10, 0
	;; [unrolled: 4-line block ×3, first 2 shown]
	s_cmp_ge_u32 s12, s87
	s_cselect_b32 s9, -1, 0
	s_cmp_eq_u32 s13, 0
	s_cselect_b32 s9, s9, -1
	s_cmp_lg_u32 s9, 0
	s_cselect_b32 s8, s8, s13
	s_cselect_b32 s12, s54, s12
	s_cmp_ge_u32 s11, s87
	s_cselect_b32 s9, -1, 0
	s_cmp_eq_u32 s10, 0
	s_cselect_b32 s9, s9, -1
	s_cmp_lg_u32 s9, 0
	s_cselect_b32 s9, s8, s10
	s_cselect_b32 s8, s12, s11
	s_mov_b64 s[10:11], 0
	s_branch .LBB171_444
.LBB171_443:                            ;   in Loop: Header=BB171_12 Depth=1
	s_mov_b64 s[10:11], -1
                                        ; implicit-def: $sgpr8_sgpr9
.LBB171_444:                            ;   in Loop: Header=BB171_12 Depth=1
	s_andn2_b64 vcc, exec, s[10:11]
	v_readlane_b32 s15, v50, 55
	v_readlane_b32 s76, v50, 56
	s_cbranch_vccnz .LBB171_446
; %bb.445:                              ;   in Loop: Header=BB171_12 Depth=1
	v_cvt_f32_u32_e32 v6, s87
	s_sub_i32 s8, 0, s87
	v_readlane_b32 s10, v50, 33
	v_rcp_iflag_f32_e32 v6, v6
	v_mul_f32_e32 v6, 0x4f7ffffe, v6
	v_cvt_u32_f32_e32 v6, v6
	v_readfirstlane_b32 s9, v6
	s_mul_i32 s8, s8, s9
	s_mul_hi_u32 s8, s9, s8
	s_add_i32 s9, s9, s8
	s_mul_hi_u32 s8, s10, s9
	s_mul_i32 s8, s8, s87
	s_sub_i32 s8, s10, s8
	s_sub_i32 s9, s8, s87
	s_cmp_ge_u32 s8, s87
	s_cselect_b32 s8, s9, s8
	s_sub_i32 s9, s8, s87
	s_cmp_ge_u32 s8, s87
	s_mov_b32 s10, s88
	s_cselect_b32 s88, s9, s8
	s_mov_b64 s[8:9], s[88:89]
	s_mov_b32 s88, s10
.LBB171_446:                            ;   in Loop: Header=BB171_12 Depth=1
	v_readlane_b32 s10, v50, 33
	s_sub_u32 s10, s10, s8
	s_subb_u32 s11, s77, s9
	v_cmp_gt_u64_e32 vcc, s[10:11], v[0:1]
                                        ; implicit-def: $vgpr36
	s_and_saveexec_b64 s[8:9], vcc
	s_cbranch_execz .LBB171_455
; %bb.447:                              ;   in Loop: Header=BB171_12 Depth=1
	v_mov_b32_e32 v7, v1
	s_mov_b64 s[12:13], 0
	v_mov_b32_e32 v6, v0
                                        ; implicit-def: $sgpr54_sgpr55
	s_branch .LBB171_450
.LBB171_448:                            ;   in Loop: Header=BB171_450 Depth=2
	s_or_b64 exec, exec, s[56:57]
	s_waitcnt lgkmcnt(0)
	s_barrier
	ds_read_b32 v8, v3 offset:3072
	s_mov_b64 s[56:57], -1
	s_waitcnt lgkmcnt(0)
	s_barrier
	v_cmp_eq_u32_sdwa s[58:59], v8, v3 src0_sel:WORD_0 src1_sel:DWORD
	s_and_b64 vcc, exec, s[58:59]
	s_mov_b64 s[58:59], -1
	s_cbranch_vccnz .LBB171_453
.LBB171_449:                            ;   in Loop: Header=BB171_450 Depth=2
	s_and_b64 s[56:57], exec, s[56:57]
	s_or_b64 s[12:13], s[56:57], s[12:13]
	s_andn2_b64 s[54:55], s[54:55], exec
	s_and_b64 s[56:57], s[58:59], exec
	s_or_b64 s[54:55], s[54:55], s[56:57]
	s_andn2_b64 exec, exec, s[12:13]
	s_cbranch_execz .LBB171_454
.LBB171_450:                            ;   Parent Loop BB171_12 Depth=1
                                        ; =>  This Inner Loop Header: Depth=2
	v_cmp_gt_u64_e32 vcc, s[64:65], v[6:7]
	s_and_saveexec_b64 s[56:57], vcc
	s_cbranch_execz .LBB171_448
; %bb.451:                              ;   in Loop: Header=BB171_450 Depth=2
	v_mul_lo_u32 v10, v7, s62
	v_mul_lo_u32 v11, v6, s63
	v_mad_u64_u32 v[8:9], s[58:59], v6, s62, 0
	v_add3_u32 v9, v9, v11, v10
	v_lshlrev_b64 v[8:9], 1, v[8:9]
	v_mov_b32_e32 v10, s86
	v_add_co_u32_e32 v8, vcc, s33, v8
	v_addc_co_u32_e32 v9, vcc, v10, v9, vcc
	global_load_ushort v8, v[8:9], off
	s_waitcnt vmcnt(0)
	v_add_u32_sdwa v9, sext(v8), s85 dst_sel:DWORD dst_unused:UNUSED_PAD src0_sel:WORD_0 src1_sel:DWORD
	v_and_b32_e32 v9, v9, v35
	v_cmp_eq_u32_e32 vcc, v9, v30
	s_and_b64 exec, exec, vcc
	s_cbranch_execz .LBB171_448
; %bb.452:                              ;   in Loop: Header=BB171_450 Depth=2
	v_perm_b32 v8, v8, 1, v34
	ds_write_b32 v3, v8 offset:3072
	s_branch .LBB171_448
.LBB171_453:                            ;   in Loop: Header=BB171_450 Depth=2
	v_add_co_u32_e32 v6, vcc, s87, v6
	v_addc_co_u32_e32 v7, vcc, 0, v7, vcc
	v_cmp_le_u64_e32 vcc, s[10:11], v[6:7]
	s_mov_b64 s[58:59], 0
	s_orn2_b64 s[56:57], vcc, exec
	s_branch .LBB171_449
.LBB171_454:                            ;   in Loop: Header=BB171_12 Depth=1
	s_or_b64 exec, exec, s[12:13]
	s_andn2_b64 s[4:5], s[4:5], exec
	s_and_b64 s[10:11], s[54:55], exec
	v_lshrrev_b32_e32 v36, 16, v8
	s_or_b64 s[4:5], s[4:5], s[10:11]
.LBB171_455:                            ;   in Loop: Header=BB171_12 Depth=1
	s_or_b64 exec, exec, s[8:9]
	s_mov_b64 s[54:55], 0
	s_mov_b64 s[56:57], -1
.LBB171_456:                            ;   in Loop: Header=BB171_12 Depth=1
	s_orn2_b64 s[8:9], s[4:5], exec
.LBB171_457:                            ;   in Loop: Header=BB171_12 Depth=1
	s_or_b64 exec, exec, s[52:53]
	s_mov_b64 s[10:11], 0
	s_and_saveexec_b64 s[4:5], s[8:9]
	s_cbranch_execz .LBB171_468
; %bb.458:                              ;   in Loop: Header=BB171_12 Depth=1
	v_mov_b32_e32 v6, 1
	s_xor_b64 s[10:11], s[50:51], -1
	v_mov_b32_e32 v7, 0
	v_mov_b32_e32 v2, 1
	s_and_saveexec_b64 s[8:9], s[10:11]
	s_cbranch_execz .LBB171_467
; %bb.459:                              ;   in Loop: Header=BB171_12 Depth=1
	v_cmp_ge_u64_e32 vcc, s[20:21], v[4:5]
	s_and_saveexec_b64 s[10:11], vcc
	s_xor_b64 s[10:11], exec, s[10:11]
	s_cbranch_execz .LBB171_464
; %bb.460:                              ;   in Loop: Header=BB171_12 Depth=1
	ds_read_b64 v[6:7], v3 offset:5120
	v_and_b32_e32 v30, s88, v30
	v_or_b32_e32 v35, s1, v35
	s_waitcnt lgkmcnt(0)
	v_cmp_ne_u64_e32 vcc, 0, v[6:7]
	s_cbranch_vccnz .LBB171_464
; %bb.461:                              ;   in Loop: Header=BB171_12 Depth=1
	s_mov_b64 s[12:13], exec
	v_readlane_b32 s50, v50, 12
	v_readlane_b32 s51, v50, 13
	s_and_b64 s[50:51], s[12:13], s[50:51]
	s_mov_b64 exec, s[50:51]
; %bb.462:                              ;   in Loop: Header=BB171_12 Depth=1
	v_mov_b32_e32 v6, s20
	v_mov_b32_e32 v7, s21
	ds_write_b64 v3, v[6:7] offset:5128
; %bb.463:                              ;   in Loop: Header=BB171_12 Depth=1
	s_or_b64 exec, exec, s[12:13]
	s_waitcnt lgkmcnt(0)
	s_barrier
.LBB171_464:                            ;   in Loop: Header=BB171_12 Depth=1
	s_andn2_saveexec_b64 s[10:11], s[10:11]
; %bb.465:                              ;   in Loop: Header=BB171_12 Depth=1
	v_mov_b32_e32 v2, s21
	v_subrev_co_u32_e32 v4, vcc, s20, v4
	v_subb_co_u32_e32 v5, vcc, v5, v2, vcc
; %bb.466:                              ;   in Loop: Header=BB171_12 Depth=1
	s_or_b64 exec, exec, s[10:11]
	v_mov_b32_e32 v7, v5
	v_mov_b32_e32 v2, 5
	;; [unrolled: 1-line block ×3, first 2 shown]
.LBB171_467:                            ;   in Loop: Header=BB171_12 Depth=1
	s_or_b64 exec, exec, s[8:9]
	v_mov_b32_e32 v4, v6
	s_mov_b64 s[10:11], exec
	v_mov_b32_e32 v5, v7
.LBB171_468:                            ;   in Loop: Header=BB171_12 Depth=1
	s_or_b64 exec, exec, s[4:5]
	s_orn2_b64 s[4:5], s[10:11], exec
.LBB171_469:                            ;   in Loop: Header=BB171_12 Depth=1
	s_or_b64 exec, exec, s[24:25]
	s_andn2_b64 s[8:9], s[46:47], exec
	s_and_b64 s[10:11], s[56:57], exec
	s_or_b64 s[46:47], s[8:9], s[10:11]
	s_andn2_b64 s[8:9], s[44:45], exec
	s_and_b64 s[10:11], s[54:55], exec
	v_mov_b32_e32 v7, v5
	s_or_b64 s[44:45], s[8:9], s[10:11]
	s_and_b64 s[8:9], s[4:5], exec
	v_mov_b32_e32 v6, v4
.LBB171_470:                            ;   in Loop: Header=BB171_12 Depth=1
	s_or_b64 exec, exec, s[48:49]
	s_orn2_b64 s[4:5], s[8:9], exec
.LBB171_471:                            ;   in Loop: Header=BB171_12 Depth=1
	s_or_b64 exec, exec, s[26:27]
	s_andn2_b64 s[8:9], s[40:41], exec
	s_and_b64 s[10:11], s[46:47], exec
	s_or_b64 s[40:41], s[8:9], s[10:11]
	s_andn2_b64 s[8:9], s[28:29], exec
	s_and_b64 s[10:11], s[44:45], exec
	v_mov_b32_e32 v4, v6
	s_or_b64 s[28:29], s[8:9], s[10:11]
	s_and_b64 s[8:9], s[4:5], exec
	v_mov_b32_e32 v5, v7
.LBB171_472:                            ;   in Loop: Header=BB171_12 Depth=1
	s_or_b64 exec, exec, s[42:43]
	s_orn2_b64 s[4:5], s[8:9], exec
.LBB171_473:                            ;   in Loop: Header=BB171_12 Depth=1
	s_or_b64 exec, exec, s[6:7]
	s_mov_b64 s[6:7], s[34:35]
	s_mov_b64 s[8:9], s[30:31]
	s_and_saveexec_b64 s[10:11], s[4:5]
; %bb.474:                              ;   in Loop: Header=BB171_12 Depth=1
	v_cmp_ne_u32_e64 s[6:7], 5, v2
	v_cmp_eq_u32_e32 vcc, 5, v2
	s_andn2_b64 s[4:5], s[30:31], exec
	s_and_b64 s[6:7], s[6:7], exec
	s_or_b64 s[8:9], s[4:5], s[6:7]
	s_andn2_b64 s[4:5], s[34:35], exec
	s_and_b64 s[6:7], vcc, exec
	s_or_b64 s[6:7], s[4:5], s[6:7]
; %bb.475:                              ;   in Loop: Header=BB171_12 Depth=1
	s_or_b64 exec, exec, s[10:11]
	s_andn2_b64 s[4:5], s[18:19], exec
	s_and_b64 s[10:11], s[40:41], exec
	s_or_b64 s[18:19], s[4:5], s[10:11]
	s_andn2_b64 s[4:5], s[22:23], exec
	s_and_b64 s[10:11], s[28:29], exec
	s_or_b64 s[22:23], s[4:5], s[10:11]
	;; [unrolled: 3-line block ×4, first 2 shown]
.LBB171_476:                            ;   in Loop: Header=BB171_12 Depth=1
	s_or_b64 exec, exec, s[38:39]
	s_mov_b64 s[38:39], 0
	s_mov_b64 s[40:41], 0
	s_and_saveexec_b64 s[4:5], s[34:35]
.LBB171_477:                            ;   in Loop: Header=BB171_12 Depth=1
	v_mov_b32_e32 v2, 0
	s_or_b64 s[30:31], s[30:31], exec
.LBB171_478:                            ;   in Loop: Header=BB171_12 Depth=1
	s_or_b64 exec, exec, s[4:5]
	s_andn2_b64 s[2:3], s[2:3], exec
	s_and_b64 s[4:5], s[18:19], exec
	s_or_b64 s[2:3], s[2:3], s[4:5]
	s_andn2_b64 s[4:5], s[36:37], exec
	s_and_b64 s[8:9], s[22:23], exec
	s_or_b64 s[36:37], s[4:5], s[8:9]
	v_readlane_b32 s4, v50, 59
	v_readlane_b32 s5, v50, 60
	s_andn2_b64 s[4:5], s[4:5], exec
	s_and_b64 s[8:9], s[40:41], exec
	s_or_b64 s[24:25], s[4:5], s[8:9]
	v_readlane_b32 s4, v50, 57
	v_readlane_b32 s5, v50, 58
	s_andn2_b64 s[4:5], s[4:5], exec
	s_and_b64 s[8:9], s[38:39], exec
	v_mov_b32_e32 v20, v5
	s_mov_b64 s[6:7], -1
	s_andn2_b64 s[68:69], s[68:69], exec
	s_or_b64 s[22:23], s[4:5], s[8:9]
	v_mov_b32_e32 v19, v4
	s_and_saveexec_b64 s[4:5], s[30:31]
	s_xor_b64 s[4:5], exec, s[4:5]
	s_cbranch_execz .LBB171_11
; %bb.479:                              ;   in Loop: Header=BB171_12 Depth=1
	v_cmp_eq_u32_e32 vcc, 0, v2
	s_mov_b64 s[8:9], -1
	s_and_saveexec_b64 s[10:11], vcc
	s_cbranch_execz .LBB171_10
; %bb.480:                              ;   in Loop: Header=BB171_12 Depth=1
	v_readlane_b32 s1, v50, 52
	s_xor_b32 s1, s1, 1
	s_add_i32 s12, s0, -2
	s_cmp_eq_u32 s0, 0
	v_writelane_b32 v50, s1, 52
	s_cselect_b64 s[0:1], -1, 0
	s_xor_b64 s[8:9], exec, -1
	s_orn2_b64 s[6:7], s[0:1], exec
	s_mov_b32 s0, s12
	s_branch .LBB171_10
.LBB171_481:
	s_or_b64 exec, exec, s[72:73]
	s_xor_b64 s[4:5], s[60:61], -1
	s_xor_b64 s[8:9], s[82:83], -1
	s_xor_b64 s[12:13], s[16:17], -1
	s_xor_b64 s[0:1], s[74:75], -1
	s_xor_b64 s[2:3], s[80:81], -1
	s_mov_b64 s[6:7], 0
	s_and_saveexec_b64 s[10:11], s[0:1]
	s_xor_b64 s[10:11], exec, s[10:11]
	s_cbranch_execnz .LBB171_486
; %bb.482:
	s_andn2_saveexec_b64 s[0:1], s[10:11]
	s_cbranch_execnz .LBB171_505
.LBB171_483:
	s_or_b64 exec, exec, s[0:1]
	s_and_saveexec_b64 s[0:1], s[6:7]
.LBB171_484:
	; divergent unreachable
.LBB171_485:
	s_endpgm
.LBB171_486:
	s_and_saveexec_b64 s[0:1], s[12:13]
	s_xor_b64 s[12:13], exec, s[0:1]
	s_cbranch_execz .LBB171_503
; %bb.487:
	s_and_saveexec_b64 s[0:1], s[8:9]
	s_xor_b64 s[14:15], exec, s[0:1]
	s_cbranch_execz .LBB171_501
; %bb.488:
	;; [unrolled: 4-line block ×3, first 2 shown]
	s_and_saveexec_b64 s[0:1], s[2:3]
	s_xor_b64 s[2:3], exec, s[0:1]
; %bb.490:
	v_xor_b32_e32 v36, 0xffff8000, v30
; %bb.491:
	s_or_b64 exec, exec, s[2:3]
	s_mov_b64 s[2:3], exec
	v_readlane_b32 s0, v50, 12
	v_readlane_b32 s1, v50, 13
	;; [unrolled: 1-line block ×4, first 2 shown]
	s_and_b64 s[0:1], s[2:3], s[0:1]
	v_readlane_b32 s23, v50, 47
	v_readlane_b32 s6, v50, 14
	;; [unrolled: 1-line block ×4, first 2 shown]
	s_mov_b64 exec, s[0:1]
; %bb.492:
	v_mov_b32_e32 v2, 0
	v_mov_b32_e32 v3, v2
	ds_write_b64 v2, v[2:3] offset:5136
; %bb.493:
	s_or_b64 exec, exec, s[2:3]
	v_mov_b32_e32 v14, 0
	s_waitcnt lgkmcnt(0)
	s_barrier
	s_mov_b64 s[2:3], exec
	v_readlane_b32 s0, v50, 26
	v_readlane_b32 s1, v50, 27
	s_and_b64 s[0:1], s[2:3], s[0:1]
	s_mov_b64 exec, s[0:1]
	s_cbranch_execz .LBB171_495
; %bb.494:
	global_load_ushort v14, v[12:13], off
.LBB171_495:
	s_or_b64 exec, exec, s[2:3]
	s_add_u32 s0, s64, 63
	s_addc_u32 s9, s65, 0
	s_and_b32 s8, s0, 0xffffffc0
	v_readlane_b32 s2, v50, 2
	v_readlane_b32 s0, v50, 0
	;; [unrolled: 1-line block ×4, first 2 shown]
	s_mov_b32 s4, s0
	s_mul_i32 s0, s0, s3
	s_mul_hi_u32 s1, s4, s2
	s_add_i32 s1, s1, s0
	s_mul_i32 s0, s4, s2
	v_readlane_b32 s24, v50, 16
	s_sub_u32 s0, s6, s0
	v_readlane_b32 s26, v50, 18
	v_readlane_b32 s27, v50, 19
	s_subb_u32 s1, 0, s1
	s_mul_i32 s2, s0, s27
	s_mul_hi_u32 s3, s0, s26
	v_readlane_b32 s25, v50, 17
	s_add_i32 s2, s3, s2
	s_mul_i32 s1, s1, s26
	s_add_i32 s1, s2, s1
	s_mul_i32 s2, s4, s25
	s_mul_hi_u32 s3, s4, s24
	s_add_i32 s3, s3, s2
	s_mul_i32 s2, s4, s24
	v_readlane_b32 s18, v50, 6
	v_readlane_b32 s4, v50, 4
	;; [unrolled: 1-line block ×4, first 2 shown]
	s_mov_b32 s20, s4
	s_mul_i32 s4, s4, s19
	s_mul_hi_u32 s5, s20, s18
	s_mul_i32 s0, s0, s26
	s_add_i32 s5, s5, s4
	s_mul_i32 s4, s20, s18
	v_readlane_b32 s24, v50, 48
	s_sub_u32 s4, s6, s4
	v_readlane_b32 s26, v50, 50
	v_readlane_b32 s27, v50, 51
	s_subb_u32 s5, 0, s5
	s_mul_i32 s6, s4, s27
	s_mul_hi_u32 s7, s4, s26
	v_readlane_b32 s25, v50, 49
	s_add_i32 s6, s7, s6
	s_mul_i32 s5, s5, s26
	s_add_i32 s5, s6, s5
	s_mul_i32 s6, s20, s25
	s_mul_hi_u32 s7, s20, s24
	s_add_i32 s7, s7, s6
	s_lshl_b64 s[2:3], s[2:3], 1
	v_readlane_b32 s18, v50, 10
	v_readlane_b32 s19, v50, 11
	s_add_u32 s2, s18, s2
	s_addc_u32 s3, s19, s3
	s_lshl_b64 s[0:1], s[0:1], 1
	s_mul_i32 s6, s20, s24
	s_add_u32 s0, s2, s0
	s_addc_u32 s1, s3, s1
	s_lshl_b64 s[2:3], s[6:7], 3
	v_readlane_b32 s6, v50, 8
	s_load_dwordx2 s[18:19], s[22:23], 0x368
	s_load_dwordx2 s[20:21], s[22:23], 0x510
	s_mul_i32 s4, s4, s26
	v_readlane_b32 s7, v50, 9
	s_add_u32 s6, s6, s2
	s_addc_u32 s7, s7, s3
	s_lshl_b64 s[2:3], s[4:5], 3
	s_add_u32 s38, s6, s2
	v_cmp_gt_u64_e32 vcc, s[8:9], v[0:1]
	s_addc_u32 s39, s7, s3
	s_mov_b64 s[24:25], -1
	s_mov_b64 s[2:3], 0
	s_mov_b64 s[4:5], 0
	s_and_saveexec_b64 s[22:23], vcc
	s_cbranch_execnz .LBB171_506
; %bb.496:
	s_or_b64 exec, exec, s[22:23]
	s_and_saveexec_b64 s[6:7], s[24:25]
	s_cbranch_execnz .LBB171_521
.LBB171_497:
	s_or_b64 exec, exec, s[6:7]
	s_and_saveexec_b64 s[0:1], s[4:5]
	s_xor_b64 s[0:1], exec, s[0:1]
	s_cbranch_execnz .LBB171_544
.LBB171_498:
	s_or_b64 exec, exec, s[0:1]
	s_and_b64 s[6:7], s[2:3], exec
.LBB171_499:
	s_andn2_saveexec_b64 s[0:1], s[16:17]
	s_cbranch_execnz .LBB171_546
.LBB171_500:
	s_or_b64 exec, exec, s[0:1]
	s_and_b64 s[6:7], s[6:7], exec
.LBB171_501:
	s_andn2_saveexec_b64 s[0:1], s[14:15]
	s_cbranch_execnz .LBB171_545
.LBB171_502:
	s_or_b64 exec, exec, s[0:1]
	s_and_b64 s[6:7], s[6:7], exec
.LBB171_503:
	s_andn2_saveexec_b64 s[0:1], s[12:13]
	s_cbranch_execnz .LBB171_540
.LBB171_504:
	s_or_b64 exec, exec, s[0:1]
	s_and_b64 s[6:7], s[6:7], exec
	s_andn2_saveexec_b64 s[0:1], s[10:11]
	s_cbranch_execz .LBB171_483
.LBB171_505:
	s_or_b64 s[6:7], s[6:7], exec
	s_trap 2
	s_or_b64 exec, exec, s[0:1]
	s_and_saveexec_b64 s[0:1], s[6:7]
	s_cbranch_execnz .LBB171_484
	s_branch .LBB171_485
.LBB171_506:
	s_mov_b32 s40, 0x8000
	v_mov_b32_e32 v9, v1
	v_add_u32_sdwa v15, sext(v36), s40 dst_sel:DWORD dst_unused:UNUSED_PAD src0_sel:WORD_0 src1_sel:DWORD
	s_mov_b64 s[24:25], 0
	v_mov_b32_e32 v3, 0
	v_mov_b32_e32 v8, v0
                                        ; implicit-def: $sgpr26_sgpr27
                                        ; implicit-def: $vgpr6_vgpr7
	s_branch .LBB171_508
.LBB171_507:                            ;   in Loop: Header=BB171_508 Depth=1
	s_or_b64 exec, exec, s[30:31]
	s_xor_b64 s[4:5], s[28:29], -1
	s_and_b64 s[6:7], exec, s[6:7]
	s_or_b64 s[24:25], s[6:7], s[24:25]
	s_andn2_b64 s[6:7], s[26:27], exec
	s_and_b64 s[4:5], s[4:5], exec
	v_mov_b32_e32 v9, v5
	s_or_b64 s[26:27], s[6:7], s[4:5]
	v_mov_b32_e32 v14, v16
	v_mov_b32_e32 v8, v4
	s_andn2_b64 exec, exec, s[24:25]
	s_cbranch_execz .LBB171_520
.LBB171_508:                            ; =>This Inner Loop Header: Depth=1
	v_add_co_u32_e64 v4, s[4:5], s87, v8
	v_addc_co_u32_e64 v5, s[4:5], 0, v9, s[4:5]
	v_cmp_gt_u64_e64 s[4:5], s[64:65], v[4:5]
	v_mov_b32_e32 v16, 0
	s_and_saveexec_b64 s[6:7], s[4:5]
	s_cbranch_execz .LBB171_510
; %bb.509:                              ;   in Loop: Header=BB171_508 Depth=1
	v_mul_lo_u32 v2, v5, s62
	v_mul_lo_u32 v16, v4, s63
	v_mad_u64_u32 v[10:11], s[4:5], v4, s62, 0
	v_add3_u32 v11, v11, v16, v2
	v_lshlrev_b64 v[10:11], 1, v[10:11]
	v_mov_b32_e32 v2, s86
	v_add_co_u32_e64 v10, s[4:5], s33, v10
	v_addc_co_u32_e64 v11, s[4:5], v2, v11, s[4:5]
	global_load_ushort v16, v[10:11], off
.LBB171_510:                            ;   in Loop: Header=BB171_508 Depth=1
	s_or_b64 exec, exec, s[6:7]
	s_waitcnt vmcnt(0)
	v_add_u32_sdwa v2, sext(v14), s40 dst_sel:DWORD dst_unused:UNUSED_PAD src0_sel:WORD_0 src1_sel:DWORD
	v_cmp_gt_u32_e64 s[6:7], v2, v15
	v_cndmask_b32_e64 v10, 0, 1, s[6:7]
	v_cmp_lt_u32_e64 s[6:7], v2, v15
	v_cndmask_b32_e64 v2, 0, 1, s[6:7]
	v_cndmask_b32_e64 v2, v2, v10, s[42:43]
	v_cmp_gt_u64_e64 s[4:5], s[64:65], v[8:9]
	v_and_b32_e32 v2, 1, v2
	v_cmp_eq_u32_e64 s[6:7], 1, v2
	s_and_b64 s[30:31], s[4:5], s[6:7]
	v_cndmask_b32_e64 v2, 0, 1, s[30:31]
	v_cmp_ne_u32_e64 s[4:5], 0, v2
	s_cmp_lg_u64 s[4:5], 0
	s_cselect_b64 s[6:7], -1, 0
	s_and_b64 s[6:7], s[92:93], s[6:7]
	s_and_saveexec_b64 s[28:29], s[6:7]
	s_cbranch_execz .LBB171_514
; %bb.511:                              ;   in Loop: Header=BB171_508 Depth=1
	s_mov_b64 s[36:37], exec
	v_mbcnt_lo_u32_b32 v2, s36, 0
	v_mbcnt_hi_u32_b32 v10, s37, v2
	s_bcnt1_i32_b64 s41, s[4:5]
	v_cmp_eq_u32_e64 s[6:7], 0, v10
                                        ; implicit-def: $vgpr6_vgpr7
	s_and_saveexec_b64 s[34:35], s[6:7]
	s_cbranch_execz .LBB171_513
; %bb.512:                              ;   in Loop: Header=BB171_508 Depth=1
	s_bcnt1_i32_b64 s6, s[36:37]
	s_mul_i32 s6, s41, s6
	v_mov_b32_e32 v2, s6
	s_waitcnt lgkmcnt(0)
	ds_add_rtn_u64 v[6:7], v3, v[2:3] offset:5136
.LBB171_513:                            ;   in Loop: Header=BB171_508 Depth=1
	s_or_b64 exec, exec, s[34:35]
	s_waitcnt lgkmcnt(0)
	v_readfirstlane_b32 s6, v7
	v_readfirstlane_b32 s7, v6
	v_mov_b32_e32 v6, s7
	v_mov_b32_e32 v7, s6
	v_mad_u64_u32 v[6:7], s[6:7], s41, v10, v[6:7]
.LBB171_514:                            ;   in Loop: Header=BB171_508 Depth=1
	s_or_b64 exec, exec, s[28:29]
	s_waitcnt lgkmcnt(0)
	ds_bpermute_b32 v6, v23, v6
	ds_bpermute_b32 v7, v23, v7
	s_mov_b64 s[6:7], -1
	s_mov_b64 s[34:35], -1
	s_and_saveexec_b64 s[28:29], s[30:31]
	s_cbranch_execz .LBB171_518
; %bb.515:                              ;   in Loop: Header=BB171_508 Depth=1
	v_and_b32_e32 v10, s4, v25
	v_and_b32_e32 v2, s5, v24
	v_bcnt_u32_b32 v10, v10, 0
	v_bcnt_u32_b32 v2, v2, v10
	s_waitcnt lgkmcnt(0)
	v_add_co_u32_e64 v10, s[4:5], v6, v2
	v_addc_co_u32_e64 v11, s[4:5], 0, v7, s[4:5]
	v_cmp_gt_u64_e64 s[4:5], s[66:67], v[10:11]
	s_mov_b64 s[30:31], 0
	s_and_saveexec_b64 s[34:35], s[4:5]
; %bb.516:                              ;   in Loop: Header=BB171_508 Depth=1
	v_mul_lo_u32 v2, v11, s18
	v_mul_lo_u32 v19, v10, s19
	v_mad_u64_u32 v[17:18], s[4:5], v10, s18, 0
	v_mul_lo_u32 v20, v11, s20
	v_mul_lo_u32 v21, v10, s21
	v_mad_u64_u32 v[10:11], s[4:5], v10, s20, 0
	v_add3_u32 v18, v18, v19, v2
	v_lshlrev_b64 v[17:18], 1, v[17:18]
	v_add3_u32 v11, v11, v21, v20
	v_mov_b32_e32 v2, s1
	v_add_co_u32_e64 v17, s[4:5], s0, v17
	v_lshlrev_b64 v[10:11], 3, v[10:11]
	v_addc_co_u32_e64 v18, s[4:5], v2, v18, s[4:5]
	v_mov_b32_e32 v2, s39
	v_add_co_u32_e64 v10, s[4:5], s38, v10
	s_mov_b64 s[30:31], exec
	v_addc_co_u32_e64 v11, s[4:5], v2, v11, s[4:5]
	global_store_short v[17:18], v14, off
	global_store_dwordx2 v[10:11], v[8:9], off
; %bb.517:                              ;   in Loop: Header=BB171_508 Depth=1
	s_or_b64 exec, exec, s[34:35]
	s_orn2_b64 s[34:35], s[30:31], exec
.LBB171_518:                            ;   in Loop: Header=BB171_508 Depth=1
	s_or_b64 exec, exec, s[28:29]
	s_mov_b64 s[28:29], -1
	s_and_saveexec_b64 s[30:31], s[34:35]
	s_cbranch_execz .LBB171_507
; %bb.519:                              ;   in Loop: Header=BB171_508 Depth=1
	v_cmp_le_u64_e64 s[4:5], s[8:9], v[4:5]
	s_xor_b64 s[28:29], exec, -1
	s_orn2_b64 s[6:7], s[4:5], exec
	s_branch .LBB171_507
.LBB171_520:
	s_or_b64 exec, exec, s[24:25]
	s_mov_b64 s[4:5], exec
	s_orn2_b64 s[24:25], s[26:27], exec
	s_or_b64 exec, exec, s[22:23]
	s_and_saveexec_b64 s[6:7], s[24:25]
	s_cbranch_execz .LBB171_497
.LBB171_521:
	v_mov_b32_e32 v2, 0
	s_waitcnt vmcnt(0) lgkmcnt(0)
	s_barrier
	s_mov_b64 s[2:3], exec
	v_readlane_b32 s22, v50, 26
	v_readlane_b32 s23, v50, 27
	s_and_b64 s[22:23], s[2:3], s[22:23]
	s_mov_b64 exec, s[22:23]
	s_cbranch_execz .LBB171_523
; %bb.522:
	global_load_ushort v2, v[12:13], off
.LBB171_523:
	s_or_b64 exec, exec, s[2:3]
	s_mov_b64 s[2:3], 0
	s_and_saveexec_b64 s[22:23], vcc
	s_cbranch_execz .LBB171_543
; %bb.524:
	s_mov_b64 s[24:25], 0
	v_mov_b32_e32 v3, 0
                                        ; implicit-def: $sgpr26_sgpr27
                                        ; implicit-def: $vgpr6_vgpr7
	s_branch .LBB171_527
.LBB171_525:                            ;   in Loop: Header=BB171_527 Depth=1
	s_or_b64 exec, exec, s[30:31]
	s_orn2_b64 s[34:35], s[36:37], exec
	s_orn2_b64 s[30:31], s[28:29], exec
.LBB171_526:                            ;   in Loop: Header=BB171_527 Depth=1
	s_or_b64 exec, exec, s[2:3]
	s_xor_b64 s[2:3], s[34:35], -1
	s_and_b64 s[28:29], exec, s[30:31]
	s_or_b64 s[24:25], s[28:29], s[24:25]
	s_andn2_b64 s[26:27], s[26:27], exec
	s_and_b64 s[2:3], s[2:3], exec
	v_mov_b32_e32 v0, v4
	s_or_b64 s[26:27], s[26:27], s[2:3]
	v_mov_b32_e32 v1, v5
	v_mov_b32_e32 v2, v10
	s_andn2_b64 exec, exec, s[24:25]
	s_cbranch_execz .LBB171_541
.LBB171_527:                            ; =>This Inner Loop Header: Depth=1
	v_add_co_u32_e32 v4, vcc, s87, v0
	v_addc_co_u32_e32 v5, vcc, 0, v1, vcc
	v_cmp_gt_u64_e32 vcc, s[64:65], v[4:5]
	v_mov_b32_e32 v10, 0
	s_and_saveexec_b64 s[2:3], vcc
	s_cbranch_execz .LBB171_529
; %bb.528:                              ;   in Loop: Header=BB171_527 Depth=1
	v_mul_lo_u32 v10, v5, s62
	v_mul_lo_u32 v11, v4, s63
	v_mad_u64_u32 v[8:9], s[28:29], v4, s62, 0
	v_add3_u32 v9, v9, v11, v10
	v_lshlrev_b64 v[8:9], 1, v[8:9]
	v_mov_b32_e32 v10, s86
	v_add_co_u32_e32 v8, vcc, s33, v8
	v_addc_co_u32_e32 v9, vcc, v10, v9, vcc
	global_load_ushort v10, v[8:9], off
.LBB171_529:                            ;   in Loop: Header=BB171_527 Depth=1
	s_or_b64 exec, exec, s[2:3]
	v_cmp_gt_u64_e32 vcc, s[64:65], v[0:1]
	s_waitcnt vmcnt(0)
	v_cmp_eq_u16_e64 s[2:3], v2, v36
	s_and_b64 s[28:29], vcc, s[2:3]
	v_cndmask_b32_e64 v2, 0, 1, s[28:29]
	v_cmp_ne_u32_e32 vcc, 0, v2
	s_cmp_lg_u64 vcc, 0
	s_cselect_b64 s[2:3], -1, 0
	s_and_b64 s[2:3], s[92:93], s[2:3]
	s_and_saveexec_b64 s[30:31], s[2:3]
	s_cbranch_execz .LBB171_533
; %bb.530:                              ;   in Loop: Header=BB171_527 Depth=1
	s_mov_b64 s[36:37], exec
	v_mbcnt_lo_u32_b32 v2, s36, 0
	v_mbcnt_hi_u32_b32 v8, s37, v2
	s_bcnt1_i32_b64 s40, vcc
	v_cmp_eq_u32_e64 s[2:3], 0, v8
                                        ; implicit-def: $vgpr6_vgpr7
	s_and_saveexec_b64 s[34:35], s[2:3]
; %bb.531:                              ;   in Loop: Header=BB171_527 Depth=1
	s_bcnt1_i32_b64 s2, s[36:37]
	s_mul_i32 s2, s40, s2
	v_mov_b32_e32 v2, s2
	ds_add_rtn_u64 v[6:7], v3, v[2:3] offset:5136
; %bb.532:                              ;   in Loop: Header=BB171_527 Depth=1
	s_or_b64 exec, exec, s[34:35]
	s_waitcnt lgkmcnt(0)
	v_readfirstlane_b32 s2, v7
	v_readfirstlane_b32 s3, v6
	v_mov_b32_e32 v6, s3
	v_mov_b32_e32 v7, s2
	v_mad_u64_u32 v[6:7], s[2:3], s40, v8, v[6:7]
.LBB171_533:                            ;   in Loop: Header=BB171_527 Depth=1
	s_or_b64 exec, exec, s[30:31]
	ds_bpermute_b32 v6, v23, v6
	ds_bpermute_b32 v7, v23, v7
	s_cmp_eq_u64 vcc, 0
	s_cselect_b64 s[34:35], -1, 0
	s_mov_b64 s[30:31], -1
	s_waitcnt lgkmcnt(0)
	v_cmp_gt_u64_e64 s[2:3], s[66:67], v[6:7]
	s_or_b64 s[36:37], s[34:35], s[2:3]
	s_mov_b64 s[34:35], -1
	s_and_saveexec_b64 s[2:3], s[36:37]
	s_cbranch_execz .LBB171_526
; %bb.534:                              ;   in Loop: Header=BB171_527 Depth=1
	v_and_b32_e32 v8, vcc_lo, v25
	v_and_b32_e32 v2, vcc_hi, v24
	v_bcnt_u32_b32 v8, v8, 0
	v_bcnt_u32_b32 v2, v2, v8
	v_mov_b32_e32 v9, s67
	v_sub_co_u32_e32 v8, vcc, s66, v6
	v_subb_co_u32_e32 v9, vcc, v9, v7, vcc
	v_cmp_gt_u64_e32 vcc, v[8:9], v[2:3]
	s_mov_b64 s[36:37], -1
	s_and_b64 s[40:41], s[28:29], vcc
	s_mov_b64 s[28:29], -1
	s_and_saveexec_b64 s[30:31], s[40:41]
	s_cbranch_execz .LBB171_538
; %bb.535:                              ;   in Loop: Header=BB171_527 Depth=1
	v_add_co_u32_e32 v8, vcc, v6, v2
	v_addc_co_u32_e32 v9, vcc, 0, v7, vcc
	v_cmp_gt_u64_e32 vcc, s[66:67], v[8:9]
	s_mov_b64 s[34:35], 0
	s_and_saveexec_b64 s[36:37], vcc
; %bb.536:                              ;   in Loop: Header=BB171_527 Depth=1
	v_mul_lo_u32 v2, v9, s18
	v_mul_lo_u32 v13, v8, s19
	v_mad_u64_u32 v[11:12], s[40:41], v8, s18, 0
	v_mul_lo_u32 v14, v9, s20
	v_mul_lo_u32 v15, v8, s21
	v_mad_u64_u32 v[8:9], s[40:41], v8, s20, 0
	v_add3_u32 v12, v12, v13, v2
	v_lshlrev_b64 v[11:12], 1, v[11:12]
	v_add3_u32 v9, v9, v15, v14
	v_mov_b32_e32 v2, s1
	v_add_co_u32_e32 v11, vcc, s0, v11
	v_lshlrev_b64 v[8:9], 3, v[8:9]
	v_addc_co_u32_e32 v12, vcc, v2, v12, vcc
	v_mov_b32_e32 v2, s39
	v_add_co_u32_e32 v8, vcc, s38, v8
	s_mov_b64 s[34:35], exec
	v_addc_co_u32_e32 v9, vcc, v2, v9, vcc
	global_store_short v[11:12], v36, off
	global_store_dwordx2 v[8:9], v[0:1], off
; %bb.537:                              ;   in Loop: Header=BB171_527 Depth=1
	s_or_b64 exec, exec, s[36:37]
	s_xor_b64 s[36:37], exec, -1
	s_orn2_b64 s[34:35], s[34:35], exec
.LBB171_538:                            ;   in Loop: Header=BB171_527 Depth=1
	s_or_b64 exec, exec, s[30:31]
	s_and_saveexec_b64 s[30:31], s[34:35]
	s_cbranch_execz .LBB171_525
; %bb.539:                              ;   in Loop: Header=BB171_527 Depth=1
	v_cmp_le_u64_e32 vcc, s[8:9], v[4:5]
	s_or_b64 s[36:37], s[36:37], exec
	s_orn2_b64 s[28:29], vcc, exec
	s_branch .LBB171_525
.LBB171_540:
	s_or_b64 s[6:7], s[6:7], exec
	s_trap 2
	s_branch .LBB171_504
.LBB171_541:
	s_or_b64 exec, exec, s[24:25]
	s_mov_b64 s[0:1], 0
	s_and_saveexec_b64 s[2:3], s[26:27]
	s_xor_b64 s[2:3], exec, s[2:3]
	s_cbranch_execnz .LBB171_547
.LBB171_542:
	s_or_b64 exec, exec, s[2:3]
	s_and_b64 s[2:3], s[0:1], exec
.LBB171_543:
	s_or_b64 exec, exec, s[22:23]
	s_and_b64 s[2:3], s[2:3], exec
	s_andn2_b64 s[4:5], s[4:5], exec
	s_or_b64 exec, exec, s[6:7]
	s_and_saveexec_b64 s[0:1], s[4:5]
	s_xor_b64 s[0:1], exec, s[0:1]
	s_cbranch_execz .LBB171_498
.LBB171_544:
	s_trap 2
	s_or_b64 s[2:3], s[2:3], exec
	s_branch .LBB171_498
.LBB171_545:
	s_or_b64 s[6:7], s[6:7], exec
	s_trap 2
	s_branch .LBB171_502
.LBB171_546:
	s_trap 2
	s_or_b64 s[6:7], s[6:7], exec
	s_branch .LBB171_500
.LBB171_547:
	s_mov_b64 s[0:1], exec
	s_trap 2
	s_branch .LBB171_542
	.section	.rodata,"a",@progbits
	.p2align	6, 0x0
	.amdhsa_kernel _ZN2at6native6sbtopk10gatherTopKIsmLi2ELb0EEEvNS_4cuda6detail10TensorInfoIKT_T0_EES8_S8_bS8_S8_NS5_IS6_S8_EES8_NS5_IlS8_EES8_PS6_
		.amdhsa_group_segment_fixed_size 5152
		.amdhsa_private_segment_fixed_size 0
		.amdhsa_kernarg_size 1568
		.amdhsa_user_sgpr_count 6
		.amdhsa_user_sgpr_private_segment_buffer 1
		.amdhsa_user_sgpr_dispatch_ptr 0
		.amdhsa_user_sgpr_queue_ptr 0
		.amdhsa_user_sgpr_kernarg_segment_ptr 1
		.amdhsa_user_sgpr_dispatch_id 0
		.amdhsa_user_sgpr_flat_scratch_init 0
		.amdhsa_user_sgpr_private_segment_size 0
		.amdhsa_uses_dynamic_stack 0
		.amdhsa_system_sgpr_private_segment_wavefront_offset 0
		.amdhsa_system_sgpr_workgroup_id_x 1
		.amdhsa_system_sgpr_workgroup_id_y 1
		.amdhsa_system_sgpr_workgroup_id_z 1
		.amdhsa_system_sgpr_workgroup_info 0
		.amdhsa_system_vgpr_workitem_id 0
		.amdhsa_next_free_vgpr 51
		.amdhsa_next_free_sgpr 96
		.amdhsa_reserve_vcc 1
		.amdhsa_reserve_flat_scratch 0
		.amdhsa_float_round_mode_32 0
		.amdhsa_float_round_mode_16_64 0
		.amdhsa_float_denorm_mode_32 3
		.amdhsa_float_denorm_mode_16_64 3
		.amdhsa_dx10_clamp 1
		.amdhsa_ieee_mode 1
		.amdhsa_fp16_overflow 0
		.amdhsa_exception_fp_ieee_invalid_op 0
		.amdhsa_exception_fp_denorm_src 0
		.amdhsa_exception_fp_ieee_div_zero 0
		.amdhsa_exception_fp_ieee_overflow 0
		.amdhsa_exception_fp_ieee_underflow 0
		.amdhsa_exception_fp_ieee_inexact 0
		.amdhsa_exception_int_div_zero 0
	.end_amdhsa_kernel
	.section	.text._ZN2at6native6sbtopk10gatherTopKIsmLi2ELb0EEEvNS_4cuda6detail10TensorInfoIKT_T0_EES8_S8_bS8_S8_NS5_IS6_S8_EES8_NS5_IlS8_EES8_PS6_,"axG",@progbits,_ZN2at6native6sbtopk10gatherTopKIsmLi2ELb0EEEvNS_4cuda6detail10TensorInfoIKT_T0_EES8_S8_bS8_S8_NS5_IS6_S8_EES8_NS5_IlS8_EES8_PS6_,comdat
.Lfunc_end171:
	.size	_ZN2at6native6sbtopk10gatherTopKIsmLi2ELb0EEEvNS_4cuda6detail10TensorInfoIKT_T0_EES8_S8_bS8_S8_NS5_IS6_S8_EES8_NS5_IlS8_EES8_PS6_, .Lfunc_end171-_ZN2at6native6sbtopk10gatherTopKIsmLi2ELb0EEEvNS_4cuda6detail10TensorInfoIKT_T0_EES8_S8_bS8_S8_NS5_IS6_S8_EES8_NS5_IlS8_EES8_PS6_
                                        ; -- End function
	.set _ZN2at6native6sbtopk10gatherTopKIsmLi2ELb0EEEvNS_4cuda6detail10TensorInfoIKT_T0_EES8_S8_bS8_S8_NS5_IS6_S8_EES8_NS5_IlS8_EES8_PS6_.num_vgpr, 51
	.set _ZN2at6native6sbtopk10gatherTopKIsmLi2ELb0EEEvNS_4cuda6detail10TensorInfoIKT_T0_EES8_S8_bS8_S8_NS5_IS6_S8_EES8_NS5_IlS8_EES8_PS6_.num_agpr, 0
	.set _ZN2at6native6sbtopk10gatherTopKIsmLi2ELb0EEEvNS_4cuda6detail10TensorInfoIKT_T0_EES8_S8_bS8_S8_NS5_IS6_S8_EES8_NS5_IlS8_EES8_PS6_.numbered_sgpr, 96
	.set _ZN2at6native6sbtopk10gatherTopKIsmLi2ELb0EEEvNS_4cuda6detail10TensorInfoIKT_T0_EES8_S8_bS8_S8_NS5_IS6_S8_EES8_NS5_IlS8_EES8_PS6_.num_named_barrier, 0
	.set _ZN2at6native6sbtopk10gatherTopKIsmLi2ELb0EEEvNS_4cuda6detail10TensorInfoIKT_T0_EES8_S8_bS8_S8_NS5_IS6_S8_EES8_NS5_IlS8_EES8_PS6_.private_seg_size, 0
	.set _ZN2at6native6sbtopk10gatherTopKIsmLi2ELb0EEEvNS_4cuda6detail10TensorInfoIKT_T0_EES8_S8_bS8_S8_NS5_IS6_S8_EES8_NS5_IlS8_EES8_PS6_.uses_vcc, 1
	.set _ZN2at6native6sbtopk10gatherTopKIsmLi2ELb0EEEvNS_4cuda6detail10TensorInfoIKT_T0_EES8_S8_bS8_S8_NS5_IS6_S8_EES8_NS5_IlS8_EES8_PS6_.uses_flat_scratch, 0
	.set _ZN2at6native6sbtopk10gatherTopKIsmLi2ELb0EEEvNS_4cuda6detail10TensorInfoIKT_T0_EES8_S8_bS8_S8_NS5_IS6_S8_EES8_NS5_IlS8_EES8_PS6_.has_dyn_sized_stack, 0
	.set _ZN2at6native6sbtopk10gatherTopKIsmLi2ELb0EEEvNS_4cuda6detail10TensorInfoIKT_T0_EES8_S8_bS8_S8_NS5_IS6_S8_EES8_NS5_IlS8_EES8_PS6_.has_recursion, 0
	.set _ZN2at6native6sbtopk10gatherTopKIsmLi2ELb0EEEvNS_4cuda6detail10TensorInfoIKT_T0_EES8_S8_bS8_S8_NS5_IS6_S8_EES8_NS5_IlS8_EES8_PS6_.has_indirect_call, 0
	.section	.AMDGPU.csdata,"",@progbits
; Kernel info:
; codeLenInByte = 26716
; TotalNumSgprs: 100
; NumVgprs: 51
; ScratchSize: 0
; MemoryBound: 0
; FloatMode: 240
; IeeeMode: 1
; LDSByteSize: 5152 bytes/workgroup (compile time only)
; SGPRBlocks: 12
; VGPRBlocks: 12
; NumSGPRsForWavesPerEU: 100
; NumVGPRsForWavesPerEU: 51
; Occupancy: 4
; WaveLimiterHint : 1
; COMPUTE_PGM_RSRC2:SCRATCH_EN: 0
; COMPUTE_PGM_RSRC2:USER_SGPR: 6
; COMPUTE_PGM_RSRC2:TRAP_HANDLER: 0
; COMPUTE_PGM_RSRC2:TGID_X_EN: 1
; COMPUTE_PGM_RSRC2:TGID_Y_EN: 1
; COMPUTE_PGM_RSRC2:TGID_Z_EN: 1
; COMPUTE_PGM_RSRC2:TIDIG_COMP_CNT: 0
	.section	.text._ZN2at6native6mbtopk23computeBlockDigitCountsIsmjLi3EEEvNS_4cuda6detail10TensorInfoIKT_T0_EEjPjjS8_iijT1_PSB_Ps,"axG",@progbits,_ZN2at6native6mbtopk23computeBlockDigitCountsIsmjLi3EEEvNS_4cuda6detail10TensorInfoIKT_T0_EEjPjjS8_iijT1_PSB_Ps,comdat
	.protected	_ZN2at6native6mbtopk23computeBlockDigitCountsIsmjLi3EEEvNS_4cuda6detail10TensorInfoIKT_T0_EEjPjjS8_iijT1_PSB_Ps ; -- Begin function _ZN2at6native6mbtopk23computeBlockDigitCountsIsmjLi3EEEvNS_4cuda6detail10TensorInfoIKT_T0_EEjPjjS8_iijT1_PSB_Ps
	.globl	_ZN2at6native6mbtopk23computeBlockDigitCountsIsmjLi3EEEvNS_4cuda6detail10TensorInfoIKT_T0_EEjPjjS8_iijT1_PSB_Ps
	.p2align	8
	.type	_ZN2at6native6mbtopk23computeBlockDigitCountsIsmjLi3EEEvNS_4cuda6detail10TensorInfoIKT_T0_EEjPjjS8_iijT1_PSB_Ps,@function
_ZN2at6native6mbtopk23computeBlockDigitCountsIsmjLi3EEEvNS_4cuda6detail10TensorInfoIKT_T0_EEjPjjS8_iijT1_PSB_Ps: ; @_ZN2at6native6mbtopk23computeBlockDigitCountsIsmjLi3EEEvNS_4cuda6detail10TensorInfoIKT_T0_EEjPjjS8_iijT1_PSB_Ps
; %bb.0:
	s_load_dwordx4 s[0:3], s[4:5], 0x1c0
	s_load_dword s9, s[4:5], 0x1b0
	s_load_dwordx2 s[10:11], s[4:5], 0x1e0
	s_mov_b32 s21, 0
	s_waitcnt lgkmcnt(0)
	v_cvt_f32_u32_e32 v1, s2
	s_mul_i32 s8, s11, s8
	s_add_i32 s7, s8, s7
	v_rcp_iflag_f32_e32 v1, v1
	s_mul_i32 s24, s7, s10
	s_sub_i32 s11, 0, s2
	s_add_i32 s24, s24, s6
	v_mul_f32_e32 v1, 0x4f7ffffe, v1
	v_cvt_u32_f32_e32 v1, v1
	v_readfirstlane_b32 s6, v1
	s_mul_i32 s11, s11, s6
	s_mul_hi_u32 s7, s6, s11
	s_add_i32 s6, s6, s7
	s_mul_hi_u32 s6, s24, s6
	s_mul_i32 s7, s6, s2
	s_sub_i32 s7, s24, s7
	s_add_i32 s8, s6, 1
	s_sub_i32 s10, s7, s2
	s_cmp_ge_u32 s7, s2
	s_cselect_b32 s6, s8, s6
	s_cselect_b32 s7, s10, s7
	s_add_i32 s8, s6, 1
	s_cmp_ge_u32 s7, s2
	s_cselect_b32 s20, s8, s6
	s_cmp_ge_u32 s20, s9
	s_cbranch_scc1 .LBB172_25
; %bb.1:
	s_load_dwordx4 s[8:11], s[4:5], 0x1d0
	s_load_dwordx4 s[12:15], s[4:5], 0x10
	s_lshl_b64 s[16:17], s[20:21], 2
	s_mov_b64 s[6:7], 0
	s_waitcnt lgkmcnt(0)
	s_add_u32 s22, s8, s16
	v_mov_b32_e32 v1, s14
	v_mov_b32_e32 v2, s15
	v_cmp_lt_u64_e32 vcc, s[20:21], v[1:2]
	s_addc_u32 s23, s9, s17
	s_mov_b64 s[8:9], 0
	s_cbranch_vccnz .LBB172_3
; %bb.2:
	v_cvt_f32_u32_e32 v1, s14
	s_sub_i32 s7, 0, s14
	s_mov_b32 s9, 0
	v_rcp_iflag_f32_e32 v1, v1
	v_mul_f32_e32 v1, 0x4f7ffffe, v1
	v_cvt_u32_f32_e32 v1, v1
	v_readfirstlane_b32 s8, v1
	s_mul_i32 s7, s7, s8
	s_mul_hi_u32 s7, s8, s7
	s_add_i32 s8, s8, s7
	s_mul_hi_u32 s7, s20, s8
	s_mul_i32 s16, s7, s14
	s_sub_i32 s16, s20, s16
	s_add_i32 s8, s7, 1
	s_sub_i32 s17, s16, s14
	s_cmp_ge_u32 s16, s14
	s_cselect_b32 s7, s8, s7
	s_cselect_b32 s16, s17, s16
	s_add_i32 s8, s7, 1
	s_cmp_ge_u32 s16, s14
	s_cselect_b32 s8, s8, s7
.LBB172_3:
	v_mov_b32_e32 v1, s12
	v_mov_b32_e32 v2, s13
	v_cmp_lt_u64_e32 vcc, s[8:9], v[1:2]
	s_cbranch_vccnz .LBB172_5
; %bb.4:
	v_cvt_f32_u32_e32 v1, s12
	s_sub_i32 s6, 0, s12
	v_rcp_iflag_f32_e32 v1, v1
	v_mul_f32_e32 v1, 0x4f7ffffe, v1
	v_cvt_u32_f32_e32 v1, v1
	v_readfirstlane_b32 s7, v1
	s_mul_i32 s6, s6, s7
	s_mul_hi_u32 s6, s7, s6
	s_add_i32 s7, s7, s6
	s_mul_hi_u32 s6, s8, s7
	s_mul_i32 s16, s6, s12
	s_sub_i32 s16, s8, s16
	s_add_i32 s7, s6, 1
	s_sub_i32 s17, s16, s12
	s_cmp_ge_u32 s16, s12
	s_cselect_b32 s6, s7, s6
	s_cselect_b32 s16, s17, s16
	s_add_i32 s7, s6, 1
	s_cmp_ge_u32 s16, s12
	s_cselect_b32 s6, s7, s6
.LBB172_5:
	s_movk_i32 s7, 0x100
	v_cmp_gt_u32_e32 vcc, s7, v0
	v_lshlrev_b32_e32 v1, 2, v0
	s_and_saveexec_b64 s[16:17], vcc
; %bb.6:
	v_mov_b32_e32 v2, 0
	ds_write_b32 v1, v2
; %bb.7:
	s_or_b64 exec, exec, s[16:17]
	s_load_dword s21, s[4:5], 0x1a0
	s_mul_i32 s7, s20, s2
	s_sub_i32 s7, s24, s7
	s_add_i32 s18, s7, 1
	s_mul_i32 s7, s1, s7
	s_lshl_b32 s7, s7, 8
	s_waitcnt lgkmcnt(0)
	s_sub_i32 s16, s21, s7
	s_add_u32 s16, s16, 0xff
	s_addc_u32 s17, 0, 0
	s_lshr_b64 s[16:17], s[16:17], 8
	s_cmp_lt_u32 s18, s2
	s_cselect_b32 s25, s1, s16
	s_cmp_lt_i32 s25, 1
	s_mov_b32 s1, 0
	s_barrier
	s_cbranch_scc1 .LBB172_23
; %bb.8:
	s_load_dwordx2 s[26:27], s[4:5], 0xe0
	s_load_dwordx4 s[16:19], s[4:5], 0xd0
	s_load_dwordx2 s[28:29], s[4:5], 0x0
	s_load_dword s2, s[22:23], 0x0
	s_mul_i32 s15, s8, s15
	s_mul_hi_u32 s22, s8, s14
	s_add_i32 s22, s22, s15
	s_mul_i32 s14, s8, s14
	s_sub_u32 s14, s20, s14
	s_subb_u32 s15, 0, s22
	s_waitcnt lgkmcnt(0)
	s_mul_i32 s20, s14, s27
	s_mul_hi_u32 s22, s14, s26
	s_add_i32 s20, s22, s20
	s_mul_i32 s15, s15, s26
	s_add_i32 s15, s20, s15
	s_mul_i32 s13, s6, s13
	s_mul_hi_u32 s20, s6, s12
	s_add_i32 s20, s20, s13
	s_mul_i32 s12, s6, s12
	s_sub_u32 s8, s8, s12
	s_subb_u32 s9, s9, s20
	s_mul_i32 s12, s8, s19
	s_mul_hi_u32 s13, s8, s18
	s_add_i32 s12, s13, s12
	s_mul_i32 s9, s9, s18
	s_add_i32 s9, s12, s9
	s_mul_i32 s12, s6, s17
	s_mul_hi_u32 s13, s6, s16
	s_add_i32 s13, s13, s12
	s_mul_i32 s12, s6, s16
	s_lshl_b64 s[12:13], s[12:13], 1
	s_mul_i32 s8, s8, s18
	s_add_u32 s6, s28, s12
	s_addc_u32 s12, s29, s13
	s_lshl_b64 s[8:9], s[8:9], 1
	s_load_dwordx2 s[4:5], s[4:5], 0x1b8
	s_mul_i32 s14, s14, s26
	s_add_u32 s6, s6, s8
	s_addc_u32 s8, s12, s9
	s_lshl_b64 s[12:13], s[14:15], 1
	s_add_u32 s9, s6, s12
	s_addc_u32 s12, s8, s13
	s_and_b32 s8, s0, 0xff
	s_cmp_eq_u32 s25, 1
	v_add_u32_e32 v2, s7, v0
	s_cbranch_scc1 .LBB172_18
; %bb.9:
	s_and_b32 s13, s25, 0x7ffffffe
	s_mov_b32 s14, 0
	v_mov_b32_e32 v3, 1
	v_mov_b32_e32 v4, v2
	s_branch .LBB172_11
.LBB172_10:                             ;   in Loop: Header=BB172_11 Depth=1
	s_or_b64 exec, exec, s[6:7]
	s_add_i32 s14, s14, 2
	s_cmp_eq_u32 s13, s14
	v_add_u32_e32 v4, 0x200, v4
	s_cbranch_scc1 .LBB172_17
.LBB172_11:                             ; =>This Inner Loop Header: Depth=1
	v_cmp_gt_u32_e64 s[0:1], s21, v4
	s_and_saveexec_b64 s[6:7], s[0:1]
	s_cbranch_execz .LBB172_14
; %bb.12:                               ;   in Loop: Header=BB172_11 Depth=1
	s_waitcnt lgkmcnt(0)
	v_mad_u64_u32 v[5:6], s[0:1], s4, v4, 0
	v_mad_u64_u32 v[6:7], s[0:1], s5, v4, v[6:7]
	v_mov_b32_e32 v7, s12
	v_lshlrev_b64 v[5:6], 1, v[5:6]
	v_add_co_u32_e64 v5, s[0:1], s9, v5
	v_addc_co_u32_e64 v6, s[0:1], v7, v6, s[0:1]
	global_load_sshort v5, v[5:6], off
	s_waitcnt vmcnt(0)
	v_add_u32_e32 v5, 0x8000, v5
	v_xor_b32_e32 v6, s2, v5
	v_and_b32_e32 v6, s3, v6
	v_cmp_eq_u32_e64 s[0:1], 0, v6
	s_and_b64 exec, exec, s[0:1]
; %bb.13:                               ;   in Loop: Header=BB172_11 Depth=1
	v_bfe_u32 v5, v5, s8, 8
	v_lshlrev_b32_e32 v5, 2, v5
	ds_add_u32 v5, v3
.LBB172_14:                             ;   in Loop: Header=BB172_11 Depth=1
	s_or_b64 exec, exec, s[6:7]
	v_add_u32_e32 v5, 0x100, v4
	v_cmp_gt_u32_e64 s[0:1], s21, v5
	s_and_saveexec_b64 s[6:7], s[0:1]
	s_cbranch_execz .LBB172_10
; %bb.15:                               ;   in Loop: Header=BB172_11 Depth=1
	s_waitcnt lgkmcnt(0)
	v_mad_u64_u32 v[6:7], s[0:1], s4, v5, 0
	v_mad_u64_u32 v[7:8], s[0:1], s5, v5, v[7:8]
	v_mov_b32_e32 v8, s12
	v_lshlrev_b64 v[5:6], 1, v[6:7]
	v_add_co_u32_e64 v5, s[0:1], s9, v5
	v_addc_co_u32_e64 v6, s[0:1], v8, v6, s[0:1]
	global_load_sshort v5, v[5:6], off
	s_waitcnt vmcnt(0)
	v_add_u32_e32 v5, 0x8000, v5
	v_xor_b32_e32 v6, s2, v5
	v_and_b32_e32 v6, s3, v6
	v_cmp_eq_u32_e64 s[0:1], 0, v6
	s_and_b64 exec, exec, s[0:1]
	s_cbranch_execz .LBB172_10
; %bb.16:                               ;   in Loop: Header=BB172_11 Depth=1
	v_bfe_u32 v5, v5, s8, 8
	v_lshlrev_b32_e32 v5, 2, v5
	ds_add_u32 v5, v3
	s_branch .LBB172_10
.LBB172_17:
	s_lshl_b32 s1, s13, 8
.LBB172_18:
	s_bitcmp0_b32 s25, 0
	s_cbranch_scc1 .LBB172_23
; %bb.19:
	v_add_u32_e32 v2, s1, v2
	v_cmp_gt_u32_e64 s[0:1], s21, v2
	s_and_saveexec_b64 s[6:7], s[0:1]
	s_cbranch_execz .LBB172_22
; %bb.20:
	s_waitcnt lgkmcnt(0)
	v_mad_u64_u32 v[3:4], s[0:1], s4, v2, 0
	v_mad_u64_u32 v[4:5], s[0:1], s5, v2, v[4:5]
	v_mov_b32_e32 v5, s12
	v_lshlrev_b64 v[2:3], 1, v[3:4]
	v_add_co_u32_e64 v2, s[0:1], s9, v2
	v_addc_co_u32_e64 v3, s[0:1], v5, v3, s[0:1]
	global_load_sshort v2, v[2:3], off
	s_waitcnt vmcnt(0)
	v_add_u32_e32 v2, 0x8000, v2
	v_xor_b32_e32 v3, s2, v2
	v_and_b32_e32 v3, s3, v3
	v_cmp_eq_u32_e64 s[0:1], 0, v3
	s_and_b64 exec, exec, s[0:1]
; %bb.21:
	v_bfe_u32 v2, v2, s8, 8
	v_lshlrev_b32_e32 v2, 2, v2
	v_mov_b32_e32 v3, 1
	ds_add_u32 v2, v3
.LBB172_22:
	s_or_b64 exec, exec, s[6:7]
.LBB172_23:
	s_waitcnt lgkmcnt(0)
	s_barrier
	s_and_saveexec_b64 s[0:1], vcc
	s_cbranch_execz .LBB172_25
; %bb.24:
	v_lshl_or_b32 v2, s24, 8, v0
	v_mov_b32_e32 v3, 0
	ds_read_b32 v5, v1
	v_lshlrev_b64 v[2:3], 1, v[2:3]
	v_mov_b32_e32 v4, s11
	v_add_co_u32_e32 v0, vcc, s10, v2
	v_addc_co_u32_e32 v1, vcc, v4, v3, vcc
	s_waitcnt lgkmcnt(0)
	global_store_short v[0:1], v5, off
.LBB172_25:
	s_endpgm
	.section	.rodata,"a",@progbits
	.p2align	6, 0x0
	.amdhsa_kernel _ZN2at6native6mbtopk23computeBlockDigitCountsIsmjLi3EEEvNS_4cuda6detail10TensorInfoIKT_T0_EEjPjjS8_iijT1_PSB_Ps
		.amdhsa_group_segment_fixed_size 1024
		.amdhsa_private_segment_fixed_size 0
		.amdhsa_kernarg_size 736
		.amdhsa_user_sgpr_count 6
		.amdhsa_user_sgpr_private_segment_buffer 1
		.amdhsa_user_sgpr_dispatch_ptr 0
		.amdhsa_user_sgpr_queue_ptr 0
		.amdhsa_user_sgpr_kernarg_segment_ptr 1
		.amdhsa_user_sgpr_dispatch_id 0
		.amdhsa_user_sgpr_flat_scratch_init 0
		.amdhsa_user_sgpr_private_segment_size 0
		.amdhsa_uses_dynamic_stack 0
		.amdhsa_system_sgpr_private_segment_wavefront_offset 0
		.amdhsa_system_sgpr_workgroup_id_x 1
		.amdhsa_system_sgpr_workgroup_id_y 1
		.amdhsa_system_sgpr_workgroup_id_z 1
		.amdhsa_system_sgpr_workgroup_info 0
		.amdhsa_system_vgpr_workitem_id 0
		.amdhsa_next_free_vgpr 9
		.amdhsa_next_free_sgpr 30
		.amdhsa_reserve_vcc 1
		.amdhsa_reserve_flat_scratch 0
		.amdhsa_float_round_mode_32 0
		.amdhsa_float_round_mode_16_64 0
		.amdhsa_float_denorm_mode_32 3
		.amdhsa_float_denorm_mode_16_64 3
		.amdhsa_dx10_clamp 1
		.amdhsa_ieee_mode 1
		.amdhsa_fp16_overflow 0
		.amdhsa_exception_fp_ieee_invalid_op 0
		.amdhsa_exception_fp_denorm_src 0
		.amdhsa_exception_fp_ieee_div_zero 0
		.amdhsa_exception_fp_ieee_overflow 0
		.amdhsa_exception_fp_ieee_underflow 0
		.amdhsa_exception_fp_ieee_inexact 0
		.amdhsa_exception_int_div_zero 0
	.end_amdhsa_kernel
	.section	.text._ZN2at6native6mbtopk23computeBlockDigitCountsIsmjLi3EEEvNS_4cuda6detail10TensorInfoIKT_T0_EEjPjjS8_iijT1_PSB_Ps,"axG",@progbits,_ZN2at6native6mbtopk23computeBlockDigitCountsIsmjLi3EEEvNS_4cuda6detail10TensorInfoIKT_T0_EEjPjjS8_iijT1_PSB_Ps,comdat
.Lfunc_end172:
	.size	_ZN2at6native6mbtopk23computeBlockDigitCountsIsmjLi3EEEvNS_4cuda6detail10TensorInfoIKT_T0_EEjPjjS8_iijT1_PSB_Ps, .Lfunc_end172-_ZN2at6native6mbtopk23computeBlockDigitCountsIsmjLi3EEEvNS_4cuda6detail10TensorInfoIKT_T0_EEjPjjS8_iijT1_PSB_Ps
                                        ; -- End function
	.set _ZN2at6native6mbtopk23computeBlockDigitCountsIsmjLi3EEEvNS_4cuda6detail10TensorInfoIKT_T0_EEjPjjS8_iijT1_PSB_Ps.num_vgpr, 9
	.set _ZN2at6native6mbtopk23computeBlockDigitCountsIsmjLi3EEEvNS_4cuda6detail10TensorInfoIKT_T0_EEjPjjS8_iijT1_PSB_Ps.num_agpr, 0
	.set _ZN2at6native6mbtopk23computeBlockDigitCountsIsmjLi3EEEvNS_4cuda6detail10TensorInfoIKT_T0_EEjPjjS8_iijT1_PSB_Ps.numbered_sgpr, 30
	.set _ZN2at6native6mbtopk23computeBlockDigitCountsIsmjLi3EEEvNS_4cuda6detail10TensorInfoIKT_T0_EEjPjjS8_iijT1_PSB_Ps.num_named_barrier, 0
	.set _ZN2at6native6mbtopk23computeBlockDigitCountsIsmjLi3EEEvNS_4cuda6detail10TensorInfoIKT_T0_EEjPjjS8_iijT1_PSB_Ps.private_seg_size, 0
	.set _ZN2at6native6mbtopk23computeBlockDigitCountsIsmjLi3EEEvNS_4cuda6detail10TensorInfoIKT_T0_EEjPjjS8_iijT1_PSB_Ps.uses_vcc, 1
	.set _ZN2at6native6mbtopk23computeBlockDigitCountsIsmjLi3EEEvNS_4cuda6detail10TensorInfoIKT_T0_EEjPjjS8_iijT1_PSB_Ps.uses_flat_scratch, 0
	.set _ZN2at6native6mbtopk23computeBlockDigitCountsIsmjLi3EEEvNS_4cuda6detail10TensorInfoIKT_T0_EEjPjjS8_iijT1_PSB_Ps.has_dyn_sized_stack, 0
	.set _ZN2at6native6mbtopk23computeBlockDigitCountsIsmjLi3EEEvNS_4cuda6detail10TensorInfoIKT_T0_EEjPjjS8_iijT1_PSB_Ps.has_recursion, 0
	.set _ZN2at6native6mbtopk23computeBlockDigitCountsIsmjLi3EEEvNS_4cuda6detail10TensorInfoIKT_T0_EEjPjjS8_iijT1_PSB_Ps.has_indirect_call, 0
	.section	.AMDGPU.csdata,"",@progbits
; Kernel info:
; codeLenInByte = 1240
; TotalNumSgprs: 34
; NumVgprs: 9
; ScratchSize: 0
; MemoryBound: 0
; FloatMode: 240
; IeeeMode: 1
; LDSByteSize: 1024 bytes/workgroup (compile time only)
; SGPRBlocks: 4
; VGPRBlocks: 2
; NumSGPRsForWavesPerEU: 34
; NumVGPRsForWavesPerEU: 9
; Occupancy: 10
; WaveLimiterHint : 1
; COMPUTE_PGM_RSRC2:SCRATCH_EN: 0
; COMPUTE_PGM_RSRC2:USER_SGPR: 6
; COMPUTE_PGM_RSRC2:TRAP_HANDLER: 0
; COMPUTE_PGM_RSRC2:TGID_X_EN: 1
; COMPUTE_PGM_RSRC2:TGID_Y_EN: 1
; COMPUTE_PGM_RSRC2:TGID_Z_EN: 1
; COMPUTE_PGM_RSRC2:TIDIG_COMP_CNT: 0
	.section	.text._ZN2at6native6mbtopk10gatherTopKIsmLi3EEEvNS_4cuda6detail10TensorInfoIKT_T0_EES8_S8_bjS8_NS5_IS6_S8_EES8_NS5_IlS8_EES8_jjPS6_PjSD_j,"axG",@progbits,_ZN2at6native6mbtopk10gatherTopKIsmLi3EEEvNS_4cuda6detail10TensorInfoIKT_T0_EES8_S8_bjS8_NS5_IS6_S8_EES8_NS5_IlS8_EES8_jjPS6_PjSD_j,comdat
	.protected	_ZN2at6native6mbtopk10gatherTopKIsmLi3EEEvNS_4cuda6detail10TensorInfoIKT_T0_EES8_S8_bjS8_NS5_IS6_S8_EES8_NS5_IlS8_EES8_jjPS6_PjSD_j ; -- Begin function _ZN2at6native6mbtopk10gatherTopKIsmLi3EEEvNS_4cuda6detail10TensorInfoIKT_T0_EES8_S8_bjS8_NS5_IS6_S8_EES8_NS5_IlS8_EES8_jjPS6_PjSD_j
	.globl	_ZN2at6native6mbtopk10gatherTopKIsmLi3EEEvNS_4cuda6detail10TensorInfoIKT_T0_EES8_S8_bjS8_NS5_IS6_S8_EES8_NS5_IlS8_EES8_jjPS6_PjSD_j
	.p2align	8
	.type	_ZN2at6native6mbtopk10gatherTopKIsmLi3EEEvNS_4cuda6detail10TensorInfoIKT_T0_EES8_S8_bjS8_NS5_IS6_S8_EES8_NS5_IlS8_EES8_jjPS6_PjSD_j,@function
_ZN2at6native6mbtopk10gatherTopKIsmLi3EEEvNS_4cuda6detail10TensorInfoIKT_T0_EES8_S8_bjS8_NS5_IS6_S8_EES8_NS5_IlS8_EES8_jjPS6_PjSD_j: ; @_ZN2at6native6mbtopk10gatherTopKIsmLi3EEEvNS_4cuda6detail10TensorInfoIKT_T0_EES8_S8_bjS8_NS5_IS6_S8_EES8_NS5_IlS8_EES8_jjPS6_PjSD_j
; %bb.0:
	s_load_dwordx2 s[0:1], s[4:5], 0x538
	s_load_dword s2, s[4:5], 0x530
	s_waitcnt lgkmcnt(0)
	s_mul_i32 s1, s1, s8
	s_add_i32 s1, s1, s7
	s_mul_i32 s0, s1, s0
	s_add_i32 s0, s0, s6
	s_cmp_ge_u32 s0, s2
	s_cbranch_scc1 .LBB173_54
; %bb.1:
	s_load_dwordx2 s[34:35], s[4:5], 0x510
	s_load_dwordx4 s[8:11], s[4:5], 0x1a0
	s_load_dwordx4 s[12:15], s[4:5], 0x10
	s_mov_b32 s7, 0
	s_waitcnt lgkmcnt(0)
	v_cvt_f32_u32_e32 v1, s35
	s_sub_i32 s2, 0, s35
	s_lshl_b32 s1, s34, 8
	v_rcp_iflag_f32_e32 v1, v1
	v_mul_f32_e32 v1, 0x4f7ffffe, v1
	v_cvt_u32_f32_e32 v1, v1
	v_readfirstlane_b32 s3, v1
	s_mul_i32 s2, s2, s3
	s_mul_hi_u32 s2, s3, s2
	s_add_i32 s3, s3, s2
	s_mul_hi_u32 s2, s0, s3
	s_mul_i32 s3, s2, s35
	s_sub_i32 s3, s0, s3
	s_add_i32 s6, s2, 1
	s_sub_i32 s16, s3, s35
	s_cmp_ge_u32 s3, s35
	s_cselect_b32 s2, s6, s2
	s_cselect_b32 s3, s16, s3
	s_add_i32 s6, s2, 1
	s_cmp_ge_u32 s3, s35
	s_cselect_b32 s6, s6, s2
	s_mul_i32 s52, s6, s35
	s_sub_i32 s76, s0, s52
	s_add_i32 s0, s76, 1
	s_cmp_lt_u32 s0, s35
	s_mul_i32 s33, s76, s1
	s_cbranch_scc1 .LBB173_3
; %bb.2:
	s_sub_u32 s0, s8, s33
	s_subb_u32 s1, s9, 0
	s_add_u32 s0, s0, 0xff
	s_addc_u32 s1, s1, 0
	s_ashr_i32 s2, s1, 31
	s_lshr_b32 s2, s2, 24
	s_add_u32 s0, s0, s2
	s_addc_u32 s1, s1, 0
	s_lshr_b64 s[0:1], s[0:1], 8
	s_mov_b32 s34, s0
.LBB173_3:
	v_mov_b32_e32 v1, s14
	v_mov_b32_e32 v2, s15
	v_cmp_lt_u64_e32 vcc, s[6:7], v[1:2]
	s_mov_b64 s[50:51], 0
	s_mov_b64 s[48:49], 0
	s_cbranch_vccnz .LBB173_5
; %bb.4:
	v_cvt_f32_u32_e32 v1, s14
	s_sub_i32 s0, 0, s14
	s_mov_b32 s49, 0
	v_rcp_iflag_f32_e32 v1, v1
	v_mul_f32_e32 v1, 0x4f7ffffe, v1
	v_cvt_u32_f32_e32 v1, v1
	v_readfirstlane_b32 s1, v1
	s_mul_i32 s0, s0, s1
	s_mul_hi_u32 s0, s1, s0
	s_add_i32 s1, s1, s0
	s_mul_hi_u32 s0, s6, s1
	s_mul_i32 s2, s0, s14
	s_sub_i32 s2, s6, s2
	s_add_i32 s1, s0, 1
	s_sub_i32 s3, s2, s14
	s_cmp_ge_u32 s2, s14
	s_cselect_b32 s0, s1, s0
	s_cselect_b32 s2, s3, s2
	s_add_i32 s1, s0, 1
	s_cmp_ge_u32 s2, s14
	s_cselect_b32 s48, s1, s0
.LBB173_5:
	s_load_dwordx4 s[24:27], s[4:5], 0x1d0
	v_mov_b32_e32 v1, s12
	v_mov_b32_e32 v2, s13
	v_cmp_lt_u64_e32 vcc, s[48:49], v[1:2]
	s_cbranch_vccnz .LBB173_7
; %bb.6:
	v_cvt_f32_u32_e32 v1, s12
	s_sub_i32 s0, 0, s12
	v_rcp_iflag_f32_e32 v1, v1
	v_mul_f32_e32 v1, 0x4f7ffffe, v1
	v_cvt_u32_f32_e32 v1, v1
	v_readfirstlane_b32 s1, v1
	s_mul_i32 s0, s0, s1
	s_mul_hi_u32 s0, s1, s0
	s_add_i32 s1, s1, s0
	s_mul_hi_u32 s0, s48, s1
	s_mul_i32 s2, s0, s12
	s_sub_i32 s2, s48, s2
	s_add_i32 s1, s0, 1
	s_sub_i32 s3, s2, s12
	s_cmp_ge_u32 s2, s12
	s_cselect_b32 s0, s1, s0
	s_cselect_b32 s2, s3, s2
	s_add_i32 s1, s0, 1
	s_cmp_ge_u32 s2, s12
	s_cselect_b32 s50, s1, s0
.LBB173_7:
	s_waitcnt lgkmcnt(0)
	v_mov_b32_e32 v1, s26
	v_mov_b32_e32 v2, s27
	v_cmp_lt_u64_e32 vcc, s[6:7], v[1:2]
	s_mov_b64 s[56:57], 0
	s_mov_b64 s[54:55], 0
	s_cbranch_vccnz .LBB173_9
; %bb.8:
	v_cvt_f32_u32_e32 v1, s26
	s_sub_i32 s0, 0, s26
	s_mov_b32 s55, 0
	v_rcp_iflag_f32_e32 v1, v1
	v_mul_f32_e32 v1, 0x4f7ffffe, v1
	v_cvt_u32_f32_e32 v1, v1
	v_readfirstlane_b32 s1, v1
	s_mul_i32 s0, s0, s1
	s_mul_hi_u32 s0, s1, s0
	s_add_i32 s1, s1, s0
	s_mul_hi_u32 s0, s6, s1
	s_mul_i32 s2, s0, s26
	s_sub_i32 s2, s6, s2
	s_add_i32 s1, s0, 1
	s_sub_i32 s3, s2, s26
	s_cmp_ge_u32 s2, s26
	s_cselect_b32 s0, s1, s0
	s_cselect_b32 s2, s3, s2
	s_add_i32 s1, s0, 1
	s_cmp_ge_u32 s2, s26
	s_cselect_b32 s54, s1, s0
.LBB173_9:
	s_load_dwordx4 s[28:31], s[4:5], 0x378
	v_mov_b32_e32 v1, s24
	v_mov_b32_e32 v2, s25
	v_cmp_lt_u64_e32 vcc, s[54:55], v[1:2]
	s_cbranch_vccnz .LBB173_11
; %bb.10:
	v_cvt_f32_u32_e32 v1, s24
	s_sub_i32 s0, 0, s24
	v_rcp_iflag_f32_e32 v1, v1
	v_mul_f32_e32 v1, 0x4f7ffffe, v1
	v_cvt_u32_f32_e32 v1, v1
	v_readfirstlane_b32 s1, v1
	s_mul_i32 s0, s0, s1
	s_mul_hi_u32 s0, s1, s0
	s_add_i32 s1, s1, s0
	s_mul_hi_u32 s0, s54, s1
	s_mul_i32 s2, s0, s24
	s_sub_i32 s2, s54, s2
	s_add_i32 s1, s0, 1
	s_sub_i32 s3, s2, s24
	s_cmp_ge_u32 s2, s24
	s_cselect_b32 s0, s1, s0
	s_cselect_b32 s2, s3, s2
	s_add_i32 s1, s0, 1
	s_cmp_ge_u32 s2, s24
	s_cselect_b32 s56, s1, s0
.LBB173_11:
	s_waitcnt lgkmcnt(0)
	v_mov_b32_e32 v1, s30
	v_mov_b32_e32 v2, s31
	v_cmp_lt_u64_e32 vcc, s[6:7], v[1:2]
	s_mov_b64 s[58:59], 0
	s_mov_b64 s[60:61], 0
	s_cbranch_vccnz .LBB173_13
; %bb.12:
	v_cvt_f32_u32_e32 v1, s30
	s_sub_i32 s0, 0, s30
	s_mov_b32 s61, 0
	v_rcp_iflag_f32_e32 v1, v1
	v_mul_f32_e32 v1, 0x4f7ffffe, v1
	v_cvt_u32_f32_e32 v1, v1
	v_readfirstlane_b32 s1, v1
	s_mul_i32 s0, s0, s1
	s_mul_hi_u32 s0, s1, s0
	s_add_i32 s1, s1, s0
	s_mul_hi_u32 s0, s6, s1
	s_mul_i32 s2, s0, s30
	s_sub_i32 s2, s6, s2
	s_add_i32 s1, s0, 1
	s_sub_i32 s3, s2, s30
	s_cmp_ge_u32 s2, s30
	s_cselect_b32 s0, s1, s0
	s_cselect_b32 s2, s3, s2
	s_add_i32 s1, s0, 1
	s_cmp_ge_u32 s2, s30
	s_cselect_b32 s60, s1, s0
.LBB173_13:
	s_load_dwordx2 s[62:63], s[4:5], 0xe0
	s_load_dwordx4 s[40:43], s[4:5], 0xd0
	s_load_dwordx2 s[66:67], s[4:5], 0x2a0
	s_load_dwordx4 s[44:47], s[4:5], 0x290
	;; [unrolled: 2-line block ×3, first 2 shown]
	v_mov_b32_e32 v1, s28
	v_mov_b32_e32 v2, s29
	v_cmp_lt_u64_e32 vcc, s[60:61], v[1:2]
	s_cbranch_vccnz .LBB173_15
; %bb.14:
	v_cvt_f32_u32_e32 v1, s28
	s_sub_i32 s0, 0, s28
	v_rcp_iflag_f32_e32 v1, v1
	v_mul_f32_e32 v1, 0x4f7ffffe, v1
	v_cvt_u32_f32_e32 v1, v1
	v_readfirstlane_b32 s1, v1
	s_mul_i32 s0, s0, s1
	s_mul_hi_u32 s0, s1, s0
	s_add_i32 s1, s1, s0
	s_mul_hi_u32 s0, s60, s1
	s_mul_i32 s2, s0, s28
	s_sub_i32 s2, s60, s2
	s_add_i32 s1, s0, 1
	s_sub_i32 s3, s2, s28
	s_cmp_ge_u32 s2, s28
	s_cselect_b32 s0, s1, s0
	s_cselect_b32 s2, s3, s2
	s_add_i32 s1, s0, 1
	s_cmp_ge_u32 s2, s28
	s_cselect_b32 s58, s1, s0
.LBB173_15:
	s_load_dwordx4 s[16:19], s[4:5], 0x518
	s_load_dwordx2 s[64:65], s[4:5], 0x0
	s_lshl_b64 s[0:1], s[6:7], 1
	v_mov_b32_e32 v1, 0
	s_mov_b32 s53, 0
	s_waitcnt lgkmcnt(0)
	s_add_u32 s0, s16, s0
	s_addc_u32 s1, s17, s1
	global_load_ushort v8, v1, s[0:1]
	v_cmp_ne_u32_e64 s[0:1], 0, v0
	v_cmp_eq_u32_e64 s[2:3], 0, v0
	s_and_saveexec_b64 s[16:17], s[2:3]
	s_cbranch_execz .LBB173_31
; %bb.16:
	s_load_dwordx2 s[70:71], s[4:5], 0x528
	s_lshl_b64 s[72:73], s[52:53], 2
	s_add_u32 s20, s18, s72
	s_addc_u32 s21, s19, s73
	s_mov_b32 s51, 0
	s_waitcnt lgkmcnt(0)
	s_add_u32 s22, s70, s72
	s_addc_u32 s23, s71, s73
	s_cmp_lt_u32 s35, 4
	s_cbranch_scc1 .LBB173_28
; %bb.17:
	s_mov_b32 s52, 0
.LBB173_18:                             ; =>This Inner Loop Header: Depth=1
	s_add_u32 s74, s18, s72
	s_addc_u32 s75, s19, s73
	s_load_dwordx4 s[20:23], s[74:75], 0x0
	s_add_u32 s74, s70, s72
	s_addc_u32 s75, s71, s73
	s_cmp_ge_u32 s52, s76
	s_cbranch_scc0 .LBB173_25
; %bb.19:                               ;   in Loop: Header=BB173_18 Depth=1
	s_add_i32 s57, s52, 1
	s_cmp_ge_u32 s57, s76
	s_cbranch_scc0 .LBB173_26
.LBB173_20:                             ;   in Loop: Header=BB173_18 Depth=1
	s_add_i32 s57, s57, 1
	s_cmp_ge_u32 s57, s76
	s_cbranch_scc0 .LBB173_27
.LBB173_21:                             ;   in Loop: Header=BB173_18 Depth=1
	s_add_i32 s57, s57, 1
	s_cmp_ge_u32 s57, s76
	s_cbranch_scc1 .LBB173_23
.LBB173_22:                             ;   in Loop: Header=BB173_18 Depth=1
	s_load_dword s59, s[74:75], 0xc
	s_waitcnt lgkmcnt(0)
	s_add_i32 s53, s53, s23
	s_add_i32 s7, s59, s7
.LBB173_23:                             ;   in Loop: Header=BB173_18 Depth=1
	s_waitcnt lgkmcnt(0)
	s_add_i32 s20, s20, s51
	s_add_i32 s20, s20, s21
	;; [unrolled: 1-line block ×4, first 2 shown]
	s_add_u32 s18, s18, 16
	s_addc_u32 s19, s19, 0
	s_add_u32 s70, s70, 16
	s_addc_u32 s71, s71, 0
	s_add_i32 s59, s57, 4
	s_add_u32 s22, s70, s72
	s_addc_u32 s23, s71, s73
	s_add_u32 s20, s18, s72
	s_addc_u32 s21, s19, s73
	s_add_i32 s57, s57, 1
	s_cmp_ge_u32 s59, s35
	s_cbranch_scc1 .LBB173_29
; %bb.24:                               ;   in Loop: Header=BB173_18 Depth=1
	s_mov_b32 s52, s57
	s_branch .LBB173_18
.LBB173_25:                             ;   in Loop: Header=BB173_18 Depth=1
	s_load_dword s57, s[74:75], 0x0
	s_waitcnt lgkmcnt(0)
	s_add_i32 s53, s20, s53
	s_add_i32 s7, s57, s7
	s_add_i32 s57, s52, 1
	s_cmp_ge_u32 s57, s76
	s_cbranch_scc1 .LBB173_20
.LBB173_26:                             ;   in Loop: Header=BB173_18 Depth=1
	s_load_dword s59, s[74:75], 0x4
	s_waitcnt lgkmcnt(0)
	s_add_i32 s53, s53, s21
	s_add_i32 s7, s59, s7
	;; [unrolled: 1-line block ×3, first 2 shown]
	s_cmp_ge_u32 s57, s76
	s_cbranch_scc1 .LBB173_21
.LBB173_27:                             ;   in Loop: Header=BB173_18 Depth=1
	s_load_dword s59, s[74:75], 0x8
	s_waitcnt lgkmcnt(0)
	s_add_i32 s53, s53, s22
	s_add_i32 s7, s59, s7
	s_add_i32 s57, s57, 1
	s_cmp_ge_u32 s57, s76
	s_cbranch_scc0 .LBB173_22
	s_branch .LBB173_23
.LBB173_28:
	s_mov_b32 s18, 0
	s_cmp_ge_u32 s18, s35
	s_cbranch_scc0 .LBB173_52
	s_branch .LBB173_30
.LBB173_29:
	s_add_i32 s18, s52, 4
	s_cmp_ge_u32 s18, s35
	s_cbranch_scc0 .LBB173_52
.LBB173_30:
	v_mov_b32_e32 v1, s7
	v_mov_b32_e32 v2, s51
	;; [unrolled: 1-line block ×4, first 2 shown]
	ds_write_b96 v4, v[1:3] offset:1056
.LBB173_31:
	s_or_b64 exec, exec, s[16:17]
	s_load_dwordx4 s[16:19], s[4:5], 0x1b8
	s_load_dwordx4 s[20:23], s[4:5], 0x360
	s_cmp_eq_u32 s34, 0
	s_waitcnt vmcnt(0) lgkmcnt(0)
	s_barrier
	s_cbranch_scc1 .LBB173_54
; %bb.32:
	s_mul_i32 s7, s60, s31
	s_mul_hi_u32 s31, s60, s30
	s_add_i32 s31, s31, s7
	s_mul_i32 s7, s60, s30
	s_sub_u32 s7, s6, s7
	s_subb_u32 s30, 0, s31
	s_mul_i32 s31, s7, s69
	s_mul_hi_u32 s35, s7, s68
	s_add_i32 s31, s35, s31
	s_mul_i32 s30, s30, s68
	s_add_i32 s31, s31, s30
	s_mul_i32 s30, s7, s68
	s_mul_i32 s7, s56, s25
	s_mul_hi_u32 s25, s56, s24
	s_add_i32 s25, s25, s7
	s_mul_i32 s7, s56, s24
	s_sub_u32 s7, s54, s7
	s_subb_u32 s24, s55, s25
	s_mul_i32 s25, s56, s45
	s_mul_i32 s45, s7, s47
	s_mul_hi_u32 s47, s7, s46
	s_mul_i32 s24, s24, s46
	s_mul_i32 s46, s7, s46
	s_add_i32 s7, s47, s45
	s_mul_hi_u32 s35, s56, s44
	s_add_i32 s47, s7, s24
	s_mul_i32 s7, s54, s27
	s_mul_hi_u32 s24, s54, s26
	s_add_i32 s45, s35, s25
	s_add_i32 s24, s24, s7
	s_mul_i32 s7, s54, s26
	s_sub_u32 s7, s6, s7
	s_subb_u32 s24, 0, s24
	s_mul_i32 s25, s7, s67
	s_mul_hi_u32 s26, s7, s66
	s_add_i32 s25, s26, s25
	s_mul_i32 s24, s24, s66
	s_mul_i32 s26, s7, s66
	;; [unrolled: 1-line block ×3, first 2 shown]
	s_mul_hi_u32 s13, s50, s12
	s_add_i32 s27, s25, s24
	s_add_i32 s13, s13, s7
	s_mul_i32 s7, s50, s12
	s_sub_u32 s7, s48, s7
	s_subb_u32 s12, s49, s13
	s_mul_i32 s13, s7, s43
	s_mul_hi_u32 s24, s7, s42
	s_add_i32 s13, s24, s13
	s_mul_i32 s12, s12, s42
	s_add_i32 s13, s13, s12
	s_mul_i32 s12, s7, s42
	s_mul_i32 s7, s50, s41
	s_mul_hi_u32 s24, s50, s40
	s_add_i32 s25, s24, s7
	s_mul_i32 s7, s48, s15
	s_mul_hi_u32 s15, s48, s14
	s_add_i32 s15, s15, s7
	s_mul_i32 s7, s48, s14
	s_sub_u32 s6, s6, s7
	s_subb_u32 s7, 0, s15
	s_mul_i32 s14, s6, s63
	s_mul_hi_u32 s15, s6, s62
	s_add_i32 s14, s15, s14
	s_mul_i32 s7, s7, s62
	s_add_i32 s7, s14, s7
	s_mul_i32 s14, s58, s29
	s_mul_hi_u32 s15, s58, s28
	s_add_i32 s15, s15, s14
	s_mul_i32 s14, s58, s28
	s_sub_u32 s14, s60, s14
	s_subb_u32 s15, s61, s15
	s_mul_i32 s28, s14, s39
	s_mul_hi_u32 s29, s14, s38
	s_add_i32 s28, s29, s28
	s_mul_i32 s15, s15, s38
	s_mul_i32 s24, s50, s40
	s_add_i32 s15, s28, s15
	s_mul_i32 s28, s58, s37
	s_mul_hi_u32 s29, s58, s36
	s_add_i32 s29, s29, s28
	s_lshl_b64 s[24:25], s[24:25], 1
	s_add_u32 s24, s64, s24
	s_addc_u32 s25, s65, s25
	s_lshl_b64 s[12:13], s[12:13], 1
	s_mul_i32 s6, s6, s62
	s_add_u32 s12, s24, s12
	s_addc_u32 s13, s25, s13
	s_lshl_b64 s[6:7], s[6:7], 1
	s_mul_i32 s44, s56, s44
	s_add_u32 s24, s12, s6
	s_addc_u32 s25, s13, s7
	s_lshl_b64 s[6:7], s[44:45], 1
	s_add_u32 s12, s18, s6
	s_addc_u32 s13, s19, s7
	s_lshl_b64 s[6:7], s[46:47], 1
	;; [unrolled: 3-line block ×3, first 2 shown]
	v_mov_b32_e32 v5, 0
	s_mul_i32 s28, s58, s36
	s_add_u32 s18, s12, s6
	ds_read_b96 v[1:3], v5 offset:1056
	s_addc_u32 s19, s13, s7
	s_lshl_b64 s[6:7], s[28:29], 3
	s_mul_i32 s14, s14, s38
	s_add_u32 s12, s22, s6
	s_addc_u32 s13, s23, s7
	s_lshl_b64 s[6:7], s[14:15], 3
	s_add_u32 s12, s12, s6
	s_addc_u32 s13, s13, s7
	s_lshl_b64 s[6:7], s[30:31], 3
	s_waitcnt lgkmcnt(0)
	v_add_u32_e32 v1, v1, v2
	v_lshrrev_b32_e32 v2, 3, v0
	s_add_u32 s22, s12, s6
	s_load_dword s6, s[4:5], 0x1b0
	v_and_b32_e32 v2, 28, v2
	v_lshl_add_u32 v10, v0, 2, v2
	v_lshrrev_b32_e32 v2, 1, v0
	s_addc_u32 s23, s13, s7
	s_load_dwordx2 s[12:13], s[4:5], 0x508
	v_and_b32_e32 v11, 0x7c, v2
	v_add_u32_e32 v2, -1, v0
	v_lshrrev_b32_e32 v4, 3, v2
	v_and_b32_e32 v4, 0x1ffffffc, v4
	s_mov_b32 s26, 0x8000
	s_waitcnt lgkmcnt(0)
	s_bitcmp1_b32 s6, 0
	v_cmp_gt_u32_e64 s[6:7], 64, v0
	v_lshlrev_b32_e32 v12, 4, v0
	v_lshl_add_u32 v13, v2, 2, v4
	v_add_u32_e32 v4, s33, v0
	v_mbcnt_lo_u32_b32 v0, -1, 0
	v_add_u32_sdwa v9, sext(v8), s26 dst_sel:DWORD dst_unused:UNUSED_PAD src0_sel:WORD_0 src1_sel:DWORD
	s_cselect_b64 s[4:5], -1, 0
	v_mbcnt_hi_u32_b32 v0, -1, v0
                                        ; implicit-def: $vgpr14
	s_branch .LBB173_35
.LBB173_33:                             ;   in Loop: Header=BB173_35 Depth=1
	s_or_b64 exec, exec, s[14:15]
	v_add_u32_e32 v1, v2, v1
.LBB173_34:                             ;   in Loop: Header=BB173_35 Depth=1
	s_add_i32 s34, s34, -1
	v_add_u32_e32 v3, v15, v3
	s_cmp_lg_u32 s34, 0
	v_add_u32_e32 v4, 0x100, v4
	s_cbranch_scc0 .LBB173_54
.LBB173_35:                             ; =>This Inner Loop Header: Depth=1
	v_cmp_gt_u64_e32 vcc, s[8:9], v[4:5]
	v_mov_b32_e32 v2, v5
	v_mov_b32_e32 v6, v5
	s_and_saveexec_b64 s[14:15], vcc
	s_cbranch_execz .LBB173_37
; %bb.36:                               ;   in Loop: Header=BB173_35 Depth=1
	v_mad_u64_u32 v[6:7], s[28:29], s16, v4, 0
	v_mov_b32_e32 v2, v7
	v_mad_u64_u32 v[14:15], s[28:29], s17, v4, v[2:3]
	v_mov_b32_e32 v2, s25
	v_mov_b32_e32 v7, v14
	v_lshlrev_b64 v[6:7], 1, v[6:7]
	v_add_co_u32_e32 v6, vcc, s24, v6
	v_addc_co_u32_e32 v7, vcc, v2, v7, vcc
	global_load_ushort v14, v[6:7], off
	s_waitcnt vmcnt(0)
	v_add_u32_sdwa v2, sext(v14), s26 dst_sel:DWORD dst_unused:UNUSED_PAD src0_sel:WORD_0 src1_sel:DWORD
	v_cmp_gt_u32_e32 vcc, v2, v9
	v_cndmask_b32_e64 v6, 0, 1, vcc
	v_cmp_lt_u32_e32 vcc, v2, v9
	v_cndmask_b32_e64 v2, 0, 1, vcc
	v_cndmask_b32_e64 v2, v2, v6, s[4:5]
	v_cmp_eq_u16_e32 vcc, v14, v8
	v_and_b32_e32 v2, 1, v2
	v_cndmask_b32_e64 v6, 0, 1, vcc
.LBB173_37:                             ;   in Loop: Header=BB173_35 Depth=1
	s_or_b64 exec, exec, s[14:15]
	ds_write_b32 v10, v2
	s_waitcnt vmcnt(0) lgkmcnt(0)
	s_barrier
	s_and_saveexec_b64 s[14:15], s[6:7]
	s_cbranch_execz .LBB173_39
; %bb.38:                               ;   in Loop: Header=BB173_35 Depth=1
	v_add_u32_e32 v7, v11, v12
	ds_read2_b32 v[15:16], v7 offset1:1
	ds_read2_b32 v[17:18], v7 offset0:2 offset1:3
	v_and_b32_e32 v19, 15, v0
	v_cmp_ne_u32_e32 vcc, 0, v19
	s_waitcnt lgkmcnt(1)
	v_add_u32_e32 v16, v16, v15
	s_waitcnt lgkmcnt(0)
	v_add3_u32 v16, v16, v17, v18
	v_bfe_i32 v18, v0, 4, 1
	; wave barrier
	s_nop 0
	v_mov_b32_dpp v17, v16 row_shr:1 row_mask:0xf bank_mask:0xf
	v_cndmask_b32_e32 v17, 0, v17, vcc
	v_add_u32_e32 v16, v17, v16
	v_cmp_lt_u32_e32 vcc, 1, v19
	s_nop 0
	v_mov_b32_dpp v17, v16 row_shr:2 row_mask:0xf bank_mask:0xf
	v_cndmask_b32_e32 v17, 0, v17, vcc
	v_add_u32_e32 v16, v16, v17
	v_cmp_lt_u32_e32 vcc, 3, v19
	;; [unrolled: 5-line block ×4, first 2 shown]
	s_nop 0
	v_mov_b32_dpp v17, v16 row_bcast:15 row_mask:0xf bank_mask:0xf
	v_and_b32_e32 v17, v18, v17
	v_add_u32_e32 v16, v16, v17
	v_and_b32_e32 v18, 64, v0
	s_nop 0
	v_mov_b32_dpp v17, v16 row_bcast:31 row_mask:0xf bank_mask:0xf
	v_cndmask_b32_e32 v17, 0, v17, vcc
	v_add_u32_e32 v16, v16, v17
	v_add_u32_e32 v17, -1, v0
	v_cmp_lt_i32_e32 vcc, v17, v18
	v_cndmask_b32_e32 v17, v17, v0, vcc
	v_lshlrev_b32_e32 v17, 2, v17
	ds_bpermute_b32 v16, v17, v16
	s_waitcnt lgkmcnt(0)
	v_add_u32_e32 v15, v16, v15
	v_cndmask_b32_e64 v17, v15, v2, s[2:3]
	ds_write_b32 v7, v17
	; wave barrier
	ds_read2_b32 v[15:16], v7 offset0:1 offset1:2
	ds_read_b32 v18, v7 offset:12
	s_waitcnt lgkmcnt(1)
	v_add_u32_e32 v15, v15, v17
	v_add_u32_e32 v16, v16, v15
	ds_write2_b32 v7, v15, v16 offset0:1 offset1:2
	s_waitcnt lgkmcnt(1)
	v_add_u32_e32 v15, v18, v16
	ds_write_b32 v7, v15 offset:12
.LBB173_39:                             ;   in Loop: Header=BB173_35 Depth=1
	s_or_b64 exec, exec, s[14:15]
	v_mov_b32_e32 v7, 0
	s_waitcnt lgkmcnt(0)
	s_barrier
	s_and_saveexec_b64 s[14:15], s[0:1]
; %bb.40:                               ;   in Loop: Header=BB173_35 Depth=1
	ds_read_b32 v7, v13
; %bb.41:                               ;   in Loop: Header=BB173_35 Depth=1
	s_or_b64 exec, exec, s[14:15]
	ds_read_b32 v15, v5 offset:1048
	v_cmp_ne_u32_e32 vcc, 0, v2
	s_waitcnt lgkmcnt(0)
	s_barrier
	s_and_saveexec_b64 s[14:15], vcc
	s_cbranch_execz .LBB173_43
; %bb.42:                               ;   in Loop: Header=BB173_35 Depth=1
	v_add_u32_e32 v7, v7, v3
	v_mad_u64_u32 v[16:17], s[28:29], s20, v7, 0
	v_mad_u64_u32 v[18:19], s[28:29], s12, v7, 0
	v_mov_b32_e32 v2, v17
	v_mad_u64_u32 v[20:21], s[28:29], s21, v7, v[2:3]
	v_mov_b32_e32 v2, v19
	v_mov_b32_e32 v21, s19
	;; [unrolled: 1-line block ×3, first 2 shown]
	v_lshlrev_b64 v[16:17], 1, v[16:17]
	v_mad_u64_u32 v[19:20], s[28:29], s13, v7, v[2:3]
	v_add_co_u32_e32 v16, vcc, s18, v16
	v_addc_co_u32_e32 v17, vcc, v21, v17, vcc
	global_store_short v[16:17], v14, off
	v_lshlrev_b64 v[16:17], 3, v[18:19]
	v_mov_b32_e32 v2, s23
	v_add_co_u32_e32 v16, vcc, s22, v16
	v_addc_co_u32_e32 v17, vcc, v2, v17, vcc
	global_store_dwordx2 v[16:17], v[4:5], off
.LBB173_43:                             ;   in Loop: Header=BB173_35 Depth=1
	s_or_b64 exec, exec, s[14:15]
	v_mov_b32_e32 v2, v5
	v_cmp_le_u64_e32 vcc, s[10:11], v[1:2]
	s_cbranch_vccnz .LBB173_34
; %bb.44:                               ;   in Loop: Header=BB173_35 Depth=1
	ds_write_b32 v10, v6
	s_waitcnt vmcnt(0) lgkmcnt(0)
	s_barrier
	s_and_saveexec_b64 s[14:15], s[6:7]
	s_cbranch_execz .LBB173_46
; %bb.45:                               ;   in Loop: Header=BB173_35 Depth=1
	v_add_u32_e32 v2, v11, v12
	ds_read2_b32 v[16:17], v2 offset1:1
	ds_read2_b32 v[18:19], v2 offset0:2 offset1:3
	v_and_b32_e32 v7, 15, v0
	v_cmp_ne_u32_e32 vcc, 0, v7
	s_waitcnt lgkmcnt(1)
	v_add_u32_e32 v17, v17, v16
	s_waitcnt lgkmcnt(0)
	v_add3_u32 v17, v17, v18, v19
	; wave barrier
	s_nop 1
	v_mov_b32_dpp v18, v17 row_shr:1 row_mask:0xf bank_mask:0xf
	v_cndmask_b32_e32 v18, 0, v18, vcc
	v_add_u32_e32 v17, v18, v17
	v_cmp_lt_u32_e32 vcc, 1, v7
	s_nop 0
	v_mov_b32_dpp v18, v17 row_shr:2 row_mask:0xf bank_mask:0xf
	v_cndmask_b32_e32 v18, 0, v18, vcc
	v_add_u32_e32 v17, v17, v18
	v_cmp_lt_u32_e32 vcc, 3, v7
	;; [unrolled: 5-line block ×3, first 2 shown]
	s_nop 0
	v_mov_b32_dpp v18, v17 row_shr:8 row_mask:0xf bank_mask:0xf
	v_cndmask_b32_e32 v7, 0, v18, vcc
	v_add_u32_e32 v7, v17, v7
	v_bfe_i32 v18, v0, 4, 1
	v_cmp_lt_u32_e32 vcc, 31, v0
	v_mov_b32_dpp v17, v7 row_bcast:15 row_mask:0xf bank_mask:0xf
	v_and_b32_e32 v17, v18, v17
	v_add_u32_e32 v7, v7, v17
	v_and_b32_e32 v18, 64, v0
	s_nop 0
	v_mov_b32_dpp v17, v7 row_bcast:31 row_mask:0xf bank_mask:0xf
	v_cndmask_b32_e32 v17, 0, v17, vcc
	v_add_u32_e32 v7, v7, v17
	v_add_u32_e32 v17, -1, v0
	v_cmp_lt_i32_e32 vcc, v17, v18
	v_cndmask_b32_e32 v17, v17, v0, vcc
	v_lshlrev_b32_e32 v17, 2, v17
	ds_bpermute_b32 v7, v17, v7
	s_waitcnt lgkmcnt(0)
	v_add_u32_e32 v7, v7, v16
	v_cndmask_b32_e64 v7, v7, v6, s[2:3]
	ds_write_b32 v2, v7
	; wave barrier
	ds_read2_b32 v[16:17], v2 offset0:1 offset1:2
	ds_read_b32 v18, v2 offset:12
	s_waitcnt lgkmcnt(1)
	v_add_u32_e32 v7, v16, v7
	v_add_u32_e32 v16, v17, v7
	ds_write2_b32 v2, v7, v16 offset0:1 offset1:2
	s_waitcnt lgkmcnt(1)
	v_add_u32_e32 v7, v18, v16
	ds_write_b32 v2, v7 offset:12
.LBB173_46:                             ;   in Loop: Header=BB173_35 Depth=1
	s_or_b64 exec, exec, s[14:15]
	v_mov_b32_e32 v7, 0
	s_waitcnt lgkmcnt(0)
	s_barrier
	s_and_saveexec_b64 s[14:15], s[0:1]
; %bb.47:                               ;   in Loop: Header=BB173_35 Depth=1
	ds_read_b32 v7, v13
; %bb.48:                               ;   in Loop: Header=BB173_35 Depth=1
	s_or_b64 exec, exec, s[14:15]
	ds_read_b32 v2, v5 offset:1048
	v_cmp_ne_u32_e32 vcc, 0, v6
	s_waitcnt lgkmcnt(0)
	s_barrier
	s_and_saveexec_b64 s[14:15], vcc
	s_cbranch_execz .LBB173_33
; %bb.49:                               ;   in Loop: Header=BB173_35 Depth=1
	v_add_u32_e32 v6, v7, v1
	v_mov_b32_e32 v7, v5
	v_cmp_gt_u64_e32 vcc, s[10:11], v[6:7]
	s_and_b64 exec, exec, vcc
	s_cbranch_execz .LBB173_33
; %bb.50:                               ;   in Loop: Header=BB173_35 Depth=1
	v_mad_u64_u32 v[16:17], s[28:29], s20, v6, 0
	v_mad_u64_u32 v[18:19], s[28:29], s12, v6, 0
	v_mov_b32_e32 v7, v17
	v_mad_u64_u32 v[20:21], s[28:29], s21, v6, v[7:8]
	v_mov_b32_e32 v7, v19
	;; [unrolled: 2-line block ×3, first 2 shown]
	v_lshlrev_b64 v[16:17], 1, v[16:17]
	v_mov_b32_e32 v19, v6
	v_mov_b32_e32 v21, s19
	v_add_co_u32_e32 v16, vcc, s18, v16
	v_lshlrev_b64 v[6:7], 3, v[18:19]
	v_addc_co_u32_e32 v17, vcc, v21, v17, vcc
	global_store_short v[16:17], v14, off
	v_mov_b32_e32 v16, s23
	v_add_co_u32_e32 v6, vcc, s22, v6
	v_addc_co_u32_e32 v7, vcc, v16, v7, vcc
	global_store_dwordx2 v[6:7], v[4:5], off
	s_branch .LBB173_33
.LBB173_51:                             ;   in Loop: Header=BB173_52 Depth=1
	s_add_u32 s20, s20, 4
	s_addc_u32 s21, s21, 0
	s_waitcnt lgkmcnt(0)
	s_add_i32 s51, s19, s51
	s_add_u32 s22, s22, 4
	s_addc_u32 s23, s23, 0
	s_add_i32 s18, s18, 1
	s_cmp_lt_u32 s18, s35
	s_cbranch_scc0 .LBB173_30
.LBB173_52:                             ; =>This Inner Loop Header: Depth=1
	s_load_dword s19, s[20:21], 0x0
	s_cmp_ge_u32 s18, s76
	s_cbranch_scc1 .LBB173_51
; %bb.53:                               ;   in Loop: Header=BB173_52 Depth=1
	s_load_dword s52, s[22:23], 0x0
	s_waitcnt lgkmcnt(0)
	s_add_i32 s53, s19, s53
	s_add_i32 s7, s52, s7
	s_branch .LBB173_51
.LBB173_54:
	s_endpgm
	.section	.rodata,"a",@progbits
	.p2align	6, 0x0
	.amdhsa_kernel _ZN2at6native6mbtopk10gatherTopKIsmLi3EEEvNS_4cuda6detail10TensorInfoIKT_T0_EES8_S8_bjS8_NS5_IS6_S8_EES8_NS5_IlS8_EES8_jjPS6_PjSD_j
		.amdhsa_group_segment_fixed_size 1068
		.amdhsa_private_segment_fixed_size 0
		.amdhsa_kernarg_size 1592
		.amdhsa_user_sgpr_count 6
		.amdhsa_user_sgpr_private_segment_buffer 1
		.amdhsa_user_sgpr_dispatch_ptr 0
		.amdhsa_user_sgpr_queue_ptr 0
		.amdhsa_user_sgpr_kernarg_segment_ptr 1
		.amdhsa_user_sgpr_dispatch_id 0
		.amdhsa_user_sgpr_flat_scratch_init 0
		.amdhsa_user_sgpr_private_segment_size 0
		.amdhsa_uses_dynamic_stack 0
		.amdhsa_system_sgpr_private_segment_wavefront_offset 0
		.amdhsa_system_sgpr_workgroup_id_x 1
		.amdhsa_system_sgpr_workgroup_id_y 1
		.amdhsa_system_sgpr_workgroup_id_z 1
		.amdhsa_system_sgpr_workgroup_info 0
		.amdhsa_system_vgpr_workitem_id 0
		.amdhsa_next_free_vgpr 22
		.amdhsa_next_free_sgpr 77
		.amdhsa_reserve_vcc 1
		.amdhsa_reserve_flat_scratch 0
		.amdhsa_float_round_mode_32 0
		.amdhsa_float_round_mode_16_64 0
		.amdhsa_float_denorm_mode_32 3
		.amdhsa_float_denorm_mode_16_64 3
		.amdhsa_dx10_clamp 1
		.amdhsa_ieee_mode 1
		.amdhsa_fp16_overflow 0
		.amdhsa_exception_fp_ieee_invalid_op 0
		.amdhsa_exception_fp_denorm_src 0
		.amdhsa_exception_fp_ieee_div_zero 0
		.amdhsa_exception_fp_ieee_overflow 0
		.amdhsa_exception_fp_ieee_underflow 0
		.amdhsa_exception_fp_ieee_inexact 0
		.amdhsa_exception_int_div_zero 0
	.end_amdhsa_kernel
	.section	.text._ZN2at6native6mbtopk10gatherTopKIsmLi3EEEvNS_4cuda6detail10TensorInfoIKT_T0_EES8_S8_bjS8_NS5_IS6_S8_EES8_NS5_IlS8_EES8_jjPS6_PjSD_j,"axG",@progbits,_ZN2at6native6mbtopk10gatherTopKIsmLi3EEEvNS_4cuda6detail10TensorInfoIKT_T0_EES8_S8_bjS8_NS5_IS6_S8_EES8_NS5_IlS8_EES8_jjPS6_PjSD_j,comdat
.Lfunc_end173:
	.size	_ZN2at6native6mbtopk10gatherTopKIsmLi3EEEvNS_4cuda6detail10TensorInfoIKT_T0_EES8_S8_bjS8_NS5_IS6_S8_EES8_NS5_IlS8_EES8_jjPS6_PjSD_j, .Lfunc_end173-_ZN2at6native6mbtopk10gatherTopKIsmLi3EEEvNS_4cuda6detail10TensorInfoIKT_T0_EES8_S8_bjS8_NS5_IS6_S8_EES8_NS5_IlS8_EES8_jjPS6_PjSD_j
                                        ; -- End function
	.set _ZN2at6native6mbtopk10gatherTopKIsmLi3EEEvNS_4cuda6detail10TensorInfoIKT_T0_EES8_S8_bjS8_NS5_IS6_S8_EES8_NS5_IlS8_EES8_jjPS6_PjSD_j.num_vgpr, 22
	.set _ZN2at6native6mbtopk10gatherTopKIsmLi3EEEvNS_4cuda6detail10TensorInfoIKT_T0_EES8_S8_bjS8_NS5_IS6_S8_EES8_NS5_IlS8_EES8_jjPS6_PjSD_j.num_agpr, 0
	.set _ZN2at6native6mbtopk10gatherTopKIsmLi3EEEvNS_4cuda6detail10TensorInfoIKT_T0_EES8_S8_bjS8_NS5_IS6_S8_EES8_NS5_IlS8_EES8_jjPS6_PjSD_j.numbered_sgpr, 77
	.set _ZN2at6native6mbtopk10gatherTopKIsmLi3EEEvNS_4cuda6detail10TensorInfoIKT_T0_EES8_S8_bjS8_NS5_IS6_S8_EES8_NS5_IlS8_EES8_jjPS6_PjSD_j.num_named_barrier, 0
	.set _ZN2at6native6mbtopk10gatherTopKIsmLi3EEEvNS_4cuda6detail10TensorInfoIKT_T0_EES8_S8_bjS8_NS5_IS6_S8_EES8_NS5_IlS8_EES8_jjPS6_PjSD_j.private_seg_size, 0
	.set _ZN2at6native6mbtopk10gatherTopKIsmLi3EEEvNS_4cuda6detail10TensorInfoIKT_T0_EES8_S8_bjS8_NS5_IS6_S8_EES8_NS5_IlS8_EES8_jjPS6_PjSD_j.uses_vcc, 1
	.set _ZN2at6native6mbtopk10gatherTopKIsmLi3EEEvNS_4cuda6detail10TensorInfoIKT_T0_EES8_S8_bjS8_NS5_IS6_S8_EES8_NS5_IlS8_EES8_jjPS6_PjSD_j.uses_flat_scratch, 0
	.set _ZN2at6native6mbtopk10gatherTopKIsmLi3EEEvNS_4cuda6detail10TensorInfoIKT_T0_EES8_S8_bjS8_NS5_IS6_S8_EES8_NS5_IlS8_EES8_jjPS6_PjSD_j.has_dyn_sized_stack, 0
	.set _ZN2at6native6mbtopk10gatherTopKIsmLi3EEEvNS_4cuda6detail10TensorInfoIKT_T0_EES8_S8_bjS8_NS5_IS6_S8_EES8_NS5_IlS8_EES8_jjPS6_PjSD_j.has_recursion, 0
	.set _ZN2at6native6mbtopk10gatherTopKIsmLi3EEEvNS_4cuda6detail10TensorInfoIKT_T0_EES8_S8_bjS8_NS5_IS6_S8_EES8_NS5_IlS8_EES8_jjPS6_PjSD_j.has_indirect_call, 0
	.section	.AMDGPU.csdata,"",@progbits
; Kernel info:
; codeLenInByte = 3260
; TotalNumSgprs: 81
; NumVgprs: 22
; ScratchSize: 0
; MemoryBound: 0
; FloatMode: 240
; IeeeMode: 1
; LDSByteSize: 1068 bytes/workgroup (compile time only)
; SGPRBlocks: 10
; VGPRBlocks: 5
; NumSGPRsForWavesPerEU: 81
; NumVGPRsForWavesPerEU: 22
; Occupancy: 9
; WaveLimiterHint : 1
; COMPUTE_PGM_RSRC2:SCRATCH_EN: 0
; COMPUTE_PGM_RSRC2:USER_SGPR: 6
; COMPUTE_PGM_RSRC2:TRAP_HANDLER: 0
; COMPUTE_PGM_RSRC2:TGID_X_EN: 1
; COMPUTE_PGM_RSRC2:TGID_Y_EN: 1
; COMPUTE_PGM_RSRC2:TGID_Z_EN: 1
; COMPUTE_PGM_RSRC2:TIDIG_COMP_CNT: 0
	.section	.text._ZN2at6native6sbtopk10gatherTopKIsmLi3ELb0EEEvNS_4cuda6detail10TensorInfoIKT_T0_EES8_S8_bS8_S8_NS5_IS6_S8_EES8_NS5_IlS8_EES8_PS6_,"axG",@progbits,_ZN2at6native6sbtopk10gatherTopKIsmLi3ELb0EEEvNS_4cuda6detail10TensorInfoIKT_T0_EES8_S8_bS8_S8_NS5_IS6_S8_EES8_NS5_IlS8_EES8_PS6_,comdat
	.protected	_ZN2at6native6sbtopk10gatherTopKIsmLi3ELb0EEEvNS_4cuda6detail10TensorInfoIKT_T0_EES8_S8_bS8_S8_NS5_IS6_S8_EES8_NS5_IlS8_EES8_PS6_ ; -- Begin function _ZN2at6native6sbtopk10gatherTopKIsmLi3ELb0EEEvNS_4cuda6detail10TensorInfoIKT_T0_EES8_S8_bS8_S8_NS5_IS6_S8_EES8_NS5_IlS8_EES8_PS6_
	.globl	_ZN2at6native6sbtopk10gatherTopKIsmLi3ELb0EEEvNS_4cuda6detail10TensorInfoIKT_T0_EES8_S8_bS8_S8_NS5_IS6_S8_EES8_NS5_IlS8_EES8_PS6_
	.p2align	8
	.type	_ZN2at6native6sbtopk10gatherTopKIsmLi3ELb0EEEvNS_4cuda6detail10TensorInfoIKT_T0_EES8_S8_bS8_S8_NS5_IS6_S8_EES8_NS5_IlS8_EES8_PS6_,@function
_ZN2at6native6sbtopk10gatherTopKIsmLi3ELb0EEEvNS_4cuda6detail10TensorInfoIKT_T0_EES8_S8_bS8_S8_NS5_IS6_S8_EES8_NS5_IlS8_EES8_PS6_: ; @_ZN2at6native6sbtopk10gatherTopKIsmLi3ELb0EEEvNS_4cuda6detail10TensorInfoIKT_T0_EES8_S8_bS8_S8_NS5_IS6_S8_EES8_NS5_IlS8_EES8_PS6_
; %bb.0:
	s_load_dwordx2 s[18:19], s[4:5], 0x520
	s_load_dwordx4 s[60:63], s[4:5], 0x1b8
	s_mov_b64 s[26:27], s[4:5]
	s_add_u32 s16, s26, 0x520
	s_addc_u32 s17, s27, 0
	s_waitcnt lgkmcnt(0)
	s_mul_i32 s0, s19, s8
	s_add_i32 s0, s0, s7
	s_mul_i32 s0, s0, s18
	s_add_i32 s28, s0, s6
	s_mov_b32 s29, 0
	v_mov_b32_e32 v1, s28
	v_mov_b32_e32 v2, s29
	v_cmp_le_u64_e32 vcc, s[60:61], v[1:2]
	s_cbranch_vccnz .LBB174_485
; %bb.1:
	s_load_dwordx4 s[0:3], s[26:27], 0x10
	s_mov_b64 s[8:9], 0
	s_mov_b64 s[4:5], 0
	s_waitcnt lgkmcnt(0)
	v_mov_b32_e32 v1, s2
	v_mov_b32_e32 v2, s3
	v_cmp_lt_u64_e32 vcc, s[28:29], v[1:2]
	s_cbranch_vccnz .LBB174_3
; %bb.2:
	v_cvt_f32_u32_e32 v1, s2
	s_sub_i32 s4, 0, s2
	s_mov_b32 s5, 0
	v_rcp_iflag_f32_e32 v1, v1
	v_mul_f32_e32 v1, 0x4f7ffffe, v1
	v_cvt_u32_f32_e32 v1, v1
	v_readfirstlane_b32 s7, v1
	s_mul_i32 s4, s4, s7
	s_mul_hi_u32 s4, s7, s4
	s_add_i32 s7, s7, s4
	s_mul_hi_u32 s4, s28, s7
	s_mul_i32 s9, s4, s2
	s_sub_i32 s9, s28, s9
	s_add_i32 s7, s4, 1
	s_sub_i32 s10, s9, s2
	s_cmp_ge_u32 s9, s2
	s_cselect_b32 s4, s7, s4
	s_cselect_b32 s9, s10, s9
	s_add_i32 s7, s4, 1
	s_cmp_ge_u32 s9, s2
	s_cselect_b32 s4, s7, s4
.LBB174_3:
	s_load_dwordx4 s[12:15], s[26:27], 0x1d8
	v_mov_b32_e32 v2, s1
	v_mov_b32_e32 v1, s0
	v_cmp_lt_u64_e32 vcc, s[4:5], v[1:2]
	s_cbranch_vccnz .LBB174_5
; %bb.4:
	v_cvt_f32_u32_e32 v1, s0
	s_sub_i32 s7, 0, s0
	v_rcp_iflag_f32_e32 v1, v1
	v_mul_f32_e32 v1, 0x4f7ffffe, v1
	v_cvt_u32_f32_e32 v1, v1
	v_readfirstlane_b32 s8, v1
	s_mul_i32 s7, s7, s8
	s_mul_hi_u32 s7, s8, s7
	s_add_i32 s8, s8, s7
	s_mul_hi_u32 s7, s4, s8
	s_mul_i32 s9, s7, s0
	s_sub_i32 s9, s4, s9
	s_add_i32 s8, s7, 1
	s_sub_i32 s10, s9, s0
	s_cmp_ge_u32 s9, s0
	s_cselect_b32 s7, s8, s7
	s_cselect_b32 s9, s10, s9
	s_add_i32 s8, s7, 1
	s_cmp_ge_u32 s9, s0
	s_cselect_b32 s8, s8, s7
.LBB174_5:
	s_waitcnt lgkmcnt(0)
	v_mov_b32_e32 v1, s14
	v_mov_b32_e32 v2, s15
	v_cmp_lt_u64_e32 vcc, s[28:29], v[1:2]
	s_mov_b64 s[10:11], 0
                                        ; implicit-def: $vgpr50 : SGPR spill to VGPR lane
	v_writelane_b32 v50, s10, 0
	s_mov_b64 s[20:21], 0
	v_writelane_b32 v50, s11, 1
	s_cbranch_vccnz .LBB174_7
; %bb.6:
	v_cvt_f32_u32_e32 v1, s14
	s_sub_i32 s7, 0, s14
	s_mov_b32 s21, 0
	v_rcp_iflag_f32_e32 v1, v1
	v_mul_f32_e32 v1, 0x4f7ffffe, v1
	v_cvt_u32_f32_e32 v1, v1
	v_readfirstlane_b32 s9, v1
	s_mul_i32 s7, s7, s9
	s_mul_hi_u32 s7, s9, s7
	s_add_i32 s9, s9, s7
	s_mul_hi_u32 s7, s28, s9
	s_mul_i32 s10, s7, s14
	s_sub_i32 s10, s28, s10
	s_add_i32 s9, s7, 1
	s_sub_i32 s11, s10, s14
	s_cmp_ge_u32 s10, s14
	s_cselect_b32 s7, s9, s7
	s_cselect_b32 s10, s11, s10
	s_add_i32 s9, s7, 1
	s_cmp_ge_u32 s10, s14
	s_cselect_b32 s20, s9, s7
.LBB174_7:
	s_load_dwordx4 s[36:39], s[26:27], 0x380
	v_mov_b32_e32 v1, s12
	v_mov_b32_e32 v2, s13
	v_cmp_lt_u64_e32 vcc, s[20:21], v[1:2]
	s_cbranch_vccnz .LBB174_9
; %bb.8:
	v_cvt_f32_u32_e32 v1, s12
	s_sub_i32 s7, 0, s12
	v_rcp_iflag_f32_e32 v1, v1
	v_mul_f32_e32 v1, 0x4f7ffffe, v1
	v_cvt_u32_f32_e32 v1, v1
	v_readfirstlane_b32 s9, v1
	s_mul_i32 s7, s7, s9
	s_mul_hi_u32 s7, s9, s7
	s_add_i32 s9, s9, s7
	s_mul_hi_u32 s7, s20, s9
	s_mul_i32 s10, s7, s12
	s_sub_i32 s10, s20, s10
	s_add_i32 s9, s7, 1
	s_sub_i32 s11, s10, s12
	s_cmp_ge_u32 s10, s12
	s_cselect_b32 s7, s9, s7
	s_cselect_b32 s10, s11, s10
	s_add_i32 s9, s7, 1
	s_cmp_ge_u32 s10, s12
	s_cselect_b32 s10, s9, s7
	v_writelane_b32 v50, s10, 0
	v_writelane_b32 v50, s11, 1
.LBB174_9:
	v_writelane_b32 v50, s20, 2
	v_writelane_b32 v50, s21, 3
	;; [unrolled: 1-line block ×6, first 2 shown]
	s_load_dwordx2 s[10:11], s[26:27], 0xe0
	s_load_dwordx4 s[12:15], s[26:27], 0xd0
	s_waitcnt lgkmcnt(0)
	v_mov_b32_e32 v1, s38
	v_mov_b32_e32 v2, s39
	v_cmp_lt_u64_e32 vcc, s[28:29], v[1:2]
	s_mov_b64 s[20:21], 0
	v_writelane_b32 v50, s20, 8
	s_mov_b64 s[22:23], 0
	v_writelane_b32 v50, s21, 9
	s_cbranch_vccnz .LBB174_11
; %bb.10:
	v_cvt_f32_u32_e32 v1, s38
	s_sub_i32 s7, 0, s38
	s_mov_b32 s23, 0
	v_rcp_iflag_f32_e32 v1, v1
	v_mul_f32_e32 v1, 0x4f7ffffe, v1
	v_cvt_u32_f32_e32 v1, v1
	v_readfirstlane_b32 s9, v1
	s_mul_i32 s7, s7, s9
	s_mul_hi_u32 s7, s9, s7
	s_add_i32 s9, s9, s7
	s_mul_hi_u32 s7, s28, s9
	s_mul_i32 s19, s7, s38
	s_sub_i32 s19, s28, s19
	s_add_i32 s9, s7, 1
	s_sub_i32 s20, s19, s38
	s_cmp_ge_u32 s19, s38
	s_cselect_b32 s7, s9, s7
	s_cselect_b32 s19, s20, s19
	s_add_i32 s9, s7, 1
	s_cmp_ge_u32 s19, s38
	s_cselect_b32 s22, s9, s7
.LBB174_11:
	s_load_dwordx2 s[20:21], s[26:27], 0x450
	s_load_dwordx4 s[40:43], s[26:27], 0x440
	v_mov_b32_e32 v1, s36
	v_mov_b32_e32 v2, s37
	s_waitcnt lgkmcnt(0)
	v_writelane_b32 v50, s20, 10
	v_writelane_b32 v50, s21, 11
	s_load_dwordx2 s[20:21], s[26:27], 0x2a8
	v_writelane_b32 v50, s40, 12
	v_writelane_b32 v50, s41, 13
	;; [unrolled: 1-line block ×4, first 2 shown]
	s_load_dwordx4 s[40:43], s[26:27], 0x298
	s_waitcnt lgkmcnt(0)
	v_writelane_b32 v50, s20, 16
	v_writelane_b32 v50, s21, 17
	s_load_dwordx2 s[20:21], s[26:27], 0x0
	v_writelane_b32 v50, s40, 18
	v_writelane_b32 v50, s41, 19
	;; [unrolled: 1-line block ×5, first 2 shown]
	v_cmp_lt_u64_e32 vcc, s[22:23], v[1:2]
	v_writelane_b32 v50, s23, 23
	s_cbranch_vccnz .LBB174_13
; %bb.12:
	v_cvt_f32_u32_e32 v1, s36
	s_sub_i32 s7, 0, s36
	v_readlane_b32 s22, v50, 22
	v_readlane_b32 s23, v50, 23
	v_rcp_iflag_f32_e32 v1, v1
	v_mul_f32_e32 v1, 0x4f7ffffe, v1
	v_cvt_u32_f32_e32 v1, v1
	v_readfirstlane_b32 s9, v1
	s_mul_i32 s7, s7, s9
	s_mul_hi_u32 s7, s9, s7
	s_add_i32 s9, s9, s7
	s_mul_hi_u32 s7, s22, s9
	s_mul_i32 s19, s7, s36
	s_sub_i32 s19, s22, s19
	s_add_i32 s9, s7, 1
	s_sub_i32 s22, s19, s36
	s_cmp_ge_u32 s19, s36
	s_cselect_b32 s7, s9, s7
	s_cselect_b32 s19, s22, s19
	s_add_i32 s9, s7, 1
	s_cmp_ge_u32 s19, s36
	s_cselect_b32 s22, s9, s7
	v_writelane_b32 v50, s22, 8
	v_writelane_b32 v50, s23, 9
.LBB174_13:
	s_load_dwordx2 s[22:23], s[26:27], 0x370
	v_writelane_b32 v50, s36, 24
	v_writelane_b32 v50, s37, 25
	;; [unrolled: 1-line block ×4, first 2 shown]
	s_waitcnt lgkmcnt(0)
	v_writelane_b32 v50, s22, 28
	v_writelane_b32 v50, s23, 29
	s_load_dwordx2 s[22:23], s[26:27], 0x1c8
	s_load_dwordx4 s[64:67], s[26:27], 0x1a0
	s_mov_b32 s93, 0
	v_cmp_eq_u32_e64 s[24:25], 0, v0
	s_waitcnt lgkmcnt(0)
	v_writelane_b32 v50, s22, 30
	v_writelane_b32 v50, s23, 31
	s_mov_b64 s[22:23], exec
	v_writelane_b32 v50, s24, 32
	v_writelane_b32 v50, s25, 33
	s_and_b64 s[24:25], s[22:23], s[24:25]
	s_mov_b64 exec, s[24:25]
	s_cbranch_execz .LBB174_15
; %bb.14:
	v_mov_b32_e32 v1, 0
	v_mov_b32_e32 v3, s64
	;; [unrolled: 1-line block ×4, first 2 shown]
	ds_write_b32 v1, v1 offset:5144
	ds_write_b128 v1, v[1:4] offset:5120
.LBB174_15:
	s_or_b64 exec, exec, s[22:23]
	s_mul_i32 s1, s8, s1
	s_mul_hi_u32 s7, s8, s0
	s_add_i32 s7, s7, s1
	s_mul_i32 s0, s8, s0
	s_sub_u32 s0, s4, s0
	s_subb_u32 s1, s5, s7
	s_mul_i32 s5, s0, s15
	s_mul_hi_u32 s7, s0, s14
	s_add_i32 s5, s7, s5
	s_mul_i32 s1, s1, s14
	s_add_i32 s1, s5, s1
	s_mul_i32 s5, s8, s13
	s_mul_hi_u32 s7, s8, s12
	s_add_i32 s9, s7, s5
	s_mul_i32 s3, s4, s3
	s_mul_hi_u32 s5, s4, s2
	s_add_i32 s5, s5, s3
	s_mul_i32 s2, s4, s2
	s_mov_b32 s4, s28
	v_writelane_b32 v50, s4, 34
	s_sub_u32 s2, s28, s2
	v_writelane_b32 v50, s5, 35
	s_subb_u32 s3, 0, s5
	s_mul_i32 s4, s2, s11
	s_mul_hi_u32 s5, s2, s10
	s_mul_i32 s8, s8, s12
	s_add_i32 s4, s5, s4
	s_mul_i32 s3, s3, s10
	s_add_i32 s3, s4, s3
	s_lshl_b64 s[4:5], s[8:9], 1
	s_mul_i32 s0, s0, s14
	s_add_u32 s4, s20, s4
	s_addc_u32 s5, s21, s5
	s_lshl_b64 s[0:1], s[0:1], 1
	v_writelane_b32 v50, s26, 36
	s_load_dword s7, s[26:27], 0x1b0
	s_mul_i32 s2, s2, s10
	s_add_u32 s4, s4, s0
	s_addc_u32 s5, s5, s1
	s_lshl_b64 s[0:1], s[2:3], 1
	s_add_u32 s33, s4, s0
	s_addc_u32 s82, s5, s1
	s_waitcnt lgkmcnt(0)
	s_bitcmp1_b32 s7, 0
	v_writelane_b32 v50, s27, 37
	s_cselect_b64 s[0:1], -1, 0
	v_writelane_b32 v50, s0, 38
	v_writelane_b32 v50, s1, 39
	s_xor_b64 s[84:85], s[0:1], -1
	v_mbcnt_lo_u32_b32 v1, -1, 0
	v_mad_u64_u32 v[4:5], s[0:1], s62, v0, 0
	v_mbcnt_hi_u32_b32 v26, -1, v1
	v_cmp_gt_u32_e32 vcc, 64, v0
	v_cmp_gt_i32_e64 s[10:11], 4, v26
	s_and_b64 s[0:1], vcc, s[10:11]
	v_writelane_b32 v50, s0, 40
	v_mov_b32_e32 v1, 0x600
	v_mov_b32_e32 v3, v5
	v_writelane_b32 v50, s1, 41
	v_mov_b32_e32 v2, 0
	v_mad_u64_u32 v[5:6], s[0:1], s63, v0, v[3:4]
	v_cmp_gt_u64_e64 s[0:1], s[64:65], v[1:2]
	v_mov_b32_e32 v3, 0
	v_writelane_b32 v50, s0, 42
	v_mov_b32_e32 v1, v3
	v_writelane_b32 v50, s1, 43
	v_cmp_gt_u64_e64 s[0:1], s[64:65], v[0:1]
	v_writelane_b32 v50, s0, 44
	v_writelane_b32 v50, s1, 45
	v_cmp_gt_u32_e64 s[0:1], 2, v0
	v_writelane_b32 v50, s0, 46
	s_barrier
	v_writelane_b32 v50, s1, 47
	s_load_dword s0, s[16:17], 0xc
	v_lshlrev_b64 v[4:5], 1, v[4:5]
	v_mov_b32_e32 v2, s82
	v_add_co_u32_e32 v12, vcc, s33, v4
	s_waitcnt lgkmcnt(0)
	s_and_b32 s83, s0, 0xffff
	s_bfe_u32 s0, s0, 0xa0006
	s_cmp_gt_u32 s83, 63
	s_cselect_b64 s[2:3], -1, 0
	v_addc_co_u32_e32 v13, vcc, v2, v5, vcc
	v_lshlrev_b32_e32 v2, 2, v26
	v_writelane_b32 v50, s2, 48
	s_add_u32 s1, s83, -1
	v_and_b32_e32 v23, 0x100, v2
	v_writelane_b32 v50, s3, 49
	s_addc_u32 s2, 0, -1
	v_lshrrev_b32_e32 v2, 1, v0
	v_writelane_b32 v50, s1, 50
	s_add_u32 s1, s1, s64
	v_and_b32_e32 v2, 0x1e0, v2
	v_lshlrev_b64 v[4:5], v26, -1
	v_writelane_b32 v50, s1, 51
	v_or_b32_e32 v29, 0xc00, v2
	v_add_u32_e32 v2, 2, v0
	v_writelane_b32 v50, s2, 52
	s_addc_u32 s1, s2, s65
	v_cmp_gt_u64_e32 vcc, s[64:65], v[2:3]
	v_not_b32_e32 v25, v4
	v_writelane_b32 v50, s0, 53
	s_cmp_lt_u32 s6, s18
	v_mov_b32_e32 v4, s65
	v_not_b32_e32 v24, v5
	v_writelane_b32 v50, s1, 54
	s_cselect_b32 s1, 12, 18
	v_cndmask_b32_e32 v5, 0, v4, vcc
	v_mov_b32_e32 v4, s64
	s_add_u32 s2, s16, s1
	v_cndmask_b32_e32 v2, v2, v4, vcc
	v_not_b32_e32 v4, v0
	s_addc_u32 s3, s17, 0
	v_add_co_u32_e32 v4, vcc, v2, v4
	v_writelane_b32 v50, s2, 55
	v_addc_co_u32_e32 v5, vcc, -1, v5, vcc
	v_writelane_b32 v50, s3, 56
	v_cmp_lt_u64_e64 s[2:3], 1, v[4:5]
	v_and_b32_e32 v16, -2, v4
	v_writelane_b32 v50, s2, 57
	v_mov_b32_e32 v17, v5
	v_writelane_b32 v50, s3, 58
	v_cmp_ne_u64_e64 s[2:3], v[4:5], v[16:17]
	s_add_i32 s1, s0, -1
	v_writelane_b32 v50, s2, 59
	v_writelane_b32 v50, s3, 60
	s_bfe_u32 s2, s83, 0x30006
	s_and_b32 s1, s1, 0xffff
	s_cmp_gt_u32 s1, 6
	s_cselect_b64 s[4:5], -1, 0
	s_and_b32 s80, s0, 0x3f8
	s_cmp_lg_u32 s2, 0
	s_cselect_b64 s[0:1], -1, 0
                                        ; implicit-def: $vgpr49 : SGPR spill to VGPR lane
	v_cmp_eq_u32_e64 s[94:95], 0, v26
	v_writelane_b32 v49, s0, 0
	v_writelane_b32 v49, s1, 1
	s_lshl_b32 s0, s83, 1
	v_writelane_b32 v49, s0, 2
	v_writelane_b32 v49, s94, 3
	v_writelane_b32 v49, s95, 4
	v_writelane_b32 v49, s84, 5
	v_lshlrev_b32_e32 v27, 1, v0
	s_mov_b32 s23, s62
	v_writelane_b32 v50, s4, 61
	v_mov_b32_e32 v2, 0xc00
	v_mov_b32_e32 v19, s66
	v_writelane_b32 v49, s85, 6
	v_lshlrev_b32_e32 v14, 2, v0
	v_mov_b32_e32 v15, v3
	v_add_u32_e32 v28, 0xc00, v27
	v_add_co_u32_e32 v18, vcc, v16, v0
	s_mov_b32 s24, s63
	v_writelane_b32 v50, s5, 62
	v_lshlrev_b32_e32 v31, 3, v0
	v_lshl_or_b32 v32, v26, 3, v2
	s_mov_b32 s0, 14
	s_mov_b64 s[88:89], 0
	s_mov_b32 s81, 0x8000
	v_mov_b32_e32 v33, 0x4f800000
	v_mov_b32_e32 v34, 0x5040100
	;; [unrolled: 1-line block ×5, first 2 shown]
	s_mov_b32 s1, 0
	v_mov_b32_e32 v20, s67
	v_writelane_b32 v49, s23, 7
	v_writelane_b32 v50, s2, 63
                                        ; implicit-def: $sgpr14_sgpr15
                                        ; implicit-def: $sgpr2_sgpr3
                                        ; implicit-def: $sgpr70_sgpr71
                                        ; implicit-def: $sgpr72_sgpr73
                                        ; implicit-def: $sgpr68_sgpr69
                                        ; implicit-def: $sgpr74_sgpr75
                                        ; implicit-def: $sgpr60_sgpr61
                                        ; implicit-def: $sgpr90_sgpr91
                                        ; implicit-def: $sgpr36_sgpr37
                                        ; implicit-def: $sgpr16_sgpr17
	v_writelane_b32 v49, s24, 8
	s_branch .LBB174_18
.LBB174_16:                             ;   in Loop: Header=BB174_18 Depth=1
	s_or_b64 exec, exec, s[10:11]
	s_andn2_b64 s[10:11], s[16:17], exec
	s_and_b64 s[8:9], s[8:9], exec
	v_mov_b32_e32 v20, v5
	s_or_b64 s[16:17], s[10:11], s[8:9]
	s_andn2_b64 s[36:37], s[36:37], exec
	s_andn2_b64 s[90:91], s[90:91], exec
	;; [unrolled: 1-line block ×4, first 2 shown]
	s_orn2_b64 s[6:7], s[6:7], exec
	v_mov_b32_e32 v19, v4
.LBB174_17:                             ;   in Loop: Header=BB174_18 Depth=1
	s_or_b64 exec, exec, s[4:5]
	s_and_b64 s[4:5], exec, s[6:7]
	s_or_b64 s[88:89], s[4:5], s[88:89]
	s_andn2_b64 s[4:5], s[68:69], exec
	s_and_b64 s[6:7], s[16:17], exec
	s_or_b64 s[68:69], s[4:5], s[6:7]
	s_andn2_b64 s[4:5], s[72:73], exec
	s_and_b64 s[6:7], s[36:37], exec
	;; [unrolled: 3-line block ×5, first 2 shown]
	s_or_b64 s[14:15], s[4:5], s[6:7]
	s_andn2_b64 exec, exec, s[88:89]
	s_cbranch_execz .LBB174_481
.LBB174_18:                             ; =>This Loop Header: Depth=1
                                        ;     Child Loop BB174_23 Depth 2
                                        ;     Child Loop BB174_37 Depth 2
	;; [unrolled: 1-line block ×25, first 2 shown]
	ds_read_b128 v[4:7], v3 offset:5120
	s_waitcnt lgkmcnt(0)
	v_readfirstlane_b32 s87, v5
	v_readfirstlane_b32 s86, v4
	s_cmp_lg_u64 s[86:87], 0
	s_cbranch_scc1 .LBB174_50
; %bb.19:                               ;   in Loop: Header=BB174_18 Depth=1
	v_readlane_b32 s4, v50, 42
	v_readlane_b32 s5, v50, 43
	s_and_b64 vcc, exec, s[4:5]
	s_cbranch_vccz .LBB174_31
; %bb.20:                               ;   in Loop: Header=BB174_18 Depth=1
	s_mov_b64 s[4:5], 0x601
	v_cmp_gt_u64_e32 vcc, s[4:5], v[6:7]
	s_mov_b64 s[4:5], 0
	s_mov_b64 s[6:7], 0
	s_cbranch_vccz .LBB174_32
; %bb.21:                               ;   in Loop: Header=BB174_18 Depth=1
	v_readlane_b32 s6, v50, 55
	v_readlane_b32 s7, v50, 56
	global_load_ushort v6, v[12:13], off
	v_mov_b32_e32 v5, v1
	s_mov_b64 s[8:9], 0
	v_mov_b32_e32 v4, v0
	s_nop 0
	global_load_ushort v2, v3, s[6:7]
	s_branch .LBB174_23
.LBB174_22:                             ;   in Loop: Header=BB174_23 Depth=2
	s_or_b64 exec, exec, s[6:7]
	s_waitcnt vmcnt(0)
	v_mov_b32_e32 v6, v7
	s_andn2_b64 exec, exec, s[8:9]
	s_cbranch_execz .LBB174_105
.LBB174_23:                             ;   Parent Loop BB174_18 Depth=1
                                        ; =>  This Inner Loop Header: Depth=2
	s_waitcnt vmcnt(0)
	v_add_co_u32_sdwa v4, vcc, v4, v2 dst_sel:DWORD dst_unused:UNUSED_PAD src0_sel:DWORD src1_sel:WORD_0
	v_addc_co_u32_e32 v5, vcc, 0, v5, vcc
	v_cmp_gt_u64_e64 s[6:7], s[64:65], v[4:5]
	v_cmp_le_u64_e32 vcc, s[64:65], v[4:5]
	s_waitcnt lgkmcnt(0)
	v_mov_b32_e32 v8, 0
	v_mov_b32_e32 v7, 0
	s_and_saveexec_b64 s[10:11], s[6:7]
	s_cbranch_execz .LBB174_25
; %bb.24:                               ;   in Loop: Header=BB174_23 Depth=2
	v_mul_lo_u32 v7, v5, s62
	v_mul_lo_u32 v11, v4, s63
	v_mad_u64_u32 v[9:10], s[6:7], v4, s62, 0
	v_add3_u32 v10, v10, v11, v7
	v_lshlrev_b64 v[9:10], 1, v[9:10]
	v_mov_b32_e32 v7, s82
	v_add_co_u32_e64 v9, s[6:7], s33, v9
	v_addc_co_u32_e64 v10, s[6:7], v7, v10, s[6:7]
	global_load_ushort v7, v[9:10], off
.LBB174_25:                             ;   in Loop: Header=BB174_23 Depth=2
	s_or_b64 exec, exec, s[10:11]
	v_add_u32_sdwa v9, sext(v6), s81 dst_sel:DWORD dst_unused:UNUSED_PAD src0_sel:WORD_0 src1_sel:DWORD
	v_and_b32_e32 v9, v9, v35
	v_cmp_eq_u32_e64 s[18:19], v9, v30
	s_cmp_lg_u64 s[18:19], 0
	s_cselect_b64 s[6:7], -1, 0
	s_and_b64 s[6:7], s[94:95], s[6:7]
	s_and_saveexec_b64 s[10:11], s[6:7]
	s_cbranch_execz .LBB174_29
; %bb.26:                               ;   in Loop: Header=BB174_23 Depth=2
	s_mov_b64 s[20:21], exec
	v_mbcnt_lo_u32_b32 v8, s20, 0
	v_mbcnt_hi_u32_b32 v8, s21, v8
	s_bcnt1_i32_b64 s22, s[18:19]
	v_cmp_eq_u32_e64 s[6:7], 0, v8
                                        ; implicit-def: $vgpr9
	s_and_saveexec_b64 s[12:13], s[6:7]
; %bb.27:                               ;   in Loop: Header=BB174_23 Depth=2
	s_bcnt1_i32_b64 s6, s[20:21]
	s_mul_i32 s6, s22, s6
	v_mov_b32_e32 v9, s6
	ds_add_rtn_u32 v9, v3, v9 offset:5144
; %bb.28:                               ;   in Loop: Header=BB174_23 Depth=2
	s_or_b64 exec, exec, s[12:13]
	s_waitcnt lgkmcnt(0)
	v_readfirstlane_b32 s6, v9
	v_mov_b32_e32 v9, s6
	v_mad_u32_u24 v8, s22, v8, v9
.LBB174_29:                             ;   in Loop: Header=BB174_23 Depth=2
	s_or_b64 exec, exec, s[10:11]
	ds_bpermute_b32 v8, v23, v8
	s_and_b64 s[6:7], exec, vcc
	s_or_b64 s[8:9], s[6:7], s[8:9]
	s_and_saveexec_b64 s[6:7], s[18:19]
	s_cbranch_execz .LBB174_22
; %bb.30:                               ;   in Loop: Header=BB174_23 Depth=2
	v_and_b32_e32 v10, s18, v25
	v_and_b32_e32 v9, s19, v24
	v_bcnt_u32_b32 v10, v10, 0
	v_bcnt_u32_b32 v9, v9, v10
	v_lshlrev_b32_e32 v9, 1, v9
	s_waitcnt lgkmcnt(0)
	v_lshl_add_u32 v8, v8, 1, v9
	ds_write_b16 v8, v6
	s_branch .LBB174_22
.LBB174_31:                             ;   in Loop: Header=BB174_18 Depth=1
	s_mov_b64 s[4:5], -1
	s_mov_b64 s[6:7], 0
.LBB174_32:                             ;   in Loop: Header=BB174_18 Depth=1
	s_and_b64 vcc, exec, s[4:5]
	s_cbranch_vccz .LBB174_48
.LBB174_33:                             ;   in Loop: Header=BB174_18 Depth=1
	s_mov_b64 s[4:5], exec
	v_readlane_b32 s6, v50, 44
	v_readlane_b32 s7, v50, 45
	s_and_b64 s[6:7], s[4:5], s[6:7]
	s_mov_b64 exec, s[6:7]
	s_cbranch_execz .LBB174_45
; %bb.34:                               ;   in Loop: Header=BB174_18 Depth=1
	v_readlane_b32 s6, v50, 55
	v_readlane_b32 s7, v50, 56
	s_nop 4
	global_load_ushort v2, v3, s[6:7]
	global_load_ushort v10, v[12:13], off
	v_mov_b32_e32 v4, v0
	s_waitcnt vmcnt(1)
	v_readfirstlane_b32 s6, v2
	v_add_u32_sdwa v2, v2, v0 dst_sel:DWORD dst_unused:UNUSED_PAD src0_sel:WORD_0 src1_sel:DWORD
	v_cmp_gt_u64_e32 vcc, s[64:65], v[2:3]
	s_and_saveexec_b64 s[8:9], vcc
	s_cbranch_execz .LBB174_44
; %bb.35:                               ;   in Loop: Header=BB174_18 Depth=1
	s_and_b32 s18, s6, 0xffff
	s_cmp_eq_u32 s18, 1
	v_readlane_b32 s10, v50, 57
                                        ; implicit-def: $vgpr4_vgpr5
	s_cselect_b64 s[6:7], -1, 0
	v_readlane_b32 s11, v50, 58
	v_mov_b32_e32 v6, v1
	v_mov_b32_e32 v8, v3
	s_and_b64 s[10:11], s[10:11], s[6:7]
	s_mov_b64 s[12:13], -1
	v_mov_b32_e32 v5, v0
	v_mov_b32_e32 v7, v2
	s_and_saveexec_b64 s[6:7], s[10:11]
	s_cbranch_execz .LBB174_39
; %bb.36:                               ;   in Loop: Header=BB174_18 Depth=1
	v_add_co_u32_e32 v4, vcc, 1, v2
	v_addc_co_u32_e64 v5, s[10:11], 0, 0, vcc
	v_mov_b32_e32 v8, v16
	v_mov_b32_e32 v7, v5
	s_waitcnt vmcnt(0)
	v_lshlrev_b32_e32 v21, 16, v10
	s_mov_b64 s[10:11], 0
	v_mov_b32_e32 v9, v17
	v_mov_b32_e32 v11, v27
	;; [unrolled: 1-line block ×5, first 2 shown]
.LBB174_37:                             ;   Parent Loop BB174_18 Depth=1
                                        ; =>  This Inner Loop Header: Depth=2
	v_mul_lo_u32 v41, v5, s23
	v_mul_lo_u32 v42, v4, s24
	v_mad_u64_u32 v[39:40], s[12:13], v4, s23, 0
	v_mul_lo_u32 v10, v7, s62
	v_mul_lo_u32 v22, v6, s63
	v_mad_u64_u32 v[37:38], s[12:13], v6, s62, 0
	v_add3_u32 v40, v40, v42, v41
	v_lshlrev_b64 v[39:40], 1, v[39:40]
	v_add3_u32 v38, v38, v22, v10
	v_mov_b32_e32 v43, s82
	v_lshlrev_b64 v[37:38], 1, v[37:38]
	v_add_co_u32_e32 v39, vcc, s33, v39
	v_addc_co_u32_e32 v40, vcc, v43, v40, vcc
	v_add_co_u32_e32 v37, vcc, s33, v37
	v_addc_co_u32_e32 v38, vcc, v43, v38, vcc
	global_load_ushort v22, v[39:40], off
	global_load_ushort v10, v[37:38], off
	v_add_co_u32_e32 v6, vcc, 2, v6
	v_addc_co_u32_e32 v7, vcc, 0, v7, vcc
	v_add_co_u32_e32 v4, vcc, 2, v4
	v_addc_co_u32_e32 v5, vcc, 0, v5, vcc
	v_add_co_u32_e32 v8, vcc, -2, v8
	v_addc_co_u32_e32 v9, vcc, -1, v9, vcc
	s_mov_b32 s12, 0x5040100
	v_cmp_eq_u64_e32 vcc, 0, v[8:9]
	s_or_b64 s[10:11], vcc, s[10:11]
	s_waitcnt vmcnt(1)
	v_alignbit_b32 v21, v22, v21, 16
	s_waitcnt vmcnt(0)
	v_perm_b32 v37, v10, v22, s12
	ds_write_b32 v11, v21
	v_add_u32_e32 v11, 4, v11
	v_mov_b32_e32 v21, v37
	s_andn2_b64 exec, exec, s[10:11]
	s_cbranch_execnz .LBB174_37
; %bb.38:                               ;   in Loop: Header=BB174_18 Depth=1
	s_or_b64 exec, exec, s[10:11]
	v_readlane_b32 s10, v50, 59
	v_add_co_u32_e32 v7, vcc, v2, v16
	v_readlane_b32 s11, v50, 60
	v_addc_co_u32_e32 v8, vcc, 0, v17, vcc
	v_add_co_u32_e32 v4, vcc, -1, v7
	s_orn2_b64 s[12:13], s[10:11], exec
	v_mov_b32_e32 v5, v18
	v_mov_b32_e32 v6, v19
.LBB174_39:                             ;   in Loop: Header=BB174_18 Depth=1
	s_or_b64 exec, exec, s[6:7]
	s_and_saveexec_b64 s[10:11], s[12:13]
	s_cbranch_execz .LBB174_43
; %bb.40:                               ;   in Loop: Header=BB174_18 Depth=1
	s_mov_b64 s[12:13], 0
	s_sub_u32 s19, 0, s18
.LBB174_41:                             ;   Parent Loop BB174_18 Depth=1
                                        ; =>  This Inner Loop Header: Depth=2
	v_mul_lo_u32 v2, v8, s62
	v_mul_lo_u32 v4, v7, s63
	v_mad_u64_u32 v[21:22], s[6:7], v7, s62, 0
	v_mov_b32_e32 v6, s82
	v_add3_u32 v22, v22, v4, v2
	v_lshlrev_b64 v[21:22], 1, v[21:22]
	v_lshlrev_b32_e32 v4, 1, v5
	v_add_co_u32_e32 v21, vcc, s33, v21
	v_addc_co_u32_e32 v22, vcc, v6, v22, vcc
	global_load_ushort v2, v[21:22], off
	v_mov_b32_e32 v5, v7
	v_mov_b32_e32 v6, v8
	v_add_co_u32_e32 v7, vcc, s18, v7
	v_addc_co_u32_e32 v8, vcc, 0, v8, vcc
	v_cmp_le_u64_e32 vcc, s[64:65], v[7:8]
	s_waitcnt vmcnt(1)
	ds_write_b16 v4, v10
	v_add_co_u32_e64 v4, s[6:7], s19, v7
	s_or_b64 s[12:13], vcc, s[12:13]
	s_waitcnt vmcnt(0)
	v_mov_b32_e32 v10, v2
	s_andn2_b64 exec, exec, s[12:13]
	s_cbranch_execnz .LBB174_41
; %bb.42:                               ;   in Loop: Header=BB174_18 Depth=1
	s_or_b64 exec, exec, s[12:13]
	v_mov_b32_e32 v10, v2
.LBB174_43:                             ;   in Loop: Header=BB174_18 Depth=1
	s_or_b64 exec, exec, s[10:11]
.LBB174_44:                             ;   in Loop: Header=BB174_18 Depth=1
	s_or_b64 exec, exec, s[8:9]
	v_lshlrev_b32_e32 v2, 1, v4
	s_waitcnt vmcnt(0)
	ds_write_b16 v2, v10
.LBB174_45:                             ;   in Loop: Header=BB174_18 Depth=1
	s_or_b64 exec, exec, s[4:5]
	s_waitcnt lgkmcnt(0)
	s_barrier
	s_mov_b64 s[4:5], exec
	v_readlane_b32 s6, v50, 32
	v_readlane_b32 s7, v50, 33
	s_and_b64 s[6:7], s[4:5], s[6:7]
	s_mov_b64 exec, s[6:7]
; %bb.46:                               ;   in Loop: Header=BB174_18 Depth=1
	v_mov_b32_e32 v4, s64
	v_mov_b32_e32 v5, s65
	ds_write_b64 v3, v[4:5] offset:5120
; %bb.47:                               ;   in Loop: Header=BB174_18 Depth=1
	s_or_b64 exec, exec, s[4:5]
	s_mov_b64 s[6:7], -1
	s_waitcnt lgkmcnt(0)
	s_barrier
.LBB174_48:                             ;   in Loop: Header=BB174_18 Depth=1
	s_mov_b64 s[86:87], 0
	s_and_b64 vcc, exec, s[6:7]
	s_cbranch_vccz .LBB174_50
; %bb.49:                               ;   in Loop: Header=BB174_18 Depth=1
	ds_read_b64 v[4:5], v3 offset:5120
	s_waitcnt lgkmcnt(0)
	v_readfirstlane_b32 s86, v4
.LBB174_50:                             ;   in Loop: Header=BB174_18 Depth=1
	s_cmp_lt_i32 s86, 1
	s_mov_b64 s[4:5], -1
                                        ; implicit-def: $vgpr4_vgpr5
                                        ; implicit-def: $vgpr8_vgpr9
	s_cbranch_scc1 .LBB174_60
; %bb.51:                               ;   in Loop: Header=BB174_18 Depth=1
	s_and_b64 vcc, exec, s[4:5]
	s_cbranch_vccnz .LBB174_74
.LBB174_52:                             ;   in Loop: Header=BB174_18 Depth=1
	s_lshl_b32 s6, s1, 6
	s_and_saveexec_b64 s[4:5], s[94:95]
	s_cbranch_execz .LBB174_54
.LBB174_53:                             ;   in Loop: Header=BB174_18 Depth=1
	v_lshl_add_u32 v2, s6, 3, v29
	ds_write_b128 v2, v[4:7]
	ds_write_b128 v2, v[8:11] offset:16
.LBB174_54:                             ;   in Loop: Header=BB174_18 Depth=1
	s_or_b64 exec, exec, s[4:5]
	s_waitcnt lgkmcnt(0)
	s_barrier
	s_mov_b64 s[4:5], exec
	v_readlane_b32 s8, v50, 40
	v_readlane_b32 s9, v50, 41
	s_and_b64 s[8:9], s[4:5], s[8:9]
	s_mov_b64 exec, s[8:9]
	s_cbranch_execz .LBB174_89
; %bb.55:                               ;   in Loop: Header=BB174_18 Depth=1
	v_readlane_b32 s8, v50, 48
	v_mov_b32_e32 v4, 0
	v_readlane_b32 s9, v50, 49
	v_mov_b32_e32 v5, 0
	s_andn2_b64 vcc, exec, s[8:9]
	s_cbranch_vccnz .LBB174_88
; %bb.56:                               ;   in Loop: Header=BB174_18 Depth=1
	v_readlane_b32 s8, v50, 61
	v_readlane_b32 s9, v50, 62
	s_andn2_b64 vcc, exec, s[8:9]
	s_cbranch_vccnz .LBB174_84
; %bb.57:                               ;   in Loop: Header=BB174_18 Depth=1
	v_mov_b32_e32 v4, 0
	v_lshl_add_u32 v2, s1, 9, v32
	v_mov_b32_e32 v5, 0
	s_mov_b32 s7, 0
.LBB174_58:                             ;   Parent Loop BB174_18 Depth=1
                                        ; =>  This Inner Loop Header: Depth=2
	ds_read2_b64 v[6:9], v2 offset1:4
	ds_read2_b64 v[37:40], v2 offset0:8 offset1:12
	ds_read2_b64 v[41:44], v2 offset0:16 offset1:20
	;; [unrolled: 1-line block ×3, first 2 shown]
	s_add_i32 s7, s7, 8
	s_waitcnt lgkmcnt(3)
	v_add_co_u32_e32 v4, vcc, v6, v4
	v_addc_co_u32_e32 v5, vcc, v7, v5, vcc
	v_add_co_u32_e32 v4, vcc, v8, v4
	v_addc_co_u32_e32 v5, vcc, v9, v5, vcc
	s_waitcnt lgkmcnt(2)
	v_add_co_u32_e32 v4, vcc, v37, v4
	v_addc_co_u32_e32 v5, vcc, v38, v5, vcc
	v_add_co_u32_e32 v4, vcc, v39, v4
	v_addc_co_u32_e32 v5, vcc, v40, v5, vcc
	;; [unrolled: 5-line block ×3, first 2 shown]
	s_waitcnt lgkmcnt(0)
	v_add_co_u32_e32 v4, vcc, v45, v4
	v_addc_co_u32_e32 v5, vcc, v46, v5, vcc
	v_add_co_u32_e32 v4, vcc, v47, v4
	v_add_u32_e32 v2, 0x100, v2
	s_cmp_eq_u32 s80, s7
	v_addc_co_u32_e32 v5, vcc, v48, v5, vcc
	s_cbranch_scc0 .LBB174_58
; %bb.59:                               ;   in Loop: Header=BB174_18 Depth=1
	s_mov_b32 s7, s80
	s_branch .LBB174_85
.LBB174_60:                             ;   in Loop: Header=BB174_18 Depth=1
	v_readlane_b32 s4, v50, 55
	v_readlane_b32 s5, v50, 56
	s_nop 4
	global_load_ushort v2, v3, s[4:5]
	s_mov_b32 s4, s93
	s_waitcnt vmcnt(0)
	v_readfirstlane_b32 s5, v2
	s_and_b32 s5, 0xffff, s5
	s_lshl_b32 s76, s5, 2
	s_mov_b32 s5, s65
	s_cmp_lg_u64 s[4:5], 0
	s_cbranch_scc0 .LBB174_83
; %bb.61:                               ;   in Loop: Header=BB174_18 Depth=1
	v_cvt_f32_u32_e32 v4, s76
	s_sub_u32 s6, 0, s76
	s_subb_u32 s7, 0, 0
	v_mac_f32_e32 v4, 0, v33
	v_rcp_f32_e32 v4, v4
	v_mul_f32_e32 v4, 0x5f7ffffc, v4
	v_mul_f32_e32 v5, 0x2f800000, v4
	v_trunc_f32_e32 v5, v5
	v_mac_f32_e32 v4, 0xcf800000, v5
	v_cvt_u32_f32_e32 v5, v5
	v_cvt_u32_f32_e32 v4, v4
	v_readfirstlane_b32 s8, v5
	v_readfirstlane_b32 s4, v4
	s_mul_i32 s5, s6, s8
	s_mul_hi_u32 s10, s6, s4
	s_mul_i32 s9, s7, s4
	s_add_i32 s5, s10, s5
	s_mul_i32 s11, s6, s4
	s_add_i32 s5, s5, s9
	s_mul_hi_u32 s10, s4, s11
	s_mul_i32 s12, s4, s5
	s_mul_hi_u32 s9, s4, s5
	s_add_u32 s10, s10, s12
	s_addc_u32 s9, 0, s9
	s_mul_hi_u32 s13, s8, s11
	s_mul_i32 s11, s8, s11
	s_add_u32 s10, s10, s11
	s_mul_hi_u32 s12, s8, s5
	s_addc_u32 s9, s9, s13
	s_addc_u32 s10, s12, 0
	s_mul_i32 s5, s8, s5
	s_add_u32 s5, s9, s5
	s_addc_u32 s9, 0, s10
	s_add_u32 s10, s4, s5
	s_cselect_b64 s[4:5], -1, 0
	s_cmp_lg_u64 s[4:5], 0
	s_addc_u32 s8, s8, s9
	s_mul_i32 s4, s6, s8
	s_mul_hi_u32 s5, s6, s10
	s_add_i32 s4, s5, s4
	s_mul_i32 s7, s7, s10
	s_add_i32 s4, s4, s7
	s_mul_i32 s6, s6, s10
	s_mul_hi_u32 s7, s8, s6
	s_mul_i32 s9, s8, s6
	s_mul_i32 s12, s10, s4
	s_mul_hi_u32 s6, s10, s6
	s_mul_hi_u32 s11, s10, s4
	s_add_u32 s6, s6, s12
	s_addc_u32 s11, 0, s11
	s_add_u32 s6, s6, s9
	s_mul_hi_u32 s5, s8, s4
	s_addc_u32 s6, s11, s7
	s_addc_u32 s5, s5, 0
	s_mul_i32 s4, s8, s4
	s_add_u32 s4, s6, s4
	s_addc_u32 s6, 0, s5
	s_add_u32 s7, s10, s4
	s_cselect_b64 s[4:5], -1, 0
	s_cmp_lg_u64 s[4:5], 0
	s_addc_u32 s4, s8, s6
	s_mul_i32 s6, s64, s4
	s_mul_hi_u32 s8, s64, s7
	s_mul_hi_u32 s5, s64, s4
	s_add_u32 s6, s8, s6
	s_addc_u32 s5, 0, s5
	s_mul_hi_u32 s9, s65, s7
	s_mul_i32 s7, s65, s7
	s_add_u32 s6, s6, s7
	s_mul_hi_u32 s8, s65, s4
	s_addc_u32 s5, s5, s9
	s_addc_u32 s6, s8, 0
	s_mul_i32 s4, s65, s4
	s_add_u32 s4, s5, s4
	s_addc_u32 s5, 0, s6
	s_mul_i32 s5, s76, s5
	s_mul_hi_u32 s6, s76, s4
	s_add_i32 s6, s6, s5
	s_mul_i32 s4, s76, s4
	s_sub_u32 s7, s64, s4
	s_cselect_b64 s[4:5], -1, 0
	s_cmp_lg_u64 s[4:5], 0
	s_subb_u32 s6, s65, s6
	s_sub_u32 s8, s7, s76
	s_cselect_b64 s[4:5], -1, 0
	s_cmp_lg_u64 s[4:5], 0
	s_subb_u32 s9, s6, 0
	;; [unrolled: 4-line block ×3, first 2 shown]
	s_cmp_ge_u32 s8, s76
	s_cselect_b32 s5, -1, 0
	s_cmp_eq_u32 s9, 0
	s_cselect_b32 s5, s5, -1
	s_cmp_lg_u32 s5, 0
	s_cselect_b32 s4, s4, s9
	s_cselect_b32 s8, s10, s8
	s_cmp_ge_u32 s7, s76
	s_cselect_b32 s5, -1, 0
	s_cmp_eq_u32 s6, 0
	s_cselect_b32 s5, s5, -1
	s_cmp_lg_u32 s5, 0
	s_cselect_b32 s5, s4, s6
	s_cselect_b32 s4, s8, s7
	s_cbranch_execnz .LBB174_63
.LBB174_62:                             ;   in Loop: Header=BB174_18 Depth=1
	v_cvt_f32_u32_e32 v4, s76
	s_sub_i32 s4, 0, s76
	v_rcp_iflag_f32_e32 v4, v4
	v_mul_f32_e32 v4, 0x4f7ffffe, v4
	v_cvt_u32_f32_e32 v4, v4
	v_readfirstlane_b32 s5, v4
	s_mul_i32 s4, s4, s5
	s_mul_hi_u32 s4, s5, s4
	s_add_i32 s5, s5, s4
	s_mul_hi_u32 s4, s64, s5
	s_mul_i32 s4, s4, s76
	s_sub_i32 s4, s64, s4
	s_sub_i32 s5, s4, s76
	s_cmp_ge_u32 s4, s76
	s_cselect_b32 s4, s5, s4
	s_sub_i32 s5, s4, s76
	s_cmp_ge_u32 s4, s76
	s_cselect_b32 s92, s5, s4
	s_mov_b64 s[4:5], s[92:93]
.LBB174_63:                             ;   in Loop: Header=BB174_18 Depth=1
	s_sub_u32 s58, s64, s4
	s_subb_u32 s59, s65, s5
	v_cmp_gt_u64_e32 vcc, s[58:59], v[14:15]
	v_mov_b32_e32 v4, 0
	v_mov_b32_e32 v6, 0
	;; [unrolled: 1-line block ×8, first 2 shown]
	s_and_saveexec_b64 s[8:9], vcc
	s_cbranch_execz .LBB174_67
; %bb.64:                               ;   in Loop: Header=BB174_18 Depth=1
	v_mov_b32_e32 v22, v15
	s_mov_b64 s[10:11], 0
	s_mov_b64 s[84:85], 0
	;; [unrolled: 1-line block ×5, first 2 shown]
	v_mov_b32_e32 v21, v14
.LBB174_65:                             ;   Parent Loop BB174_18 Depth=1
                                        ; =>  This Inner Loop Header: Depth=2
	v_mul_lo_u32 v6, v22, s62
	v_mul_lo_u32 v7, v21, s63
	v_mad_u64_u32 v[4:5], s[4:5], v21, s62, 0
	v_mov_b32_e32 v8, s82
	s_lshl_b64 s[4:5], s[62:63], 1
	v_add3_u32 v5, v5, v7, v6
	v_lshlrev_b64 v[4:5], 1, v[4:5]
	v_mov_b32_e32 v9, s5
	v_add_co_u32_e64 v4, s[6:7], s33, v4
	v_addc_co_u32_e64 v5, s[6:7], v8, v5, s[6:7]
	v_add_co_u32_e64 v6, s[6:7], s4, v4
	v_addc_co_u32_e64 v7, s[6:7], v5, v9, s[6:7]
	global_load_sshort v8, v[4:5], off
	global_load_sshort v10, v[6:7], off
	v_add_co_u32_e64 v4, s[6:7], s4, v6
	v_addc_co_u32_e64 v5, s[6:7], v7, v9, s[6:7]
	global_load_sshort v6, v[4:5], off
	v_add_co_u32_e64 v4, s[6:7], s4, v4
	v_addc_co_u32_e64 v5, s[6:7], v5, v9, s[6:7]
	global_load_sshort v4, v[4:5], off
	v_add_co_u32_e32 v21, vcc, s76, v21
	v_addc_co_u32_e32 v22, vcc, 0, v22, vcc
	v_cmp_le_u64_e32 vcc, s[58:59], v[21:22]
	s_waitcnt vmcnt(3)
	v_add_u32_e32 v5, 0x8000, v8
	s_waitcnt vmcnt(2)
	v_add_u32_e32 v7, 0x8000, v10
	v_and_b32_e32 v8, v5, v35
	v_bfe_u32 v5, v5, s0, 2
	v_cmp_eq_u32_e64 s[18:19], v8, v30
	v_and_b32_e32 v8, v7, v35
	s_waitcnt vmcnt(1)
	v_add_u32_e32 v6, 0x8000, v6
	v_bfe_u32 v7, v7, s0, 2
	v_cmp_eq_u32_e64 s[6:7], 0, v5
	v_cmp_eq_u32_e64 s[38:39], 1, v5
	;; [unrolled: 1-line block ×4, first 2 shown]
	s_waitcnt vmcnt(0)
	v_add_u32_e32 v4, 0x8000, v4
	v_cmp_eq_u32_e64 s[20:21], v8, v30
	v_and_b32_e32 v5, v6, v35
	v_bfe_u32 v6, v6, s0, 2
	v_cmp_eq_u32_e64 s[30:31], 0, v7
	s_and_b64 s[4:5], s[18:19], s[6:7]
	v_cmp_eq_u32_e64 s[42:43], 1, v7
	v_cmp_eq_u32_e64 s[44:45], 2, v7
	;; [unrolled: 1-line block ×3, first 2 shown]
	v_cndmask_b32_e64 v7, 0, 1, s[4:5]
	v_cmp_eq_u32_e64 s[26:27], v5, v30
	v_and_b32_e32 v5, v4, v35
	v_bfe_u32 v4, v4, s0, 2
	v_cmp_eq_u32_e64 s[6:7], 0, v6
	s_and_b64 s[4:5], s[20:21], s[30:31]
	v_cmp_eq_u32_e64 s[46:47], 1, v6
	v_cmp_eq_u32_e64 s[48:49], 2, v6
	;; [unrolled: 1-line block ×3, first 2 shown]
	v_cndmask_b32_e64 v6, 0, 1, s[4:5]
	v_cmp_eq_u32_e64 s[30:31], v5, v30
	v_cmp_eq_u32_e64 s[52:53], 0, v4
	s_and_b64 s[4:5], s[26:27], s[6:7]
	v_cmp_eq_u32_e64 s[54:55], 1, v4
	v_cmp_eq_u32_e64 s[56:57], 2, v4
	v_cmp_eq_u32_e64 s[34:35], 3, v4
	v_cndmask_b32_e64 v4, 0, 1, s[4:5]
	s_and_b64 s[4:5], s[30:31], s[52:53]
	v_cmp_ne_u32_e64 s[50:51], 0, v7
	v_cmp_ne_u32_e64 s[6:7], 0, v4
	v_cndmask_b32_e64 v4, 0, 1, s[4:5]
	s_bcnt1_i32_b64 s77, s[50:51]
	v_cmp_ne_u32_e64 s[50:51], 0, v6
	s_bcnt1_i32_b64 s4, s[6:7]
	v_cmp_ne_u32_e64 s[6:7], 0, v4
	s_bcnt1_i32_b64 s50, s[50:51]
	s_bcnt1_i32_b64 s5, s[6:7]
	s_add_u32 s6, s77, s94
	s_addc_u32 s7, 0, s95
	s_add_u32 s6, s6, s50
	s_addc_u32 s7, s7, 0
	s_add_u32 s4, s6, s4
	s_addc_u32 s6, s7, 0
	s_add_u32 s94, s4, s5
	s_addc_u32 s95, s6, 0
	s_and_b64 s[4:5], s[18:19], s[38:39]
	v_cndmask_b32_e64 v6, 0, 1, s[4:5]
	s_and_b64 s[4:5], s[20:21], s[42:43]
	v_cndmask_b32_e64 v7, 0, 1, s[4:5]
	s_and_b64 s[4:5], s[26:27], s[46:47]
	v_cndmask_b32_e64 v8, 0, 1, s[4:5]
	s_and_b64 s[4:5], s[30:31], s[54:55]
	v_cndmask_b32_e64 v9, 0, 1, s[4:5]
	v_cmp_ne_u32_e64 s[6:7], 0, v6
	v_cmp_ne_u32_e64 s[38:39], 0, v7
	v_cmp_ne_u32_e64 s[42:43], 0, v8
	v_cmp_ne_u32_e64 s[46:47], 0, v9
	s_bcnt1_i32_b64 s4, s[6:7]
	s_bcnt1_i32_b64 s5, s[38:39]
	s_bcnt1_i32_b64 s6, s[42:43]
	s_bcnt1_i32_b64 s7, s[46:47]
	s_add_u32 s4, s4, s12
	s_addc_u32 s12, 0, s13
	s_add_u32 s4, s4, s5
	s_addc_u32 s5, s12, 0
	s_add_u32 s4, s4, s6
	s_addc_u32 s5, s5, 0
	s_add_u32 s12, s4, s7
	s_addc_u32 s13, s5, 0
	s_and_b64 s[4:5], s[18:19], s[40:41]
	v_cndmask_b32_e64 v8, 0, 1, s[4:5]
	s_and_b64 s[4:5], s[20:21], s[44:45]
	v_cndmask_b32_e64 v9, 0, 1, s[4:5]
	s_and_b64 s[4:5], s[26:27], s[48:49]
	v_cndmask_b32_e64 v10, 0, 1, s[4:5]
	s_and_b64 s[4:5], s[30:31], s[56:57]
	v_cndmask_b32_e64 v11, 0, 1, s[4:5]
	v_cmp_ne_u32_e64 s[6:7], 0, v8
	v_cmp_ne_u32_e64 s[38:39], 0, v9
	v_cmp_ne_u32_e64 s[40:41], 0, v10
	v_cmp_ne_u32_e64 s[42:43], 0, v11
	s_bcnt1_i32_b64 s4, s[6:7]
	s_bcnt1_i32_b64 s5, s[38:39]
	;; [unrolled: 24-line block ×3, first 2 shown]
	s_bcnt1_i32_b64 s6, s[20:21]
	s_bcnt1_i32_b64 s7, s[22:23]
	s_add_u32 s4, s4, s84
	s_addc_u32 s18, 0, s85
	s_add_u32 s4, s4, s5
	s_addc_u32 s5, s18, 0
	;; [unrolled: 2-line block ×3, first 2 shown]
	s_add_u32 s84, s4, s7
	v_mov_b32_e32 v4, s94
	v_mov_b32_e32 v6, s12
	;; [unrolled: 1-line block ×3, first 2 shown]
	s_addc_u32 s85, s5, 0
	v_mov_b32_e32 v10, s84
	v_mov_b32_e32 v5, s95
	;; [unrolled: 1-line block ×4, first 2 shown]
	s_or_b64 s[10:11], vcc, s[10:11]
	v_mov_b32_e32 v11, s85
	s_andn2_b64 exec, exec, s[10:11]
	s_cbranch_execnz .LBB174_65
; %bb.66:                               ;   in Loop: Header=BB174_18 Depth=1
	s_or_b64 exec, exec, s[10:11]
	v_readlane_b32 s94, v49, 3
	v_readlane_b32 s84, v49, 5
	;; [unrolled: 1-line block ×4, first 2 shown]
.LBB174_67:                             ;   in Loop: Header=BB174_18 Depth=1
	s_or_b64 exec, exec, s[8:9]
	v_mov_b32_e32 v22, s59
	v_add_co_u32_e32 v21, vcc, s58, v0
	v_addc_co_u32_e32 v22, vcc, 0, v22, vcc
	v_cmp_gt_u64_e32 vcc, s[64:65], v[21:22]
	s_and_saveexec_b64 s[4:5], vcc
	s_cbranch_execz .LBB174_73
; %bb.68:                               ;   in Loop: Header=BB174_18 Depth=1
	v_mul_lo_u32 v39, v22, s62
	v_mul_lo_u32 v40, v21, s63
	v_mad_u64_u32 v[37:38], s[6:7], v21, s62, 0
	s_mov_b64 s[8:9], 0
	v_add3_u32 v38, v38, v40, v39
	v_lshlrev_b64 v[37:38], 1, v[37:38]
	v_mov_b32_e32 v39, s82
	v_add_co_u32_e32 v37, vcc, s33, v37
	v_addc_co_u32_e32 v38, vcc, v39, v38, vcc
	global_load_ushort v38, v[37:38], off
	s_branch .LBB174_70
.LBB174_69:                             ;   in Loop: Header=BB174_70 Depth=2
	s_or_b64 exec, exec, s[10:11]
	s_waitcnt vmcnt(0)
	v_add_u32_sdwa v38, sext(v38), s81 dst_sel:DWORD dst_unused:UNUSED_PAD src0_sel:WORD_0 src1_sel:DWORD
	s_and_b64 s[6:7], exec, vcc
	v_and_b32_e32 v39, v38, v35
	v_bfe_u32 v38, v38, s0, 2
	s_or_b64 s[8:9], s[6:7], s[8:9]
	v_cmp_eq_u32_e32 vcc, v39, v30
	v_cmp_eq_u32_e64 s[6:7], 0, v38
	s_and_b64 s[6:7], vcc, s[6:7]
	v_cndmask_b32_e64 v39, 0, 1, s[6:7]
	v_cmp_ne_u32_e64 s[6:7], 0, v39
	s_bcnt1_i32_b64 s6, s[6:7]
	v_add_co_u32_e64 v4, s[6:7], s6, v4
	v_addc_co_u32_e64 v5, s[6:7], 0, v5, s[6:7]
	v_cmp_eq_u32_e64 s[6:7], 1, v38
	s_and_b64 s[6:7], vcc, s[6:7]
	v_cndmask_b32_e64 v39, 0, 1, s[6:7]
	v_cmp_ne_u32_e64 s[6:7], 0, v39
	s_bcnt1_i32_b64 s6, s[6:7]
	v_add_co_u32_e64 v6, s[6:7], s6, v6
	v_addc_co_u32_e64 v7, s[6:7], 0, v7, s[6:7]
	;; [unrolled: 7-line block ×3, first 2 shown]
	v_cmp_eq_u32_e64 s[6:7], 3, v38
	s_and_b64 s[6:7], vcc, s[6:7]
	v_cndmask_b32_e64 v38, 0, 1, s[6:7]
	v_cmp_ne_u32_e32 vcc, 0, v38
	s_bcnt1_i32_b64 s6, vcc
	v_add_co_u32_e32 v10, vcc, s6, v10
	v_addc_co_u32_e32 v11, vcc, 0, v11, vcc
	v_mov_b32_e32 v38, v37
	s_andn2_b64 exec, exec, s[8:9]
	s_cbranch_execz .LBB174_72
.LBB174_70:                             ;   Parent Loop BB174_18 Depth=1
                                        ; =>  This Inner Loop Header: Depth=2
	v_add_co_u32_sdwa v21, vcc, v21, v2 dst_sel:DWORD dst_unused:UNUSED_PAD src0_sel:DWORD src1_sel:WORD_0
	v_addc_co_u32_e32 v22, vcc, 0, v22, vcc
	v_cmp_gt_u64_e64 s[6:7], s[64:65], v[21:22]
	v_cmp_le_u64_e32 vcc, s[64:65], v[21:22]
	v_mov_b32_e32 v37, 0
	s_and_saveexec_b64 s[10:11], s[6:7]
	s_cbranch_execz .LBB174_69
; %bb.71:                               ;   in Loop: Header=BB174_70 Depth=2
	v_mul_lo_u32 v37, v22, s62
	v_mul_lo_u32 v41, v21, s63
	v_mad_u64_u32 v[39:40], s[6:7], v21, s62, 0
	v_add3_u32 v40, v40, v41, v37
	v_lshlrev_b64 v[39:40], 1, v[39:40]
	v_mov_b32_e32 v37, s82
	v_add_co_u32_e64 v39, s[6:7], s33, v39
	v_addc_co_u32_e64 v40, s[6:7], v37, v40, s[6:7]
	global_load_ushort v37, v[39:40], off
	s_branch .LBB174_69
.LBB174_72:                             ;   in Loop: Header=BB174_18 Depth=1
	s_or_b64 exec, exec, s[8:9]
.LBB174_73:                             ;   in Loop: Header=BB174_18 Depth=1
	s_or_b64 exec, exec, s[4:5]
	s_branch .LBB174_52
.LBB174_74:                             ;   in Loop: Header=BB174_18 Depth=1
	v_readlane_b32 s4, v50, 55
	v_readlane_b32 s5, v50, 56
	v_mov_b32_e32 v8, 0
	v_mov_b32_e32 v9, 0
	s_nop 2
	global_load_ushort v2, v3, s[4:5]
	s_waitcnt vmcnt(0)
	v_readfirstlane_b32 s4, v2
	s_and_b32 s87, 0xffff, s4
	s_lshl_b32 s92, s87, 2
	v_cvt_f32_u32_e32 v4, s92
	s_sub_i32 s4, 0, s92
	v_rcp_iflag_f32_e32 v6, v4
	v_mov_b32_e32 v4, 0
	v_mov_b32_e32 v5, 0
	v_mul_f32_e32 v6, 0x4f7ffffe, v6
	v_cvt_u32_f32_e32 v10, v6
	v_mov_b32_e32 v6, 0
	v_mov_b32_e32 v7, 0
	v_readfirstlane_b32 s5, v10
	s_mul_i32 s4, s4, s5
	s_mul_hi_u32 s4, s5, s4
	s_add_i32 s5, s5, s4
	s_mul_hi_u32 s4, s86, s5
	s_mul_i32 s5, s4, s92
	s_sub_i32 s5, s86, s5
	s_add_i32 s6, s4, 1
	s_sub_i32 s7, s5, s92
	s_cmp_ge_u32 s5, s92
	s_cselect_b32 s4, s6, s4
	s_cselect_b32 s5, s7, s5
	s_add_i32 s6, s4, 1
	s_cmp_ge_u32 s5, s92
	s_cselect_b32 s4, s6, s4
	s_mul_hi_u32 s9, s87, s4
	s_mul_i32 s8, s87, s4
	s_lshl_b64 s[10:11], s[8:9], 2
	v_cmp_gt_u64_e32 vcc, s[10:11], v[14:15]
	v_mov_b32_e32 v10, 0
	v_mov_b32_e32 v11, 0
	s_and_saveexec_b64 s[12:13], vcc
	s_cbranch_execz .LBB174_78
; %bb.75:                               ;   in Loop: Header=BB174_18 Depth=1
	v_mov_b32_e32 v22, v15
	s_lshl_b32 s9, s87, 3
	s_mov_b64 s[78:79], 0
	v_mov_b32_e32 v37, v31
	s_mov_b64 s[84:85], 0
	s_mov_b64 s[94:95], 0
	;; [unrolled: 1-line block ×4, first 2 shown]
	v_mov_b32_e32 v21, v14
.LBB174_76:                             ;   Parent Loop BB174_18 Depth=1
                                        ; =>  This Inner Loop Header: Depth=2
	ds_read_b64 v[4:5], v37
	v_add_co_u32_e32 v21, vcc, s92, v21
	v_addc_co_u32_e32 v22, vcc, 0, v22, vcc
	s_waitcnt lgkmcnt(0)
	v_add_u32_sdwa v6, sext(v4), s81 dst_sel:DWORD dst_unused:UNUSED_PAD src0_sel:WORD_0 src1_sel:DWORD
	v_add_u32_sdwa v4, sext(v4), s81 dst_sel:DWORD dst_unused:UNUSED_PAD src0_sel:WORD_1 src1_sel:DWORD
	v_and_b32_e32 v8, v6, v35
	v_bfe_u32 v6, v6, s0, 2
	v_add_u32_sdwa v7, sext(v5), s81 dst_sel:DWORD dst_unused:UNUSED_PAD src0_sel:WORD_0 src1_sel:DWORD
	v_and_b32_e32 v9, v4, v35
	v_bfe_u32 v4, v4, s0, 2
	v_cmp_eq_u32_e64 s[24:25], v8, v30
	v_cmp_eq_u32_e64 s[6:7], 0, v6
	v_add_u32_sdwa v5, sext(v5), s81 dst_sel:DWORD dst_unused:UNUSED_PAD src0_sel:WORD_1 src1_sel:DWORD
	v_and_b32_e32 v10, v7, v35
	v_bfe_u32 v7, v7, s0, 2
	v_cmp_eq_u32_e64 s[22:23], v9, v30
	v_cmp_eq_u32_e64 s[38:39], 0, v4
	s_and_b64 s[6:7], s[24:25], s[6:7]
	v_and_b32_e32 v11, v5, v35
	v_bfe_u32 v5, v5, s0, 2
	v_cmp_eq_u32_e64 s[20:21], v10, v30
	v_cmp_eq_u32_e64 s[40:41], 0, v7
	;; [unrolled: 1-line block ×5, first 2 shown]
	v_cndmask_b32_e64 v4, 0, 1, s[6:7]
	s_and_b64 s[6:7], s[22:23], s[38:39]
	v_cmp_eq_u32_e64 s[18:19], v11, v30
	v_cmp_eq_u32_e64 s[42:43], 0, v5
	;; [unrolled: 1-line block ×5, first 2 shown]
	v_cndmask_b32_e64 v5, 0, 1, s[6:7]
	s_and_b64 s[6:7], s[20:21], s[40:41]
	v_cmp_eq_u32_e64 s[44:45], 1, v6
	v_cmp_eq_u32_e64 s[52:53], 2, v6
	;; [unrolled: 1-line block ×3, first 2 shown]
	v_cndmask_b32_e64 v6, 0, 1, s[6:7]
	s_and_b64 s[6:7], s[18:19], s[42:43]
	v_cmp_eq_u32_e64 s[48:49], 1, v7
	v_cmp_eq_u32_e64 s[56:57], 2, v7
	;; [unrolled: 1-line block ×3, first 2 shown]
	v_cndmask_b32_e64 v7, 0, 1, s[6:7]
	v_cmp_ne_u32_e64 s[6:7], 0, v4
	v_cmp_ne_u32_e64 s[38:39], 0, v5
	v_cmp_ne_u32_e64 s[40:41], 0, v6
	v_cmp_ne_u32_e64 s[42:43], 0, v7
	s_bcnt1_i32_b64 s6, s[6:7]
	s_bcnt1_i32_b64 s7, s[38:39]
	s_bcnt1_i32_b64 s38, s[40:41]
	s_bcnt1_i32_b64 s39, s[42:43]
	s_add_u32 s6, s6, s76
	s_addc_u32 s40, 0, s77
	s_add_u32 s6, s6, s7
	s_addc_u32 s7, s40, 0
	s_add_u32 s6, s6, s38
	s_addc_u32 s7, s7, 0
	s_add_u32 s76, s6, s39
	s_addc_u32 s77, s7, 0
	s_and_b64 s[6:7], s[24:25], s[44:45]
	v_cndmask_b32_e64 v6, 0, 1, s[6:7]
	s_and_b64 s[6:7], s[22:23], s[46:47]
	v_cndmask_b32_e64 v7, 0, 1, s[6:7]
	s_and_b64 s[6:7], s[20:21], s[48:49]
	v_cndmask_b32_e64 v8, 0, 1, s[6:7]
	s_and_b64 s[6:7], s[18:19], s[50:51]
	v_cndmask_b32_e64 v9, 0, 1, s[6:7]
	v_cmp_ne_u32_e64 s[6:7], 0, v6
	v_cmp_ne_u32_e64 s[38:39], 0, v7
	v_cmp_ne_u32_e64 s[40:41], 0, v8
	v_cmp_ne_u32_e64 s[42:43], 0, v9
	s_bcnt1_i32_b64 s6, s[6:7]
	s_bcnt1_i32_b64 s7, s[38:39]
	s_bcnt1_i32_b64 s38, s[40:41]
	s_bcnt1_i32_b64 s39, s[42:43]
	s_add_u32 s4, s6, s4
	s_addc_u32 s5, 0, s5
	s_add_u32 s4, s4, s7
	s_addc_u32 s5, s5, 0
	s_add_u32 s4, s4, s38
	s_addc_u32 s5, s5, 0
	s_add_u32 s4, s4, s39
	s_addc_u32 s5, s5, 0
	s_and_b64 s[6:7], s[24:25], s[52:53]
	v_cndmask_b32_e64 v8, 0, 1, s[6:7]
	s_and_b64 s[6:7], s[22:23], s[54:55]
	v_cndmask_b32_e64 v9, 0, 1, s[6:7]
	s_and_b64 s[6:7], s[20:21], s[56:57]
	v_cndmask_b32_e64 v10, 0, 1, s[6:7]
	s_and_b64 s[6:7], s[18:19], s[58:59]
	;; [unrolled: 24-line block ×3, first 2 shown]
	v_cndmask_b32_e64 v39, 0, 1, s[6:7]
	v_cmp_ne_u32_e64 s[6:7], 0, v10
	v_cmp_ne_u32_e64 s[18:19], 0, v11
	;; [unrolled: 1-line block ×4, first 2 shown]
	s_bcnt1_i32_b64 s6, s[6:7]
	s_bcnt1_i32_b64 s7, s[18:19]
	;; [unrolled: 1-line block ×4, first 2 shown]
	s_add_u32 s6, s6, s84
	s_addc_u32 s20, 0, s85
	s_add_u32 s6, s6, s7
	s_addc_u32 s7, s20, 0
	s_add_u32 s6, s6, s18
	s_addc_u32 s7, s7, 0
	v_cmp_le_u64_e32 vcc, s[10:11], v[21:22]
	s_add_u32 s84, s6, s19
	v_mov_b32_e32 v4, s76
	v_mov_b32_e32 v7, s5
	;; [unrolled: 1-line block ×3, first 2 shown]
	s_addc_u32 s85, s7, 0
	v_mov_b32_e32 v10, s84
	v_add_u32_e32 v37, s9, v37
	v_mov_b32_e32 v5, s77
	v_mov_b32_e32 v6, s4
	;; [unrolled: 1-line block ×3, first 2 shown]
	s_or_b64 s[78:79], vcc, s[78:79]
	v_mov_b32_e32 v11, s85
	s_andn2_b64 exec, exec, s[78:79]
	s_cbranch_execnz .LBB174_76
; %bb.77:                               ;   in Loop: Header=BB174_18 Depth=1
	s_or_b64 exec, exec, s[78:79]
	v_readlane_b32 s94, v49, 3
	v_readlane_b32 s84, v49, 5
	;; [unrolled: 1-line block ×4, first 2 shown]
.LBB174_78:                             ;   in Loop: Header=BB174_18 Depth=1
	s_or_b64 exec, exec, s[12:13]
	v_mov_b32_e32 v22, s11
	v_add_co_u32_e32 v21, vcc, s10, v0
	s_and_b32 s92, s86, 0x7fffffff
	v_addc_co_u32_e32 v22, vcc, 0, v22, vcc
	v_cmp_gt_u64_e32 vcc, s[92:93], v[21:22]
	s_and_saveexec_b64 s[4:5], vcc
	s_cbranch_execz .LBB174_82
; %bb.79:                               ;   in Loop: Header=BB174_18 Depth=1
	v_lshl_add_u32 v37, s8, 3, v27
	s_lshl_b32 s10, s87, 1
	s_mov_b64 s[8:9], 0
.LBB174_80:                             ;   Parent Loop BB174_18 Depth=1
                                        ; =>  This Inner Loop Header: Depth=2
	ds_read_i16 v38, v37
	v_add_co_u32_sdwa v21, vcc, v21, v2 dst_sel:DWORD dst_unused:UNUSED_PAD src0_sel:DWORD src1_sel:WORD_0
	v_addc_co_u32_e32 v22, vcc, 0, v22, vcc
	s_waitcnt lgkmcnt(0)
	v_add_u32_e32 v38, 0x8000, v38
	v_and_b32_e32 v39, v38, v35
	v_bfe_u32 v38, v38, s0, 2
	v_cmp_eq_u32_e64 s[6:7], v39, v30
	v_cmp_eq_u32_e64 s[18:19], 0, v38
	;; [unrolled: 1-line block ×3, first 2 shown]
	s_and_b64 s[12:13], s[6:7], s[18:19]
	v_cmp_eq_u32_e64 s[22:23], 2, v38
	v_cmp_eq_u32_e64 s[24:25], 3, v38
	v_cndmask_b32_e64 v38, 0, 1, s[12:13]
	s_and_b64 s[12:13], s[6:7], s[20:21]
	v_cndmask_b32_e64 v39, 0, 1, s[12:13]
	s_and_b64 s[12:13], s[6:7], s[22:23]
	s_and_b64 s[6:7], s[6:7], s[24:25]
	v_cndmask_b32_e64 v40, 0, 1, s[12:13]
	v_cndmask_b32_e64 v41, 0, 1, s[6:7]
	v_cmp_le_u64_e32 vcc, s[92:93], v[21:22]
	v_cmp_ne_u32_e64 s[6:7], 0, v38
	v_cmp_ne_u32_e64 s[18:19], 0, v39
	;; [unrolled: 1-line block ×4, first 2 shown]
	s_bcnt1_i32_b64 s6, s[6:7]
	s_bcnt1_i32_b64 s7, s[18:19]
	;; [unrolled: 1-line block ×4, first 2 shown]
	s_or_b64 s[8:9], vcc, s[8:9]
	v_add_co_u32_e32 v4, vcc, s6, v4
	v_addc_co_u32_e32 v5, vcc, 0, v5, vcc
	v_add_co_u32_e32 v6, vcc, s7, v6
	v_addc_co_u32_e32 v7, vcc, 0, v7, vcc
	;; [unrolled: 2-line block ×3, first 2 shown]
	v_add_co_u32_e32 v10, vcc, s12, v10
	v_add_u32_e32 v37, s10, v37
	v_addc_co_u32_e32 v11, vcc, 0, v11, vcc
	s_andn2_b64 exec, exec, s[8:9]
	s_cbranch_execnz .LBB174_80
; %bb.81:                               ;   in Loop: Header=BB174_18 Depth=1
	s_or_b64 exec, exec, s[8:9]
.LBB174_82:                             ;   in Loop: Header=BB174_18 Depth=1
	s_or_b64 exec, exec, s[4:5]
	s_lshl_b32 s6, s1, 6
	s_and_saveexec_b64 s[4:5], s[94:95]
	s_cbranch_execnz .LBB174_53
	s_branch .LBB174_54
.LBB174_83:                             ;   in Loop: Header=BB174_18 Depth=1
                                        ; implicit-def: $sgpr4_sgpr5
	s_branch .LBB174_62
.LBB174_84:                             ;   in Loop: Header=BB174_18 Depth=1
	v_mov_b32_e32 v4, 0
	v_mov_b32_e32 v5, 0
	s_mov_b32 s7, 0
.LBB174_85:                             ;   in Loop: Header=BB174_18 Depth=1
	v_readlane_b32 s8, v49, 0
	v_readlane_b32 s9, v49, 1
	s_andn2_b64 vcc, exec, s[8:9]
	s_cbranch_vccnz .LBB174_88
; %bb.86:                               ;   in Loop: Header=BB174_18 Depth=1
	s_lshl_b32 s8, s1, 9
	s_lshl_b32 s7, s7, 5
	s_add_i32 s8, s8, s7
	v_add_u32_e32 v2, s8, v32
	v_readlane_b32 s7, v50, 63
.LBB174_87:                             ;   Parent Loop BB174_18 Depth=1
                                        ; =>  This Inner Loop Header: Depth=2
	ds_read_b64 v[6:7], v2
	s_add_i32 s7, s7, -1
	v_add_u32_e32 v2, 32, v2
	s_cmp_lg_u32 s7, 0
	s_waitcnt lgkmcnt(0)
	v_add_co_u32_e32 v4, vcc, v6, v4
	v_addc_co_u32_e32 v5, vcc, v7, v5, vcc
	s_cbranch_scc1 .LBB174_87
.LBB174_88:                             ;   in Loop: Header=BB174_18 Depth=1
	v_add_lshl_u32 v2, s6, v26, 3
	ds_write_b64 v2, v[4:5] offset:3072
.LBB174_89:                             ;   in Loop: Header=BB174_18 Depth=1
	s_or_b64 exec, exec, s[4:5]
	s_lshl_b32 s4, s6, 3
	v_mov_b32_e32 v2, s4
	s_waitcnt lgkmcnt(0)
	s_barrier
	ds_read_b128 v[4:7], v2 offset:3072
	ds_read_b128 v[8:11], v2 offset:3088
	s_lshl_b32 s86, 3, s0
	v_cmp_eq_u64_e64 s[18:19], 1, v[19:20]
	s_not_b32 s87, s86
	s_waitcnt lgkmcnt(1)
	v_readfirstlane_b32 s21, v5
	v_readfirstlane_b32 s20, v4
	;; [unrolled: 1-line block ×4, first 2 shown]
	s_waitcnt lgkmcnt(0)
	v_readfirstlane_b32 s27, v9
	v_readfirstlane_b32 s26, v8
	;; [unrolled: 1-line block ×4, first 2 shown]
	s_mov_b64 s[42:43], -1
	s_mov_b64 s[22:23], 0
	s_andn2_b64 vcc, exec, s[84:85]
	s_mov_b64 s[34:35], 0
	s_mov_b64 s[30:31], 0
                                        ; implicit-def: $sgpr38_sgpr39
                                        ; implicit-def: $sgpr40_sgpr41
                                        ; implicit-def: $vgpr4_vgpr5
                                        ; implicit-def: $vgpr2
                                        ; implicit-def: $vgpr9
                                        ; implicit-def: $vgpr8
                                        ; implicit-def: $vgpr10
	s_cbranch_vccnz .LBB174_284
; %bb.90:                               ;   in Loop: Header=BB174_18 Depth=1
	s_cmp_eq_u64 s[20:21], 1
	s_cselect_b64 s[4:5], -1, 0
	s_and_b64 s[6:7], s[4:5], s[18:19]
	s_mov_b64 s[4:5], -1
	v_mov_b32_e32 v9, v30
	v_mov_b32_e32 v8, v35
	;; [unrolled: 1-line block ×3, first 2 shown]
                                        ; implicit-def: $sgpr40_sgpr41
                                        ; implicit-def: $sgpr38_sgpr39
	s_and_saveexec_b64 s[30:31], s[6:7]
	s_cbranch_execz .LBB174_125
; %bb.91:                               ;   in Loop: Header=BB174_18 Depth=1
	ds_read_b64 v[4:5], v3 offset:5120
	s_waitcnt lgkmcnt(0)
	s_barrier
	v_readfirstlane_b32 s8, v4
	v_readfirstlane_b32 s9, v5
	s_mov_b64 s[4:5], exec
	v_readlane_b32 s10, v50, 46
	v_readlane_b32 s11, v50, 47
	s_and_b64 s[10:11], s[4:5], s[10:11]
	s_mov_b64 exec, s[10:11]
; %bb.92:                               ;   in Loop: Header=BB174_18 Depth=1
	ds_write_b16 v28, v3
; %bb.93:                               ;   in Loop: Header=BB174_18 Depth=1
	s_or_b64 exec, exec, s[4:5]
	v_and_b32_e32 v9, s87, v30
	v_or_b32_e32 v8, s86, v35
	s_mov_b64 s[38:39], -1
	s_mov_b64 s[40:41], 0
	s_cmp_eq_u64 s[8:9], 0
	s_mov_b64 s[4:5], 0
	s_mov_b64 s[10:11], -1
	s_waitcnt lgkmcnt(0)
	s_barrier
                                        ; implicit-def: $vgpr10
	s_cbranch_scc1 .LBB174_110
; %bb.94:                               ;   in Loop: Header=BB174_18 Depth=1
	v_readlane_b32 s4, v50, 50
	s_add_u32 s34, s8, s4
	v_readlane_b32 s4, v50, 52
	s_addc_u32 s5, s9, s4
	s_mov_b32 s4, s93
	s_cmp_lg_u64 s[4:5], 0
	s_cbranch_scc0 .LBB174_151
; %bb.95:                               ;   in Loop: Header=BB174_18 Depth=1
	v_cvt_f32_u32_e32 v2, s83
	s_sub_u32 s4, 0, s83
	s_subb_u32 s12, 0, 0
	v_mac_f32_e32 v2, 0, v33
	v_rcp_f32_e32 v2, v2
	v_mul_f32_e32 v2, 0x5f7ffffc, v2
	v_mul_f32_e32 v4, 0x2f800000, v2
	v_trunc_f32_e32 v4, v4
	v_mac_f32_e32 v2, 0xcf800000, v4
	v_cvt_u32_f32_e32 v4, v4
	v_cvt_u32_f32_e32 v2, v2
	v_readfirstlane_b32 s13, v4
	v_readfirstlane_b32 s10, v2
	s_mul_i32 s11, s4, s13
	s_mul_hi_u32 s42, s4, s10
	s_mul_i32 s35, s12, s10
	s_add_i32 s11, s42, s11
	s_mul_i32 s43, s4, s10
	s_add_i32 s11, s11, s35
	s_mul_hi_u32 s42, s10, s43
	s_mul_i32 s44, s10, s11
	s_mul_hi_u32 s35, s10, s11
	s_add_u32 s42, s42, s44
	s_addc_u32 s35, 0, s35
	s_mul_hi_u32 s45, s13, s43
	s_mul_i32 s43, s13, s43
	s_add_u32 s42, s42, s43
	s_mul_hi_u32 s44, s13, s11
	s_addc_u32 s35, s35, s45
	s_addc_u32 s42, s44, 0
	s_mul_i32 s11, s13, s11
	s_add_u32 s11, s35, s11
	s_addc_u32 s35, 0, s42
	s_add_u32 s42, s10, s11
	s_cselect_b64 s[10:11], -1, 0
	s_cmp_lg_u64 s[10:11], 0
	s_addc_u32 s13, s13, s35
	s_mul_i32 s10, s4, s13
	s_mul_hi_u32 s11, s4, s42
	s_add_i32 s10, s11, s10
	s_mul_i32 s12, s12, s42
	s_add_i32 s10, s10, s12
	s_mul_i32 s4, s4, s42
	s_mul_hi_u32 s12, s13, s4
	s_mul_i32 s35, s13, s4
	s_mul_i32 s44, s42, s10
	s_mul_hi_u32 s4, s42, s4
	s_mul_hi_u32 s43, s42, s10
	s_add_u32 s4, s4, s44
	s_addc_u32 s43, 0, s43
	s_add_u32 s4, s4, s35
	s_mul_hi_u32 s11, s13, s10
	s_addc_u32 s4, s43, s12
	s_addc_u32 s11, s11, 0
	s_mul_i32 s10, s13, s10
	s_add_u32 s4, s4, s10
	s_addc_u32 s12, 0, s11
	s_add_u32 s4, s42, s4
	s_cselect_b64 s[10:11], -1, 0
	s_cmp_lg_u64 s[10:11], 0
	s_addc_u32 s10, s13, s12
	s_mul_i32 s12, s34, s10
	s_mul_hi_u32 s13, s34, s4
	s_mul_hi_u32 s11, s34, s10
	s_add_u32 s12, s13, s12
	s_addc_u32 s11, 0, s11
	s_mul_hi_u32 s35, s5, s4
	s_mul_i32 s4, s5, s4
	s_add_u32 s4, s12, s4
	s_mul_hi_u32 s13, s5, s10
	s_addc_u32 s4, s11, s35
	s_addc_u32 s11, s13, 0
	s_mul_i32 s10, s5, s10
	s_add_u32 s4, s4, s10
	s_addc_u32 s10, 0, s11
	s_mul_i32 s10, s83, s10
	s_mul_hi_u32 s11, s83, s4
	s_add_i32 s12, s11, s10
	s_mul_i32 s4, s83, s4
	s_sub_u32 s4, s34, s4
	s_cselect_b64 s[10:11], -1, 0
	s_cmp_lg_u64 s[10:11], 0
	s_subb_u32 s12, s5, s12
	s_sub_u32 s13, s4, s83
	s_cselect_b64 s[10:11], -1, 0
	s_cmp_lg_u64 s[10:11], 0
	s_subb_u32 s35, s12, 0
	;; [unrolled: 4-line block ×3, first 2 shown]
	s_cmp_ge_u32 s13, s83
	s_cselect_b32 s11, -1, 0
	s_cmp_eq_u32 s35, 0
	s_cselect_b32 s11, s11, -1
	s_cmp_lg_u32 s11, 0
	s_cselect_b32 s10, s10, s35
	s_cselect_b32 s13, s42, s13
	s_cmp_ge_u32 s4, s83
	s_cselect_b32 s11, -1, 0
	s_cmp_eq_u32 s12, 0
	s_cselect_b32 s11, s11, -1
	s_cmp_lg_u32 s11, 0
	s_cselect_b32 s11, s10, s12
	s_cselect_b32 s10, s13, s4
	s_cbranch_execnz .LBB174_97
.LBB174_96:                             ;   in Loop: Header=BB174_18 Depth=1
	v_cvt_f32_u32_e32 v2, s83
	s_sub_i32 s4, 0, s83
	v_rcp_iflag_f32_e32 v2, v2
	v_mul_f32_e32 v2, 0x4f7ffffe, v2
	v_cvt_u32_f32_e32 v2, v2
	v_readfirstlane_b32 s10, v2
	s_mul_i32 s4, s4, s10
	s_mul_hi_u32 s4, s10, s4
	s_add_i32 s10, s10, s4
	s_mul_hi_u32 s4, s34, s10
	s_mul_i32 s4, s4, s83
	s_sub_i32 s4, s34, s4
	s_sub_i32 s10, s4, s83
	s_cmp_ge_u32 s4, s83
	s_cselect_b32 s4, s10, s4
	s_sub_i32 s10, s4, s83
	s_cmp_ge_u32 s4, s83
	s_cselect_b32 s92, s10, s4
	s_mov_b64 s[10:11], s[92:93]
.LBB174_97:                             ;   in Loop: Header=BB174_18 Depth=1
	s_sub_u32 s34, s34, s10
	s_subb_u32 s35, s5, s11
	v_cmp_gt_u64_e32 vcc, s[34:35], v[0:1]
	s_mov_b64 s[10:11], 0
	s_mov_b64 s[4:5], 0
                                        ; implicit-def: $vgpr10
	s_and_saveexec_b64 s[12:13], vcc
	s_cbranch_execz .LBB174_109
; %bb.98:                               ;   in Loop: Header=BB174_18 Depth=1
	v_mov_b32_e32 v5, v1
	v_mov_b32_e32 v2, v27
	;; [unrolled: 1-line block ×3, first 2 shown]
                                        ; implicit-def: $sgpr42_sgpr43
	s_branch .LBB174_101
.LBB174_99:                             ;   in Loop: Header=BB174_101 Depth=2
	s_or_b64 exec, exec, s[44:45]
	s_waitcnt lgkmcnt(0)
	s_barrier
	ds_read_b32 v6, v3 offset:3072
	s_mov_b64 s[44:45], -1
	s_waitcnt lgkmcnt(0)
	s_barrier
	v_cmp_ne_u32_sdwa s[46:47], v6, v3 src0_sel:WORD_0 src1_sel:DWORD
	s_and_b64 vcc, exec, s[46:47]
	s_mov_b64 s[46:47], -1
	s_cbranch_vccz .LBB174_104
.LBB174_100:                            ;   in Loop: Header=BB174_101 Depth=2
	s_and_b64 s[44:45], exec, s[44:45]
	s_or_b64 s[4:5], s[44:45], s[4:5]
	s_andn2_b64 s[42:43], s[42:43], exec
	s_and_b64 s[44:45], s[46:47], exec
	s_or_b64 s[42:43], s[42:43], s[44:45]
	s_andn2_b64 exec, exec, s[4:5]
	s_cbranch_execz .LBB174_108
.LBB174_101:                            ;   Parent Loop BB174_18 Depth=1
                                        ; =>  This Inner Loop Header: Depth=2
	v_cmp_gt_u64_e32 vcc, s[8:9], v[4:5]
	s_and_saveexec_b64 s[44:45], vcc
	s_cbranch_execz .LBB174_99
; %bb.102:                              ;   in Loop: Header=BB174_101 Depth=2
	ds_read_u16 v6, v2
	s_waitcnt lgkmcnt(0)
	v_add_u32_sdwa v7, sext(v6), s81 dst_sel:DWORD dst_unused:UNUSED_PAD src0_sel:WORD_0 src1_sel:DWORD
	v_and_b32_e32 v7, v7, v8
	v_cmp_eq_u32_e32 vcc, v7, v9
	s_and_b64 exec, exec, vcc
	s_cbranch_execz .LBB174_99
; %bb.103:                              ;   in Loop: Header=BB174_101 Depth=2
	v_perm_b32 v6, v6, 1, v34
	ds_write_b32 v3, v6 offset:3072
	s_branch .LBB174_99
.LBB174_104:                            ;   in Loop: Header=BB174_101 Depth=2
	v_add_co_u32_e32 v4, vcc, s83, v4
	v_addc_co_u32_e32 v5, vcc, 0, v5, vcc
	v_cmp_le_u64_e32 vcc, s[34:35], v[4:5]
	v_readlane_b32 s44, v49, 2
	v_add_u32_e32 v2, s44, v2
	s_mov_b64 s[46:47], 0
	s_orn2_b64 s[44:45], vcc, exec
	s_branch .LBB174_100
.LBB174_105:                            ;   in Loop: Header=BB174_18 Depth=1
	s_or_b64 exec, exec, s[8:9]
	s_waitcnt lgkmcnt(0)
	s_barrier
	s_mov_b64 s[6:7], exec
	v_readlane_b32 s8, v50, 32
	v_readlane_b32 s9, v50, 33
	s_and_b64 s[8:9], s[6:7], s[8:9]
	s_mov_b64 exec, s[8:9]
	s_cbranch_execz .LBB174_107
; %bb.106:                              ;   in Loop: Header=BB174_18 Depth=1
	ds_read_b32 v4, v3 offset:5144
	s_waitcnt lgkmcnt(0)
	v_ashrrev_i32_e32 v5, 31, v4
	ds_write_b64 v3, v[4:5] offset:5120
.LBB174_107:                            ;   in Loop: Header=BB174_18 Depth=1
	s_or_b64 exec, exec, s[6:7]
	s_waitcnt lgkmcnt(0)
	s_barrier
	s_mov_b64 s[6:7], -1
	s_and_b64 vcc, exec, s[4:5]
	s_cbranch_vccnz .LBB174_33
	s_branch .LBB174_48
.LBB174_108:                            ;   in Loop: Header=BB174_18 Depth=1
	s_or_b64 exec, exec, s[4:5]
	v_lshrrev_b32_e32 v10, 16, v6
	s_and_b64 s[4:5], s[42:43], exec
.LBB174_109:                            ;   in Loop: Header=BB174_18 Depth=1
	s_or_b64 exec, exec, s[12:13]
.LBB174_110:                            ;   in Loop: Header=BB174_18 Depth=1
	s_and_b64 vcc, exec, s[10:11]
	s_cbranch_vccz .LBB174_124
; %bb.111:                              ;   in Loop: Header=BB174_18 Depth=1
	v_readlane_b32 s40, v50, 53
	v_readlane_b32 s41, v50, 54
	s_mov_b32 s40, s93
	s_cmp_lg_u64 s[40:41], 0
	v_writelane_b32 v50, s40, 53
	v_writelane_b32 v50, s41, 54
	s_cbranch_scc0 .LBB174_152
; %bb.112:                              ;   in Loop: Header=BB174_18 Depth=1
	v_cvt_f32_u32_e32 v2, s83
	s_sub_u32 s10, 0, s83
	s_subb_u32 s11, 0, 0
	v_mac_f32_e32 v2, 0, v33
	v_rcp_f32_e32 v2, v2
	v_mul_f32_e32 v2, 0x5f7ffffc, v2
	v_mul_f32_e32 v4, 0x2f800000, v2
	v_trunc_f32_e32 v4, v4
	v_mac_f32_e32 v2, 0xcf800000, v4
	v_cvt_u32_f32_e32 v4, v4
	v_cvt_u32_f32_e32 v2, v2
	v_readfirstlane_b32 s12, v4
	v_readfirstlane_b32 s8, v2
	s_mul_i32 s9, s10, s12
	s_mul_hi_u32 s34, s10, s8
	s_mul_i32 s13, s11, s8
	s_add_i32 s9, s34, s9
	s_mul_i32 s35, s10, s8
	s_add_i32 s9, s9, s13
	s_mul_hi_u32 s34, s8, s35
	s_mul_i32 s38, s8, s9
	s_mul_hi_u32 s13, s8, s9
	s_add_u32 s34, s34, s38
	s_addc_u32 s13, 0, s13
	s_mul_hi_u32 s39, s12, s35
	s_mul_i32 s35, s12, s35
	s_add_u32 s34, s34, s35
	s_mul_hi_u32 s38, s12, s9
	s_addc_u32 s13, s13, s39
	s_addc_u32 s34, s38, 0
	s_mul_i32 s9, s12, s9
	s_add_u32 s9, s13, s9
	s_addc_u32 s13, 0, s34
	s_add_u32 s34, s8, s9
	s_cselect_b64 s[8:9], -1, 0
	s_cmp_lg_u64 s[8:9], 0
	s_addc_u32 s12, s12, s13
	s_mul_i32 s8, s10, s12
	s_mul_hi_u32 s9, s10, s34
	s_add_i32 s8, s9, s8
	s_mul_i32 s11, s11, s34
	s_add_i32 s8, s8, s11
	s_mul_i32 s10, s10, s34
	s_mul_hi_u32 s11, s12, s10
	s_mul_i32 s13, s12, s10
	s_mul_i32 s38, s34, s8
	s_mul_hi_u32 s10, s34, s10
	s_mul_hi_u32 s35, s34, s8
	s_add_u32 s10, s10, s38
	s_addc_u32 s35, 0, s35
	s_add_u32 s10, s10, s13
	s_mul_hi_u32 s9, s12, s8
	s_addc_u32 s10, s35, s11
	s_addc_u32 s9, s9, 0
	s_mul_i32 s8, s12, s8
	s_add_u32 s8, s10, s8
	s_addc_u32 s10, 0, s9
	s_add_u32 s11, s34, s8
	s_cselect_b64 s[8:9], -1, 0
	s_cmp_lg_u64 s[8:9], 0
	s_addc_u32 s8, s12, s10
	v_readlane_b32 s34, v50, 51
	s_mul_i32 s10, s34, s8
	s_mul_hi_u32 s12, s34, s11
	s_mul_hi_u32 s9, s34, s8
	s_add_u32 s10, s12, s10
	s_addc_u32 s9, 0, s9
	s_mul_hi_u32 s13, s41, s11
	s_mul_i32 s11, s41, s11
	s_add_u32 s10, s10, s11
	s_mul_hi_u32 s12, s41, s8
	s_addc_u32 s9, s9, s13
	s_addc_u32 s10, s12, 0
	s_mul_i32 s8, s41, s8
	s_add_u32 s8, s9, s8
	s_addc_u32 s9, 0, s10
	s_mul_i32 s9, s83, s9
	s_mul_hi_u32 s10, s83, s8
	s_add_i32 s10, s10, s9
	s_mul_i32 s8, s83, s8
	s_sub_u32 s11, s34, s8
	s_cselect_b64 s[8:9], -1, 0
	s_cmp_lg_u64 s[8:9], 0
	s_subb_u32 s10, s41, s10
	s_sub_u32 s12, s11, s83
	s_cselect_b64 s[8:9], -1, 0
	s_cmp_lg_u64 s[8:9], 0
	s_subb_u32 s13, s10, 0
	;; [unrolled: 4-line block ×3, first 2 shown]
	s_cmp_ge_u32 s12, s83
	s_cselect_b32 s9, -1, 0
	s_cmp_eq_u32 s13, 0
	s_cselect_b32 s9, s9, -1
	s_cmp_lg_u32 s9, 0
	s_cselect_b32 s8, s8, s13
	s_cselect_b32 s12, s34, s12
	s_cmp_ge_u32 s11, s83
	s_cselect_b32 s9, -1, 0
	s_cmp_eq_u32 s10, 0
	s_cselect_b32 s9, s9, -1
	s_cmp_lg_u32 s9, 0
	s_cselect_b32 s9, s8, s10
	s_cselect_b32 s8, s12, s11
	s_cbranch_execnz .LBB174_114
.LBB174_113:                            ;   in Loop: Header=BB174_18 Depth=1
	v_cvt_f32_u32_e32 v2, s83
	s_sub_i32 s8, 0, s83
	v_readlane_b32 s10, v50, 51
	v_rcp_iflag_f32_e32 v2, v2
	v_mul_f32_e32 v2, 0x4f7ffffe, v2
	v_cvt_u32_f32_e32 v2, v2
	v_readfirstlane_b32 s9, v2
	s_mul_i32 s8, s8, s9
	s_mul_hi_u32 s8, s9, s8
	s_add_i32 s9, s9, s8
	s_mul_hi_u32 s8, s10, s9
	s_mul_i32 s8, s8, s83
	s_sub_i32 s8, s10, s8
	s_sub_i32 s9, s8, s83
	s_cmp_ge_u32 s8, s83
	s_cselect_b32 s8, s9, s8
	s_sub_i32 s9, s8, s83
	s_cmp_ge_u32 s8, s83
	s_cselect_b32 s92, s9, s8
	s_mov_b64 s[8:9], s[92:93]
.LBB174_114:                            ;   in Loop: Header=BB174_18 Depth=1
	v_readlane_b32 s10, v50, 51
	v_readlane_b32 s12, v50, 53
	s_sub_u32 s10, s10, s8
	v_readlane_b32 s13, v50, 54
	s_subb_u32 s11, s13, s9
	v_cmp_gt_u64_e32 vcc, s[10:11], v[0:1]
                                        ; implicit-def: $vgpr10
	s_and_saveexec_b64 s[8:9], vcc
	s_cbranch_execz .LBB174_123
; %bb.115:                              ;   in Loop: Header=BB174_18 Depth=1
	v_mov_b32_e32 v5, v1
	s_mov_b64 s[12:13], 0
	v_mov_b32_e32 v4, v0
                                        ; implicit-def: $sgpr34_sgpr35
	s_branch .LBB174_118
.LBB174_116:                            ;   in Loop: Header=BB174_118 Depth=2
	s_or_b64 exec, exec, s[38:39]
	s_waitcnt lgkmcnt(0)
	s_barrier
	ds_read_b32 v2, v3 offset:3072
	s_mov_b64 s[38:39], -1
	s_waitcnt lgkmcnt(0)
	s_barrier
	v_cmp_ne_u32_sdwa s[40:41], v2, v3 src0_sel:WORD_0 src1_sel:DWORD
	s_and_b64 vcc, exec, s[40:41]
	s_mov_b64 s[40:41], -1
	s_cbranch_vccz .LBB174_121
.LBB174_117:                            ;   in Loop: Header=BB174_118 Depth=2
	s_and_b64 s[38:39], exec, s[38:39]
	s_or_b64 s[12:13], s[38:39], s[12:13]
	s_andn2_b64 s[34:35], s[34:35], exec
	s_and_b64 s[38:39], s[40:41], exec
	s_or_b64 s[34:35], s[34:35], s[38:39]
	s_andn2_b64 exec, exec, s[12:13]
	s_cbranch_execz .LBB174_122
.LBB174_118:                            ;   Parent Loop BB174_18 Depth=1
                                        ; =>  This Inner Loop Header: Depth=2
	v_cmp_gt_u64_e32 vcc, s[64:65], v[4:5]
	s_and_saveexec_b64 s[38:39], vcc
	s_cbranch_execz .LBB174_116
; %bb.119:                              ;   in Loop: Header=BB174_118 Depth=2
	v_mul_lo_u32 v2, v5, s62
	v_mul_lo_u32 v10, v4, s63
	v_mad_u64_u32 v[6:7], s[40:41], v4, s62, 0
	v_add3_u32 v7, v7, v10, v2
	v_lshlrev_b64 v[6:7], 1, v[6:7]
	v_mov_b32_e32 v2, s82
	v_add_co_u32_e32 v6, vcc, s33, v6
	v_addc_co_u32_e32 v7, vcc, v2, v7, vcc
	global_load_ushort v2, v[6:7], off
	s_waitcnt vmcnt(0)
	v_add_u32_sdwa v6, sext(v2), s81 dst_sel:DWORD dst_unused:UNUSED_PAD src0_sel:WORD_0 src1_sel:DWORD
	v_and_b32_e32 v6, v6, v8
	v_cmp_eq_u32_e32 vcc, v6, v9
	s_and_b64 exec, exec, vcc
	s_cbranch_execz .LBB174_116
; %bb.120:                              ;   in Loop: Header=BB174_118 Depth=2
	v_perm_b32 v2, v2, 1, v34
	ds_write_b32 v3, v2 offset:3072
	s_branch .LBB174_116
.LBB174_121:                            ;   in Loop: Header=BB174_118 Depth=2
	v_add_co_u32_e32 v4, vcc, s83, v4
	v_addc_co_u32_e32 v5, vcc, 0, v5, vcc
	v_cmp_le_u64_e32 vcc, s[10:11], v[4:5]
	s_mov_b64 s[40:41], 0
	s_orn2_b64 s[38:39], vcc, exec
	s_branch .LBB174_117
.LBB174_122:                            ;   in Loop: Header=BB174_18 Depth=1
	s_or_b64 exec, exec, s[12:13]
	s_andn2_b64 s[4:5], s[4:5], exec
	s_and_b64 s[10:11], s[34:35], exec
	v_lshrrev_b32_e32 v10, 16, v2
	s_or_b64 s[4:5], s[4:5], s[10:11]
.LBB174_123:                            ;   in Loop: Header=BB174_18 Depth=1
	s_or_b64 exec, exec, s[8:9]
	s_mov_b64 s[38:39], 0
	s_mov_b64 s[40:41], -1
.LBB174_124:                            ;   in Loop: Header=BB174_18 Depth=1
	s_orn2_b64 s[4:5], s[4:5], exec
.LBB174_125:                            ;   in Loop: Header=BB174_18 Depth=1
	s_or_b64 exec, exec, s[30:31]
	s_mov_b64 s[42:43], 0
	s_mov_b64 s[34:35], 0
	;; [unrolled: 1-line block ×3, first 2 shown]
                                        ; implicit-def: $vgpr4_vgpr5
                                        ; implicit-def: $vgpr2
	s_and_saveexec_b64 s[44:45], s[4:5]
	s_cbranch_execz .LBB174_283
; %bb.126:                              ;   in Loop: Header=BB174_18 Depth=1
	v_mov_b32_e32 v4, 1
	s_xor_b64 s[8:9], s[6:7], -1
	v_mov_b32_e32 v2, 1
	v_mov_b32_e32 v5, 0
	s_mov_b64 s[6:7], 0
	s_and_saveexec_b64 s[4:5], s[8:9]
	s_cbranch_execz .LBB174_135
; %bb.127:                              ;   in Loop: Header=BB174_18 Depth=1
	v_cmp_ge_u64_e32 vcc, s[20:21], v[19:20]
	s_and_saveexec_b64 s[6:7], vcc
	s_xor_b64 s[6:7], exec, s[6:7]
	s_cbranch_execz .LBB174_132
; %bb.128:                              ;   in Loop: Header=BB174_18 Depth=1
	ds_read_b64 v[4:5], v3 offset:5120
	v_and_b32_e32 v9, s87, v9
	v_or_b32_e32 v8, s86, v8
	s_waitcnt lgkmcnt(0)
	v_cmp_ne_u64_e32 vcc, 0, v[4:5]
	s_cbranch_vccnz .LBB174_132
; %bb.129:                              ;   in Loop: Header=BB174_18 Depth=1
	s_mov_b64 s[8:9], exec
	v_readlane_b32 s10, v50, 32
	v_readlane_b32 s11, v50, 33
	s_and_b64 s[10:11], s[8:9], s[10:11]
	s_mov_b64 exec, s[10:11]
; %bb.130:                              ;   in Loop: Header=BB174_18 Depth=1
	v_mov_b32_e32 v4, s20
	v_mov_b32_e32 v5, s21
	ds_write_b64 v3, v[4:5] offset:5128
; %bb.131:                              ;   in Loop: Header=BB174_18 Depth=1
	s_or_b64 exec, exec, s[8:9]
	s_waitcnt lgkmcnt(0)
	s_barrier
.LBB174_132:                            ;   in Loop: Header=BB174_18 Depth=1
	s_or_saveexec_b64 s[6:7], s[6:7]
	v_mov_b32_e32 v4, v19
	s_mov_b64 s[8:9], 0
	v_mov_b32_e32 v2, 8
	v_mov_b32_e32 v5, v20
	s_xor_b64 exec, exec, s[6:7]
; %bb.133:                              ;   in Loop: Header=BB174_18 Depth=1
	v_mov_b32_e32 v2, s21
	v_subrev_co_u32_e32 v4, vcc, s20, v19
	s_mov_b64 s[8:9], exec
	v_subb_co_u32_e32 v5, vcc, v20, v2, vcc
	v_mov_b32_e32 v2, 0
; %bb.134:                              ;   in Loop: Header=BB174_18 Depth=1
	s_or_b64 exec, exec, s[6:7]
	s_and_b64 s[6:7], s[8:9], exec
.LBB174_135:                            ;   in Loop: Header=BB174_18 Depth=1
	s_or_b64 exec, exec, s[4:5]
	s_mov_b64 s[4:5], -1
                                        ; implicit-def: $sgpr30_sgpr31
                                        ; implicit-def: $sgpr34_sgpr35
	s_and_saveexec_b64 s[8:9], s[6:7]
	s_xor_b64 s[6:7], exec, s[8:9]
	s_cbranch_execz .LBB174_280
; %bb.136:                              ;   in Loop: Header=BB174_18 Depth=1
	s_cmp_eq_u64 s[24:25], 1
	v_cmp_eq_u64_e32 vcc, 1, v[4:5]
	s_cselect_b64 s[4:5], -1, 0
	s_and_b64 s[48:49], s[4:5], vcc
	s_mov_b64 s[4:5], -1
                                        ; implicit-def: $sgpr34_sgpr35
                                        ; implicit-def: $sgpr30_sgpr31
	s_and_saveexec_b64 s[46:47], s[48:49]
	s_cbranch_execz .LBB174_170
; %bb.137:                              ;   in Loop: Header=BB174_18 Depth=1
	ds_read_b64 v[6:7], v3 offset:5120
	s_waitcnt lgkmcnt(0)
	s_barrier
	v_readfirstlane_b32 s8, v6
	v_readfirstlane_b32 s9, v7
	s_mov_b64 s[4:5], exec
	v_readlane_b32 s10, v50, 46
	v_readlane_b32 s11, v50, 47
	s_and_b64 s[10:11], s[4:5], s[10:11]
	s_mov_b64 exec, s[10:11]
; %bb.138:                              ;   in Loop: Header=BB174_18 Depth=1
	ds_write_b16 v28, v3
; %bb.139:                              ;   in Loop: Header=BB174_18 Depth=1
	s_or_b64 exec, exec, s[4:5]
	v_and_b32_e32 v6, s87, v9
	v_lshl_or_b32 v9, 1, s0, v6
	v_or_b32_e32 v8, s86, v8
	s_mov_b64 s[30:31], -1
	s_mov_b64 s[34:35], 0
	s_cmp_eq_u64 s[8:9], 0
	s_mov_b64 s[4:5], 0
	s_mov_b64 s[10:11], -1
	s_waitcnt lgkmcnt(0)
	s_barrier
                                        ; implicit-def: $vgpr10
	s_cbranch_scc1 .LBB174_155
; %bb.140:                              ;   in Loop: Header=BB174_18 Depth=1
	v_readlane_b32 s4, v50, 50
	s_add_u32 s50, s8, s4
	v_readlane_b32 s4, v50, 52
	s_addc_u32 s5, s9, s4
	s_mov_b32 s4, s93
	s_cmp_lg_u64 s[4:5], 0
	s_cbranch_scc0 .LBB174_196
; %bb.141:                              ;   in Loop: Header=BB174_18 Depth=1
	v_cvt_f32_u32_e32 v6, s83
	s_sub_u32 s4, 0, s83
	s_subb_u32 s12, 0, 0
	v_mac_f32_e32 v6, 0, v33
	v_rcp_f32_e32 v6, v6
	v_mul_f32_e32 v6, 0x5f7ffffc, v6
	v_mul_f32_e32 v7, 0x2f800000, v6
	v_trunc_f32_e32 v7, v7
	v_mac_f32_e32 v6, 0xcf800000, v7
	v_cvt_u32_f32_e32 v7, v7
	v_cvt_u32_f32_e32 v6, v6
	v_readfirstlane_b32 s13, v7
	v_readfirstlane_b32 s10, v6
	s_mul_i32 s11, s4, s13
	s_mul_hi_u32 s52, s4, s10
	s_mul_i32 s51, s12, s10
	s_add_i32 s11, s52, s11
	s_mul_i32 s53, s4, s10
	s_add_i32 s11, s11, s51
	s_mul_hi_u32 s52, s10, s53
	s_mul_i32 s54, s10, s11
	s_mul_hi_u32 s51, s10, s11
	s_add_u32 s52, s52, s54
	s_addc_u32 s51, 0, s51
	s_mul_hi_u32 s55, s13, s53
	s_mul_i32 s53, s13, s53
	s_add_u32 s52, s52, s53
	s_mul_hi_u32 s54, s13, s11
	s_addc_u32 s51, s51, s55
	s_addc_u32 s52, s54, 0
	s_mul_i32 s11, s13, s11
	s_add_u32 s11, s51, s11
	s_addc_u32 s51, 0, s52
	s_add_u32 s52, s10, s11
	s_cselect_b64 s[10:11], -1, 0
	s_cmp_lg_u64 s[10:11], 0
	s_addc_u32 s13, s13, s51
	s_mul_i32 s10, s4, s13
	s_mul_hi_u32 s11, s4, s52
	s_add_i32 s10, s11, s10
	s_mul_i32 s12, s12, s52
	s_add_i32 s10, s10, s12
	s_mul_i32 s4, s4, s52
	s_mul_hi_u32 s12, s13, s4
	s_mul_i32 s51, s13, s4
	s_mul_i32 s54, s52, s10
	s_mul_hi_u32 s4, s52, s4
	s_mul_hi_u32 s53, s52, s10
	s_add_u32 s4, s4, s54
	s_addc_u32 s53, 0, s53
	s_add_u32 s4, s4, s51
	s_mul_hi_u32 s11, s13, s10
	s_addc_u32 s4, s53, s12
	s_addc_u32 s11, s11, 0
	s_mul_i32 s10, s13, s10
	s_add_u32 s4, s4, s10
	s_addc_u32 s12, 0, s11
	s_add_u32 s4, s52, s4
	s_cselect_b64 s[10:11], -1, 0
	s_cmp_lg_u64 s[10:11], 0
	s_addc_u32 s10, s13, s12
	s_mul_i32 s12, s50, s10
	s_mul_hi_u32 s13, s50, s4
	s_mul_hi_u32 s11, s50, s10
	s_add_u32 s12, s13, s12
	s_addc_u32 s11, 0, s11
	s_mul_hi_u32 s51, s5, s4
	s_mul_i32 s4, s5, s4
	s_add_u32 s4, s12, s4
	s_mul_hi_u32 s13, s5, s10
	s_addc_u32 s4, s11, s51
	s_addc_u32 s11, s13, 0
	s_mul_i32 s10, s5, s10
	s_add_u32 s4, s4, s10
	s_addc_u32 s10, 0, s11
	s_mul_i32 s10, s83, s10
	s_mul_hi_u32 s11, s83, s4
	s_add_i32 s12, s11, s10
	s_mul_i32 s4, s83, s4
	s_sub_u32 s4, s50, s4
	s_cselect_b64 s[10:11], -1, 0
	s_cmp_lg_u64 s[10:11], 0
	s_subb_u32 s12, s5, s12
	s_sub_u32 s13, s4, s83
	s_cselect_b64 s[10:11], -1, 0
	s_cmp_lg_u64 s[10:11], 0
	s_subb_u32 s51, s12, 0
	;; [unrolled: 4-line block ×3, first 2 shown]
	s_cmp_ge_u32 s13, s83
	s_cselect_b32 s11, -1, 0
	s_cmp_eq_u32 s51, 0
	s_cselect_b32 s11, s11, -1
	s_cmp_lg_u32 s11, 0
	s_cselect_b32 s10, s10, s51
	s_cselect_b32 s13, s52, s13
	s_cmp_ge_u32 s4, s83
	s_cselect_b32 s11, -1, 0
	s_cmp_eq_u32 s12, 0
	s_cselect_b32 s11, s11, -1
	s_cmp_lg_u32 s11, 0
	s_cselect_b32 s11, s10, s12
	s_cselect_b32 s10, s13, s4
	s_cbranch_execnz .LBB174_143
.LBB174_142:                            ;   in Loop: Header=BB174_18 Depth=1
	v_cvt_f32_u32_e32 v6, s83
	s_sub_i32 s4, 0, s83
	v_rcp_iflag_f32_e32 v6, v6
	v_mul_f32_e32 v6, 0x4f7ffffe, v6
	v_cvt_u32_f32_e32 v6, v6
	v_readfirstlane_b32 s10, v6
	s_mul_i32 s4, s4, s10
	s_mul_hi_u32 s4, s10, s4
	s_add_i32 s10, s10, s4
	s_mul_hi_u32 s4, s50, s10
	s_mul_i32 s4, s4, s83
	s_sub_i32 s4, s50, s4
	s_sub_i32 s10, s4, s83
	s_cmp_ge_u32 s4, s83
	s_cselect_b32 s4, s10, s4
	s_sub_i32 s10, s4, s83
	s_cmp_ge_u32 s4, s83
	s_cselect_b32 s92, s10, s4
	s_mov_b64 s[10:11], s[92:93]
.LBB174_143:                            ;   in Loop: Header=BB174_18 Depth=1
	s_sub_u32 s50, s50, s10
	s_subb_u32 s51, s5, s11
	v_cmp_gt_u64_e32 vcc, s[50:51], v[0:1]
	s_mov_b64 s[10:11], 0
	s_mov_b64 s[4:5], 0
                                        ; implicit-def: $vgpr10
	s_and_saveexec_b64 s[12:13], vcc
	s_cbranch_execz .LBB174_154
; %bb.144:                              ;   in Loop: Header=BB174_18 Depth=1
	v_mov_b32_e32 v7, v1
	v_mov_b32_e32 v10, v27
	v_mov_b32_e32 v6, v0
                                        ; implicit-def: $sgpr52_sgpr53
	s_branch .LBB174_147
.LBB174_145:                            ;   in Loop: Header=BB174_147 Depth=2
	s_or_b64 exec, exec, s[54:55]
	s_waitcnt lgkmcnt(0)
	s_barrier
	ds_read_b32 v11, v3 offset:3072
	s_mov_b64 s[54:55], -1
	s_waitcnt lgkmcnt(0)
	s_barrier
	v_cmp_ne_u32_sdwa s[56:57], v11, v3 src0_sel:WORD_0 src1_sel:DWORD
	s_and_b64 vcc, exec, s[56:57]
	s_mov_b64 s[56:57], -1
	s_cbranch_vccz .LBB174_150
.LBB174_146:                            ;   in Loop: Header=BB174_147 Depth=2
	s_and_b64 s[54:55], exec, s[54:55]
	s_or_b64 s[4:5], s[54:55], s[4:5]
	s_andn2_b64 s[52:53], s[52:53], exec
	s_and_b64 s[54:55], s[56:57], exec
	s_or_b64 s[52:53], s[52:53], s[54:55]
	s_andn2_b64 exec, exec, s[4:5]
	s_cbranch_execz .LBB174_153
.LBB174_147:                            ;   Parent Loop BB174_18 Depth=1
                                        ; =>  This Inner Loop Header: Depth=2
	v_cmp_gt_u64_e32 vcc, s[8:9], v[6:7]
	s_and_saveexec_b64 s[54:55], vcc
	s_cbranch_execz .LBB174_145
; %bb.148:                              ;   in Loop: Header=BB174_147 Depth=2
	ds_read_u16 v11, v10
	s_waitcnt lgkmcnt(0)
	v_add_u32_sdwa v21, sext(v11), s81 dst_sel:DWORD dst_unused:UNUSED_PAD src0_sel:WORD_0 src1_sel:DWORD
	v_and_b32_e32 v21, v21, v8
	v_cmp_eq_u32_e32 vcc, v21, v9
	s_and_b64 exec, exec, vcc
	s_cbranch_execz .LBB174_145
; %bb.149:                              ;   in Loop: Header=BB174_147 Depth=2
	v_perm_b32 v11, v11, 1, v34
	ds_write_b32 v3, v11 offset:3072
	s_branch .LBB174_145
.LBB174_150:                            ;   in Loop: Header=BB174_147 Depth=2
	v_add_co_u32_e32 v6, vcc, s83, v6
	v_addc_co_u32_e32 v7, vcc, 0, v7, vcc
	v_cmp_le_u64_e32 vcc, s[50:51], v[6:7]
	v_readlane_b32 s54, v49, 2
	v_add_u32_e32 v10, s54, v10
	s_mov_b64 s[56:57], 0
	s_orn2_b64 s[54:55], vcc, exec
	s_branch .LBB174_146
.LBB174_151:                            ;   in Loop: Header=BB174_18 Depth=1
                                        ; implicit-def: $sgpr10_sgpr11
	s_branch .LBB174_96
.LBB174_152:                            ;   in Loop: Header=BB174_18 Depth=1
                                        ; implicit-def: $sgpr8_sgpr9
	s_branch .LBB174_113
.LBB174_153:                            ;   in Loop: Header=BB174_18 Depth=1
	s_or_b64 exec, exec, s[4:5]
	v_lshrrev_b32_e32 v10, 16, v11
	s_and_b64 s[4:5], s[52:53], exec
.LBB174_154:                            ;   in Loop: Header=BB174_18 Depth=1
	s_or_b64 exec, exec, s[12:13]
.LBB174_155:                            ;   in Loop: Header=BB174_18 Depth=1
	s_and_b64 vcc, exec, s[10:11]
	s_cbranch_vccz .LBB174_169
; %bb.156:                              ;   in Loop: Header=BB174_18 Depth=1
	v_readlane_b32 s50, v50, 53
	v_readlane_b32 s51, v50, 54
	s_mov_b32 s50, s93
	s_cmp_lg_u64 s[50:51], 0
	v_writelane_b32 v50, s50, 53
	v_writelane_b32 v50, s51, 54
	s_cbranch_scc0 .LBB174_197
; %bb.157:                              ;   in Loop: Header=BB174_18 Depth=1
	v_cvt_f32_u32_e32 v6, s83
	s_sub_u32 s10, 0, s83
	s_subb_u32 s11, 0, 0
	v_mac_f32_e32 v6, 0, v33
	v_rcp_f32_e32 v6, v6
	v_mul_f32_e32 v6, 0x5f7ffffc, v6
	v_mul_f32_e32 v7, 0x2f800000, v6
	v_trunc_f32_e32 v7, v7
	v_mac_f32_e32 v6, 0xcf800000, v7
	v_cvt_u32_f32_e32 v7, v7
	v_cvt_u32_f32_e32 v6, v6
	v_readfirstlane_b32 s12, v7
	v_readfirstlane_b32 s8, v6
	s_mul_i32 s9, s10, s12
	s_mul_hi_u32 s30, s10, s8
	s_mul_i32 s13, s11, s8
	s_add_i32 s9, s30, s9
	s_mul_i32 s31, s10, s8
	s_add_i32 s9, s9, s13
	s_mul_hi_u32 s30, s8, s31
	s_mul_i32 s34, s8, s9
	s_mul_hi_u32 s13, s8, s9
	s_add_u32 s30, s30, s34
	s_addc_u32 s13, 0, s13
	s_mul_hi_u32 s35, s12, s31
	s_mul_i32 s31, s12, s31
	s_add_u32 s30, s30, s31
	s_mul_hi_u32 s34, s12, s9
	s_addc_u32 s13, s13, s35
	s_addc_u32 s30, s34, 0
	s_mul_i32 s9, s12, s9
	s_add_u32 s9, s13, s9
	s_addc_u32 s13, 0, s30
	s_add_u32 s30, s8, s9
	s_cselect_b64 s[8:9], -1, 0
	s_cmp_lg_u64 s[8:9], 0
	s_addc_u32 s12, s12, s13
	s_mul_i32 s8, s10, s12
	s_mul_hi_u32 s9, s10, s30
	s_add_i32 s8, s9, s8
	s_mul_i32 s11, s11, s30
	s_add_i32 s8, s8, s11
	s_mul_i32 s10, s10, s30
	s_mul_hi_u32 s11, s12, s10
	s_mul_i32 s13, s12, s10
	s_mul_i32 s34, s30, s8
	s_mul_hi_u32 s10, s30, s10
	s_mul_hi_u32 s31, s30, s8
	s_add_u32 s10, s10, s34
	s_addc_u32 s31, 0, s31
	s_add_u32 s10, s10, s13
	s_mul_hi_u32 s9, s12, s8
	s_addc_u32 s10, s31, s11
	s_addc_u32 s9, s9, 0
	s_mul_i32 s8, s12, s8
	s_add_u32 s8, s10, s8
	s_addc_u32 s10, 0, s9
	s_add_u32 s11, s30, s8
	s_cselect_b64 s[8:9], -1, 0
	s_cmp_lg_u64 s[8:9], 0
	s_addc_u32 s8, s12, s10
	v_readlane_b32 s30, v50, 51
	s_mul_i32 s10, s30, s8
	s_mul_hi_u32 s12, s30, s11
	s_mul_hi_u32 s9, s30, s8
	s_add_u32 s10, s12, s10
	s_addc_u32 s9, 0, s9
	s_mul_hi_u32 s13, s51, s11
	s_mul_i32 s11, s51, s11
	s_add_u32 s10, s10, s11
	s_mul_hi_u32 s12, s51, s8
	s_addc_u32 s9, s9, s13
	s_addc_u32 s10, s12, 0
	s_mul_i32 s8, s51, s8
	s_add_u32 s8, s9, s8
	s_addc_u32 s9, 0, s10
	s_mul_i32 s9, s83, s9
	s_mul_hi_u32 s10, s83, s8
	s_add_i32 s10, s10, s9
	s_mul_i32 s8, s83, s8
	s_sub_u32 s11, s30, s8
	s_cselect_b64 s[8:9], -1, 0
	s_cmp_lg_u64 s[8:9], 0
	s_subb_u32 s10, s51, s10
	s_sub_u32 s12, s11, s83
	s_cselect_b64 s[8:9], -1, 0
	s_cmp_lg_u64 s[8:9], 0
	s_subb_u32 s13, s10, 0
	;; [unrolled: 4-line block ×3, first 2 shown]
	s_cmp_ge_u32 s12, s83
	s_cselect_b32 s9, -1, 0
	s_cmp_eq_u32 s13, 0
	s_cselect_b32 s9, s9, -1
	s_cmp_lg_u32 s9, 0
	s_cselect_b32 s8, s8, s13
	s_cselect_b32 s12, s30, s12
	s_cmp_ge_u32 s11, s83
	s_cselect_b32 s9, -1, 0
	s_cmp_eq_u32 s10, 0
	s_cselect_b32 s9, s9, -1
	s_cmp_lg_u32 s9, 0
	s_cselect_b32 s9, s8, s10
	s_cselect_b32 s8, s12, s11
	s_cbranch_execnz .LBB174_159
.LBB174_158:                            ;   in Loop: Header=BB174_18 Depth=1
	v_cvt_f32_u32_e32 v6, s83
	s_sub_i32 s8, 0, s83
	v_readlane_b32 s10, v50, 51
	v_rcp_iflag_f32_e32 v6, v6
	v_mul_f32_e32 v6, 0x4f7ffffe, v6
	v_cvt_u32_f32_e32 v6, v6
	v_readfirstlane_b32 s9, v6
	s_mul_i32 s8, s8, s9
	s_mul_hi_u32 s8, s9, s8
	s_add_i32 s9, s9, s8
	s_mul_hi_u32 s8, s10, s9
	s_mul_i32 s8, s8, s83
	s_sub_i32 s8, s10, s8
	s_sub_i32 s9, s8, s83
	s_cmp_ge_u32 s8, s83
	s_cselect_b32 s8, s9, s8
	s_sub_i32 s9, s8, s83
	s_cmp_ge_u32 s8, s83
	s_cselect_b32 s92, s9, s8
	s_mov_b64 s[8:9], s[92:93]
.LBB174_159:                            ;   in Loop: Header=BB174_18 Depth=1
	v_readlane_b32 s10, v50, 51
	v_readlane_b32 s12, v50, 53
	s_sub_u32 s10, s10, s8
	v_readlane_b32 s13, v50, 54
	s_subb_u32 s11, s13, s9
	v_cmp_gt_u64_e32 vcc, s[10:11], v[0:1]
                                        ; implicit-def: $vgpr10
	s_and_saveexec_b64 s[8:9], vcc
	s_cbranch_execz .LBB174_168
; %bb.160:                              ;   in Loop: Header=BB174_18 Depth=1
	v_mov_b32_e32 v7, v1
	s_mov_b64 s[12:13], 0
	v_mov_b32_e32 v6, v0
                                        ; implicit-def: $sgpr30_sgpr31
	s_branch .LBB174_163
.LBB174_161:                            ;   in Loop: Header=BB174_163 Depth=2
	s_or_b64 exec, exec, s[34:35]
	s_waitcnt lgkmcnt(0)
	s_barrier
	ds_read_b32 v10, v3 offset:3072
	s_mov_b64 s[34:35], -1
	s_waitcnt lgkmcnt(0)
	s_barrier
	v_cmp_eq_u32_sdwa s[50:51], v10, v3 src0_sel:WORD_0 src1_sel:DWORD
	s_and_b64 vcc, exec, s[50:51]
	s_mov_b64 s[50:51], -1
	s_cbranch_vccnz .LBB174_166
.LBB174_162:                            ;   in Loop: Header=BB174_163 Depth=2
	s_and_b64 s[34:35], exec, s[34:35]
	s_or_b64 s[12:13], s[34:35], s[12:13]
	s_andn2_b64 s[30:31], s[30:31], exec
	s_and_b64 s[34:35], s[50:51], exec
	s_or_b64 s[30:31], s[30:31], s[34:35]
	s_andn2_b64 exec, exec, s[12:13]
	s_cbranch_execz .LBB174_167
.LBB174_163:                            ;   Parent Loop BB174_18 Depth=1
                                        ; =>  This Inner Loop Header: Depth=2
	v_cmp_gt_u64_e32 vcc, s[64:65], v[6:7]
	s_and_saveexec_b64 s[34:35], vcc
	s_cbranch_execz .LBB174_161
; %bb.164:                              ;   in Loop: Header=BB174_163 Depth=2
	v_mul_lo_u32 v21, v7, s62
	v_mul_lo_u32 v22, v6, s63
	v_mad_u64_u32 v[10:11], s[50:51], v6, s62, 0
	v_add3_u32 v11, v11, v22, v21
	v_lshlrev_b64 v[10:11], 1, v[10:11]
	v_mov_b32_e32 v21, s82
	v_add_co_u32_e32 v10, vcc, s33, v10
	v_addc_co_u32_e32 v11, vcc, v21, v11, vcc
	global_load_ushort v10, v[10:11], off
	s_waitcnt vmcnt(0)
	v_add_u32_sdwa v11, sext(v10), s81 dst_sel:DWORD dst_unused:UNUSED_PAD src0_sel:WORD_0 src1_sel:DWORD
	v_and_b32_e32 v11, v11, v8
	v_cmp_eq_u32_e32 vcc, v11, v9
	s_and_b64 exec, exec, vcc
	s_cbranch_execz .LBB174_161
; %bb.165:                              ;   in Loop: Header=BB174_163 Depth=2
	v_perm_b32 v10, v10, 1, v34
	ds_write_b32 v3, v10 offset:3072
	s_branch .LBB174_161
.LBB174_166:                            ;   in Loop: Header=BB174_163 Depth=2
	v_add_co_u32_e32 v6, vcc, s83, v6
	v_addc_co_u32_e32 v7, vcc, 0, v7, vcc
	v_cmp_le_u64_e32 vcc, s[10:11], v[6:7]
	s_mov_b64 s[50:51], 0
	s_orn2_b64 s[34:35], vcc, exec
	s_branch .LBB174_162
.LBB174_167:                            ;   in Loop: Header=BB174_18 Depth=1
	s_or_b64 exec, exec, s[12:13]
	s_andn2_b64 s[4:5], s[4:5], exec
	s_and_b64 s[10:11], s[30:31], exec
	v_lshrrev_b32_e32 v10, 16, v10
	s_or_b64 s[4:5], s[4:5], s[10:11]
.LBB174_168:                            ;   in Loop: Header=BB174_18 Depth=1
	s_or_b64 exec, exec, s[8:9]
	s_mov_b64 s[30:31], 0
	s_mov_b64 s[34:35], -1
.LBB174_169:                            ;   in Loop: Header=BB174_18 Depth=1
	s_orn2_b64 s[4:5], s[4:5], exec
.LBB174_170:                            ;   in Loop: Header=BB174_18 Depth=1
	s_or_b64 exec, exec, s[46:47]
	s_mov_b64 s[8:9], 0
	s_and_saveexec_b64 s[46:47], s[4:5]
	s_cbranch_execz .LBB174_279
; %bb.171:                              ;   in Loop: Header=BB174_18 Depth=1
	v_mov_b32_e32 v6, 1
	s_xor_b64 s[10:11], s[48:49], -1
	v_mov_b32_e32 v2, 1
	v_mov_b32_e32 v7, 0
	s_and_saveexec_b64 s[4:5], s[10:11]
	s_cbranch_execz .LBB174_180
; %bb.172:                              ;   in Loop: Header=BB174_18 Depth=1
	v_cmp_ge_u64_e32 vcc, s[24:25], v[4:5]
	s_and_saveexec_b64 s[8:9], vcc
	s_xor_b64 s[8:9], exec, s[8:9]
	s_cbranch_execz .LBB174_177
; %bb.173:                              ;   in Loop: Header=BB174_18 Depth=1
	ds_read_b64 v[6:7], v3 offset:5120
	v_and_b32_e32 v2, s87, v9
	v_lshl_or_b32 v9, 1, s0, v2
	v_or_b32_e32 v8, s86, v8
	s_waitcnt lgkmcnt(0)
	v_cmp_ne_u64_e32 vcc, 0, v[6:7]
	s_cbranch_vccnz .LBB174_177
; %bb.174:                              ;   in Loop: Header=BB174_18 Depth=1
	s_mov_b64 s[10:11], exec
	v_readlane_b32 s12, v50, 32
	v_readlane_b32 s13, v50, 33
	s_and_b64 s[12:13], s[10:11], s[12:13]
	s_mov_b64 exec, s[12:13]
; %bb.175:                              ;   in Loop: Header=BB174_18 Depth=1
	v_mov_b32_e32 v6, s24
	v_mov_b32_e32 v7, s25
	ds_write_b64 v3, v[6:7] offset:5128
; %bb.176:                              ;   in Loop: Header=BB174_18 Depth=1
	s_or_b64 exec, exec, s[10:11]
	s_waitcnt lgkmcnt(0)
	s_barrier
.LBB174_177:                            ;   in Loop: Header=BB174_18 Depth=1
	s_or_saveexec_b64 s[8:9], s[8:9]
	s_mov_b64 s[10:11], 0
	v_mov_b32_e32 v2, 8
	s_xor_b64 exec, exec, s[8:9]
; %bb.178:                              ;   in Loop: Header=BB174_18 Depth=1
	v_mov_b32_e32 v2, s25
	v_subrev_co_u32_e32 v4, vcc, s24, v4
	s_mov_b64 s[10:11], exec
	v_subb_co_u32_e32 v5, vcc, v5, v2, vcc
	v_mov_b32_e32 v2, 0
; %bb.179:                              ;   in Loop: Header=BB174_18 Depth=1
	s_or_b64 exec, exec, s[8:9]
	v_mov_b32_e32 v7, v5
	s_and_b64 s[8:9], s[10:11], exec
	v_mov_b32_e32 v6, v4
.LBB174_180:                            ;   in Loop: Header=BB174_18 Depth=1
	s_or_b64 exec, exec, s[4:5]
	s_mov_b64 s[4:5], -1
                                        ; implicit-def: $sgpr50_sgpr51
                                        ; implicit-def: $sgpr52_sgpr53
	s_and_saveexec_b64 s[48:49], s[8:9]
	s_cbranch_execz .LBB174_278
; %bb.181:                              ;   in Loop: Header=BB174_18 Depth=1
	s_cmp_eq_u64 s[26:27], 1
	v_cmp_eq_u64_e32 vcc, 1, v[6:7]
	s_cselect_b64 s[4:5], -1, 0
	s_and_b64 s[56:57], s[4:5], vcc
	s_mov_b64 s[4:5], -1
                                        ; implicit-def: $sgpr52_sgpr53
                                        ; implicit-def: $sgpr50_sgpr51
	s_and_saveexec_b64 s[54:55], s[56:57]
	s_cbranch_execz .LBB174_215
; %bb.182:                              ;   in Loop: Header=BB174_18 Depth=1
	ds_read_b64 v[4:5], v3 offset:5120
	s_waitcnt lgkmcnt(0)
	s_barrier
	v_readfirstlane_b32 s8, v4
	v_readfirstlane_b32 s9, v5
	s_mov_b64 s[4:5], exec
	v_readlane_b32 s10, v50, 46
	v_readlane_b32 s11, v50, 47
	s_and_b64 s[10:11], s[4:5], s[10:11]
	s_mov_b64 exec, s[10:11]
; %bb.183:                              ;   in Loop: Header=BB174_18 Depth=1
	ds_write_b16 v28, v3
; %bb.184:                              ;   in Loop: Header=BB174_18 Depth=1
	s_or_b64 exec, exec, s[4:5]
	v_and_b32_e32 v4, s87, v9
	v_lshl_or_b32 v9, 2, s0, v4
	v_or_b32_e32 v8, s86, v8
	s_mov_b64 s[50:51], -1
	s_mov_b64 s[52:53], 0
	s_cmp_eq_u64 s[8:9], 0
	s_mov_b64 s[4:5], 0
	s_mov_b64 s[10:11], -1
	s_waitcnt lgkmcnt(0)
	s_barrier
                                        ; implicit-def: $vgpr10
	s_cbranch_scc1 .LBB174_200
; %bb.185:                              ;   in Loop: Header=BB174_18 Depth=1
	v_readlane_b32 s4, v50, 50
	s_add_u32 s58, s8, s4
	v_readlane_b32 s4, v50, 52
	s_addc_u32 s5, s9, s4
	s_mov_b32 s4, s93
	s_cmp_lg_u64 s[4:5], 0
	s_cbranch_scc0 .LBB174_232
; %bb.186:                              ;   in Loop: Header=BB174_18 Depth=1
	v_cvt_f32_u32_e32 v4, s83
	s_sub_u32 s4, 0, s83
	s_subb_u32 s12, 0, 0
	v_mac_f32_e32 v4, 0, v33
	v_rcp_f32_e32 v4, v4
	v_mul_f32_e32 v4, 0x5f7ffffc, v4
	v_mul_f32_e32 v5, 0x2f800000, v4
	v_trunc_f32_e32 v5, v5
	v_mac_f32_e32 v4, 0xcf800000, v5
	v_cvt_u32_f32_e32 v5, v5
	v_cvt_u32_f32_e32 v4, v4
	v_readfirstlane_b32 s13, v5
	v_readfirstlane_b32 s10, v4
	s_mul_i32 s11, s4, s13
	s_mul_hi_u32 s76, s4, s10
	s_mul_i32 s59, s12, s10
	s_add_i32 s11, s76, s11
	s_mul_i32 s77, s4, s10
	s_add_i32 s11, s11, s59
	s_mul_hi_u32 s76, s10, s77
	s_mul_i32 s78, s10, s11
	s_mul_hi_u32 s59, s10, s11
	s_add_u32 s76, s76, s78
	s_addc_u32 s59, 0, s59
	s_mul_hi_u32 s79, s13, s77
	s_mul_i32 s77, s13, s77
	s_add_u32 s76, s76, s77
	s_mul_hi_u32 s78, s13, s11
	s_addc_u32 s59, s59, s79
	s_addc_u32 s76, s78, 0
	s_mul_i32 s11, s13, s11
	s_add_u32 s11, s59, s11
	s_addc_u32 s59, 0, s76
	s_add_u32 s76, s10, s11
	s_cselect_b64 s[10:11], -1, 0
	s_cmp_lg_u64 s[10:11], 0
	s_addc_u32 s13, s13, s59
	s_mul_i32 s10, s4, s13
	s_mul_hi_u32 s11, s4, s76
	s_add_i32 s10, s11, s10
	s_mul_i32 s12, s12, s76
	s_add_i32 s10, s10, s12
	s_mul_i32 s4, s4, s76
	s_mul_hi_u32 s12, s13, s4
	s_mul_i32 s59, s13, s4
	s_mul_i32 s78, s76, s10
	s_mul_hi_u32 s4, s76, s4
	s_mul_hi_u32 s77, s76, s10
	s_add_u32 s4, s4, s78
	s_addc_u32 s77, 0, s77
	s_add_u32 s4, s4, s59
	s_mul_hi_u32 s11, s13, s10
	s_addc_u32 s4, s77, s12
	s_addc_u32 s11, s11, 0
	s_mul_i32 s10, s13, s10
	s_add_u32 s4, s4, s10
	s_addc_u32 s12, 0, s11
	s_add_u32 s4, s76, s4
	s_cselect_b64 s[10:11], -1, 0
	s_cmp_lg_u64 s[10:11], 0
	s_addc_u32 s10, s13, s12
	s_mul_i32 s12, s58, s10
	s_mul_hi_u32 s13, s58, s4
	s_mul_hi_u32 s11, s58, s10
	s_add_u32 s12, s13, s12
	s_addc_u32 s11, 0, s11
	s_mul_hi_u32 s59, s5, s4
	s_mul_i32 s4, s5, s4
	s_add_u32 s4, s12, s4
	s_mul_hi_u32 s13, s5, s10
	s_addc_u32 s4, s11, s59
	s_addc_u32 s11, s13, 0
	s_mul_i32 s10, s5, s10
	s_add_u32 s4, s4, s10
	s_addc_u32 s10, 0, s11
	s_mul_i32 s10, s83, s10
	s_mul_hi_u32 s11, s83, s4
	s_add_i32 s12, s11, s10
	s_mul_i32 s4, s83, s4
	s_sub_u32 s4, s58, s4
	s_cselect_b64 s[10:11], -1, 0
	s_cmp_lg_u64 s[10:11], 0
	s_subb_u32 s12, s5, s12
	s_sub_u32 s13, s4, s83
	s_cselect_b64 s[10:11], -1, 0
	s_cmp_lg_u64 s[10:11], 0
	s_subb_u32 s59, s12, 0
	;; [unrolled: 4-line block ×3, first 2 shown]
	s_cmp_ge_u32 s13, s83
	s_cselect_b32 s11, -1, 0
	s_cmp_eq_u32 s59, 0
	s_cselect_b32 s11, s11, -1
	s_cmp_lg_u32 s11, 0
	s_cselect_b32 s10, s10, s59
	s_cselect_b32 s13, s76, s13
	s_cmp_ge_u32 s4, s83
	s_cselect_b32 s11, -1, 0
	s_cmp_eq_u32 s12, 0
	s_cselect_b32 s11, s11, -1
	s_cmp_lg_u32 s11, 0
	s_cselect_b32 s11, s10, s12
	s_cselect_b32 s10, s13, s4
	s_cbranch_execnz .LBB174_188
.LBB174_187:                            ;   in Loop: Header=BB174_18 Depth=1
	v_cvt_f32_u32_e32 v4, s83
	s_sub_i32 s4, 0, s83
	v_rcp_iflag_f32_e32 v4, v4
	v_mul_f32_e32 v4, 0x4f7ffffe, v4
	v_cvt_u32_f32_e32 v4, v4
	v_readfirstlane_b32 s10, v4
	s_mul_i32 s4, s4, s10
	s_mul_hi_u32 s4, s10, s4
	s_add_i32 s10, s10, s4
	s_mul_hi_u32 s4, s58, s10
	s_mul_i32 s4, s4, s83
	s_sub_i32 s4, s58, s4
	s_sub_i32 s10, s4, s83
	s_cmp_ge_u32 s4, s83
	s_cselect_b32 s4, s10, s4
	s_sub_i32 s10, s4, s83
	s_cmp_ge_u32 s4, s83
	s_cselect_b32 s92, s10, s4
	s_mov_b64 s[10:11], s[92:93]
.LBB174_188:                            ;   in Loop: Header=BB174_18 Depth=1
	s_sub_u32 s58, s58, s10
	s_subb_u32 s59, s5, s11
	v_cmp_gt_u64_e32 vcc, s[58:59], v[0:1]
	s_mov_b64 s[10:11], 0
	s_mov_b64 s[4:5], 0
                                        ; implicit-def: $vgpr10
	s_and_saveexec_b64 s[12:13], vcc
	s_cbranch_execz .LBB174_199
; %bb.189:                              ;   in Loop: Header=BB174_18 Depth=1
	v_mov_b32_e32 v5, v1
	v_mov_b32_e32 v10, v27
	;; [unrolled: 1-line block ×3, first 2 shown]
                                        ; implicit-def: $sgpr76_sgpr77
	s_branch .LBB174_192
.LBB174_190:                            ;   in Loop: Header=BB174_192 Depth=2
	s_or_b64 exec, exec, s[78:79]
	s_waitcnt lgkmcnt(0)
	s_barrier
	ds_read_b32 v11, v3 offset:3072
	s_mov_b64 s[78:79], -1
	s_waitcnt lgkmcnt(0)
	s_barrier
	v_cmp_ne_u32_sdwa s[84:85], v11, v3 src0_sel:WORD_0 src1_sel:DWORD
	s_and_b64 vcc, exec, s[84:85]
	s_mov_b64 s[84:85], -1
	s_cbranch_vccz .LBB174_195
.LBB174_191:                            ;   in Loop: Header=BB174_192 Depth=2
	s_and_b64 s[78:79], exec, s[78:79]
	s_or_b64 s[4:5], s[78:79], s[4:5]
	s_andn2_b64 s[76:77], s[76:77], exec
	s_and_b64 s[78:79], s[84:85], exec
	s_or_b64 s[76:77], s[76:77], s[78:79]
	s_andn2_b64 exec, exec, s[4:5]
	s_cbranch_execz .LBB174_198
.LBB174_192:                            ;   Parent Loop BB174_18 Depth=1
                                        ; =>  This Inner Loop Header: Depth=2
	v_cmp_gt_u64_e32 vcc, s[8:9], v[4:5]
	s_and_saveexec_b64 s[78:79], vcc
	s_cbranch_execz .LBB174_190
; %bb.193:                              ;   in Loop: Header=BB174_192 Depth=2
	ds_read_u16 v11, v10
	s_waitcnt lgkmcnt(0)
	v_add_u32_sdwa v21, sext(v11), s81 dst_sel:DWORD dst_unused:UNUSED_PAD src0_sel:WORD_0 src1_sel:DWORD
	v_and_b32_e32 v21, v21, v8
	v_cmp_eq_u32_e32 vcc, v21, v9
	s_and_b64 exec, exec, vcc
	s_cbranch_execz .LBB174_190
; %bb.194:                              ;   in Loop: Header=BB174_192 Depth=2
	v_perm_b32 v11, v11, 1, v34
	ds_write_b32 v3, v11 offset:3072
	s_branch .LBB174_190
.LBB174_195:                            ;   in Loop: Header=BB174_192 Depth=2
	v_add_co_u32_e32 v4, vcc, s83, v4
	v_addc_co_u32_e32 v5, vcc, 0, v5, vcc
	v_cmp_le_u64_e32 vcc, s[58:59], v[4:5]
	v_readlane_b32 s78, v49, 2
	v_add_u32_e32 v10, s78, v10
	s_mov_b64 s[84:85], 0
	s_orn2_b64 s[78:79], vcc, exec
	s_branch .LBB174_191
.LBB174_196:                            ;   in Loop: Header=BB174_18 Depth=1
                                        ; implicit-def: $sgpr10_sgpr11
	s_branch .LBB174_142
.LBB174_197:                            ;   in Loop: Header=BB174_18 Depth=1
                                        ; implicit-def: $sgpr8_sgpr9
	s_branch .LBB174_158
.LBB174_198:                            ;   in Loop: Header=BB174_18 Depth=1
	s_or_b64 exec, exec, s[4:5]
	v_readlane_b32 s84, v49, 5
	v_lshrrev_b32_e32 v10, 16, v11
	s_and_b64 s[4:5], s[76:77], exec
	v_readlane_b32 s85, v49, 6
.LBB174_199:                            ;   in Loop: Header=BB174_18 Depth=1
	s_or_b64 exec, exec, s[12:13]
.LBB174_200:                            ;   in Loop: Header=BB174_18 Depth=1
	s_and_b64 vcc, exec, s[10:11]
	s_cbranch_vccz .LBB174_214
; %bb.201:                              ;   in Loop: Header=BB174_18 Depth=1
	v_readlane_b32 s58, v50, 53
	v_readlane_b32 s59, v50, 54
	s_mov_b32 s58, s93
	s_cmp_lg_u64 s[58:59], 0
	v_writelane_b32 v50, s58, 53
	v_writelane_b32 v50, s59, 54
	s_cbranch_scc0 .LBB174_233
; %bb.202:                              ;   in Loop: Header=BB174_18 Depth=1
	v_cvt_f32_u32_e32 v4, s83
	s_sub_u32 s10, 0, s83
	s_subb_u32 s11, 0, 0
	v_mac_f32_e32 v4, 0, v33
	v_rcp_f32_e32 v4, v4
	v_mul_f32_e32 v4, 0x5f7ffffc, v4
	v_mul_f32_e32 v5, 0x2f800000, v4
	v_trunc_f32_e32 v5, v5
	v_mac_f32_e32 v4, 0xcf800000, v5
	v_cvt_u32_f32_e32 v5, v5
	v_cvt_u32_f32_e32 v4, v4
	v_readfirstlane_b32 s12, v5
	v_readfirstlane_b32 s8, v4
	s_mul_i32 s9, s10, s12
	s_mul_hi_u32 s50, s10, s8
	s_mul_i32 s13, s11, s8
	s_add_i32 s9, s50, s9
	s_mul_i32 s51, s10, s8
	s_add_i32 s9, s9, s13
	s_mul_hi_u32 s50, s8, s51
	s_mul_i32 s52, s8, s9
	s_mul_hi_u32 s13, s8, s9
	s_add_u32 s50, s50, s52
	s_addc_u32 s13, 0, s13
	s_mul_hi_u32 s53, s12, s51
	s_mul_i32 s51, s12, s51
	s_add_u32 s50, s50, s51
	s_mul_hi_u32 s52, s12, s9
	s_addc_u32 s13, s13, s53
	s_addc_u32 s50, s52, 0
	s_mul_i32 s9, s12, s9
	s_add_u32 s9, s13, s9
	s_addc_u32 s13, 0, s50
	s_add_u32 s50, s8, s9
	s_cselect_b64 s[8:9], -1, 0
	s_cmp_lg_u64 s[8:9], 0
	s_addc_u32 s12, s12, s13
	s_mul_i32 s8, s10, s12
	s_mul_hi_u32 s9, s10, s50
	s_add_i32 s8, s9, s8
	s_mul_i32 s11, s11, s50
	s_add_i32 s8, s8, s11
	s_mul_i32 s10, s10, s50
	s_mul_hi_u32 s11, s12, s10
	s_mul_i32 s13, s12, s10
	s_mul_i32 s52, s50, s8
	s_mul_hi_u32 s10, s50, s10
	s_mul_hi_u32 s51, s50, s8
	s_add_u32 s10, s10, s52
	s_addc_u32 s51, 0, s51
	s_add_u32 s10, s10, s13
	s_mul_hi_u32 s9, s12, s8
	s_addc_u32 s10, s51, s11
	s_addc_u32 s9, s9, 0
	s_mul_i32 s8, s12, s8
	s_add_u32 s8, s10, s8
	s_addc_u32 s10, 0, s9
	s_add_u32 s11, s50, s8
	s_cselect_b64 s[8:9], -1, 0
	s_cmp_lg_u64 s[8:9], 0
	s_addc_u32 s8, s12, s10
	v_readlane_b32 s50, v50, 51
	s_mul_i32 s10, s50, s8
	s_mul_hi_u32 s12, s50, s11
	s_mul_hi_u32 s9, s50, s8
	s_add_u32 s10, s12, s10
	s_addc_u32 s9, 0, s9
	s_mul_hi_u32 s13, s59, s11
	s_mul_i32 s11, s59, s11
	s_add_u32 s10, s10, s11
	s_mul_hi_u32 s12, s59, s8
	s_addc_u32 s9, s9, s13
	s_addc_u32 s10, s12, 0
	s_mul_i32 s8, s59, s8
	s_add_u32 s8, s9, s8
	s_addc_u32 s9, 0, s10
	s_mul_i32 s9, s83, s9
	s_mul_hi_u32 s10, s83, s8
	s_add_i32 s10, s10, s9
	s_mul_i32 s8, s83, s8
	s_sub_u32 s11, s50, s8
	s_cselect_b64 s[8:9], -1, 0
	s_cmp_lg_u64 s[8:9], 0
	s_subb_u32 s10, s59, s10
	s_sub_u32 s12, s11, s83
	s_cselect_b64 s[8:9], -1, 0
	s_cmp_lg_u64 s[8:9], 0
	s_subb_u32 s13, s10, 0
	;; [unrolled: 4-line block ×3, first 2 shown]
	s_cmp_ge_u32 s12, s83
	s_cselect_b32 s9, -1, 0
	s_cmp_eq_u32 s13, 0
	s_cselect_b32 s9, s9, -1
	s_cmp_lg_u32 s9, 0
	s_cselect_b32 s8, s8, s13
	s_cselect_b32 s12, s50, s12
	s_cmp_ge_u32 s11, s83
	s_cselect_b32 s9, -1, 0
	s_cmp_eq_u32 s10, 0
	s_cselect_b32 s9, s9, -1
	s_cmp_lg_u32 s9, 0
	s_cselect_b32 s9, s8, s10
	s_cselect_b32 s8, s12, s11
	s_cbranch_execnz .LBB174_204
.LBB174_203:                            ;   in Loop: Header=BB174_18 Depth=1
	v_cvt_f32_u32_e32 v4, s83
	s_sub_i32 s8, 0, s83
	v_readlane_b32 s10, v50, 51
	v_rcp_iflag_f32_e32 v4, v4
	v_mul_f32_e32 v4, 0x4f7ffffe, v4
	v_cvt_u32_f32_e32 v4, v4
	v_readfirstlane_b32 s9, v4
	s_mul_i32 s8, s8, s9
	s_mul_hi_u32 s8, s9, s8
	s_add_i32 s9, s9, s8
	s_mul_hi_u32 s8, s10, s9
	s_mul_i32 s8, s8, s83
	s_sub_i32 s8, s10, s8
	s_sub_i32 s9, s8, s83
	s_cmp_ge_u32 s8, s83
	s_cselect_b32 s8, s9, s8
	s_sub_i32 s9, s8, s83
	s_cmp_ge_u32 s8, s83
	s_cselect_b32 s92, s9, s8
	s_mov_b64 s[8:9], s[92:93]
.LBB174_204:                            ;   in Loop: Header=BB174_18 Depth=1
	v_readlane_b32 s10, v50, 51
	v_readlane_b32 s12, v50, 53
	s_sub_u32 s10, s10, s8
	v_readlane_b32 s13, v50, 54
	s_subb_u32 s11, s13, s9
	v_cmp_gt_u64_e32 vcc, s[10:11], v[0:1]
                                        ; implicit-def: $vgpr10
	s_and_saveexec_b64 s[8:9], vcc
	s_cbranch_execz .LBB174_213
; %bb.205:                              ;   in Loop: Header=BB174_18 Depth=1
	v_mov_b32_e32 v5, v1
	s_mov_b64 s[12:13], 0
	v_mov_b32_e32 v4, v0
                                        ; implicit-def: $sgpr50_sgpr51
	s_branch .LBB174_208
.LBB174_206:                            ;   in Loop: Header=BB174_208 Depth=2
	s_or_b64 exec, exec, s[52:53]
	s_waitcnt lgkmcnt(0)
	s_barrier
	ds_read_b32 v10, v3 offset:3072
	s_mov_b64 s[52:53], -1
	s_waitcnt lgkmcnt(0)
	s_barrier
	v_cmp_eq_u32_sdwa s[58:59], v10, v3 src0_sel:WORD_0 src1_sel:DWORD
	s_and_b64 vcc, exec, s[58:59]
	s_mov_b64 s[58:59], -1
	s_cbranch_vccnz .LBB174_211
.LBB174_207:                            ;   in Loop: Header=BB174_208 Depth=2
	s_and_b64 s[52:53], exec, s[52:53]
	s_or_b64 s[12:13], s[52:53], s[12:13]
	s_andn2_b64 s[50:51], s[50:51], exec
	s_and_b64 s[52:53], s[58:59], exec
	s_or_b64 s[50:51], s[50:51], s[52:53]
	s_andn2_b64 exec, exec, s[12:13]
	s_cbranch_execz .LBB174_212
.LBB174_208:                            ;   Parent Loop BB174_18 Depth=1
                                        ; =>  This Inner Loop Header: Depth=2
	v_cmp_gt_u64_e32 vcc, s[64:65], v[4:5]
	s_and_saveexec_b64 s[52:53], vcc
	s_cbranch_execz .LBB174_206
; %bb.209:                              ;   in Loop: Header=BB174_208 Depth=2
	v_mul_lo_u32 v21, v5, s62
	v_mul_lo_u32 v22, v4, s63
	v_mad_u64_u32 v[10:11], s[58:59], v4, s62, 0
	v_add3_u32 v11, v11, v22, v21
	v_lshlrev_b64 v[10:11], 1, v[10:11]
	v_mov_b32_e32 v21, s82
	v_add_co_u32_e32 v10, vcc, s33, v10
	v_addc_co_u32_e32 v11, vcc, v21, v11, vcc
	global_load_ushort v10, v[10:11], off
	s_waitcnt vmcnt(0)
	v_add_u32_sdwa v11, sext(v10), s81 dst_sel:DWORD dst_unused:UNUSED_PAD src0_sel:WORD_0 src1_sel:DWORD
	v_and_b32_e32 v11, v11, v8
	v_cmp_eq_u32_e32 vcc, v11, v9
	s_and_b64 exec, exec, vcc
	s_cbranch_execz .LBB174_206
; %bb.210:                              ;   in Loop: Header=BB174_208 Depth=2
	v_perm_b32 v10, v10, 1, v34
	ds_write_b32 v3, v10 offset:3072
	s_branch .LBB174_206
.LBB174_211:                            ;   in Loop: Header=BB174_208 Depth=2
	v_add_co_u32_e32 v4, vcc, s83, v4
	v_addc_co_u32_e32 v5, vcc, 0, v5, vcc
	v_cmp_le_u64_e32 vcc, s[10:11], v[4:5]
	s_mov_b64 s[58:59], 0
	s_orn2_b64 s[52:53], vcc, exec
	s_branch .LBB174_207
.LBB174_212:                            ;   in Loop: Header=BB174_18 Depth=1
	s_or_b64 exec, exec, s[12:13]
	s_andn2_b64 s[4:5], s[4:5], exec
	s_and_b64 s[10:11], s[50:51], exec
	v_lshrrev_b32_e32 v10, 16, v10
	s_or_b64 s[4:5], s[4:5], s[10:11]
.LBB174_213:                            ;   in Loop: Header=BB174_18 Depth=1
	s_or_b64 exec, exec, s[8:9]
	s_mov_b64 s[50:51], 0
	s_mov_b64 s[52:53], -1
.LBB174_214:                            ;   in Loop: Header=BB174_18 Depth=1
	s_orn2_b64 s[4:5], s[4:5], exec
.LBB174_215:                            ;   in Loop: Header=BB174_18 Depth=1
	s_or_b64 exec, exec, s[54:55]
	s_mov_b64 s[8:9], 0
	s_and_saveexec_b64 s[54:55], s[4:5]
	s_cbranch_execz .LBB174_277
; %bb.216:                              ;   in Loop: Header=BB174_18 Depth=1
	v_mov_b32_e32 v4, 1
	s_xor_b64 s[10:11], s[56:57], -1
	v_mov_b32_e32 v2, 1
	v_mov_b32_e32 v5, 0
	s_and_saveexec_b64 s[4:5], s[10:11]
	s_cbranch_execz .LBB174_225
; %bb.217:                              ;   in Loop: Header=BB174_18 Depth=1
	v_cmp_ge_u64_e32 vcc, s[26:27], v[6:7]
	s_and_saveexec_b64 s[8:9], vcc
	s_xor_b64 s[8:9], exec, s[8:9]
	s_cbranch_execz .LBB174_222
; %bb.218:                              ;   in Loop: Header=BB174_18 Depth=1
	ds_read_b64 v[4:5], v3 offset:5120
	v_and_b32_e32 v2, s87, v9
	v_lshl_or_b32 v9, 2, s0, v2
	v_or_b32_e32 v8, s86, v8
	s_waitcnt lgkmcnt(0)
	v_cmp_ne_u64_e32 vcc, 0, v[4:5]
	s_cbranch_vccnz .LBB174_222
; %bb.219:                              ;   in Loop: Header=BB174_18 Depth=1
	s_mov_b64 s[10:11], exec
	v_readlane_b32 s12, v50, 32
	v_readlane_b32 s13, v50, 33
	s_and_b64 s[12:13], s[10:11], s[12:13]
	s_mov_b64 exec, s[12:13]
; %bb.220:                              ;   in Loop: Header=BB174_18 Depth=1
	v_mov_b32_e32 v4, s26
	v_mov_b32_e32 v5, s27
	ds_write_b64 v3, v[4:5] offset:5128
; %bb.221:                              ;   in Loop: Header=BB174_18 Depth=1
	s_or_b64 exec, exec, s[10:11]
	s_waitcnt lgkmcnt(0)
	s_barrier
.LBB174_222:                            ;   in Loop: Header=BB174_18 Depth=1
	s_or_saveexec_b64 s[8:9], s[8:9]
	s_mov_b64 s[10:11], 0
	v_mov_b32_e32 v2, 8
	s_xor_b64 exec, exec, s[8:9]
; %bb.223:                              ;   in Loop: Header=BB174_18 Depth=1
	v_mov_b32_e32 v2, s27
	v_subrev_co_u32_e32 v6, vcc, s26, v6
	s_mov_b64 s[10:11], exec
	v_subb_co_u32_e32 v7, vcc, v7, v2, vcc
	v_mov_b32_e32 v2, 0
; %bb.224:                              ;   in Loop: Header=BB174_18 Depth=1
	s_or_b64 exec, exec, s[8:9]
	v_mov_b32_e32 v4, v6
	s_and_b64 s[8:9], s[10:11], exec
	v_mov_b32_e32 v5, v7
.LBB174_225:                            ;   in Loop: Header=BB174_18 Depth=1
	s_or_b64 exec, exec, s[4:5]
	s_mov_b64 s[4:5], -1
                                        ; implicit-def: $sgpr58_sgpr59
                                        ; implicit-def: $sgpr10_sgpr11
                                        ; kill: killed $sgpr10_sgpr11
	s_and_saveexec_b64 s[56:57], s[8:9]
	s_cbranch_execz .LBB174_276
; %bb.226:                              ;   in Loop: Header=BB174_18 Depth=1
	s_cmp_eq_u64 s[28:29], 1
	v_cmp_eq_u64_e32 vcc, 1, v[4:5]
	s_cselect_b64 s[4:5], -1, 0
	s_mov_b64 s[8:9], -1
	s_and_b64 s[4:5], s[4:5], vcc
                                        ; implicit-def: $sgpr58_sgpr59
                                        ; implicit-def: $sgpr10_sgpr11
                                        ; kill: killed $sgpr10_sgpr11
	s_mov_b64 s[10:11], exec
	v_writelane_b32 v49, s4, 9
	v_writelane_b32 v49, s5, 10
	;; [unrolled: 1-line block ×3, first 2 shown]
	s_and_b64 s[4:5], s[10:11], s[4:5]
	v_writelane_b32 v49, s11, 12
	s_mov_b64 exec, s[4:5]
	s_cbranch_execz .LBB174_264
; %bb.227:                              ;   in Loop: Header=BB174_18 Depth=1
	ds_read_b64 v[6:7], v3 offset:5120
	s_waitcnt lgkmcnt(0)
	s_barrier
	v_readfirstlane_b32 s8, v6
	v_readfirstlane_b32 s9, v7
	s_mov_b64 s[4:5], exec
	v_readlane_b32 s10, v50, 46
	v_readlane_b32 s11, v50, 47
	s_and_b64 s[10:11], s[4:5], s[10:11]
	s_mov_b64 exec, s[10:11]
; %bb.228:                              ;   in Loop: Header=BB174_18 Depth=1
	ds_write_b16 v28, v3
; %bb.229:                              ;   in Loop: Header=BB174_18 Depth=1
	s_or_b64 exec, exec, s[4:5]
	s_mov_b64 s[4:5], -1
	v_writelane_b32 v49, s4, 13
	v_or_b32_e32 v9, s86, v9
	v_or_b32_e32 v8, s86, v8
	v_writelane_b32 v49, s5, 14
	s_mov_b64 s[58:59], 0
	s_cmp_eq_u64 s[8:9], 0
	s_mov_b64 s[4:5], 0
	s_mov_b64 s[10:11], -1
	s_waitcnt lgkmcnt(0)
	s_barrier
                                        ; implicit-def: $vgpr10
	s_cbranch_scc1 .LBB174_247
; %bb.230:                              ;   in Loop: Header=BB174_18 Depth=1
	v_readlane_b32 s4, v50, 50
	s_add_u32 s76, s8, s4
	v_readlane_b32 s4, v50, 52
	s_addc_u32 s5, s9, s4
	s_mov_b32 s4, s93
	s_cmp_lg_u64 s[4:5], 0
	s_cbranch_scc0 .LBB174_234
; %bb.231:                              ;   in Loop: Header=BB174_18 Depth=1
	v_cvt_f32_u32_e32 v6, s83
	s_sub_u32 s4, 0, s83
	s_subb_u32 s12, 0, 0
	v_mac_f32_e32 v6, 0, v33
	v_rcp_f32_e32 v6, v6
	v_mul_f32_e32 v6, 0x5f7ffffc, v6
	v_mul_f32_e32 v7, 0x2f800000, v6
	v_trunc_f32_e32 v7, v7
	v_mac_f32_e32 v6, 0xcf800000, v7
	v_cvt_u32_f32_e32 v7, v7
	v_cvt_u32_f32_e32 v6, v6
	v_readfirstlane_b32 s13, v7
	v_readfirstlane_b32 s10, v6
	s_mul_i32 s11, s4, s13
	s_mul_hi_u32 s78, s4, s10
	s_mul_i32 s77, s12, s10
	s_add_i32 s11, s78, s11
	s_mul_i32 s79, s4, s10
	s_add_i32 s11, s11, s77
	s_mul_hi_u32 s78, s10, s79
	s_mul_i32 s84, s10, s11
	s_mul_hi_u32 s77, s10, s11
	s_add_u32 s78, s78, s84
	s_addc_u32 s77, 0, s77
	s_mul_hi_u32 s85, s13, s79
	s_mul_i32 s79, s13, s79
	s_add_u32 s78, s78, s79
	s_mul_hi_u32 s84, s13, s11
	s_addc_u32 s77, s77, s85
	s_addc_u32 s78, s84, 0
	s_mul_i32 s11, s13, s11
	s_add_u32 s11, s77, s11
	s_addc_u32 s77, 0, s78
	s_add_u32 s78, s10, s11
	s_cselect_b64 s[10:11], -1, 0
	s_cmp_lg_u64 s[10:11], 0
	s_addc_u32 s13, s13, s77
	s_mul_i32 s10, s4, s13
	s_mul_hi_u32 s11, s4, s78
	s_add_i32 s10, s11, s10
	s_mul_i32 s12, s12, s78
	s_add_i32 s10, s10, s12
	s_mul_i32 s4, s4, s78
	s_mul_hi_u32 s12, s13, s4
	s_mul_i32 s77, s13, s4
	s_mul_i32 s84, s78, s10
	s_mul_hi_u32 s4, s78, s4
	s_mul_hi_u32 s79, s78, s10
	s_add_u32 s4, s4, s84
	s_addc_u32 s79, 0, s79
	s_add_u32 s4, s4, s77
	s_mul_hi_u32 s11, s13, s10
	s_addc_u32 s4, s79, s12
	s_addc_u32 s11, s11, 0
	s_mul_i32 s10, s13, s10
	s_add_u32 s4, s4, s10
	s_addc_u32 s12, 0, s11
	s_add_u32 s4, s78, s4
	s_cselect_b64 s[10:11], -1, 0
	s_cmp_lg_u64 s[10:11], 0
	s_addc_u32 s10, s13, s12
	s_mul_i32 s12, s76, s10
	s_mul_hi_u32 s13, s76, s4
	s_mul_hi_u32 s11, s76, s10
	s_add_u32 s12, s13, s12
	s_addc_u32 s11, 0, s11
	s_mul_hi_u32 s77, s5, s4
	s_mul_i32 s4, s5, s4
	s_add_u32 s4, s12, s4
	s_mul_hi_u32 s13, s5, s10
	s_addc_u32 s4, s11, s77
	s_addc_u32 s11, s13, 0
	s_mul_i32 s10, s5, s10
	s_add_u32 s4, s4, s10
	s_addc_u32 s10, 0, s11
	s_mul_i32 s10, s83, s10
	s_mul_hi_u32 s11, s83, s4
	s_add_i32 s12, s11, s10
	s_mul_i32 s4, s83, s4
	s_sub_u32 s4, s76, s4
	s_cselect_b64 s[10:11], -1, 0
	s_cmp_lg_u64 s[10:11], 0
	s_subb_u32 s12, s5, s12
	s_sub_u32 s13, s4, s83
	s_cselect_b64 s[10:11], -1, 0
	s_cmp_lg_u64 s[10:11], 0
	s_subb_u32 s77, s12, 0
	;; [unrolled: 4-line block ×3, first 2 shown]
	s_cmp_ge_u32 s13, s83
	s_cselect_b32 s11, -1, 0
	s_cmp_eq_u32 s77, 0
	s_cselect_b32 s11, s11, -1
	s_cmp_lg_u32 s11, 0
	s_cselect_b32 s10, s10, s77
	s_cselect_b32 s13, s78, s13
	s_cmp_ge_u32 s4, s83
	s_cselect_b32 s11, -1, 0
	s_cmp_eq_u32 s12, 0
	s_cselect_b32 s11, s11, -1
	s_cmp_lg_u32 s11, 0
	s_cselect_b32 s11, s10, s12
	s_cselect_b32 s10, s13, s4
	s_mov_b64 s[12:13], 0
	s_branch .LBB174_235
.LBB174_232:                            ;   in Loop: Header=BB174_18 Depth=1
                                        ; implicit-def: $sgpr10_sgpr11
	s_branch .LBB174_187
.LBB174_233:                            ;   in Loop: Header=BB174_18 Depth=1
                                        ; implicit-def: $sgpr8_sgpr9
	s_branch .LBB174_203
.LBB174_234:                            ;   in Loop: Header=BB174_18 Depth=1
	s_mov_b64 s[12:13], -1
                                        ; implicit-def: $sgpr10_sgpr11
.LBB174_235:                            ;   in Loop: Header=BB174_18 Depth=1
	s_andn2_b64 vcc, exec, s[12:13]
	s_cbranch_vccnz .LBB174_237
; %bb.236:                              ;   in Loop: Header=BB174_18 Depth=1
	v_cvt_f32_u32_e32 v6, s83
	s_sub_i32 s4, 0, s83
	v_rcp_iflag_f32_e32 v6, v6
	v_mul_f32_e32 v6, 0x4f7ffffe, v6
	v_cvt_u32_f32_e32 v6, v6
	v_readfirstlane_b32 s10, v6
	s_mul_i32 s4, s4, s10
	s_mul_hi_u32 s4, s10, s4
	s_add_i32 s10, s10, s4
	s_mul_hi_u32 s4, s76, s10
	s_mul_i32 s4, s4, s83
	s_sub_i32 s4, s76, s4
	s_sub_i32 s10, s4, s83
	s_cmp_ge_u32 s4, s83
	s_cselect_b32 s4, s10, s4
	s_sub_i32 s10, s4, s83
	s_cmp_ge_u32 s4, s83
	s_cselect_b32 s92, s10, s4
	s_mov_b64 s[10:11], s[92:93]
.LBB174_237:                            ;   in Loop: Header=BB174_18 Depth=1
	s_sub_u32 s76, s76, s10
	s_subb_u32 s77, s5, s11
	v_cmp_gt_u64_e32 vcc, s[76:77], v[0:1]
	s_mov_b64 s[10:11], 0
	s_mov_b64 s[4:5], 0
                                        ; implicit-def: $vgpr10
	s_and_saveexec_b64 s[12:13], vcc
	s_cbranch_execz .LBB174_246
; %bb.238:                              ;   in Loop: Header=BB174_18 Depth=1
	v_mov_b32_e32 v7, v1
	v_mov_b32_e32 v10, v27
	;; [unrolled: 1-line block ×3, first 2 shown]
                                        ; implicit-def: $sgpr78_sgpr79
	s_branch .LBB174_241
.LBB174_239:                            ;   in Loop: Header=BB174_241 Depth=2
	s_or_b64 exec, exec, s[84:85]
	s_waitcnt lgkmcnt(0)
	s_barrier
	ds_read_b32 v11, v3 offset:3072
	s_mov_b64 s[84:85], -1
	s_waitcnt lgkmcnt(0)
	s_barrier
	v_cmp_ne_u32_sdwa s[94:95], v11, v3 src0_sel:WORD_0 src1_sel:DWORD
	s_and_b64 vcc, exec, s[94:95]
	s_mov_b64 s[94:95], -1
	s_cbranch_vccz .LBB174_244
.LBB174_240:                            ;   in Loop: Header=BB174_241 Depth=2
	s_and_b64 s[84:85], exec, s[84:85]
	s_or_b64 s[4:5], s[84:85], s[4:5]
	s_andn2_b64 s[78:79], s[78:79], exec
	s_and_b64 s[84:85], s[94:95], exec
	s_or_b64 s[78:79], s[78:79], s[84:85]
	s_andn2_b64 exec, exec, s[4:5]
	s_cbranch_execz .LBB174_245
.LBB174_241:                            ;   Parent Loop BB174_18 Depth=1
                                        ; =>  This Inner Loop Header: Depth=2
	v_cmp_gt_u64_e32 vcc, s[8:9], v[6:7]
	s_and_saveexec_b64 s[84:85], vcc
	s_cbranch_execz .LBB174_239
; %bb.242:                              ;   in Loop: Header=BB174_241 Depth=2
	ds_read_u16 v11, v10
	s_waitcnt lgkmcnt(0)
	v_add_u32_sdwa v21, sext(v11), s81 dst_sel:DWORD dst_unused:UNUSED_PAD src0_sel:WORD_0 src1_sel:DWORD
	v_and_b32_e32 v21, v21, v8
	v_cmp_eq_u32_e32 vcc, v21, v9
	s_and_b64 exec, exec, vcc
	s_cbranch_execz .LBB174_239
; %bb.243:                              ;   in Loop: Header=BB174_241 Depth=2
	v_perm_b32 v11, v11, 1, v34
	ds_write_b32 v3, v11 offset:3072
	s_branch .LBB174_239
.LBB174_244:                            ;   in Loop: Header=BB174_241 Depth=2
	v_add_co_u32_e32 v6, vcc, s83, v6
	v_addc_co_u32_e32 v7, vcc, 0, v7, vcc
	v_cmp_le_u64_e32 vcc, s[76:77], v[6:7]
	v_readlane_b32 s84, v49, 2
	v_add_u32_e32 v10, s84, v10
	s_mov_b64 s[94:95], 0
	s_orn2_b64 s[84:85], vcc, exec
	s_branch .LBB174_240
.LBB174_245:                            ;   in Loop: Header=BB174_18 Depth=1
	s_or_b64 exec, exec, s[4:5]
	v_readlane_b32 s94, v49, 3
	v_lshrrev_b32_e32 v10, 16, v11
	s_and_b64 s[4:5], s[78:79], exec
	v_readlane_b32 s95, v49, 4
.LBB174_246:                            ;   in Loop: Header=BB174_18 Depth=1
	s_or_b64 exec, exec, s[12:13]
	v_readlane_b32 s84, v49, 5
	v_readlane_b32 s85, v49, 6
.LBB174_247:                            ;   in Loop: Header=BB174_18 Depth=1
	s_and_b64 vcc, exec, s[10:11]
	s_cbranch_vccz .LBB174_263
; %bb.248:                              ;   in Loop: Header=BB174_18 Depth=1
	v_readlane_b32 s78, v50, 53
	v_readlane_b32 s79, v50, 54
	s_mov_b32 s78, s93
	s_cmp_lg_u64 s[78:79], 0
	v_writelane_b32 v50, s78, 53
	v_writelane_b32 v50, s79, 54
	s_cbranch_scc0 .LBB174_250
; %bb.249:                              ;   in Loop: Header=BB174_18 Depth=1
	v_cvt_f32_u32_e32 v6, s83
	s_sub_u32 s10, 0, s83
	s_subb_u32 s11, 0, 0
	v_mac_f32_e32 v6, 0, v33
	v_rcp_f32_e32 v6, v6
	v_mul_f32_e32 v6, 0x5f7ffffc, v6
	v_mul_f32_e32 v7, 0x2f800000, v6
	v_trunc_f32_e32 v7, v7
	v_mac_f32_e32 v6, 0xcf800000, v7
	v_cvt_u32_f32_e32 v7, v7
	v_cvt_u32_f32_e32 v6, v6
	v_readfirstlane_b32 s12, v7
	v_readfirstlane_b32 s8, v6
	s_mul_i32 s9, s10, s12
	s_mul_hi_u32 s58, s10, s8
	s_mul_i32 s13, s11, s8
	s_add_i32 s9, s58, s9
	s_mul_i32 s59, s10, s8
	s_add_i32 s9, s9, s13
	s_mul_hi_u32 s58, s8, s59
	s_mul_i32 s76, s8, s9
	s_mul_hi_u32 s13, s8, s9
	s_add_u32 s58, s58, s76
	s_addc_u32 s13, 0, s13
	s_mul_hi_u32 s77, s12, s59
	s_mul_i32 s59, s12, s59
	s_add_u32 s58, s58, s59
	s_mul_hi_u32 s76, s12, s9
	s_addc_u32 s13, s13, s77
	s_addc_u32 s58, s76, 0
	s_mul_i32 s9, s12, s9
	s_add_u32 s9, s13, s9
	s_addc_u32 s13, 0, s58
	s_add_u32 s58, s8, s9
	s_cselect_b64 s[8:9], -1, 0
	s_cmp_lg_u64 s[8:9], 0
	s_addc_u32 s12, s12, s13
	s_mul_i32 s8, s10, s12
	s_mul_hi_u32 s9, s10, s58
	s_add_i32 s8, s9, s8
	s_mul_i32 s11, s11, s58
	s_add_i32 s8, s8, s11
	s_mul_i32 s10, s10, s58
	s_mul_hi_u32 s11, s12, s10
	s_mul_i32 s13, s12, s10
	s_mul_i32 s76, s58, s8
	s_mul_hi_u32 s10, s58, s10
	s_mul_hi_u32 s59, s58, s8
	s_add_u32 s10, s10, s76
	s_addc_u32 s59, 0, s59
	s_add_u32 s10, s10, s13
	s_mul_hi_u32 s9, s12, s8
	s_addc_u32 s10, s59, s11
	s_addc_u32 s9, s9, 0
	s_mul_i32 s8, s12, s8
	s_add_u32 s8, s10, s8
	s_addc_u32 s10, 0, s9
	s_add_u32 s11, s58, s8
	s_cselect_b64 s[8:9], -1, 0
	s_cmp_lg_u64 s[8:9], 0
	s_addc_u32 s8, s12, s10
	v_readlane_b32 s58, v50, 51
	s_mul_i32 s10, s58, s8
	s_mul_hi_u32 s12, s58, s11
	s_mul_hi_u32 s9, s58, s8
	s_add_u32 s10, s12, s10
	s_addc_u32 s9, 0, s9
	s_mul_hi_u32 s13, s79, s11
	s_mul_i32 s11, s79, s11
	s_add_u32 s10, s10, s11
	s_mul_hi_u32 s12, s79, s8
	s_addc_u32 s9, s9, s13
	s_addc_u32 s10, s12, 0
	s_mul_i32 s8, s79, s8
	s_add_u32 s8, s9, s8
	s_addc_u32 s9, 0, s10
	s_mul_i32 s9, s83, s9
	s_mul_hi_u32 s10, s83, s8
	s_add_i32 s10, s10, s9
	s_mul_i32 s8, s83, s8
	s_sub_u32 s11, s58, s8
	s_cselect_b64 s[8:9], -1, 0
	s_cmp_lg_u64 s[8:9], 0
	s_subb_u32 s10, s79, s10
	s_sub_u32 s12, s11, s83
	s_cselect_b64 s[8:9], -1, 0
	s_cmp_lg_u64 s[8:9], 0
	s_subb_u32 s13, s10, 0
	;; [unrolled: 4-line block ×3, first 2 shown]
	s_cmp_ge_u32 s12, s83
	s_cselect_b32 s9, -1, 0
	s_cmp_eq_u32 s13, 0
	s_cselect_b32 s9, s9, -1
	s_cmp_lg_u32 s9, 0
	s_cselect_b32 s8, s8, s13
	s_cselect_b32 s12, s58, s12
	s_cmp_ge_u32 s11, s83
	s_cselect_b32 s9, -1, 0
	s_cmp_eq_u32 s10, 0
	s_cselect_b32 s9, s9, -1
	s_cmp_lg_u32 s9, 0
	s_cselect_b32 s9, s8, s10
	s_cselect_b32 s8, s12, s11
	s_mov_b64 s[10:11], 0
	s_branch .LBB174_251
.LBB174_250:                            ;   in Loop: Header=BB174_18 Depth=1
	s_mov_b64 s[10:11], -1
                                        ; implicit-def: $sgpr8_sgpr9
.LBB174_251:                            ;   in Loop: Header=BB174_18 Depth=1
	s_andn2_b64 vcc, exec, s[10:11]
	s_cbranch_vccnz .LBB174_253
; %bb.252:                              ;   in Loop: Header=BB174_18 Depth=1
	v_cvt_f32_u32_e32 v6, s83
	s_sub_i32 s8, 0, s83
	v_readlane_b32 s10, v50, 51
	v_rcp_iflag_f32_e32 v6, v6
	v_mul_f32_e32 v6, 0x4f7ffffe, v6
	v_cvt_u32_f32_e32 v6, v6
	v_readfirstlane_b32 s9, v6
	s_mul_i32 s8, s8, s9
	s_mul_hi_u32 s8, s9, s8
	s_add_i32 s9, s9, s8
	s_mul_hi_u32 s8, s10, s9
	s_mul_i32 s8, s8, s83
	s_sub_i32 s8, s10, s8
	s_sub_i32 s9, s8, s83
	s_cmp_ge_u32 s8, s83
	s_cselect_b32 s8, s9, s8
	s_sub_i32 s9, s8, s83
	s_cmp_ge_u32 s8, s83
	s_cselect_b32 s92, s9, s8
	s_mov_b64 s[8:9], s[92:93]
.LBB174_253:                            ;   in Loop: Header=BB174_18 Depth=1
	v_readlane_b32 s10, v50, 51
	v_readlane_b32 s12, v50, 53
	s_sub_u32 s10, s10, s8
	v_readlane_b32 s13, v50, 54
	s_subb_u32 s11, s13, s9
	v_cmp_gt_u64_e32 vcc, s[10:11], v[0:1]
                                        ; implicit-def: $vgpr10
	s_and_saveexec_b64 s[8:9], vcc
	s_cbranch_execz .LBB174_262
; %bb.254:                              ;   in Loop: Header=BB174_18 Depth=1
	v_mov_b32_e32 v7, v1
	s_mov_b64 s[12:13], 0
	v_mov_b32_e32 v6, v0
                                        ; implicit-def: $sgpr58_sgpr59
	s_branch .LBB174_257
.LBB174_255:                            ;   in Loop: Header=BB174_257 Depth=2
	s_or_b64 exec, exec, s[76:77]
	s_waitcnt lgkmcnt(0)
	s_barrier
	ds_read_b32 v10, v3 offset:3072
	s_mov_b64 s[76:77], -1
	s_waitcnt lgkmcnt(0)
	s_barrier
	v_cmp_eq_u32_sdwa s[78:79], v10, v3 src0_sel:WORD_0 src1_sel:DWORD
	s_and_b64 vcc, exec, s[78:79]
	s_mov_b64 s[78:79], -1
	s_cbranch_vccnz .LBB174_260
.LBB174_256:                            ;   in Loop: Header=BB174_257 Depth=2
	s_and_b64 s[76:77], exec, s[76:77]
	s_or_b64 s[12:13], s[76:77], s[12:13]
	s_andn2_b64 s[58:59], s[58:59], exec
	s_and_b64 s[76:77], s[78:79], exec
	s_or_b64 s[58:59], s[58:59], s[76:77]
	s_andn2_b64 exec, exec, s[12:13]
	s_cbranch_execz .LBB174_261
.LBB174_257:                            ;   Parent Loop BB174_18 Depth=1
                                        ; =>  This Inner Loop Header: Depth=2
	v_cmp_gt_u64_e32 vcc, s[64:65], v[6:7]
	s_and_saveexec_b64 s[76:77], vcc
	s_cbranch_execz .LBB174_255
; %bb.258:                              ;   in Loop: Header=BB174_257 Depth=2
	v_mul_lo_u32 v21, v7, s62
	v_mul_lo_u32 v22, v6, s63
	v_mad_u64_u32 v[10:11], s[78:79], v6, s62, 0
	v_add3_u32 v11, v11, v22, v21
	v_lshlrev_b64 v[10:11], 1, v[10:11]
	v_mov_b32_e32 v21, s82
	v_add_co_u32_e32 v10, vcc, s33, v10
	v_addc_co_u32_e32 v11, vcc, v21, v11, vcc
	global_load_ushort v10, v[10:11], off
	s_waitcnt vmcnt(0)
	v_add_u32_sdwa v11, sext(v10), s81 dst_sel:DWORD dst_unused:UNUSED_PAD src0_sel:WORD_0 src1_sel:DWORD
	v_and_b32_e32 v11, v11, v8
	v_cmp_eq_u32_e32 vcc, v11, v9
	s_and_b64 exec, exec, vcc
	s_cbranch_execz .LBB174_255
; %bb.259:                              ;   in Loop: Header=BB174_257 Depth=2
	v_perm_b32 v10, v10, 1, v34
	ds_write_b32 v3, v10 offset:3072
	s_branch .LBB174_255
.LBB174_260:                            ;   in Loop: Header=BB174_257 Depth=2
	v_add_co_u32_e32 v6, vcc, s83, v6
	v_addc_co_u32_e32 v7, vcc, 0, v7, vcc
	v_cmp_le_u64_e32 vcc, s[10:11], v[6:7]
	s_mov_b64 s[78:79], 0
	s_orn2_b64 s[76:77], vcc, exec
	s_branch .LBB174_256
.LBB174_261:                            ;   in Loop: Header=BB174_18 Depth=1
	s_or_b64 exec, exec, s[12:13]
	s_andn2_b64 s[4:5], s[4:5], exec
	s_and_b64 s[10:11], s[58:59], exec
	v_lshrrev_b32_e32 v10, 16, v10
	s_or_b64 s[4:5], s[4:5], s[10:11]
.LBB174_262:                            ;   in Loop: Header=BB174_18 Depth=1
	s_or_b64 exec, exec, s[8:9]
	s_mov_b64 s[8:9], 0
	v_writelane_b32 v49, s8, 13
	s_mov_b64 s[58:59], -1
	v_writelane_b32 v49, s9, 14
.LBB174_263:                            ;   in Loop: Header=BB174_18 Depth=1
	s_orn2_b64 s[8:9], s[4:5], exec
.LBB174_264:                            ;   in Loop: Header=BB174_18 Depth=1
	v_readlane_b32 s4, v49, 11
	v_readlane_b32 s5, v49, 12
	s_or_b64 exec, exec, s[4:5]
	s_mov_b64 s[10:11], 0
	s_and_saveexec_b64 s[4:5], s[8:9]
	s_cbranch_execz .LBB174_275
; %bb.265:                              ;   in Loop: Header=BB174_18 Depth=1
	v_readlane_b32 s8, v49, 9
	v_readlane_b32 s9, v49, 10
	v_mov_b32_e32 v6, 1
	s_xor_b64 s[10:11], s[8:9], -1
	v_mov_b32_e32 v7, 0
	v_mov_b32_e32 v2, 1
	s_and_saveexec_b64 s[8:9], s[10:11]
	s_cbranch_execz .LBB174_274
; %bb.266:                              ;   in Loop: Header=BB174_18 Depth=1
	v_cmp_ge_u64_e32 vcc, s[28:29], v[4:5]
	s_and_saveexec_b64 s[10:11], vcc
	s_xor_b64 s[10:11], exec, s[10:11]
	s_cbranch_execz .LBB174_271
; %bb.267:                              ;   in Loop: Header=BB174_18 Depth=1
	ds_read_b64 v[6:7], v3 offset:5120
	v_or_b32_e32 v9, s86, v9
	v_or_b32_e32 v8, s86, v8
	s_waitcnt lgkmcnt(0)
	v_cmp_ne_u64_e32 vcc, 0, v[6:7]
	s_cbranch_vccnz .LBB174_271
; %bb.268:                              ;   in Loop: Header=BB174_18 Depth=1
	s_mov_b64 s[12:13], exec
	v_readlane_b32 s76, v50, 32
	v_readlane_b32 s77, v50, 33
	s_and_b64 s[76:77], s[12:13], s[76:77]
	s_mov_b64 exec, s[76:77]
; %bb.269:                              ;   in Loop: Header=BB174_18 Depth=1
	v_mov_b32_e32 v6, s28
	v_mov_b32_e32 v7, s29
	ds_write_b64 v3, v[6:7] offset:5128
; %bb.270:                              ;   in Loop: Header=BB174_18 Depth=1
	s_or_b64 exec, exec, s[12:13]
	s_waitcnt lgkmcnt(0)
	s_barrier
.LBB174_271:                            ;   in Loop: Header=BB174_18 Depth=1
	s_andn2_saveexec_b64 s[10:11], s[10:11]
; %bb.272:                              ;   in Loop: Header=BB174_18 Depth=1
	v_mov_b32_e32 v2, s29
	v_subrev_co_u32_e32 v4, vcc, s28, v4
	v_subb_co_u32_e32 v5, vcc, v5, v2, vcc
; %bb.273:                              ;   in Loop: Header=BB174_18 Depth=1
	s_or_b64 exec, exec, s[10:11]
	v_mov_b32_e32 v7, v5
	v_mov_b32_e32 v2, 8
	;; [unrolled: 1-line block ×3, first 2 shown]
.LBB174_274:                            ;   in Loop: Header=BB174_18 Depth=1
	s_or_b64 exec, exec, s[8:9]
	v_mov_b32_e32 v4, v6
	s_mov_b64 s[10:11], exec
	v_mov_b32_e32 v5, v7
.LBB174_275:                            ;   in Loop: Header=BB174_18 Depth=1
	s_or_b64 exec, exec, s[4:5]
	s_orn2_b64 s[4:5], s[10:11], exec
.LBB174_276:                            ;   in Loop: Header=BB174_18 Depth=1
	s_or_b64 exec, exec, s[56:57]
	s_andn2_b64 s[8:9], s[52:53], exec
	s_and_b64 s[10:11], s[58:59], exec
	s_or_b64 s[52:53], s[8:9], s[10:11]
	v_readlane_b32 s10, v49, 13
	v_readlane_b32 s11, v49, 14
	s_andn2_b64 s[8:9], s[50:51], exec
	s_and_b64 s[10:11], s[10:11], exec
	v_mov_b32_e32 v7, v5
	s_or_b64 s[50:51], s[8:9], s[10:11]
	s_and_b64 s[8:9], s[4:5], exec
	v_mov_b32_e32 v6, v4
.LBB174_277:                            ;   in Loop: Header=BB174_18 Depth=1
	s_or_b64 exec, exec, s[54:55]
	s_orn2_b64 s[4:5], s[8:9], exec
.LBB174_278:                            ;   in Loop: Header=BB174_18 Depth=1
	s_or_b64 exec, exec, s[48:49]
	s_andn2_b64 s[8:9], s[34:35], exec
	s_and_b64 s[10:11], s[52:53], exec
	s_or_b64 s[34:35], s[8:9], s[10:11]
	s_andn2_b64 s[8:9], s[30:31], exec
	s_and_b64 s[10:11], s[50:51], exec
	v_mov_b32_e32 v4, v6
	s_or_b64 s[30:31], s[8:9], s[10:11]
	s_and_b64 s[8:9], s[4:5], exec
	v_mov_b32_e32 v5, v7
.LBB174_279:                            ;   in Loop: Header=BB174_18 Depth=1
	s_or_b64 exec, exec, s[46:47]
	s_orn2_b64 s[4:5], s[8:9], exec
.LBB174_280:                            ;   in Loop: Header=BB174_18 Depth=1
	s_or_b64 exec, exec, s[6:7]
	s_mov_b64 s[6:7], 0
	s_mov_b64 s[8:9], 0
	s_and_saveexec_b64 s[10:11], s[4:5]
	s_xor_b64 s[4:5], exec, s[10:11]
; %bb.281:                              ;   in Loop: Header=BB174_18 Depth=1
	v_cmp_eq_u32_e32 vcc, 8, v2
	v_cmp_ne_u32_e64 s[6:7], 8, v2
	s_and_b64 s[8:9], s[6:7], exec
	s_and_b64 s[6:7], vcc, exec
; %bb.282:                              ;   in Loop: Header=BB174_18 Depth=1
	s_or_b64 exec, exec, s[4:5]
	s_andn2_b64 s[4:5], s[40:41], exec
	s_and_b64 s[10:11], s[34:35], exec
	s_or_b64 s[40:41], s[4:5], s[10:11]
	s_andn2_b64 s[4:5], s[38:39], exec
	s_and_b64 s[10:11], s[30:31], exec
	s_or_b64 s[38:39], s[4:5], s[10:11]
	s_and_b64 s[30:31], s[8:9], exec
	s_and_b64 s[34:35], s[6:7], exec
.LBB174_283:                            ;   in Loop: Header=BB174_18 Depth=1
	s_or_b64 exec, exec, s[44:45]
.LBB174_284:                            ;   in Loop: Header=BB174_18 Depth=1
	s_and_b64 vcc, exec, s[42:43]
	s_cbranch_vccz .LBB174_300
; %bb.285:                              ;   in Loop: Header=BB174_18 Depth=1
	s_cmp_eq_u64 s[28:29], 1
	s_cselect_b64 s[4:5], -1, 0
	s_and_b64 s[6:7], s[4:5], s[18:19]
	s_mov_b64 s[4:5], -1
                                        ; implicit-def: $sgpr18_sgpr19
                                        ; implicit-def: $sgpr22_sgpr23
	s_and_saveexec_b64 s[38:39], s[6:7]
	s_cbranch_execz .LBB174_318
; %bb.286:                              ;   in Loop: Header=BB174_18 Depth=1
	ds_read_b64 v[4:5], v3 offset:5120
	s_waitcnt lgkmcnt(0)
	s_barrier
	v_readfirstlane_b32 s8, v4
	v_readfirstlane_b32 s9, v5
	s_mov_b64 s[4:5], exec
	v_readlane_b32 s10, v50, 46
	v_readlane_b32 s11, v50, 47
	s_and_b64 s[10:11], s[4:5], s[10:11]
	s_mov_b64 exec, s[10:11]
; %bb.287:                              ;   in Loop: Header=BB174_18 Depth=1
	ds_write_b16 v28, v3
; %bb.288:                              ;   in Loop: Header=BB174_18 Depth=1
	s_or_b64 exec, exec, s[4:5]
	v_or_b32_e32 v30, s86, v30
	v_or_b32_e32 v35, s86, v35
	s_mov_b64 s[22:23], -1
	s_mov_b64 s[18:19], 0
	s_cmp_eq_u64 s[8:9], 0
	s_mov_b64 s[4:5], 0
	s_mov_b64 s[10:11], -1
	s_waitcnt lgkmcnt(0)
	s_barrier
                                        ; implicit-def: $vgpr36
	s_cbranch_scc1 .LBB174_303
; %bb.289:                              ;   in Loop: Header=BB174_18 Depth=1
	v_readlane_b32 s4, v50, 50
	s_add_u32 s40, s8, s4
	v_readlane_b32 s4, v50, 52
	s_addc_u32 s5, s9, s4
	s_mov_b32 s4, s93
	s_cmp_lg_u64 s[4:5], 0
	s_cbranch_scc0 .LBB174_344
; %bb.290:                              ;   in Loop: Header=BB174_18 Depth=1
	v_cvt_f32_u32_e32 v2, s83
	s_sub_u32 s4, 0, s83
	s_subb_u32 s12, 0, 0
	v_mac_f32_e32 v2, 0, v33
	v_rcp_f32_e32 v2, v2
	v_mul_f32_e32 v2, 0x5f7ffffc, v2
	v_mul_f32_e32 v4, 0x2f800000, v2
	v_trunc_f32_e32 v4, v4
	v_mac_f32_e32 v2, 0xcf800000, v4
	v_cvt_u32_f32_e32 v4, v4
	v_cvt_u32_f32_e32 v2, v2
	v_readfirstlane_b32 s13, v4
	v_readfirstlane_b32 s10, v2
	s_mul_i32 s11, s4, s13
	s_mul_hi_u32 s42, s4, s10
	s_mul_i32 s41, s12, s10
	s_add_i32 s11, s42, s11
	s_mul_i32 s43, s4, s10
	s_add_i32 s11, s11, s41
	s_mul_hi_u32 s42, s10, s43
	s_mul_i32 s44, s10, s11
	s_mul_hi_u32 s41, s10, s11
	s_add_u32 s42, s42, s44
	s_addc_u32 s41, 0, s41
	s_mul_hi_u32 s45, s13, s43
	s_mul_i32 s43, s13, s43
	s_add_u32 s42, s42, s43
	s_mul_hi_u32 s44, s13, s11
	s_addc_u32 s41, s41, s45
	s_addc_u32 s42, s44, 0
	s_mul_i32 s11, s13, s11
	s_add_u32 s11, s41, s11
	s_addc_u32 s41, 0, s42
	s_add_u32 s42, s10, s11
	s_cselect_b64 s[10:11], -1, 0
	s_cmp_lg_u64 s[10:11], 0
	s_addc_u32 s13, s13, s41
	s_mul_i32 s10, s4, s13
	s_mul_hi_u32 s11, s4, s42
	s_add_i32 s10, s11, s10
	s_mul_i32 s12, s12, s42
	s_add_i32 s10, s10, s12
	s_mul_i32 s4, s4, s42
	s_mul_hi_u32 s12, s13, s4
	s_mul_i32 s41, s13, s4
	s_mul_i32 s44, s42, s10
	s_mul_hi_u32 s4, s42, s4
	s_mul_hi_u32 s43, s42, s10
	s_add_u32 s4, s4, s44
	s_addc_u32 s43, 0, s43
	s_add_u32 s4, s4, s41
	s_mul_hi_u32 s11, s13, s10
	s_addc_u32 s4, s43, s12
	s_addc_u32 s11, s11, 0
	s_mul_i32 s10, s13, s10
	s_add_u32 s4, s4, s10
	s_addc_u32 s12, 0, s11
	s_add_u32 s4, s42, s4
	s_cselect_b64 s[10:11], -1, 0
	s_cmp_lg_u64 s[10:11], 0
	s_addc_u32 s10, s13, s12
	s_mul_i32 s12, s40, s10
	s_mul_hi_u32 s13, s40, s4
	s_mul_hi_u32 s11, s40, s10
	s_add_u32 s12, s13, s12
	s_addc_u32 s11, 0, s11
	s_mul_hi_u32 s41, s5, s4
	s_mul_i32 s4, s5, s4
	s_add_u32 s4, s12, s4
	s_mul_hi_u32 s13, s5, s10
	s_addc_u32 s4, s11, s41
	s_addc_u32 s11, s13, 0
	s_mul_i32 s10, s5, s10
	s_add_u32 s4, s4, s10
	s_addc_u32 s10, 0, s11
	s_mul_i32 s10, s83, s10
	s_mul_hi_u32 s11, s83, s4
	s_add_i32 s12, s11, s10
	s_mul_i32 s4, s83, s4
	s_sub_u32 s4, s40, s4
	s_cselect_b64 s[10:11], -1, 0
	s_cmp_lg_u64 s[10:11], 0
	s_subb_u32 s12, s5, s12
	s_sub_u32 s13, s4, s83
	s_cselect_b64 s[10:11], -1, 0
	s_cmp_lg_u64 s[10:11], 0
	s_subb_u32 s41, s12, 0
	;; [unrolled: 4-line block ×3, first 2 shown]
	s_cmp_ge_u32 s13, s83
	s_cselect_b32 s11, -1, 0
	s_cmp_eq_u32 s41, 0
	s_cselect_b32 s11, s11, -1
	s_cmp_lg_u32 s11, 0
	s_cselect_b32 s10, s10, s41
	s_cselect_b32 s13, s42, s13
	s_cmp_ge_u32 s4, s83
	s_cselect_b32 s11, -1, 0
	s_cmp_eq_u32 s12, 0
	s_cselect_b32 s11, s11, -1
	s_cmp_lg_u32 s11, 0
	s_cselect_b32 s11, s10, s12
	s_cselect_b32 s10, s13, s4
	s_cbranch_execnz .LBB174_292
.LBB174_291:                            ;   in Loop: Header=BB174_18 Depth=1
	v_cvt_f32_u32_e32 v2, s83
	s_sub_i32 s4, 0, s83
	v_rcp_iflag_f32_e32 v2, v2
	v_mul_f32_e32 v2, 0x4f7ffffe, v2
	v_cvt_u32_f32_e32 v2, v2
	v_readfirstlane_b32 s10, v2
	s_mul_i32 s4, s4, s10
	s_mul_hi_u32 s4, s10, s4
	s_add_i32 s10, s10, s4
	s_mul_hi_u32 s4, s40, s10
	s_mul_i32 s4, s4, s83
	s_sub_i32 s4, s40, s4
	s_sub_i32 s10, s4, s83
	s_cmp_ge_u32 s4, s83
	s_cselect_b32 s4, s10, s4
	s_sub_i32 s10, s4, s83
	s_cmp_ge_u32 s4, s83
	s_cselect_b32 s92, s10, s4
	s_mov_b64 s[10:11], s[92:93]
.LBB174_292:                            ;   in Loop: Header=BB174_18 Depth=1
	s_sub_u32 s40, s40, s10
	s_subb_u32 s41, s5, s11
	v_cmp_gt_u64_e32 vcc, s[40:41], v[0:1]
	s_mov_b64 s[10:11], 0
	s_mov_b64 s[4:5], 0
                                        ; implicit-def: $vgpr36
	s_and_saveexec_b64 s[12:13], vcc
	s_cbranch_execz .LBB174_302
; %bb.293:                              ;   in Loop: Header=BB174_18 Depth=1
	v_mov_b32_e32 v5, v1
	v_mov_b32_e32 v2, v27
	;; [unrolled: 1-line block ×3, first 2 shown]
                                        ; implicit-def: $sgpr42_sgpr43
	s_branch .LBB174_296
.LBB174_294:                            ;   in Loop: Header=BB174_296 Depth=2
	s_or_b64 exec, exec, s[44:45]
	s_waitcnt lgkmcnt(0)
	s_barrier
	ds_read_b32 v6, v3 offset:3072
	s_mov_b64 s[44:45], -1
	s_waitcnt lgkmcnt(0)
	s_barrier
	v_cmp_ne_u32_sdwa s[46:47], v6, v3 src0_sel:WORD_0 src1_sel:DWORD
	s_and_b64 vcc, exec, s[46:47]
	s_mov_b64 s[46:47], -1
	s_cbranch_vccz .LBB174_299
.LBB174_295:                            ;   in Loop: Header=BB174_296 Depth=2
	s_and_b64 s[44:45], exec, s[44:45]
	s_or_b64 s[4:5], s[44:45], s[4:5]
	s_andn2_b64 s[42:43], s[42:43], exec
	s_and_b64 s[44:45], s[46:47], exec
	s_or_b64 s[42:43], s[42:43], s[44:45]
	s_andn2_b64 exec, exec, s[4:5]
	s_cbranch_execz .LBB174_301
.LBB174_296:                            ;   Parent Loop BB174_18 Depth=1
                                        ; =>  This Inner Loop Header: Depth=2
	v_cmp_gt_u64_e32 vcc, s[8:9], v[4:5]
	s_and_saveexec_b64 s[44:45], vcc
	s_cbranch_execz .LBB174_294
; %bb.297:                              ;   in Loop: Header=BB174_296 Depth=2
	ds_read_u16 v6, v2
	s_waitcnt lgkmcnt(0)
	v_add_u32_sdwa v7, sext(v6), s81 dst_sel:DWORD dst_unused:UNUSED_PAD src0_sel:WORD_0 src1_sel:DWORD
	v_and_b32_e32 v7, v7, v35
	v_cmp_eq_u32_e32 vcc, v7, v30
	s_and_b64 exec, exec, vcc
	s_cbranch_execz .LBB174_294
; %bb.298:                              ;   in Loop: Header=BB174_296 Depth=2
	v_perm_b32 v6, v6, 1, v34
	ds_write_b32 v3, v6 offset:3072
	s_branch .LBB174_294
.LBB174_299:                            ;   in Loop: Header=BB174_296 Depth=2
	v_add_co_u32_e32 v4, vcc, s83, v4
	v_addc_co_u32_e32 v5, vcc, 0, v5, vcc
	v_cmp_le_u64_e32 vcc, s[40:41], v[4:5]
	v_readlane_b32 s44, v49, 2
	v_add_u32_e32 v2, s44, v2
	s_mov_b64 s[46:47], 0
	s_orn2_b64 s[44:45], vcc, exec
	s_branch .LBB174_295
.LBB174_300:                            ;   in Loop: Header=BB174_18 Depth=1
	s_mov_b64 s[18:19], 0
	v_mov_b32_e32 v30, v9
	v_mov_b32_e32 v35, v8
	;; [unrolled: 1-line block ×3, first 2 shown]
	s_and_saveexec_b64 s[4:5], s[34:35]
	s_cbranch_execnz .LBB174_477
	s_branch .LBB174_478
.LBB174_301:                            ;   in Loop: Header=BB174_18 Depth=1
	s_or_b64 exec, exec, s[4:5]
	v_lshrrev_b32_e32 v36, 16, v6
	s_and_b64 s[4:5], s[42:43], exec
.LBB174_302:                            ;   in Loop: Header=BB174_18 Depth=1
	s_or_b64 exec, exec, s[12:13]
.LBB174_303:                            ;   in Loop: Header=BB174_18 Depth=1
	s_and_b64 vcc, exec, s[10:11]
	s_cbranch_vccz .LBB174_317
; %bb.304:                              ;   in Loop: Header=BB174_18 Depth=1
	v_readlane_b32 s40, v50, 53
	v_readlane_b32 s41, v50, 54
	s_mov_b32 s40, s93
	s_cmp_lg_u64 s[40:41], 0
	v_writelane_b32 v50, s40, 53
	v_writelane_b32 v50, s41, 54
	s_cbranch_scc0 .LBB174_345
; %bb.305:                              ;   in Loop: Header=BB174_18 Depth=1
	v_cvt_f32_u32_e32 v2, s83
	s_sub_u32 s10, 0, s83
	s_subb_u32 s11, 0, 0
	v_mac_f32_e32 v2, 0, v33
	v_rcp_f32_e32 v2, v2
	v_mul_f32_e32 v2, 0x5f7ffffc, v2
	v_mul_f32_e32 v4, 0x2f800000, v2
	v_trunc_f32_e32 v4, v4
	v_mac_f32_e32 v2, 0xcf800000, v4
	v_cvt_u32_f32_e32 v4, v4
	v_cvt_u32_f32_e32 v2, v2
	v_readfirstlane_b32 s12, v4
	v_readfirstlane_b32 s8, v2
	s_mul_i32 s9, s10, s12
	s_mul_hi_u32 s18, s10, s8
	s_mul_i32 s13, s11, s8
	s_add_i32 s9, s18, s9
	s_mul_i32 s19, s10, s8
	s_add_i32 s9, s9, s13
	s_mul_hi_u32 s18, s8, s19
	s_mul_i32 s22, s8, s9
	s_mul_hi_u32 s13, s8, s9
	s_add_u32 s18, s18, s22
	s_addc_u32 s13, 0, s13
	s_mul_hi_u32 s23, s12, s19
	s_mul_i32 s19, s12, s19
	s_add_u32 s18, s18, s19
	s_mul_hi_u32 s22, s12, s9
	s_addc_u32 s13, s13, s23
	s_addc_u32 s18, s22, 0
	s_mul_i32 s9, s12, s9
	s_add_u32 s9, s13, s9
	s_addc_u32 s13, 0, s18
	s_add_u32 s18, s8, s9
	s_cselect_b64 s[8:9], -1, 0
	s_cmp_lg_u64 s[8:9], 0
	s_addc_u32 s12, s12, s13
	s_mul_i32 s8, s10, s12
	s_mul_hi_u32 s9, s10, s18
	s_add_i32 s8, s9, s8
	s_mul_i32 s11, s11, s18
	s_add_i32 s8, s8, s11
	s_mul_i32 s10, s10, s18
	s_mul_hi_u32 s11, s12, s10
	s_mul_i32 s13, s12, s10
	s_mul_i32 s22, s18, s8
	s_mul_hi_u32 s10, s18, s10
	s_mul_hi_u32 s19, s18, s8
	s_add_u32 s10, s10, s22
	s_addc_u32 s19, 0, s19
	s_add_u32 s10, s10, s13
	s_mul_hi_u32 s9, s12, s8
	s_addc_u32 s10, s19, s11
	s_addc_u32 s9, s9, 0
	s_mul_i32 s8, s12, s8
	s_add_u32 s8, s10, s8
	s_addc_u32 s10, 0, s9
	s_add_u32 s11, s18, s8
	s_cselect_b64 s[8:9], -1, 0
	s_cmp_lg_u64 s[8:9], 0
	s_addc_u32 s8, s12, s10
	v_readlane_b32 s18, v50, 51
	s_mul_i32 s10, s18, s8
	s_mul_hi_u32 s12, s18, s11
	s_mul_hi_u32 s9, s18, s8
	s_add_u32 s10, s12, s10
	s_addc_u32 s9, 0, s9
	s_mul_hi_u32 s13, s41, s11
	s_mul_i32 s11, s41, s11
	s_add_u32 s10, s10, s11
	s_mul_hi_u32 s12, s41, s8
	s_addc_u32 s9, s9, s13
	s_addc_u32 s10, s12, 0
	s_mul_i32 s8, s41, s8
	s_add_u32 s8, s9, s8
	s_addc_u32 s9, 0, s10
	s_mul_i32 s9, s83, s9
	s_mul_hi_u32 s10, s83, s8
	s_add_i32 s10, s10, s9
	s_mul_i32 s8, s83, s8
	s_sub_u32 s11, s18, s8
	s_cselect_b64 s[8:9], -1, 0
	s_cmp_lg_u64 s[8:9], 0
	s_subb_u32 s10, s41, s10
	s_sub_u32 s12, s11, s83
	s_cselect_b64 s[8:9], -1, 0
	s_cmp_lg_u64 s[8:9], 0
	s_subb_u32 s13, s10, 0
	;; [unrolled: 4-line block ×3, first 2 shown]
	s_cmp_ge_u32 s12, s83
	s_cselect_b32 s9, -1, 0
	s_cmp_eq_u32 s13, 0
	s_cselect_b32 s9, s9, -1
	s_cmp_lg_u32 s9, 0
	s_cselect_b32 s8, s8, s13
	s_cselect_b32 s12, s18, s12
	s_cmp_ge_u32 s11, s83
	s_cselect_b32 s9, -1, 0
	s_cmp_eq_u32 s10, 0
	s_cselect_b32 s9, s9, -1
	s_cmp_lg_u32 s9, 0
	s_cselect_b32 s9, s8, s10
	s_cselect_b32 s8, s12, s11
	s_cbranch_execnz .LBB174_307
.LBB174_306:                            ;   in Loop: Header=BB174_18 Depth=1
	v_cvt_f32_u32_e32 v2, s83
	s_sub_i32 s8, 0, s83
	v_readlane_b32 s10, v50, 51
	v_rcp_iflag_f32_e32 v2, v2
	v_mul_f32_e32 v2, 0x4f7ffffe, v2
	v_cvt_u32_f32_e32 v2, v2
	v_readfirstlane_b32 s9, v2
	s_mul_i32 s8, s8, s9
	s_mul_hi_u32 s8, s9, s8
	s_add_i32 s9, s9, s8
	s_mul_hi_u32 s8, s10, s9
	s_mul_i32 s8, s8, s83
	s_sub_i32 s8, s10, s8
	s_sub_i32 s9, s8, s83
	s_cmp_ge_u32 s8, s83
	s_cselect_b32 s8, s9, s8
	s_sub_i32 s9, s8, s83
	s_cmp_ge_u32 s8, s83
	s_cselect_b32 s92, s9, s8
	s_mov_b64 s[8:9], s[92:93]
.LBB174_307:                            ;   in Loop: Header=BB174_18 Depth=1
	v_readlane_b32 s10, v50, 51
	v_readlane_b32 s12, v50, 53
	s_sub_u32 s10, s10, s8
	v_readlane_b32 s13, v50, 54
	s_subb_u32 s11, s13, s9
	v_cmp_gt_u64_e32 vcc, s[10:11], v[0:1]
                                        ; implicit-def: $vgpr36
	s_and_saveexec_b64 s[8:9], vcc
	s_cbranch_execz .LBB174_316
; %bb.308:                              ;   in Loop: Header=BB174_18 Depth=1
	v_mov_b32_e32 v5, v1
	s_mov_b64 s[12:13], 0
	v_mov_b32_e32 v4, v0
                                        ; implicit-def: $sgpr18_sgpr19
	s_branch .LBB174_311
.LBB174_309:                            ;   in Loop: Header=BB174_311 Depth=2
	s_or_b64 exec, exec, s[22:23]
	s_waitcnt lgkmcnt(0)
	s_barrier
	ds_read_b32 v2, v3 offset:3072
	s_mov_b64 s[22:23], -1
	s_waitcnt lgkmcnt(0)
	s_barrier
	v_cmp_ne_u32_sdwa s[40:41], v2, v3 src0_sel:WORD_0 src1_sel:DWORD
	s_and_b64 vcc, exec, s[40:41]
	s_mov_b64 s[40:41], -1
	s_cbranch_vccz .LBB174_314
.LBB174_310:                            ;   in Loop: Header=BB174_311 Depth=2
	s_and_b64 s[22:23], exec, s[22:23]
	s_or_b64 s[12:13], s[22:23], s[12:13]
	s_andn2_b64 s[18:19], s[18:19], exec
	s_and_b64 s[22:23], s[40:41], exec
	s_or_b64 s[18:19], s[18:19], s[22:23]
	s_andn2_b64 exec, exec, s[12:13]
	s_cbranch_execz .LBB174_315
.LBB174_311:                            ;   Parent Loop BB174_18 Depth=1
                                        ; =>  This Inner Loop Header: Depth=2
	v_cmp_gt_u64_e32 vcc, s[64:65], v[4:5]
	s_and_saveexec_b64 s[22:23], vcc
	s_cbranch_execz .LBB174_309
; %bb.312:                              ;   in Loop: Header=BB174_311 Depth=2
	v_mul_lo_u32 v2, v5, s62
	v_mul_lo_u32 v8, v4, s63
	v_mad_u64_u32 v[6:7], s[40:41], v4, s62, 0
	v_add3_u32 v7, v7, v8, v2
	v_lshlrev_b64 v[6:7], 1, v[6:7]
	v_mov_b32_e32 v2, s82
	v_add_co_u32_e32 v6, vcc, s33, v6
	v_addc_co_u32_e32 v7, vcc, v2, v7, vcc
	global_load_ushort v2, v[6:7], off
	s_waitcnt vmcnt(0)
	v_add_u32_sdwa v6, sext(v2), s81 dst_sel:DWORD dst_unused:UNUSED_PAD src0_sel:WORD_0 src1_sel:DWORD
	v_and_b32_e32 v6, v6, v35
	v_cmp_eq_u32_e32 vcc, v6, v30
	s_and_b64 exec, exec, vcc
	s_cbranch_execz .LBB174_309
; %bb.313:                              ;   in Loop: Header=BB174_311 Depth=2
	v_perm_b32 v2, v2, 1, v34
	ds_write_b32 v3, v2 offset:3072
	s_branch .LBB174_309
.LBB174_314:                            ;   in Loop: Header=BB174_311 Depth=2
	v_add_co_u32_e32 v4, vcc, s83, v4
	v_addc_co_u32_e32 v5, vcc, 0, v5, vcc
	v_cmp_le_u64_e32 vcc, s[10:11], v[4:5]
	s_mov_b64 s[40:41], 0
	s_orn2_b64 s[22:23], vcc, exec
	s_branch .LBB174_310
.LBB174_315:                            ;   in Loop: Header=BB174_18 Depth=1
	s_or_b64 exec, exec, s[12:13]
	s_andn2_b64 s[4:5], s[4:5], exec
	s_and_b64 s[10:11], s[18:19], exec
	v_lshrrev_b32_e32 v36, 16, v2
	s_or_b64 s[4:5], s[4:5], s[10:11]
.LBB174_316:                            ;   in Loop: Header=BB174_18 Depth=1
	s_or_b64 exec, exec, s[8:9]
	s_mov_b64 s[22:23], 0
	s_mov_b64 s[18:19], -1
.LBB174_317:                            ;   in Loop: Header=BB174_18 Depth=1
	s_orn2_b64 s[4:5], s[4:5], exec
.LBB174_318:                            ;   in Loop: Header=BB174_18 Depth=1
	s_or_b64 exec, exec, s[38:39]
                                        ; implicit-def: $vgpr4_vgpr5
                                        ; implicit-def: $vgpr2
	s_and_saveexec_b64 s[38:39], s[4:5]
	s_cbranch_execz .LBB174_476
; %bb.319:                              ;   in Loop: Header=BB174_18 Depth=1
	v_mov_b32_e32 v4, 1
	s_xor_b64 s[8:9], s[6:7], -1
	v_mov_b32_e32 v2, 1
	v_mov_b32_e32 v5, 0
	s_mov_b64 s[6:7], 0
	s_and_saveexec_b64 s[4:5], s[8:9]
	s_cbranch_execz .LBB174_328
; %bb.320:                              ;   in Loop: Header=BB174_18 Depth=1
	v_cmp_ge_u64_e32 vcc, s[28:29], v[19:20]
	s_and_saveexec_b64 s[6:7], vcc
	s_xor_b64 s[6:7], exec, s[6:7]
	s_cbranch_execz .LBB174_325
; %bb.321:                              ;   in Loop: Header=BB174_18 Depth=1
	ds_read_b64 v[4:5], v3 offset:5120
	v_or_b32_e32 v30, s86, v30
	v_or_b32_e32 v35, s86, v35
	s_waitcnt lgkmcnt(0)
	v_cmp_ne_u64_e32 vcc, 0, v[4:5]
	s_cbranch_vccnz .LBB174_325
; %bb.322:                              ;   in Loop: Header=BB174_18 Depth=1
	s_mov_b64 s[8:9], exec
	v_readlane_b32 s10, v50, 32
	v_readlane_b32 s11, v50, 33
	s_and_b64 s[10:11], s[8:9], s[10:11]
	s_mov_b64 exec, s[10:11]
; %bb.323:                              ;   in Loop: Header=BB174_18 Depth=1
	v_mov_b32_e32 v4, s28
	v_mov_b32_e32 v5, s29
	ds_write_b64 v3, v[4:5] offset:5128
; %bb.324:                              ;   in Loop: Header=BB174_18 Depth=1
	s_or_b64 exec, exec, s[8:9]
	s_waitcnt lgkmcnt(0)
	s_barrier
.LBB174_325:                            ;   in Loop: Header=BB174_18 Depth=1
	s_or_saveexec_b64 s[6:7], s[6:7]
	s_mov_b64 s[8:9], 0
	v_mov_b32_e32 v2, 5
	s_xor_b64 exec, exec, s[6:7]
; %bb.326:                              ;   in Loop: Header=BB174_18 Depth=1
	v_mov_b32_e32 v2, s29
	v_subrev_co_u32_e32 v19, vcc, s28, v19
	s_mov_b64 s[8:9], exec
	v_subb_co_u32_e32 v20, vcc, v20, v2, vcc
	v_mov_b32_e32 v2, 0
; %bb.327:                              ;   in Loop: Header=BB174_18 Depth=1
	s_or_b64 exec, exec, s[6:7]
	v_mov_b32_e32 v4, v19
	s_and_b64 s[6:7], s[8:9], exec
	v_mov_b32_e32 v5, v20
.LBB174_328:                            ;   in Loop: Header=BB174_18 Depth=1
	s_or_b64 exec, exec, s[4:5]
	s_mov_b64 s[4:5], -1
                                        ; implicit-def: $sgpr28_sgpr29
                                        ; implicit-def: $sgpr40_sgpr41
	s_and_saveexec_b64 s[8:9], s[6:7]
	s_xor_b64 s[6:7], exec, s[8:9]
	s_cbranch_execz .LBB174_473
; %bb.329:                              ;   in Loop: Header=BB174_18 Depth=1
	s_cmp_eq_u64 s[26:27], 1
	v_cmp_eq_u64_e32 vcc, 1, v[4:5]
	s_cselect_b64 s[4:5], -1, 0
	s_and_b64 s[44:45], s[4:5], vcc
	s_mov_b64 s[4:5], -1
                                        ; implicit-def: $sgpr40_sgpr41
                                        ; implicit-def: $sgpr28_sgpr29
	s_and_saveexec_b64 s[42:43], s[44:45]
	s_cbranch_execz .LBB174_363
; %bb.330:                              ;   in Loop: Header=BB174_18 Depth=1
	ds_read_b64 v[6:7], v3 offset:5120
	s_waitcnt lgkmcnt(0)
	s_barrier
	v_readfirstlane_b32 s8, v6
	v_readfirstlane_b32 s9, v7
	s_mov_b64 s[4:5], exec
	v_readlane_b32 s10, v50, 46
	v_readlane_b32 s11, v50, 47
	s_and_b64 s[10:11], s[4:5], s[10:11]
	s_mov_b64 exec, s[10:11]
; %bb.331:                              ;   in Loop: Header=BB174_18 Depth=1
	ds_write_b16 v28, v3
; %bb.332:                              ;   in Loop: Header=BB174_18 Depth=1
	s_or_b64 exec, exec, s[4:5]
	v_and_b32_e32 v6, s87, v30
	v_lshl_or_b32 v30, 2, s0, v6
	v_or_b32_e32 v35, s86, v35
	s_mov_b64 s[28:29], -1
	s_mov_b64 s[40:41], 0
	s_cmp_eq_u64 s[8:9], 0
	s_mov_b64 s[4:5], 0
	s_mov_b64 s[10:11], -1
	s_waitcnt lgkmcnt(0)
	s_barrier
                                        ; implicit-def: $vgpr36
	s_cbranch_scc1 .LBB174_348
; %bb.333:                              ;   in Loop: Header=BB174_18 Depth=1
	v_readlane_b32 s4, v50, 50
	s_add_u32 s46, s8, s4
	v_readlane_b32 s4, v50, 52
	s_addc_u32 s5, s9, s4
	s_mov_b32 s4, s93
	s_cmp_lg_u64 s[4:5], 0
	s_cbranch_scc0 .LBB174_389
; %bb.334:                              ;   in Loop: Header=BB174_18 Depth=1
	v_cvt_f32_u32_e32 v6, s83
	s_sub_u32 s4, 0, s83
	s_subb_u32 s12, 0, 0
	v_mac_f32_e32 v6, 0, v33
	v_rcp_f32_e32 v6, v6
	v_mul_f32_e32 v6, 0x5f7ffffc, v6
	v_mul_f32_e32 v7, 0x2f800000, v6
	v_trunc_f32_e32 v7, v7
	v_mac_f32_e32 v6, 0xcf800000, v7
	v_cvt_u32_f32_e32 v7, v7
	v_cvt_u32_f32_e32 v6, v6
	v_readfirstlane_b32 s13, v7
	v_readfirstlane_b32 s10, v6
	s_mul_i32 s11, s4, s13
	s_mul_hi_u32 s48, s4, s10
	s_mul_i32 s47, s12, s10
	s_add_i32 s11, s48, s11
	s_mul_i32 s49, s4, s10
	s_add_i32 s11, s11, s47
	s_mul_hi_u32 s48, s10, s49
	s_mul_i32 s50, s10, s11
	s_mul_hi_u32 s47, s10, s11
	s_add_u32 s48, s48, s50
	s_addc_u32 s47, 0, s47
	s_mul_hi_u32 s51, s13, s49
	s_mul_i32 s49, s13, s49
	s_add_u32 s48, s48, s49
	s_mul_hi_u32 s50, s13, s11
	s_addc_u32 s47, s47, s51
	s_addc_u32 s48, s50, 0
	s_mul_i32 s11, s13, s11
	s_add_u32 s11, s47, s11
	s_addc_u32 s47, 0, s48
	s_add_u32 s48, s10, s11
	s_cselect_b64 s[10:11], -1, 0
	s_cmp_lg_u64 s[10:11], 0
	s_addc_u32 s13, s13, s47
	s_mul_i32 s10, s4, s13
	s_mul_hi_u32 s11, s4, s48
	s_add_i32 s10, s11, s10
	s_mul_i32 s12, s12, s48
	s_add_i32 s10, s10, s12
	s_mul_i32 s4, s4, s48
	s_mul_hi_u32 s12, s13, s4
	s_mul_i32 s47, s13, s4
	s_mul_i32 s50, s48, s10
	s_mul_hi_u32 s4, s48, s4
	s_mul_hi_u32 s49, s48, s10
	s_add_u32 s4, s4, s50
	s_addc_u32 s49, 0, s49
	s_add_u32 s4, s4, s47
	s_mul_hi_u32 s11, s13, s10
	s_addc_u32 s4, s49, s12
	s_addc_u32 s11, s11, 0
	s_mul_i32 s10, s13, s10
	s_add_u32 s4, s4, s10
	s_addc_u32 s12, 0, s11
	s_add_u32 s4, s48, s4
	s_cselect_b64 s[10:11], -1, 0
	s_cmp_lg_u64 s[10:11], 0
	s_addc_u32 s10, s13, s12
	s_mul_i32 s12, s46, s10
	s_mul_hi_u32 s13, s46, s4
	s_mul_hi_u32 s11, s46, s10
	s_add_u32 s12, s13, s12
	s_addc_u32 s11, 0, s11
	s_mul_hi_u32 s47, s5, s4
	s_mul_i32 s4, s5, s4
	s_add_u32 s4, s12, s4
	s_mul_hi_u32 s13, s5, s10
	s_addc_u32 s4, s11, s47
	s_addc_u32 s11, s13, 0
	s_mul_i32 s10, s5, s10
	s_add_u32 s4, s4, s10
	s_addc_u32 s10, 0, s11
	s_mul_i32 s10, s83, s10
	s_mul_hi_u32 s11, s83, s4
	s_add_i32 s12, s11, s10
	s_mul_i32 s4, s83, s4
	s_sub_u32 s4, s46, s4
	s_cselect_b64 s[10:11], -1, 0
	s_cmp_lg_u64 s[10:11], 0
	s_subb_u32 s12, s5, s12
	s_sub_u32 s13, s4, s83
	s_cselect_b64 s[10:11], -1, 0
	s_cmp_lg_u64 s[10:11], 0
	s_subb_u32 s47, s12, 0
	;; [unrolled: 4-line block ×3, first 2 shown]
	s_cmp_ge_u32 s13, s83
	s_cselect_b32 s11, -1, 0
	s_cmp_eq_u32 s47, 0
	s_cselect_b32 s11, s11, -1
	s_cmp_lg_u32 s11, 0
	s_cselect_b32 s10, s10, s47
	s_cselect_b32 s13, s48, s13
	s_cmp_ge_u32 s4, s83
	s_cselect_b32 s11, -1, 0
	s_cmp_eq_u32 s12, 0
	s_cselect_b32 s11, s11, -1
	s_cmp_lg_u32 s11, 0
	s_cselect_b32 s11, s10, s12
	s_cselect_b32 s10, s13, s4
	s_cbranch_execnz .LBB174_336
.LBB174_335:                            ;   in Loop: Header=BB174_18 Depth=1
	v_cvt_f32_u32_e32 v6, s83
	s_sub_i32 s4, 0, s83
	v_rcp_iflag_f32_e32 v6, v6
	v_mul_f32_e32 v6, 0x4f7ffffe, v6
	v_cvt_u32_f32_e32 v6, v6
	v_readfirstlane_b32 s10, v6
	s_mul_i32 s4, s4, s10
	s_mul_hi_u32 s4, s10, s4
	s_add_i32 s10, s10, s4
	s_mul_hi_u32 s4, s46, s10
	s_mul_i32 s4, s4, s83
	s_sub_i32 s4, s46, s4
	s_sub_i32 s10, s4, s83
	s_cmp_ge_u32 s4, s83
	s_cselect_b32 s4, s10, s4
	s_sub_i32 s10, s4, s83
	s_cmp_ge_u32 s4, s83
	s_cselect_b32 s92, s10, s4
	s_mov_b64 s[10:11], s[92:93]
.LBB174_336:                            ;   in Loop: Header=BB174_18 Depth=1
	s_sub_u32 s46, s46, s10
	s_subb_u32 s47, s5, s11
	v_cmp_gt_u64_e32 vcc, s[46:47], v[0:1]
	s_mov_b64 s[10:11], 0
	s_mov_b64 s[4:5], 0
                                        ; implicit-def: $vgpr36
	s_and_saveexec_b64 s[12:13], vcc
	s_cbranch_execz .LBB174_347
; %bb.337:                              ;   in Loop: Header=BB174_18 Depth=1
	v_mov_b32_e32 v7, v1
	v_mov_b32_e32 v8, v27
	;; [unrolled: 1-line block ×3, first 2 shown]
                                        ; implicit-def: $sgpr48_sgpr49
	s_branch .LBB174_340
.LBB174_338:                            ;   in Loop: Header=BB174_340 Depth=2
	s_or_b64 exec, exec, s[50:51]
	s_waitcnt lgkmcnt(0)
	s_barrier
	ds_read_b32 v9, v3 offset:3072
	s_mov_b64 s[50:51], -1
	s_waitcnt lgkmcnt(0)
	s_barrier
	v_cmp_ne_u32_sdwa s[52:53], v9, v3 src0_sel:WORD_0 src1_sel:DWORD
	s_and_b64 vcc, exec, s[52:53]
	s_mov_b64 s[52:53], -1
	s_cbranch_vccz .LBB174_343
.LBB174_339:                            ;   in Loop: Header=BB174_340 Depth=2
	s_and_b64 s[50:51], exec, s[50:51]
	s_or_b64 s[4:5], s[50:51], s[4:5]
	s_andn2_b64 s[48:49], s[48:49], exec
	s_and_b64 s[50:51], s[52:53], exec
	s_or_b64 s[48:49], s[48:49], s[50:51]
	s_andn2_b64 exec, exec, s[4:5]
	s_cbranch_execz .LBB174_346
.LBB174_340:                            ;   Parent Loop BB174_18 Depth=1
                                        ; =>  This Inner Loop Header: Depth=2
	v_cmp_gt_u64_e32 vcc, s[8:9], v[6:7]
	s_and_saveexec_b64 s[50:51], vcc
	s_cbranch_execz .LBB174_338
; %bb.341:                              ;   in Loop: Header=BB174_340 Depth=2
	ds_read_u16 v9, v8
	s_waitcnt lgkmcnt(0)
	v_add_u32_sdwa v10, sext(v9), s81 dst_sel:DWORD dst_unused:UNUSED_PAD src0_sel:WORD_0 src1_sel:DWORD
	v_and_b32_e32 v10, v10, v35
	v_cmp_eq_u32_e32 vcc, v10, v30
	s_and_b64 exec, exec, vcc
	s_cbranch_execz .LBB174_338
; %bb.342:                              ;   in Loop: Header=BB174_340 Depth=2
	v_perm_b32 v9, v9, 1, v34
	ds_write_b32 v3, v9 offset:3072
	s_branch .LBB174_338
.LBB174_343:                            ;   in Loop: Header=BB174_340 Depth=2
	v_add_co_u32_e32 v6, vcc, s83, v6
	v_addc_co_u32_e32 v7, vcc, 0, v7, vcc
	v_cmp_le_u64_e32 vcc, s[46:47], v[6:7]
	v_readlane_b32 s50, v49, 2
	v_add_u32_e32 v8, s50, v8
	s_mov_b64 s[52:53], 0
	s_orn2_b64 s[50:51], vcc, exec
	s_branch .LBB174_339
.LBB174_344:                            ;   in Loop: Header=BB174_18 Depth=1
                                        ; implicit-def: $sgpr10_sgpr11
	s_branch .LBB174_291
.LBB174_345:                            ;   in Loop: Header=BB174_18 Depth=1
                                        ; implicit-def: $sgpr8_sgpr9
	s_branch .LBB174_306
.LBB174_346:                            ;   in Loop: Header=BB174_18 Depth=1
	s_or_b64 exec, exec, s[4:5]
	v_lshrrev_b32_e32 v36, 16, v9
	s_and_b64 s[4:5], s[48:49], exec
.LBB174_347:                            ;   in Loop: Header=BB174_18 Depth=1
	s_or_b64 exec, exec, s[12:13]
.LBB174_348:                            ;   in Loop: Header=BB174_18 Depth=1
	s_and_b64 vcc, exec, s[10:11]
	s_cbranch_vccz .LBB174_362
; %bb.349:                              ;   in Loop: Header=BB174_18 Depth=1
	v_readlane_b32 s46, v50, 53
	v_readlane_b32 s47, v50, 54
	s_mov_b32 s46, s93
	s_cmp_lg_u64 s[46:47], 0
	v_writelane_b32 v50, s46, 53
	v_writelane_b32 v50, s47, 54
	s_cbranch_scc0 .LBB174_390
; %bb.350:                              ;   in Loop: Header=BB174_18 Depth=1
	v_cvt_f32_u32_e32 v6, s83
	s_sub_u32 s10, 0, s83
	s_subb_u32 s11, 0, 0
	v_mac_f32_e32 v6, 0, v33
	v_rcp_f32_e32 v6, v6
	v_mul_f32_e32 v6, 0x5f7ffffc, v6
	v_mul_f32_e32 v7, 0x2f800000, v6
	v_trunc_f32_e32 v7, v7
	v_mac_f32_e32 v6, 0xcf800000, v7
	v_cvt_u32_f32_e32 v7, v7
	v_cvt_u32_f32_e32 v6, v6
	v_readfirstlane_b32 s12, v7
	v_readfirstlane_b32 s8, v6
	s_mul_i32 s9, s10, s12
	s_mul_hi_u32 s28, s10, s8
	s_mul_i32 s13, s11, s8
	s_add_i32 s9, s28, s9
	s_mul_i32 s29, s10, s8
	s_add_i32 s9, s9, s13
	s_mul_hi_u32 s28, s8, s29
	s_mul_i32 s40, s8, s9
	s_mul_hi_u32 s13, s8, s9
	s_add_u32 s28, s28, s40
	s_addc_u32 s13, 0, s13
	s_mul_hi_u32 s41, s12, s29
	s_mul_i32 s29, s12, s29
	s_add_u32 s28, s28, s29
	s_mul_hi_u32 s40, s12, s9
	s_addc_u32 s13, s13, s41
	s_addc_u32 s28, s40, 0
	s_mul_i32 s9, s12, s9
	s_add_u32 s9, s13, s9
	s_addc_u32 s13, 0, s28
	s_add_u32 s28, s8, s9
	s_cselect_b64 s[8:9], -1, 0
	s_cmp_lg_u64 s[8:9], 0
	s_addc_u32 s12, s12, s13
	s_mul_i32 s8, s10, s12
	s_mul_hi_u32 s9, s10, s28
	s_add_i32 s8, s9, s8
	s_mul_i32 s11, s11, s28
	s_add_i32 s8, s8, s11
	s_mul_i32 s10, s10, s28
	s_mul_hi_u32 s11, s12, s10
	s_mul_i32 s13, s12, s10
	s_mul_i32 s40, s28, s8
	s_mul_hi_u32 s10, s28, s10
	s_mul_hi_u32 s29, s28, s8
	s_add_u32 s10, s10, s40
	s_addc_u32 s29, 0, s29
	s_add_u32 s10, s10, s13
	s_mul_hi_u32 s9, s12, s8
	s_addc_u32 s10, s29, s11
	s_addc_u32 s9, s9, 0
	s_mul_i32 s8, s12, s8
	s_add_u32 s8, s10, s8
	s_addc_u32 s10, 0, s9
	s_add_u32 s11, s28, s8
	s_cselect_b64 s[8:9], -1, 0
	s_cmp_lg_u64 s[8:9], 0
	s_addc_u32 s8, s12, s10
	v_readlane_b32 s28, v50, 51
	s_mul_i32 s10, s28, s8
	s_mul_hi_u32 s12, s28, s11
	s_mul_hi_u32 s9, s28, s8
	s_add_u32 s10, s12, s10
	s_addc_u32 s9, 0, s9
	s_mul_hi_u32 s13, s47, s11
	s_mul_i32 s11, s47, s11
	s_add_u32 s10, s10, s11
	s_mul_hi_u32 s12, s47, s8
	s_addc_u32 s9, s9, s13
	s_addc_u32 s10, s12, 0
	s_mul_i32 s8, s47, s8
	s_add_u32 s8, s9, s8
	s_addc_u32 s9, 0, s10
	s_mul_i32 s9, s83, s9
	s_mul_hi_u32 s10, s83, s8
	s_add_i32 s10, s10, s9
	s_mul_i32 s8, s83, s8
	s_sub_u32 s11, s28, s8
	s_cselect_b64 s[8:9], -1, 0
	s_cmp_lg_u64 s[8:9], 0
	s_subb_u32 s10, s47, s10
	s_sub_u32 s12, s11, s83
	s_cselect_b64 s[8:9], -1, 0
	s_cmp_lg_u64 s[8:9], 0
	s_subb_u32 s13, s10, 0
	;; [unrolled: 4-line block ×3, first 2 shown]
	s_cmp_ge_u32 s12, s83
	s_cselect_b32 s9, -1, 0
	s_cmp_eq_u32 s13, 0
	s_cselect_b32 s9, s9, -1
	s_cmp_lg_u32 s9, 0
	s_cselect_b32 s8, s8, s13
	s_cselect_b32 s12, s28, s12
	s_cmp_ge_u32 s11, s83
	s_cselect_b32 s9, -1, 0
	s_cmp_eq_u32 s10, 0
	s_cselect_b32 s9, s9, -1
	s_cmp_lg_u32 s9, 0
	s_cselect_b32 s9, s8, s10
	s_cselect_b32 s8, s12, s11
	s_cbranch_execnz .LBB174_352
.LBB174_351:                            ;   in Loop: Header=BB174_18 Depth=1
	v_cvt_f32_u32_e32 v6, s83
	s_sub_i32 s8, 0, s83
	v_readlane_b32 s10, v50, 51
	v_rcp_iflag_f32_e32 v6, v6
	v_mul_f32_e32 v6, 0x4f7ffffe, v6
	v_cvt_u32_f32_e32 v6, v6
	v_readfirstlane_b32 s9, v6
	s_mul_i32 s8, s8, s9
	s_mul_hi_u32 s8, s9, s8
	s_add_i32 s9, s9, s8
	s_mul_hi_u32 s8, s10, s9
	s_mul_i32 s8, s8, s83
	s_sub_i32 s8, s10, s8
	s_sub_i32 s9, s8, s83
	s_cmp_ge_u32 s8, s83
	s_cselect_b32 s8, s9, s8
	s_sub_i32 s9, s8, s83
	s_cmp_ge_u32 s8, s83
	s_cselect_b32 s92, s9, s8
	s_mov_b64 s[8:9], s[92:93]
.LBB174_352:                            ;   in Loop: Header=BB174_18 Depth=1
	v_readlane_b32 s10, v50, 51
	v_readlane_b32 s12, v50, 53
	s_sub_u32 s10, s10, s8
	v_readlane_b32 s13, v50, 54
	s_subb_u32 s11, s13, s9
	v_cmp_gt_u64_e32 vcc, s[10:11], v[0:1]
                                        ; implicit-def: $vgpr36
	s_and_saveexec_b64 s[8:9], vcc
	s_cbranch_execz .LBB174_361
; %bb.353:                              ;   in Loop: Header=BB174_18 Depth=1
	v_mov_b32_e32 v7, v1
	s_mov_b64 s[12:13], 0
	v_mov_b32_e32 v6, v0
                                        ; implicit-def: $sgpr28_sgpr29
	s_branch .LBB174_356
.LBB174_354:                            ;   in Loop: Header=BB174_356 Depth=2
	s_or_b64 exec, exec, s[40:41]
	s_waitcnt lgkmcnt(0)
	s_barrier
	ds_read_b32 v8, v3 offset:3072
	s_mov_b64 s[40:41], -1
	s_waitcnt lgkmcnt(0)
	s_barrier
	v_cmp_eq_u32_sdwa s[46:47], v8, v3 src0_sel:WORD_0 src1_sel:DWORD
	s_and_b64 vcc, exec, s[46:47]
	s_mov_b64 s[46:47], -1
	s_cbranch_vccnz .LBB174_359
.LBB174_355:                            ;   in Loop: Header=BB174_356 Depth=2
	s_and_b64 s[40:41], exec, s[40:41]
	s_or_b64 s[12:13], s[40:41], s[12:13]
	s_andn2_b64 s[28:29], s[28:29], exec
	s_and_b64 s[40:41], s[46:47], exec
	s_or_b64 s[28:29], s[28:29], s[40:41]
	s_andn2_b64 exec, exec, s[12:13]
	s_cbranch_execz .LBB174_360
.LBB174_356:                            ;   Parent Loop BB174_18 Depth=1
                                        ; =>  This Inner Loop Header: Depth=2
	v_cmp_gt_u64_e32 vcc, s[64:65], v[6:7]
	s_and_saveexec_b64 s[40:41], vcc
	s_cbranch_execz .LBB174_354
; %bb.357:                              ;   in Loop: Header=BB174_356 Depth=2
	v_mul_lo_u32 v10, v7, s62
	v_mul_lo_u32 v11, v6, s63
	v_mad_u64_u32 v[8:9], s[46:47], v6, s62, 0
	v_add3_u32 v9, v9, v11, v10
	v_lshlrev_b64 v[8:9], 1, v[8:9]
	v_mov_b32_e32 v10, s82
	v_add_co_u32_e32 v8, vcc, s33, v8
	v_addc_co_u32_e32 v9, vcc, v10, v9, vcc
	global_load_ushort v8, v[8:9], off
	s_waitcnt vmcnt(0)
	v_add_u32_sdwa v9, sext(v8), s81 dst_sel:DWORD dst_unused:UNUSED_PAD src0_sel:WORD_0 src1_sel:DWORD
	v_and_b32_e32 v9, v9, v35
	v_cmp_eq_u32_e32 vcc, v9, v30
	s_and_b64 exec, exec, vcc
	s_cbranch_execz .LBB174_354
; %bb.358:                              ;   in Loop: Header=BB174_356 Depth=2
	v_perm_b32 v8, v8, 1, v34
	ds_write_b32 v3, v8 offset:3072
	s_branch .LBB174_354
.LBB174_359:                            ;   in Loop: Header=BB174_356 Depth=2
	v_add_co_u32_e32 v6, vcc, s83, v6
	v_addc_co_u32_e32 v7, vcc, 0, v7, vcc
	v_cmp_le_u64_e32 vcc, s[10:11], v[6:7]
	s_mov_b64 s[46:47], 0
	s_orn2_b64 s[40:41], vcc, exec
	s_branch .LBB174_355
.LBB174_360:                            ;   in Loop: Header=BB174_18 Depth=1
	s_or_b64 exec, exec, s[12:13]
	s_andn2_b64 s[4:5], s[4:5], exec
	s_and_b64 s[10:11], s[28:29], exec
	v_lshrrev_b32_e32 v36, 16, v8
	s_or_b64 s[4:5], s[4:5], s[10:11]
.LBB174_361:                            ;   in Loop: Header=BB174_18 Depth=1
	s_or_b64 exec, exec, s[8:9]
	s_mov_b64 s[28:29], 0
	s_mov_b64 s[40:41], -1
.LBB174_362:                            ;   in Loop: Header=BB174_18 Depth=1
	s_orn2_b64 s[4:5], s[4:5], exec
.LBB174_363:                            ;   in Loop: Header=BB174_18 Depth=1
	s_or_b64 exec, exec, s[42:43]
	s_mov_b64 s[8:9], 0
	s_and_saveexec_b64 s[42:43], s[4:5]
	s_cbranch_execz .LBB174_472
; %bb.364:                              ;   in Loop: Header=BB174_18 Depth=1
	v_mov_b32_e32 v6, 1
	s_xor_b64 s[10:11], s[44:45], -1
	v_mov_b32_e32 v2, 1
	v_mov_b32_e32 v7, 0
	s_and_saveexec_b64 s[4:5], s[10:11]
	s_cbranch_execz .LBB174_373
; %bb.365:                              ;   in Loop: Header=BB174_18 Depth=1
	v_cmp_ge_u64_e32 vcc, s[26:27], v[4:5]
	s_and_saveexec_b64 s[8:9], vcc
	s_xor_b64 s[8:9], exec, s[8:9]
	s_cbranch_execz .LBB174_370
; %bb.366:                              ;   in Loop: Header=BB174_18 Depth=1
	ds_read_b64 v[6:7], v3 offset:5120
	v_and_b32_e32 v2, s87, v30
	v_lshl_or_b32 v30, 2, s0, v2
	v_or_b32_e32 v35, s86, v35
	s_waitcnt lgkmcnt(0)
	v_cmp_ne_u64_e32 vcc, 0, v[6:7]
	s_cbranch_vccnz .LBB174_370
; %bb.367:                              ;   in Loop: Header=BB174_18 Depth=1
	s_mov_b64 s[10:11], exec
	v_readlane_b32 s12, v50, 32
	v_readlane_b32 s13, v50, 33
	s_and_b64 s[12:13], s[10:11], s[12:13]
	s_mov_b64 exec, s[12:13]
; %bb.368:                              ;   in Loop: Header=BB174_18 Depth=1
	v_mov_b32_e32 v6, s26
	v_mov_b32_e32 v7, s27
	ds_write_b64 v3, v[6:7] offset:5128
; %bb.369:                              ;   in Loop: Header=BB174_18 Depth=1
	s_or_b64 exec, exec, s[10:11]
	s_waitcnt lgkmcnt(0)
	s_barrier
.LBB174_370:                            ;   in Loop: Header=BB174_18 Depth=1
	s_or_saveexec_b64 s[8:9], s[8:9]
	s_mov_b64 s[10:11], 0
	v_mov_b32_e32 v2, 5
	s_xor_b64 exec, exec, s[8:9]
; %bb.371:                              ;   in Loop: Header=BB174_18 Depth=1
	v_mov_b32_e32 v2, s27
	v_subrev_co_u32_e32 v4, vcc, s26, v4
	s_mov_b64 s[10:11], exec
	v_subb_co_u32_e32 v5, vcc, v5, v2, vcc
	v_mov_b32_e32 v2, 0
; %bb.372:                              ;   in Loop: Header=BB174_18 Depth=1
	s_or_b64 exec, exec, s[8:9]
	v_mov_b32_e32 v7, v5
	s_and_b64 s[8:9], s[10:11], exec
	v_mov_b32_e32 v6, v4
.LBB174_373:                            ;   in Loop: Header=BB174_18 Depth=1
	s_or_b64 exec, exec, s[4:5]
	s_mov_b64 s[4:5], -1
                                        ; implicit-def: $sgpr44_sgpr45
                                        ; implicit-def: $sgpr46_sgpr47
	s_and_saveexec_b64 s[26:27], s[8:9]
	s_cbranch_execz .LBB174_471
; %bb.374:                              ;   in Loop: Header=BB174_18 Depth=1
	s_cmp_eq_u64 s[24:25], 1
	v_cmp_eq_u64_e32 vcc, 1, v[6:7]
	s_cselect_b64 s[4:5], -1, 0
	s_and_b64 s[50:51], s[4:5], vcc
	s_mov_b64 s[4:5], -1
                                        ; implicit-def: $sgpr46_sgpr47
                                        ; implicit-def: $sgpr44_sgpr45
	s_and_saveexec_b64 s[48:49], s[50:51]
	s_cbranch_execz .LBB174_408
; %bb.375:                              ;   in Loop: Header=BB174_18 Depth=1
	ds_read_b64 v[4:5], v3 offset:5120
	s_waitcnt lgkmcnt(0)
	s_barrier
	v_readfirstlane_b32 s8, v4
	v_readfirstlane_b32 s9, v5
	s_mov_b64 s[4:5], exec
	v_readlane_b32 s10, v50, 46
	v_readlane_b32 s11, v50, 47
	s_and_b64 s[10:11], s[4:5], s[10:11]
	s_mov_b64 exec, s[10:11]
; %bb.376:                              ;   in Loop: Header=BB174_18 Depth=1
	ds_write_b16 v28, v3
; %bb.377:                              ;   in Loop: Header=BB174_18 Depth=1
	s_or_b64 exec, exec, s[4:5]
	v_and_b32_e32 v4, s87, v30
	v_lshl_or_b32 v30, 1, s0, v4
	v_or_b32_e32 v35, s86, v35
	s_mov_b64 s[44:45], -1
	s_mov_b64 s[46:47], 0
	s_cmp_eq_u64 s[8:9], 0
	s_mov_b64 s[4:5], 0
	s_mov_b64 s[10:11], -1
	s_waitcnt lgkmcnt(0)
	s_barrier
                                        ; implicit-def: $vgpr36
	s_cbranch_scc1 .LBB174_393
; %bb.378:                              ;   in Loop: Header=BB174_18 Depth=1
	v_readlane_b32 s4, v50, 50
	s_add_u32 s52, s8, s4
	v_readlane_b32 s4, v50, 52
	s_addc_u32 s5, s9, s4
	s_mov_b32 s4, s93
	s_cmp_lg_u64 s[4:5], 0
	s_cbranch_scc0 .LBB174_425
; %bb.379:                              ;   in Loop: Header=BB174_18 Depth=1
	v_cvt_f32_u32_e32 v4, s83
	s_sub_u32 s4, 0, s83
	s_subb_u32 s12, 0, 0
	v_mac_f32_e32 v4, 0, v33
	v_rcp_f32_e32 v4, v4
	v_mul_f32_e32 v4, 0x5f7ffffc, v4
	v_mul_f32_e32 v5, 0x2f800000, v4
	v_trunc_f32_e32 v5, v5
	v_mac_f32_e32 v4, 0xcf800000, v5
	v_cvt_u32_f32_e32 v5, v5
	v_cvt_u32_f32_e32 v4, v4
	v_readfirstlane_b32 s13, v5
	v_readfirstlane_b32 s10, v4
	s_mul_i32 s11, s4, s13
	s_mul_hi_u32 s54, s4, s10
	s_mul_i32 s53, s12, s10
	s_add_i32 s11, s54, s11
	s_mul_i32 s55, s4, s10
	s_add_i32 s11, s11, s53
	s_mul_hi_u32 s54, s10, s55
	s_mul_i32 s56, s10, s11
	s_mul_hi_u32 s53, s10, s11
	s_add_u32 s54, s54, s56
	s_addc_u32 s53, 0, s53
	s_mul_hi_u32 s57, s13, s55
	s_mul_i32 s55, s13, s55
	s_add_u32 s54, s54, s55
	s_mul_hi_u32 s56, s13, s11
	s_addc_u32 s53, s53, s57
	s_addc_u32 s54, s56, 0
	s_mul_i32 s11, s13, s11
	s_add_u32 s11, s53, s11
	s_addc_u32 s53, 0, s54
	s_add_u32 s54, s10, s11
	s_cselect_b64 s[10:11], -1, 0
	s_cmp_lg_u64 s[10:11], 0
	s_addc_u32 s13, s13, s53
	s_mul_i32 s10, s4, s13
	s_mul_hi_u32 s11, s4, s54
	s_add_i32 s10, s11, s10
	s_mul_i32 s12, s12, s54
	s_add_i32 s10, s10, s12
	s_mul_i32 s4, s4, s54
	s_mul_hi_u32 s12, s13, s4
	s_mul_i32 s53, s13, s4
	s_mul_i32 s56, s54, s10
	s_mul_hi_u32 s4, s54, s4
	s_mul_hi_u32 s55, s54, s10
	s_add_u32 s4, s4, s56
	s_addc_u32 s55, 0, s55
	s_add_u32 s4, s4, s53
	s_mul_hi_u32 s11, s13, s10
	s_addc_u32 s4, s55, s12
	s_addc_u32 s11, s11, 0
	s_mul_i32 s10, s13, s10
	s_add_u32 s4, s4, s10
	s_addc_u32 s12, 0, s11
	s_add_u32 s4, s54, s4
	s_cselect_b64 s[10:11], -1, 0
	s_cmp_lg_u64 s[10:11], 0
	s_addc_u32 s10, s13, s12
	s_mul_i32 s12, s52, s10
	s_mul_hi_u32 s13, s52, s4
	s_mul_hi_u32 s11, s52, s10
	s_add_u32 s12, s13, s12
	s_addc_u32 s11, 0, s11
	s_mul_hi_u32 s53, s5, s4
	s_mul_i32 s4, s5, s4
	s_add_u32 s4, s12, s4
	s_mul_hi_u32 s13, s5, s10
	s_addc_u32 s4, s11, s53
	s_addc_u32 s11, s13, 0
	s_mul_i32 s10, s5, s10
	s_add_u32 s4, s4, s10
	s_addc_u32 s10, 0, s11
	s_mul_i32 s10, s83, s10
	s_mul_hi_u32 s11, s83, s4
	s_add_i32 s12, s11, s10
	s_mul_i32 s4, s83, s4
	s_sub_u32 s4, s52, s4
	s_cselect_b64 s[10:11], -1, 0
	s_cmp_lg_u64 s[10:11], 0
	s_subb_u32 s12, s5, s12
	s_sub_u32 s13, s4, s83
	s_cselect_b64 s[10:11], -1, 0
	s_cmp_lg_u64 s[10:11], 0
	s_subb_u32 s53, s12, 0
	;; [unrolled: 4-line block ×3, first 2 shown]
	s_cmp_ge_u32 s13, s83
	s_cselect_b32 s11, -1, 0
	s_cmp_eq_u32 s53, 0
	s_cselect_b32 s11, s11, -1
	s_cmp_lg_u32 s11, 0
	s_cselect_b32 s10, s10, s53
	s_cselect_b32 s13, s54, s13
	s_cmp_ge_u32 s4, s83
	s_cselect_b32 s11, -1, 0
	s_cmp_eq_u32 s12, 0
	s_cselect_b32 s11, s11, -1
	s_cmp_lg_u32 s11, 0
	s_cselect_b32 s11, s10, s12
	s_cselect_b32 s10, s13, s4
	s_cbranch_execnz .LBB174_381
.LBB174_380:                            ;   in Loop: Header=BB174_18 Depth=1
	v_cvt_f32_u32_e32 v4, s83
	s_sub_i32 s4, 0, s83
	v_rcp_iflag_f32_e32 v4, v4
	v_mul_f32_e32 v4, 0x4f7ffffe, v4
	v_cvt_u32_f32_e32 v4, v4
	v_readfirstlane_b32 s10, v4
	s_mul_i32 s4, s4, s10
	s_mul_hi_u32 s4, s10, s4
	s_add_i32 s10, s10, s4
	s_mul_hi_u32 s4, s52, s10
	s_mul_i32 s4, s4, s83
	s_sub_i32 s4, s52, s4
	s_sub_i32 s10, s4, s83
	s_cmp_ge_u32 s4, s83
	s_cselect_b32 s4, s10, s4
	s_sub_i32 s10, s4, s83
	s_cmp_ge_u32 s4, s83
	s_cselect_b32 s92, s10, s4
	s_mov_b64 s[10:11], s[92:93]
.LBB174_381:                            ;   in Loop: Header=BB174_18 Depth=1
	s_sub_u32 s52, s52, s10
	s_subb_u32 s53, s5, s11
	v_cmp_gt_u64_e32 vcc, s[52:53], v[0:1]
	s_mov_b64 s[10:11], 0
	s_mov_b64 s[4:5], 0
                                        ; implicit-def: $vgpr36
	s_and_saveexec_b64 s[12:13], vcc
	s_cbranch_execz .LBB174_392
; %bb.382:                              ;   in Loop: Header=BB174_18 Depth=1
	v_mov_b32_e32 v5, v1
	v_mov_b32_e32 v8, v27
	;; [unrolled: 1-line block ×3, first 2 shown]
                                        ; implicit-def: $sgpr54_sgpr55
	s_branch .LBB174_385
.LBB174_383:                            ;   in Loop: Header=BB174_385 Depth=2
	s_or_b64 exec, exec, s[56:57]
	s_waitcnt lgkmcnt(0)
	s_barrier
	ds_read_b32 v9, v3 offset:3072
	s_mov_b64 s[56:57], -1
	s_waitcnt lgkmcnt(0)
	s_barrier
	v_cmp_ne_u32_sdwa s[58:59], v9, v3 src0_sel:WORD_0 src1_sel:DWORD
	s_and_b64 vcc, exec, s[58:59]
	s_mov_b64 s[58:59], -1
	s_cbranch_vccz .LBB174_388
.LBB174_384:                            ;   in Loop: Header=BB174_385 Depth=2
	s_and_b64 s[56:57], exec, s[56:57]
	s_or_b64 s[4:5], s[56:57], s[4:5]
	s_andn2_b64 s[54:55], s[54:55], exec
	s_and_b64 s[56:57], s[58:59], exec
	s_or_b64 s[54:55], s[54:55], s[56:57]
	s_andn2_b64 exec, exec, s[4:5]
	s_cbranch_execz .LBB174_391
.LBB174_385:                            ;   Parent Loop BB174_18 Depth=1
                                        ; =>  This Inner Loop Header: Depth=2
	v_cmp_gt_u64_e32 vcc, s[8:9], v[4:5]
	s_and_saveexec_b64 s[56:57], vcc
	s_cbranch_execz .LBB174_383
; %bb.386:                              ;   in Loop: Header=BB174_385 Depth=2
	ds_read_u16 v9, v8
	s_waitcnt lgkmcnt(0)
	v_add_u32_sdwa v10, sext(v9), s81 dst_sel:DWORD dst_unused:UNUSED_PAD src0_sel:WORD_0 src1_sel:DWORD
	v_and_b32_e32 v10, v10, v35
	v_cmp_eq_u32_e32 vcc, v10, v30
	s_and_b64 exec, exec, vcc
	s_cbranch_execz .LBB174_383
; %bb.387:                              ;   in Loop: Header=BB174_385 Depth=2
	v_perm_b32 v9, v9, 1, v34
	ds_write_b32 v3, v9 offset:3072
	s_branch .LBB174_383
.LBB174_388:                            ;   in Loop: Header=BB174_385 Depth=2
	v_add_co_u32_e32 v4, vcc, s83, v4
	v_addc_co_u32_e32 v5, vcc, 0, v5, vcc
	v_cmp_le_u64_e32 vcc, s[52:53], v[4:5]
	v_readlane_b32 s56, v49, 2
	v_add_u32_e32 v8, s56, v8
	s_mov_b64 s[58:59], 0
	s_orn2_b64 s[56:57], vcc, exec
	s_branch .LBB174_384
.LBB174_389:                            ;   in Loop: Header=BB174_18 Depth=1
                                        ; implicit-def: $sgpr10_sgpr11
	s_branch .LBB174_335
.LBB174_390:                            ;   in Loop: Header=BB174_18 Depth=1
                                        ; implicit-def: $sgpr8_sgpr9
	s_branch .LBB174_351
.LBB174_391:                            ;   in Loop: Header=BB174_18 Depth=1
	s_or_b64 exec, exec, s[4:5]
	v_lshrrev_b32_e32 v36, 16, v9
	s_and_b64 s[4:5], s[54:55], exec
.LBB174_392:                            ;   in Loop: Header=BB174_18 Depth=1
	s_or_b64 exec, exec, s[12:13]
.LBB174_393:                            ;   in Loop: Header=BB174_18 Depth=1
	s_and_b64 vcc, exec, s[10:11]
	s_cbranch_vccz .LBB174_407
; %bb.394:                              ;   in Loop: Header=BB174_18 Depth=1
	v_readlane_b32 s52, v50, 53
	v_readlane_b32 s53, v50, 54
	s_mov_b32 s52, s93
	s_cmp_lg_u64 s[52:53], 0
	v_writelane_b32 v50, s52, 53
	v_writelane_b32 v50, s53, 54
	s_cbranch_scc0 .LBB174_426
; %bb.395:                              ;   in Loop: Header=BB174_18 Depth=1
	v_cvt_f32_u32_e32 v4, s83
	s_sub_u32 s10, 0, s83
	s_subb_u32 s11, 0, 0
	v_mac_f32_e32 v4, 0, v33
	v_rcp_f32_e32 v4, v4
	v_mul_f32_e32 v4, 0x5f7ffffc, v4
	v_mul_f32_e32 v5, 0x2f800000, v4
	v_trunc_f32_e32 v5, v5
	v_mac_f32_e32 v4, 0xcf800000, v5
	v_cvt_u32_f32_e32 v5, v5
	v_cvt_u32_f32_e32 v4, v4
	v_readfirstlane_b32 s12, v5
	v_readfirstlane_b32 s8, v4
	s_mul_i32 s9, s10, s12
	s_mul_hi_u32 s44, s10, s8
	s_mul_i32 s13, s11, s8
	s_add_i32 s9, s44, s9
	s_mul_i32 s45, s10, s8
	s_add_i32 s9, s9, s13
	s_mul_hi_u32 s44, s8, s45
	s_mul_i32 s46, s8, s9
	s_mul_hi_u32 s13, s8, s9
	s_add_u32 s44, s44, s46
	s_addc_u32 s13, 0, s13
	s_mul_hi_u32 s47, s12, s45
	s_mul_i32 s45, s12, s45
	s_add_u32 s44, s44, s45
	s_mul_hi_u32 s46, s12, s9
	s_addc_u32 s13, s13, s47
	s_addc_u32 s44, s46, 0
	s_mul_i32 s9, s12, s9
	s_add_u32 s9, s13, s9
	s_addc_u32 s13, 0, s44
	s_add_u32 s44, s8, s9
	s_cselect_b64 s[8:9], -1, 0
	s_cmp_lg_u64 s[8:9], 0
	s_addc_u32 s12, s12, s13
	s_mul_i32 s8, s10, s12
	s_mul_hi_u32 s9, s10, s44
	s_add_i32 s8, s9, s8
	s_mul_i32 s11, s11, s44
	s_add_i32 s8, s8, s11
	s_mul_i32 s10, s10, s44
	s_mul_hi_u32 s11, s12, s10
	s_mul_i32 s13, s12, s10
	s_mul_i32 s46, s44, s8
	s_mul_hi_u32 s10, s44, s10
	s_mul_hi_u32 s45, s44, s8
	s_add_u32 s10, s10, s46
	s_addc_u32 s45, 0, s45
	s_add_u32 s10, s10, s13
	s_mul_hi_u32 s9, s12, s8
	s_addc_u32 s10, s45, s11
	s_addc_u32 s9, s9, 0
	s_mul_i32 s8, s12, s8
	s_add_u32 s8, s10, s8
	s_addc_u32 s10, 0, s9
	s_add_u32 s11, s44, s8
	s_cselect_b64 s[8:9], -1, 0
	s_cmp_lg_u64 s[8:9], 0
	s_addc_u32 s8, s12, s10
	v_readlane_b32 s44, v50, 51
	s_mul_i32 s10, s44, s8
	s_mul_hi_u32 s12, s44, s11
	s_mul_hi_u32 s9, s44, s8
	s_add_u32 s10, s12, s10
	s_addc_u32 s9, 0, s9
	s_mul_hi_u32 s13, s53, s11
	s_mul_i32 s11, s53, s11
	s_add_u32 s10, s10, s11
	s_mul_hi_u32 s12, s53, s8
	s_addc_u32 s9, s9, s13
	s_addc_u32 s10, s12, 0
	s_mul_i32 s8, s53, s8
	s_add_u32 s8, s9, s8
	s_addc_u32 s9, 0, s10
	s_mul_i32 s9, s83, s9
	s_mul_hi_u32 s10, s83, s8
	s_add_i32 s10, s10, s9
	s_mul_i32 s8, s83, s8
	s_sub_u32 s11, s44, s8
	s_cselect_b64 s[8:9], -1, 0
	s_cmp_lg_u64 s[8:9], 0
	s_subb_u32 s10, s53, s10
	s_sub_u32 s12, s11, s83
	s_cselect_b64 s[8:9], -1, 0
	s_cmp_lg_u64 s[8:9], 0
	s_subb_u32 s13, s10, 0
	;; [unrolled: 4-line block ×3, first 2 shown]
	s_cmp_ge_u32 s12, s83
	s_cselect_b32 s9, -1, 0
	s_cmp_eq_u32 s13, 0
	s_cselect_b32 s9, s9, -1
	s_cmp_lg_u32 s9, 0
	s_cselect_b32 s8, s8, s13
	s_cselect_b32 s12, s44, s12
	s_cmp_ge_u32 s11, s83
	s_cselect_b32 s9, -1, 0
	s_cmp_eq_u32 s10, 0
	s_cselect_b32 s9, s9, -1
	s_cmp_lg_u32 s9, 0
	s_cselect_b32 s9, s8, s10
	s_cselect_b32 s8, s12, s11
	s_cbranch_execnz .LBB174_397
.LBB174_396:                            ;   in Loop: Header=BB174_18 Depth=1
	v_cvt_f32_u32_e32 v4, s83
	s_sub_i32 s8, 0, s83
	v_readlane_b32 s10, v50, 51
	v_rcp_iflag_f32_e32 v4, v4
	v_mul_f32_e32 v4, 0x4f7ffffe, v4
	v_cvt_u32_f32_e32 v4, v4
	v_readfirstlane_b32 s9, v4
	s_mul_i32 s8, s8, s9
	s_mul_hi_u32 s8, s9, s8
	s_add_i32 s9, s9, s8
	s_mul_hi_u32 s8, s10, s9
	s_mul_i32 s8, s8, s83
	s_sub_i32 s8, s10, s8
	s_sub_i32 s9, s8, s83
	s_cmp_ge_u32 s8, s83
	s_cselect_b32 s8, s9, s8
	s_sub_i32 s9, s8, s83
	s_cmp_ge_u32 s8, s83
	s_cselect_b32 s92, s9, s8
	s_mov_b64 s[8:9], s[92:93]
.LBB174_397:                            ;   in Loop: Header=BB174_18 Depth=1
	v_readlane_b32 s10, v50, 51
	v_readlane_b32 s12, v50, 53
	s_sub_u32 s10, s10, s8
	v_readlane_b32 s13, v50, 54
	s_subb_u32 s11, s13, s9
	v_cmp_gt_u64_e32 vcc, s[10:11], v[0:1]
                                        ; implicit-def: $vgpr36
	s_and_saveexec_b64 s[8:9], vcc
	s_cbranch_execz .LBB174_406
; %bb.398:                              ;   in Loop: Header=BB174_18 Depth=1
	v_mov_b32_e32 v5, v1
	s_mov_b64 s[12:13], 0
	v_mov_b32_e32 v4, v0
                                        ; implicit-def: $sgpr44_sgpr45
	s_branch .LBB174_401
.LBB174_399:                            ;   in Loop: Header=BB174_401 Depth=2
	s_or_b64 exec, exec, s[46:47]
	s_waitcnt lgkmcnt(0)
	s_barrier
	ds_read_b32 v8, v3 offset:3072
	s_mov_b64 s[46:47], -1
	s_waitcnt lgkmcnt(0)
	s_barrier
	v_cmp_eq_u32_sdwa s[52:53], v8, v3 src0_sel:WORD_0 src1_sel:DWORD
	s_and_b64 vcc, exec, s[52:53]
	s_mov_b64 s[52:53], -1
	s_cbranch_vccnz .LBB174_404
.LBB174_400:                            ;   in Loop: Header=BB174_401 Depth=2
	s_and_b64 s[46:47], exec, s[46:47]
	s_or_b64 s[12:13], s[46:47], s[12:13]
	s_andn2_b64 s[44:45], s[44:45], exec
	s_and_b64 s[46:47], s[52:53], exec
	s_or_b64 s[44:45], s[44:45], s[46:47]
	s_andn2_b64 exec, exec, s[12:13]
	s_cbranch_execz .LBB174_405
.LBB174_401:                            ;   Parent Loop BB174_18 Depth=1
                                        ; =>  This Inner Loop Header: Depth=2
	v_cmp_gt_u64_e32 vcc, s[64:65], v[4:5]
	s_and_saveexec_b64 s[46:47], vcc
	s_cbranch_execz .LBB174_399
; %bb.402:                              ;   in Loop: Header=BB174_401 Depth=2
	v_mul_lo_u32 v10, v5, s62
	v_mul_lo_u32 v11, v4, s63
	v_mad_u64_u32 v[8:9], s[52:53], v4, s62, 0
	v_add3_u32 v9, v9, v11, v10
	v_lshlrev_b64 v[8:9], 1, v[8:9]
	v_mov_b32_e32 v10, s82
	v_add_co_u32_e32 v8, vcc, s33, v8
	v_addc_co_u32_e32 v9, vcc, v10, v9, vcc
	global_load_ushort v8, v[8:9], off
	s_waitcnt vmcnt(0)
	v_add_u32_sdwa v9, sext(v8), s81 dst_sel:DWORD dst_unused:UNUSED_PAD src0_sel:WORD_0 src1_sel:DWORD
	v_and_b32_e32 v9, v9, v35
	v_cmp_eq_u32_e32 vcc, v9, v30
	s_and_b64 exec, exec, vcc
	s_cbranch_execz .LBB174_399
; %bb.403:                              ;   in Loop: Header=BB174_401 Depth=2
	v_perm_b32 v8, v8, 1, v34
	ds_write_b32 v3, v8 offset:3072
	s_branch .LBB174_399
.LBB174_404:                            ;   in Loop: Header=BB174_401 Depth=2
	v_add_co_u32_e32 v4, vcc, s83, v4
	v_addc_co_u32_e32 v5, vcc, 0, v5, vcc
	v_cmp_le_u64_e32 vcc, s[10:11], v[4:5]
	s_mov_b64 s[52:53], 0
	s_orn2_b64 s[46:47], vcc, exec
	s_branch .LBB174_400
.LBB174_405:                            ;   in Loop: Header=BB174_18 Depth=1
	s_or_b64 exec, exec, s[12:13]
	s_andn2_b64 s[4:5], s[4:5], exec
	s_and_b64 s[10:11], s[44:45], exec
	v_lshrrev_b32_e32 v36, 16, v8
	s_or_b64 s[4:5], s[4:5], s[10:11]
.LBB174_406:                            ;   in Loop: Header=BB174_18 Depth=1
	s_or_b64 exec, exec, s[8:9]
	s_mov_b64 s[44:45], 0
	s_mov_b64 s[46:47], -1
.LBB174_407:                            ;   in Loop: Header=BB174_18 Depth=1
	s_orn2_b64 s[4:5], s[4:5], exec
.LBB174_408:                            ;   in Loop: Header=BB174_18 Depth=1
	s_or_b64 exec, exec, s[48:49]
	s_mov_b64 s[8:9], 0
	s_and_saveexec_b64 s[48:49], s[4:5]
	s_cbranch_execz .LBB174_470
; %bb.409:                              ;   in Loop: Header=BB174_18 Depth=1
	v_mov_b32_e32 v4, 1
	s_xor_b64 s[10:11], s[50:51], -1
	v_mov_b32_e32 v2, 1
	v_mov_b32_e32 v5, 0
	s_and_saveexec_b64 s[4:5], s[10:11]
	s_cbranch_execz .LBB174_418
; %bb.410:                              ;   in Loop: Header=BB174_18 Depth=1
	v_cmp_ge_u64_e32 vcc, s[24:25], v[6:7]
	s_and_saveexec_b64 s[8:9], vcc
	s_xor_b64 s[8:9], exec, s[8:9]
	s_cbranch_execz .LBB174_415
; %bb.411:                              ;   in Loop: Header=BB174_18 Depth=1
	ds_read_b64 v[4:5], v3 offset:5120
	v_and_b32_e32 v2, s87, v30
	v_lshl_or_b32 v30, 1, s0, v2
	v_or_b32_e32 v35, s86, v35
	s_waitcnt lgkmcnt(0)
	v_cmp_ne_u64_e32 vcc, 0, v[4:5]
	s_cbranch_vccnz .LBB174_415
; %bb.412:                              ;   in Loop: Header=BB174_18 Depth=1
	s_mov_b64 s[10:11], exec
	v_readlane_b32 s12, v50, 32
	v_readlane_b32 s13, v50, 33
	s_and_b64 s[12:13], s[10:11], s[12:13]
	s_mov_b64 exec, s[12:13]
; %bb.413:                              ;   in Loop: Header=BB174_18 Depth=1
	v_mov_b32_e32 v4, s24
	v_mov_b32_e32 v5, s25
	ds_write_b64 v3, v[4:5] offset:5128
; %bb.414:                              ;   in Loop: Header=BB174_18 Depth=1
	s_or_b64 exec, exec, s[10:11]
	s_waitcnt lgkmcnt(0)
	s_barrier
.LBB174_415:                            ;   in Loop: Header=BB174_18 Depth=1
	s_or_saveexec_b64 s[8:9], s[8:9]
	s_mov_b64 s[10:11], 0
	v_mov_b32_e32 v2, 5
	s_xor_b64 exec, exec, s[8:9]
; %bb.416:                              ;   in Loop: Header=BB174_18 Depth=1
	v_mov_b32_e32 v2, s25
	v_subrev_co_u32_e32 v6, vcc, s24, v6
	s_mov_b64 s[10:11], exec
	v_subb_co_u32_e32 v7, vcc, v7, v2, vcc
	v_mov_b32_e32 v2, 0
; %bb.417:                              ;   in Loop: Header=BB174_18 Depth=1
	s_or_b64 exec, exec, s[8:9]
	v_mov_b32_e32 v4, v6
	s_and_b64 s[8:9], s[10:11], exec
	v_mov_b32_e32 v5, v7
.LBB174_418:                            ;   in Loop: Header=BB174_18 Depth=1
	s_or_b64 exec, exec, s[4:5]
	s_mov_b64 s[4:5], -1
                                        ; implicit-def: $sgpr56_sgpr57
                                        ; implicit-def: $sgpr54_sgpr55
	s_and_saveexec_b64 s[24:25], s[8:9]
	s_cbranch_execz .LBB174_469
; %bb.419:                              ;   in Loop: Header=BB174_18 Depth=1
	s_cmp_eq_u64 s[20:21], 1
	v_cmp_eq_u64_e32 vcc, 1, v[4:5]
	s_cselect_b64 s[4:5], -1, 0
	s_and_b64 s[50:51], s[4:5], vcc
	s_mov_b64 s[8:9], -1
                                        ; implicit-def: $sgpr56_sgpr57
                                        ; implicit-def: $sgpr54_sgpr55
	s_and_saveexec_b64 s[52:53], s[50:51]
	s_cbranch_execz .LBB174_457
; %bb.420:                              ;   in Loop: Header=BB174_18 Depth=1
	ds_read_b64 v[6:7], v3 offset:5120
	s_waitcnt lgkmcnt(0)
	s_barrier
	v_readfirstlane_b32 s8, v6
	v_readfirstlane_b32 s9, v7
	s_mov_b64 s[4:5], exec
	v_readlane_b32 s10, v50, 46
	v_readlane_b32 s11, v50, 47
	s_and_b64 s[10:11], s[4:5], s[10:11]
	s_mov_b64 exec, s[10:11]
; %bb.421:                              ;   in Loop: Header=BB174_18 Depth=1
	ds_write_b16 v28, v3
; %bb.422:                              ;   in Loop: Header=BB174_18 Depth=1
	s_or_b64 exec, exec, s[4:5]
	v_and_b32_e32 v30, s87, v30
	v_or_b32_e32 v35, s86, v35
	s_mov_b64 s[54:55], -1
	s_mov_b64 s[56:57], 0
	s_cmp_eq_u64 s[8:9], 0
	s_mov_b64 s[4:5], 0
	s_mov_b64 s[10:11], -1
	s_waitcnt lgkmcnt(0)
	s_barrier
                                        ; implicit-def: $vgpr36
	s_cbranch_scc1 .LBB174_440
; %bb.423:                              ;   in Loop: Header=BB174_18 Depth=1
	v_readlane_b32 s4, v50, 50
	s_add_u32 s58, s8, s4
	v_readlane_b32 s4, v50, 52
	s_addc_u32 s5, s9, s4
	s_mov_b32 s4, s93
	s_cmp_lg_u64 s[4:5], 0
	s_cbranch_scc0 .LBB174_427
; %bb.424:                              ;   in Loop: Header=BB174_18 Depth=1
	v_cvt_f32_u32_e32 v6, s83
	s_sub_u32 s4, 0, s83
	s_subb_u32 s12, 0, 0
	v_mac_f32_e32 v6, 0, v33
	v_rcp_f32_e32 v6, v6
	v_mul_f32_e32 v6, 0x5f7ffffc, v6
	v_mul_f32_e32 v7, 0x2f800000, v6
	v_trunc_f32_e32 v7, v7
	v_mac_f32_e32 v6, 0xcf800000, v7
	v_cvt_u32_f32_e32 v7, v7
	v_cvt_u32_f32_e32 v6, v6
	v_readfirstlane_b32 s13, v7
	v_readfirstlane_b32 s10, v6
	s_mul_i32 s11, s4, s13
	s_mul_hi_u32 s76, s4, s10
	s_mul_i32 s59, s12, s10
	s_add_i32 s11, s76, s11
	s_mul_i32 s77, s4, s10
	s_add_i32 s11, s11, s59
	s_mul_hi_u32 s76, s10, s77
	s_mul_i32 s78, s10, s11
	s_mul_hi_u32 s59, s10, s11
	s_add_u32 s76, s76, s78
	s_addc_u32 s59, 0, s59
	s_mul_hi_u32 s79, s13, s77
	s_mul_i32 s77, s13, s77
	s_add_u32 s76, s76, s77
	s_mul_hi_u32 s78, s13, s11
	s_addc_u32 s59, s59, s79
	s_addc_u32 s76, s78, 0
	s_mul_i32 s11, s13, s11
	s_add_u32 s11, s59, s11
	s_addc_u32 s59, 0, s76
	s_add_u32 s76, s10, s11
	s_cselect_b64 s[10:11], -1, 0
	s_cmp_lg_u64 s[10:11], 0
	s_addc_u32 s13, s13, s59
	s_mul_i32 s10, s4, s13
	s_mul_hi_u32 s11, s4, s76
	s_add_i32 s10, s11, s10
	s_mul_i32 s12, s12, s76
	s_add_i32 s10, s10, s12
	s_mul_i32 s4, s4, s76
	s_mul_hi_u32 s12, s13, s4
	s_mul_i32 s59, s13, s4
	s_mul_i32 s78, s76, s10
	s_mul_hi_u32 s4, s76, s4
	s_mul_hi_u32 s77, s76, s10
	s_add_u32 s4, s4, s78
	s_addc_u32 s77, 0, s77
	s_add_u32 s4, s4, s59
	s_mul_hi_u32 s11, s13, s10
	s_addc_u32 s4, s77, s12
	s_addc_u32 s11, s11, 0
	s_mul_i32 s10, s13, s10
	s_add_u32 s4, s4, s10
	s_addc_u32 s12, 0, s11
	s_add_u32 s4, s76, s4
	s_cselect_b64 s[10:11], -1, 0
	s_cmp_lg_u64 s[10:11], 0
	s_addc_u32 s10, s13, s12
	s_mul_i32 s12, s58, s10
	s_mul_hi_u32 s13, s58, s4
	s_mul_hi_u32 s11, s58, s10
	s_add_u32 s12, s13, s12
	s_addc_u32 s11, 0, s11
	s_mul_hi_u32 s59, s5, s4
	s_mul_i32 s4, s5, s4
	s_add_u32 s4, s12, s4
	s_mul_hi_u32 s13, s5, s10
	s_addc_u32 s4, s11, s59
	s_addc_u32 s11, s13, 0
	s_mul_i32 s10, s5, s10
	s_add_u32 s4, s4, s10
	s_addc_u32 s10, 0, s11
	s_mul_i32 s10, s83, s10
	s_mul_hi_u32 s11, s83, s4
	s_add_i32 s12, s11, s10
	s_mul_i32 s4, s83, s4
	s_sub_u32 s4, s58, s4
	s_cselect_b64 s[10:11], -1, 0
	s_cmp_lg_u64 s[10:11], 0
	s_subb_u32 s12, s5, s12
	s_sub_u32 s13, s4, s83
	s_cselect_b64 s[10:11], -1, 0
	s_cmp_lg_u64 s[10:11], 0
	s_subb_u32 s59, s12, 0
	s_sub_u32 s76, s13, s83
	s_cselect_b64 s[10:11], -1, 0
	s_cmp_lg_u64 s[10:11], 0
	s_subb_u32 s10, s59, 0
	s_cmp_ge_u32 s13, s83
	s_cselect_b32 s11, -1, 0
	s_cmp_eq_u32 s59, 0
	s_cselect_b32 s11, s11, -1
	s_cmp_lg_u32 s11, 0
	s_cselect_b32 s10, s10, s59
	s_cselect_b32 s13, s76, s13
	s_cmp_ge_u32 s4, s83
	s_cselect_b32 s11, -1, 0
	s_cmp_eq_u32 s12, 0
	s_cselect_b32 s11, s11, -1
	s_cmp_lg_u32 s11, 0
	s_cselect_b32 s11, s10, s12
	s_cselect_b32 s10, s13, s4
	s_mov_b64 s[12:13], 0
	s_branch .LBB174_428
.LBB174_425:                            ;   in Loop: Header=BB174_18 Depth=1
                                        ; implicit-def: $sgpr10_sgpr11
	s_branch .LBB174_380
.LBB174_426:                            ;   in Loop: Header=BB174_18 Depth=1
                                        ; implicit-def: $sgpr8_sgpr9
	s_branch .LBB174_396
.LBB174_427:                            ;   in Loop: Header=BB174_18 Depth=1
	s_mov_b64 s[12:13], -1
                                        ; implicit-def: $sgpr10_sgpr11
.LBB174_428:                            ;   in Loop: Header=BB174_18 Depth=1
	s_andn2_b64 vcc, exec, s[12:13]
	s_cbranch_vccnz .LBB174_430
; %bb.429:                              ;   in Loop: Header=BB174_18 Depth=1
	v_cvt_f32_u32_e32 v6, s83
	s_sub_i32 s4, 0, s83
	v_rcp_iflag_f32_e32 v6, v6
	v_mul_f32_e32 v6, 0x4f7ffffe, v6
	v_cvt_u32_f32_e32 v6, v6
	v_readfirstlane_b32 s10, v6
	s_mul_i32 s4, s4, s10
	s_mul_hi_u32 s4, s10, s4
	s_add_i32 s10, s10, s4
	s_mul_hi_u32 s4, s58, s10
	s_mul_i32 s4, s4, s83
	s_sub_i32 s4, s58, s4
	s_sub_i32 s10, s4, s83
	s_cmp_ge_u32 s4, s83
	s_cselect_b32 s4, s10, s4
	s_sub_i32 s10, s4, s83
	s_cmp_ge_u32 s4, s83
	s_cselect_b32 s92, s10, s4
	s_mov_b64 s[10:11], s[92:93]
.LBB174_430:                            ;   in Loop: Header=BB174_18 Depth=1
	s_sub_u32 s58, s58, s10
	s_subb_u32 s59, s5, s11
	v_cmp_gt_u64_e32 vcc, s[58:59], v[0:1]
	s_mov_b64 s[10:11], 0
	s_mov_b64 s[4:5], 0
                                        ; implicit-def: $vgpr36
	s_and_saveexec_b64 s[12:13], vcc
	s_cbranch_execz .LBB174_439
; %bb.431:                              ;   in Loop: Header=BB174_18 Depth=1
	v_mov_b32_e32 v7, v1
	v_mov_b32_e32 v8, v27
	;; [unrolled: 1-line block ×3, first 2 shown]
                                        ; implicit-def: $sgpr76_sgpr77
	s_branch .LBB174_434
.LBB174_432:                            ;   in Loop: Header=BB174_434 Depth=2
	s_or_b64 exec, exec, s[78:79]
	s_waitcnt lgkmcnt(0)
	s_barrier
	ds_read_b32 v9, v3 offset:3072
	s_mov_b64 s[78:79], -1
	s_waitcnt lgkmcnt(0)
	s_barrier
	v_cmp_ne_u32_sdwa s[84:85], v9, v3 src0_sel:WORD_0 src1_sel:DWORD
	s_and_b64 vcc, exec, s[84:85]
	s_mov_b64 s[84:85], -1
	s_cbranch_vccz .LBB174_437
.LBB174_433:                            ;   in Loop: Header=BB174_434 Depth=2
	s_and_b64 s[78:79], exec, s[78:79]
	s_or_b64 s[4:5], s[78:79], s[4:5]
	s_andn2_b64 s[76:77], s[76:77], exec
	s_and_b64 s[78:79], s[84:85], exec
	s_or_b64 s[76:77], s[76:77], s[78:79]
	s_andn2_b64 exec, exec, s[4:5]
	s_cbranch_execz .LBB174_438
.LBB174_434:                            ;   Parent Loop BB174_18 Depth=1
                                        ; =>  This Inner Loop Header: Depth=2
	v_cmp_gt_u64_e32 vcc, s[8:9], v[6:7]
	s_and_saveexec_b64 s[78:79], vcc
	s_cbranch_execz .LBB174_432
; %bb.435:                              ;   in Loop: Header=BB174_434 Depth=2
	ds_read_u16 v9, v8
	s_waitcnt lgkmcnt(0)
	v_add_u32_sdwa v10, sext(v9), s81 dst_sel:DWORD dst_unused:UNUSED_PAD src0_sel:WORD_0 src1_sel:DWORD
	v_and_b32_e32 v10, v10, v35
	v_cmp_eq_u32_e32 vcc, v10, v30
	s_and_b64 exec, exec, vcc
	s_cbranch_execz .LBB174_432
; %bb.436:                              ;   in Loop: Header=BB174_434 Depth=2
	v_perm_b32 v9, v9, 1, v34
	ds_write_b32 v3, v9 offset:3072
	s_branch .LBB174_432
.LBB174_437:                            ;   in Loop: Header=BB174_434 Depth=2
	v_add_co_u32_e32 v6, vcc, s83, v6
	v_addc_co_u32_e32 v7, vcc, 0, v7, vcc
	v_cmp_le_u64_e32 vcc, s[58:59], v[6:7]
	v_readlane_b32 s78, v49, 2
	v_add_u32_e32 v8, s78, v8
	s_mov_b64 s[84:85], 0
	s_orn2_b64 s[78:79], vcc, exec
	s_branch .LBB174_433
.LBB174_438:                            ;   in Loop: Header=BB174_18 Depth=1
	s_or_b64 exec, exec, s[4:5]
	v_readlane_b32 s84, v49, 5
	v_lshrrev_b32_e32 v36, 16, v9
	s_and_b64 s[4:5], s[76:77], exec
	v_readlane_b32 s85, v49, 6
.LBB174_439:                            ;   in Loop: Header=BB174_18 Depth=1
	s_or_b64 exec, exec, s[12:13]
.LBB174_440:                            ;   in Loop: Header=BB174_18 Depth=1
	s_and_b64 vcc, exec, s[10:11]
	s_cbranch_vccz .LBB174_456
; %bb.441:                              ;   in Loop: Header=BB174_18 Depth=1
	v_readlane_b32 s58, v50, 53
	v_readlane_b32 s59, v50, 54
	s_mov_b32 s58, s93
	s_cmp_lg_u64 s[58:59], 0
	v_writelane_b32 v50, s58, 53
	v_writelane_b32 v50, s59, 54
	s_cbranch_scc0 .LBB174_443
; %bb.442:                              ;   in Loop: Header=BB174_18 Depth=1
	v_cvt_f32_u32_e32 v6, s83
	s_sub_u32 s10, 0, s83
	s_subb_u32 s11, 0, 0
	v_mac_f32_e32 v6, 0, v33
	v_rcp_f32_e32 v6, v6
	v_mul_f32_e32 v6, 0x5f7ffffc, v6
	v_mul_f32_e32 v7, 0x2f800000, v6
	v_trunc_f32_e32 v7, v7
	v_mac_f32_e32 v6, 0xcf800000, v7
	v_cvt_u32_f32_e32 v7, v7
	v_cvt_u32_f32_e32 v6, v6
	v_readfirstlane_b32 s12, v7
	v_readfirstlane_b32 s8, v6
	s_mul_i32 s9, s10, s12
	s_mul_hi_u32 s54, s10, s8
	s_mul_i32 s13, s11, s8
	s_add_i32 s9, s54, s9
	s_mul_i32 s55, s10, s8
	s_add_i32 s9, s9, s13
	s_mul_hi_u32 s54, s8, s55
	s_mul_i32 s56, s8, s9
	s_mul_hi_u32 s13, s8, s9
	s_add_u32 s54, s54, s56
	s_addc_u32 s13, 0, s13
	s_mul_hi_u32 s57, s12, s55
	s_mul_i32 s55, s12, s55
	s_add_u32 s54, s54, s55
	s_mul_hi_u32 s56, s12, s9
	s_addc_u32 s13, s13, s57
	s_addc_u32 s54, s56, 0
	s_mul_i32 s9, s12, s9
	s_add_u32 s9, s13, s9
	s_addc_u32 s13, 0, s54
	s_add_u32 s54, s8, s9
	s_cselect_b64 s[8:9], -1, 0
	s_cmp_lg_u64 s[8:9], 0
	s_addc_u32 s12, s12, s13
	s_mul_i32 s8, s10, s12
	s_mul_hi_u32 s9, s10, s54
	s_add_i32 s8, s9, s8
	s_mul_i32 s11, s11, s54
	s_add_i32 s8, s8, s11
	s_mul_i32 s10, s10, s54
	s_mul_hi_u32 s11, s12, s10
	s_mul_i32 s13, s12, s10
	s_mul_i32 s56, s54, s8
	s_mul_hi_u32 s10, s54, s10
	s_mul_hi_u32 s55, s54, s8
	s_add_u32 s10, s10, s56
	s_addc_u32 s55, 0, s55
	s_add_u32 s10, s10, s13
	s_mul_hi_u32 s9, s12, s8
	s_addc_u32 s10, s55, s11
	s_addc_u32 s9, s9, 0
	s_mul_i32 s8, s12, s8
	s_add_u32 s8, s10, s8
	s_addc_u32 s10, 0, s9
	s_add_u32 s11, s54, s8
	s_cselect_b64 s[8:9], -1, 0
	s_cmp_lg_u64 s[8:9], 0
	s_addc_u32 s8, s12, s10
	v_readlane_b32 s54, v50, 51
	s_mul_i32 s10, s54, s8
	s_mul_hi_u32 s12, s54, s11
	s_mul_hi_u32 s9, s54, s8
	s_add_u32 s10, s12, s10
	s_addc_u32 s9, 0, s9
	s_mul_hi_u32 s13, s59, s11
	s_mul_i32 s11, s59, s11
	s_add_u32 s10, s10, s11
	s_mul_hi_u32 s12, s59, s8
	s_addc_u32 s9, s9, s13
	s_addc_u32 s10, s12, 0
	s_mul_i32 s8, s59, s8
	s_add_u32 s8, s9, s8
	s_addc_u32 s9, 0, s10
	s_mul_i32 s9, s83, s9
	s_mul_hi_u32 s10, s83, s8
	s_add_i32 s10, s10, s9
	s_mul_i32 s8, s83, s8
	s_sub_u32 s11, s54, s8
	s_cselect_b64 s[8:9], -1, 0
	s_cmp_lg_u64 s[8:9], 0
	s_subb_u32 s10, s59, s10
	s_sub_u32 s12, s11, s83
	s_cselect_b64 s[8:9], -1, 0
	s_cmp_lg_u64 s[8:9], 0
	s_subb_u32 s13, s10, 0
	;; [unrolled: 4-line block ×3, first 2 shown]
	s_cmp_ge_u32 s12, s83
	s_cselect_b32 s9, -1, 0
	s_cmp_eq_u32 s13, 0
	s_cselect_b32 s9, s9, -1
	s_cmp_lg_u32 s9, 0
	s_cselect_b32 s8, s8, s13
	s_cselect_b32 s12, s54, s12
	s_cmp_ge_u32 s11, s83
	s_cselect_b32 s9, -1, 0
	s_cmp_eq_u32 s10, 0
	s_cselect_b32 s9, s9, -1
	s_cmp_lg_u32 s9, 0
	s_cselect_b32 s9, s8, s10
	s_cselect_b32 s8, s12, s11
	s_mov_b64 s[10:11], 0
	s_branch .LBB174_444
.LBB174_443:                            ;   in Loop: Header=BB174_18 Depth=1
	s_mov_b64 s[10:11], -1
                                        ; implicit-def: $sgpr8_sgpr9
.LBB174_444:                            ;   in Loop: Header=BB174_18 Depth=1
	s_andn2_b64 vcc, exec, s[10:11]
	s_cbranch_vccnz .LBB174_446
; %bb.445:                              ;   in Loop: Header=BB174_18 Depth=1
	v_cvt_f32_u32_e32 v6, s83
	s_sub_i32 s8, 0, s83
	v_readlane_b32 s10, v50, 51
	v_rcp_iflag_f32_e32 v6, v6
	v_mul_f32_e32 v6, 0x4f7ffffe, v6
	v_cvt_u32_f32_e32 v6, v6
	v_readfirstlane_b32 s9, v6
	s_mul_i32 s8, s8, s9
	s_mul_hi_u32 s8, s9, s8
	s_add_i32 s9, s9, s8
	s_mul_hi_u32 s8, s10, s9
	s_mul_i32 s8, s8, s83
	s_sub_i32 s8, s10, s8
	s_sub_i32 s9, s8, s83
	s_cmp_ge_u32 s8, s83
	s_cselect_b32 s8, s9, s8
	s_sub_i32 s9, s8, s83
	s_cmp_ge_u32 s8, s83
	s_cselect_b32 s92, s9, s8
	s_mov_b64 s[8:9], s[92:93]
.LBB174_446:                            ;   in Loop: Header=BB174_18 Depth=1
	v_readlane_b32 s10, v50, 51
	v_readlane_b32 s12, v50, 53
	s_sub_u32 s10, s10, s8
	v_readlane_b32 s13, v50, 54
	s_subb_u32 s11, s13, s9
	v_cmp_gt_u64_e32 vcc, s[10:11], v[0:1]
                                        ; implicit-def: $vgpr36
	s_and_saveexec_b64 s[8:9], vcc
	s_cbranch_execz .LBB174_455
; %bb.447:                              ;   in Loop: Header=BB174_18 Depth=1
	v_mov_b32_e32 v7, v1
	s_mov_b64 s[12:13], 0
	v_mov_b32_e32 v6, v0
                                        ; implicit-def: $sgpr54_sgpr55
	s_branch .LBB174_450
.LBB174_448:                            ;   in Loop: Header=BB174_450 Depth=2
	s_or_b64 exec, exec, s[56:57]
	s_waitcnt lgkmcnt(0)
	s_barrier
	ds_read_b32 v8, v3 offset:3072
	s_mov_b64 s[56:57], -1
	s_waitcnt lgkmcnt(0)
	s_barrier
	v_cmp_eq_u32_sdwa s[58:59], v8, v3 src0_sel:WORD_0 src1_sel:DWORD
	s_and_b64 vcc, exec, s[58:59]
	s_mov_b64 s[58:59], -1
	s_cbranch_vccnz .LBB174_453
.LBB174_449:                            ;   in Loop: Header=BB174_450 Depth=2
	s_and_b64 s[56:57], exec, s[56:57]
	s_or_b64 s[12:13], s[56:57], s[12:13]
	s_andn2_b64 s[54:55], s[54:55], exec
	s_and_b64 s[56:57], s[58:59], exec
	s_or_b64 s[54:55], s[54:55], s[56:57]
	s_andn2_b64 exec, exec, s[12:13]
	s_cbranch_execz .LBB174_454
.LBB174_450:                            ;   Parent Loop BB174_18 Depth=1
                                        ; =>  This Inner Loop Header: Depth=2
	v_cmp_gt_u64_e32 vcc, s[64:65], v[6:7]
	s_and_saveexec_b64 s[56:57], vcc
	s_cbranch_execz .LBB174_448
; %bb.451:                              ;   in Loop: Header=BB174_450 Depth=2
	v_mul_lo_u32 v10, v7, s62
	v_mul_lo_u32 v11, v6, s63
	v_mad_u64_u32 v[8:9], s[58:59], v6, s62, 0
	v_add3_u32 v9, v9, v11, v10
	v_lshlrev_b64 v[8:9], 1, v[8:9]
	v_mov_b32_e32 v10, s82
	v_add_co_u32_e32 v8, vcc, s33, v8
	v_addc_co_u32_e32 v9, vcc, v10, v9, vcc
	global_load_ushort v8, v[8:9], off
	s_waitcnt vmcnt(0)
	v_add_u32_sdwa v9, sext(v8), s81 dst_sel:DWORD dst_unused:UNUSED_PAD src0_sel:WORD_0 src1_sel:DWORD
	v_and_b32_e32 v9, v9, v35
	v_cmp_eq_u32_e32 vcc, v9, v30
	s_and_b64 exec, exec, vcc
	s_cbranch_execz .LBB174_448
; %bb.452:                              ;   in Loop: Header=BB174_450 Depth=2
	v_perm_b32 v8, v8, 1, v34
	ds_write_b32 v3, v8 offset:3072
	s_branch .LBB174_448
.LBB174_453:                            ;   in Loop: Header=BB174_450 Depth=2
	v_add_co_u32_e32 v6, vcc, s83, v6
	v_addc_co_u32_e32 v7, vcc, 0, v7, vcc
	v_cmp_le_u64_e32 vcc, s[10:11], v[6:7]
	s_mov_b64 s[58:59], 0
	s_orn2_b64 s[56:57], vcc, exec
	s_branch .LBB174_449
.LBB174_454:                            ;   in Loop: Header=BB174_18 Depth=1
	s_or_b64 exec, exec, s[12:13]
	s_andn2_b64 s[4:5], s[4:5], exec
	s_and_b64 s[10:11], s[54:55], exec
	v_lshrrev_b32_e32 v36, 16, v8
	s_or_b64 s[4:5], s[4:5], s[10:11]
.LBB174_455:                            ;   in Loop: Header=BB174_18 Depth=1
	s_or_b64 exec, exec, s[8:9]
	s_mov_b64 s[54:55], 0
	s_mov_b64 s[56:57], -1
.LBB174_456:                            ;   in Loop: Header=BB174_18 Depth=1
	s_orn2_b64 s[8:9], s[4:5], exec
.LBB174_457:                            ;   in Loop: Header=BB174_18 Depth=1
	s_or_b64 exec, exec, s[52:53]
	s_mov_b64 s[10:11], 0
	s_and_saveexec_b64 s[4:5], s[8:9]
	s_cbranch_execz .LBB174_468
; %bb.458:                              ;   in Loop: Header=BB174_18 Depth=1
	v_mov_b32_e32 v6, 1
	s_xor_b64 s[10:11], s[50:51], -1
	v_mov_b32_e32 v7, 0
	v_mov_b32_e32 v2, 1
	s_and_saveexec_b64 s[8:9], s[10:11]
	s_cbranch_execz .LBB174_467
; %bb.459:                              ;   in Loop: Header=BB174_18 Depth=1
	v_cmp_ge_u64_e32 vcc, s[20:21], v[4:5]
	s_and_saveexec_b64 s[10:11], vcc
	s_xor_b64 s[10:11], exec, s[10:11]
	s_cbranch_execz .LBB174_464
; %bb.460:                              ;   in Loop: Header=BB174_18 Depth=1
	ds_read_b64 v[6:7], v3 offset:5120
	v_and_b32_e32 v30, s87, v30
	v_or_b32_e32 v35, s86, v35
	s_waitcnt lgkmcnt(0)
	v_cmp_ne_u64_e32 vcc, 0, v[6:7]
	s_cbranch_vccnz .LBB174_464
; %bb.461:                              ;   in Loop: Header=BB174_18 Depth=1
	s_mov_b64 s[12:13], exec
	v_readlane_b32 s50, v50, 32
	v_readlane_b32 s51, v50, 33
	s_and_b64 s[50:51], s[12:13], s[50:51]
	s_mov_b64 exec, s[50:51]
; %bb.462:                              ;   in Loop: Header=BB174_18 Depth=1
	v_mov_b32_e32 v6, s20
	v_mov_b32_e32 v7, s21
	ds_write_b64 v3, v[6:7] offset:5128
; %bb.463:                              ;   in Loop: Header=BB174_18 Depth=1
	s_or_b64 exec, exec, s[12:13]
	s_waitcnt lgkmcnt(0)
	s_barrier
.LBB174_464:                            ;   in Loop: Header=BB174_18 Depth=1
	s_andn2_saveexec_b64 s[10:11], s[10:11]
; %bb.465:                              ;   in Loop: Header=BB174_18 Depth=1
	v_mov_b32_e32 v2, s21
	v_subrev_co_u32_e32 v4, vcc, s20, v4
	v_subb_co_u32_e32 v5, vcc, v5, v2, vcc
; %bb.466:                              ;   in Loop: Header=BB174_18 Depth=1
	s_or_b64 exec, exec, s[10:11]
	v_mov_b32_e32 v7, v5
	v_mov_b32_e32 v2, 5
	;; [unrolled: 1-line block ×3, first 2 shown]
.LBB174_467:                            ;   in Loop: Header=BB174_18 Depth=1
	s_or_b64 exec, exec, s[8:9]
	v_mov_b32_e32 v4, v6
	s_mov_b64 s[10:11], exec
	v_mov_b32_e32 v5, v7
.LBB174_468:                            ;   in Loop: Header=BB174_18 Depth=1
	s_or_b64 exec, exec, s[4:5]
	s_orn2_b64 s[4:5], s[10:11], exec
.LBB174_469:                            ;   in Loop: Header=BB174_18 Depth=1
	s_or_b64 exec, exec, s[24:25]
	s_andn2_b64 s[8:9], s[46:47], exec
	s_and_b64 s[10:11], s[56:57], exec
	s_or_b64 s[46:47], s[8:9], s[10:11]
	s_andn2_b64 s[8:9], s[44:45], exec
	s_and_b64 s[10:11], s[54:55], exec
	v_mov_b32_e32 v7, v5
	s_or_b64 s[44:45], s[8:9], s[10:11]
	s_and_b64 s[8:9], s[4:5], exec
	v_mov_b32_e32 v6, v4
.LBB174_470:                            ;   in Loop: Header=BB174_18 Depth=1
	s_or_b64 exec, exec, s[48:49]
	s_orn2_b64 s[4:5], s[8:9], exec
.LBB174_471:                            ;   in Loop: Header=BB174_18 Depth=1
	s_or_b64 exec, exec, s[26:27]
	s_andn2_b64 s[8:9], s[40:41], exec
	s_and_b64 s[10:11], s[46:47], exec
	s_or_b64 s[40:41], s[8:9], s[10:11]
	s_andn2_b64 s[8:9], s[28:29], exec
	s_and_b64 s[10:11], s[44:45], exec
	v_mov_b32_e32 v4, v6
	s_or_b64 s[28:29], s[8:9], s[10:11]
	s_and_b64 s[8:9], s[4:5], exec
	v_mov_b32_e32 v5, v7
.LBB174_472:                            ;   in Loop: Header=BB174_18 Depth=1
	s_or_b64 exec, exec, s[42:43]
	s_orn2_b64 s[4:5], s[8:9], exec
.LBB174_473:                            ;   in Loop: Header=BB174_18 Depth=1
	s_or_b64 exec, exec, s[6:7]
	s_mov_b64 s[6:7], s[34:35]
	s_mov_b64 s[8:9], s[30:31]
	s_and_saveexec_b64 s[10:11], s[4:5]
; %bb.474:                              ;   in Loop: Header=BB174_18 Depth=1
	v_cmp_ne_u32_e64 s[6:7], 5, v2
	v_cmp_eq_u32_e32 vcc, 5, v2
	s_andn2_b64 s[4:5], s[30:31], exec
	s_and_b64 s[6:7], s[6:7], exec
	s_or_b64 s[8:9], s[4:5], s[6:7]
	s_andn2_b64 s[4:5], s[34:35], exec
	s_and_b64 s[6:7], vcc, exec
	s_or_b64 s[6:7], s[4:5], s[6:7]
; %bb.475:                              ;   in Loop: Header=BB174_18 Depth=1
	s_or_b64 exec, exec, s[10:11]
	s_andn2_b64 s[4:5], s[18:19], exec
	s_and_b64 s[10:11], s[40:41], exec
	s_or_b64 s[18:19], s[4:5], s[10:11]
	s_andn2_b64 s[4:5], s[22:23], exec
	s_and_b64 s[10:11], s[28:29], exec
	s_or_b64 s[22:23], s[4:5], s[10:11]
	;; [unrolled: 3-line block ×4, first 2 shown]
.LBB174_476:                            ;   in Loop: Header=BB174_18 Depth=1
	s_or_b64 exec, exec, s[38:39]
	s_mov_b64 s[38:39], 0
	s_mov_b64 s[40:41], 0
	s_and_saveexec_b64 s[4:5], s[34:35]
.LBB174_477:                            ;   in Loop: Header=BB174_18 Depth=1
	v_mov_b32_e32 v2, 0
	s_or_b64 s[30:31], s[30:31], exec
.LBB174_478:                            ;   in Loop: Header=BB174_18 Depth=1
	s_or_b64 exec, exec, s[4:5]
	s_andn2_b64 s[4:5], s[36:37], exec
	s_and_b64 s[8:9], s[18:19], exec
	s_or_b64 s[36:37], s[4:5], s[8:9]
	s_andn2_b64 s[4:5], s[90:91], exec
	s_and_b64 s[8:9], s[22:23], exec
	s_or_b64 s[90:91], s[4:5], s[8:9]
	;; [unrolled: 3-line block ×3, first 2 shown]
	s_andn2_b64 s[4:5], s[74:75], exec
	s_and_b64 s[8:9], s[38:39], exec
	v_mov_b32_e32 v20, v5
	s_mov_b64 s[6:7], -1
	s_andn2_b64 s[16:17], s[16:17], exec
	s_or_b64 s[74:75], s[4:5], s[8:9]
	v_mov_b32_e32 v19, v4
	s_and_saveexec_b64 s[4:5], s[30:31]
	s_xor_b64 s[4:5], exec, s[4:5]
	v_readlane_b32 s23, v49, 7
	v_readlane_b32 s24, v49, 8
	s_cbranch_execz .LBB174_17
; %bb.479:                              ;   in Loop: Header=BB174_18 Depth=1
	v_cmp_eq_u32_e32 vcc, 0, v2
	s_mov_b64 s[8:9], -1
	s_and_saveexec_b64 s[10:11], vcc
	s_cbranch_execz .LBB174_16
; %bb.480:                              ;   in Loop: Header=BB174_18 Depth=1
	s_xor_b32 s1, s1, 1
	s_add_i32 s12, s0, -2
	s_cmp_eq_u32 s0, 0
	s_cselect_b64 s[6:7], -1, 0
	s_xor_b64 s[8:9], exec, -1
	s_orn2_b64 s[6:7], s[6:7], exec
	s_mov_b32 s0, s12
	s_branch .LBB174_16
.LBB174_481:
	s_or_b64 exec, exec, s[88:89]
	s_xor_b64 s[4:5], s[72:73], -1
	s_xor_b64 s[8:9], s[70:71], -1
	;; [unrolled: 1-line block ×5, first 2 shown]
	s_mov_b64 s[6:7], 0
	s_and_saveexec_b64 s[10:11], s[0:1]
	s_xor_b64 s[10:11], exec, s[10:11]
	s_cbranch_execnz .LBB174_486
; %bb.482:
	s_andn2_saveexec_b64 s[0:1], s[10:11]
	s_cbranch_execnz .LBB174_505
.LBB174_483:
	s_or_b64 exec, exec, s[0:1]
	s_and_saveexec_b64 s[0:1], s[6:7]
.LBB174_484:
	; divergent unreachable
.LBB174_485:
	s_endpgm
.LBB174_486:
	s_and_saveexec_b64 s[0:1], s[12:13]
	s_xor_b64 s[12:13], exec, s[0:1]
	s_cbranch_execz .LBB174_503
; %bb.487:
	s_and_saveexec_b64 s[0:1], s[8:9]
	s_xor_b64 s[14:15], exec, s[0:1]
	s_cbranch_execz .LBB174_501
; %bb.488:
	;; [unrolled: 4-line block ×3, first 2 shown]
	s_and_saveexec_b64 s[0:1], s[2:3]
	s_xor_b64 s[2:3], exec, s[0:1]
; %bb.490:
	v_xor_b32_e32 v36, 0xffff8000, v30
; %bb.491:
	s_or_b64 exec, exec, s[2:3]
	s_mov_b64 s[2:3], exec
	v_readlane_b32 s0, v50, 32
	v_readlane_b32 s1, v50, 33
	;; [unrolled: 1-line block ×4, first 2 shown]
	s_and_b64 s[0:1], s[2:3], s[0:1]
	v_readlane_b32 s23, v50, 37
	v_readlane_b32 s18, v50, 34
	;; [unrolled: 1-line block ×4, first 2 shown]
	s_mov_b64 exec, s[0:1]
; %bb.492:
	v_mov_b32_e32 v2, 0
	v_mov_b32_e32 v3, v2
	ds_write_b64 v2, v[2:3] offset:5136
; %bb.493:
	s_or_b64 exec, exec, s[2:3]
	v_mov_b32_e32 v14, 0
	s_waitcnt lgkmcnt(0)
	s_barrier
	s_mov_b64 s[2:3], exec
	v_readlane_b32 s0, v50, 44
	v_readlane_b32 s1, v50, 45
	;; [unrolled: 1-line block ×3, first 2 shown]
	s_and_b64 s[0:1], s[2:3], s[0:1]
	v_readlane_b32 s5, v50, 23
	s_mov_b64 exec, s[0:1]
	s_cbranch_execz .LBB174_495
; %bb.494:
	global_load_ushort v14, v[12:13], off
.LBB174_495:
	s_or_b64 exec, exec, s[2:3]
	v_readlane_b32 s28, v50, 24
	s_add_u32 s0, s64, 63
	v_readlane_b32 s30, v50, 26
	v_readlane_b32 s31, v50, 27
	s_addc_u32 s9, s65, 0
	s_and_b32 s8, s0, 0xffffffc0
	s_mul_i32 s0, s4, s31
	s_mul_hi_u32 s1, s4, s30
	s_add_i32 s1, s1, s0
	s_mul_i32 s0, s4, s30
	v_readlane_b32 s6, v50, 10
	s_sub_u32 s0, s18, s0
	v_readlane_b32 s7, v50, 11
	s_subb_u32 s1, 0, s1
	s_mul_i32 s2, s0, s7
	s_mul_hi_u32 s3, s0, s6
	s_add_i32 s2, s3, s2
	s_mul_i32 s1, s1, s6
	s_add_i32 s3, s2, s1
	s_mul_i32 s2, s0, s6
	v_readlane_b32 s24, v50, 4
	v_readlane_b32 s0, v50, 0
	;; [unrolled: 1-line block ×4, first 2 shown]
	s_mov_b32 s6, s0
	s_mul_i32 s0, s0, s25
	s_mul_hi_u32 s1, s6, s24
	s_add_i32 s1, s1, s0
	s_mul_i32 s0, s6, s24
	v_readlane_b32 s20, v50, 2
	v_readlane_b32 s36, v50, 18
	;; [unrolled: 1-line block ×3, first 2 shown]
	s_sub_u32 s0, s20, s0
	v_readlane_b32 s38, v50, 20
	v_readlane_b32 s39, v50, 21
	s_subb_u32 s1, s21, s1
	s_mov_b64 s[30:31], s[4:5]
	s_mul_i32 s4, s0, s39
	s_mul_hi_u32 s5, s0, s38
	v_readlane_b32 s37, v50, 19
	s_add_i32 s4, s5, s4
	s_mul_i32 s1, s1, s38
	v_readlane_b32 s26, v50, 6
	v_readlane_b32 s27, v50, 7
	s_add_i32 s1, s4, s1
	s_mul_i32 s4, s6, s37
	s_mul_hi_u32 s5, s6, s36
	s_add_i32 s5, s5, s4
	s_mul_i32 s4, s6, s36
	s_mul_i32 s6, s20, s27
	s_mul_hi_u32 s7, s20, s26
	s_add_i32 s7, s7, s6
	s_mul_i32 s6, s20, s26
	v_readlane_b32 s20, v50, 16
	s_sub_u32 s6, s18, s6
	v_readlane_b32 s21, v50, 17
	s_subb_u32 s7, 0, s7
	s_mul_i32 s18, s6, s21
	s_mul_hi_u32 s19, s6, s20
	s_add_i32 s18, s19, s18
	s_mul_i32 s7, s7, s20
	s_add_i32 s7, s18, s7
	v_readlane_b32 s18, v50, 8
	v_readlane_b32 s29, v50, 25
	;; [unrolled: 1-line block ×3, first 2 shown]
	s_mov_b32 s24, s18
	s_mul_i32 s18, s18, s29
	s_mul_hi_u32 s19, s24, s28
	s_add_i32 s19, s19, s18
	s_mul_i32 s18, s24, s28
	s_sub_u32 s18, s30, s18
	s_subb_u32 s19, s31, s19
	v_readlane_b32 s28, v50, 12
	v_readlane_b32 s30, v50, 14
	;; [unrolled: 1-line block ×3, first 2 shown]
	s_mul_i32 s6, s6, s20
	s_mul_i32 s20, s18, s31
	s_mul_hi_u32 s21, s18, s30
	v_readlane_b32 s29, v50, 13
	s_add_i32 s20, s21, s20
	s_mul_i32 s19, s19, s30
	s_add_i32 s19, s20, s19
	s_mul_i32 s20, s24, s29
	s_mul_hi_u32 s21, s24, s28
	s_add_i32 s21, s21, s20
	s_mul_i32 s20, s24, s28
	s_lshl_b64 s[4:5], s[4:5], 1
	v_readlane_b32 s24, v50, 30
	s_mul_i32 s0, s0, s38
	v_readlane_b32 s25, v50, 31
	s_add_u32 s4, s24, s4
	s_addc_u32 s5, s25, s5
	s_lshl_b64 s[0:1], s[0:1], 1
	s_add_u32 s4, s4, s0
	s_addc_u32 s5, s5, s1
	s_lshl_b64 s[0:1], s[6:7], 1
	;; [unrolled: 3-line block ×3, first 2 shown]
	v_readlane_b32 s6, v50, 28
	s_mul_i32 s18, s18, s30
	v_readlane_b32 s7, v50, 29
	s_add_u32 s6, s6, s4
	s_addc_u32 s7, s7, s5
	s_lshl_b64 s[4:5], s[18:19], 3
	s_load_dwordx2 s[18:19], s[22:23], 0x368
	s_load_dwordx2 s[20:21], s[22:23], 0x510
	s_add_u32 s4, s6, s4
	s_addc_u32 s5, s7, s5
	s_lshl_b64 s[2:3], s[2:3], 3
	s_add_u32 s38, s4, s2
	v_cmp_gt_u64_e32 vcc, s[8:9], v[0:1]
	s_addc_u32 s39, s5, s3
	s_mov_b64 s[24:25], -1
	s_mov_b64 s[2:3], 0
	s_mov_b64 s[4:5], 0
	s_and_saveexec_b64 s[22:23], vcc
	s_cbranch_execnz .LBB174_506
; %bb.496:
	s_or_b64 exec, exec, s[22:23]
	s_and_saveexec_b64 s[6:7], s[24:25]
	s_cbranch_execnz .LBB174_521
.LBB174_497:
	s_or_b64 exec, exec, s[6:7]
	s_and_saveexec_b64 s[0:1], s[4:5]
	s_xor_b64 s[0:1], exec, s[0:1]
	s_cbranch_execnz .LBB174_544
.LBB174_498:
	s_or_b64 exec, exec, s[0:1]
	s_and_b64 s[6:7], s[2:3], exec
.LBB174_499:
	s_andn2_saveexec_b64 s[0:1], s[16:17]
	s_cbranch_execnz .LBB174_546
.LBB174_500:
	s_or_b64 exec, exec, s[0:1]
	s_and_b64 s[6:7], s[6:7], exec
.LBB174_501:
	s_andn2_saveexec_b64 s[0:1], s[14:15]
	s_cbranch_execnz .LBB174_545
.LBB174_502:
	s_or_b64 exec, exec, s[0:1]
	s_and_b64 s[6:7], s[6:7], exec
.LBB174_503:
	s_andn2_saveexec_b64 s[0:1], s[12:13]
	s_cbranch_execnz .LBB174_540
.LBB174_504:
	s_or_b64 exec, exec, s[0:1]
	s_and_b64 s[6:7], s[6:7], exec
	s_andn2_saveexec_b64 s[0:1], s[10:11]
	s_cbranch_execz .LBB174_483
.LBB174_505:
	s_or_b64 s[6:7], s[6:7], exec
	s_trap 2
	s_or_b64 exec, exec, s[0:1]
	s_and_saveexec_b64 s[0:1], s[6:7]
	s_cbranch_execnz .LBB174_484
	s_branch .LBB174_485
.LBB174_506:
	s_mov_b32 s40, 0x8000
	v_mov_b32_e32 v9, v1
	v_add_u32_sdwa v15, sext(v36), s40 dst_sel:DWORD dst_unused:UNUSED_PAD src0_sel:WORD_0 src1_sel:DWORD
	s_mov_b64 s[24:25], 0
	v_mov_b32_e32 v3, 0
	v_mov_b32_e32 v8, v0
                                        ; implicit-def: $sgpr26_sgpr27
                                        ; implicit-def: $vgpr6_vgpr7
	s_branch .LBB174_508
.LBB174_507:                            ;   in Loop: Header=BB174_508 Depth=1
	s_or_b64 exec, exec, s[30:31]
	s_xor_b64 s[4:5], s[28:29], -1
	s_and_b64 s[6:7], exec, s[6:7]
	s_or_b64 s[24:25], s[6:7], s[24:25]
	s_andn2_b64 s[6:7], s[26:27], exec
	s_and_b64 s[4:5], s[4:5], exec
	v_mov_b32_e32 v9, v5
	s_or_b64 s[26:27], s[6:7], s[4:5]
	v_mov_b32_e32 v14, v16
	v_mov_b32_e32 v8, v4
	s_andn2_b64 exec, exec, s[24:25]
	s_cbranch_execz .LBB174_520
.LBB174_508:                            ; =>This Inner Loop Header: Depth=1
	v_add_co_u32_e64 v4, s[4:5], s83, v8
	v_addc_co_u32_e64 v5, s[4:5], 0, v9, s[4:5]
	v_cmp_gt_u64_e64 s[4:5], s[64:65], v[4:5]
	v_mov_b32_e32 v16, 0
	s_and_saveexec_b64 s[6:7], s[4:5]
	s_cbranch_execz .LBB174_510
; %bb.509:                              ;   in Loop: Header=BB174_508 Depth=1
	v_mul_lo_u32 v2, v5, s62
	v_mul_lo_u32 v16, v4, s63
	v_mad_u64_u32 v[10:11], s[4:5], v4, s62, 0
	v_add3_u32 v11, v11, v16, v2
	v_lshlrev_b64 v[10:11], 1, v[10:11]
	v_mov_b32_e32 v2, s82
	v_add_co_u32_e64 v10, s[4:5], s33, v10
	v_addc_co_u32_e64 v11, s[4:5], v2, v11, s[4:5]
	global_load_ushort v16, v[10:11], off
.LBB174_510:                            ;   in Loop: Header=BB174_508 Depth=1
	s_or_b64 exec, exec, s[6:7]
	s_waitcnt vmcnt(0)
	v_add_u32_sdwa v2, sext(v14), s40 dst_sel:DWORD dst_unused:UNUSED_PAD src0_sel:WORD_0 src1_sel:DWORD
	v_cmp_gt_u32_e64 s[6:7], v2, v15
	v_cndmask_b32_e64 v10, 0, 1, s[6:7]
	v_cmp_lt_u32_e64 s[6:7], v2, v15
	v_cndmask_b32_e64 v2, 0, 1, s[6:7]
	v_cndmask_b32_e64 v2, v2, v10, s[42:43]
	v_cmp_gt_u64_e64 s[4:5], s[64:65], v[8:9]
	v_and_b32_e32 v2, 1, v2
	v_cmp_eq_u32_e64 s[6:7], 1, v2
	s_and_b64 s[30:31], s[4:5], s[6:7]
	v_cndmask_b32_e64 v2, 0, 1, s[30:31]
	v_cmp_ne_u32_e64 s[4:5], 0, v2
	s_cmp_lg_u64 s[4:5], 0
	s_cselect_b64 s[6:7], -1, 0
	s_and_b64 s[6:7], s[94:95], s[6:7]
	s_and_saveexec_b64 s[28:29], s[6:7]
	s_cbranch_execz .LBB174_514
; %bb.511:                              ;   in Loop: Header=BB174_508 Depth=1
	s_mov_b64 s[36:37], exec
	v_mbcnt_lo_u32_b32 v2, s36, 0
	v_mbcnt_hi_u32_b32 v10, s37, v2
	s_bcnt1_i32_b64 s41, s[4:5]
	v_cmp_eq_u32_e64 s[6:7], 0, v10
                                        ; implicit-def: $vgpr6_vgpr7
	s_and_saveexec_b64 s[34:35], s[6:7]
	s_cbranch_execz .LBB174_513
; %bb.512:                              ;   in Loop: Header=BB174_508 Depth=1
	s_bcnt1_i32_b64 s6, s[36:37]
	s_mul_i32 s6, s41, s6
	v_mov_b32_e32 v2, s6
	s_waitcnt lgkmcnt(0)
	ds_add_rtn_u64 v[6:7], v3, v[2:3] offset:5136
.LBB174_513:                            ;   in Loop: Header=BB174_508 Depth=1
	s_or_b64 exec, exec, s[34:35]
	s_waitcnt lgkmcnt(0)
	v_readfirstlane_b32 s6, v7
	v_readfirstlane_b32 s7, v6
	v_mov_b32_e32 v6, s7
	v_mov_b32_e32 v7, s6
	v_mad_u64_u32 v[6:7], s[6:7], s41, v10, v[6:7]
.LBB174_514:                            ;   in Loop: Header=BB174_508 Depth=1
	s_or_b64 exec, exec, s[28:29]
	s_waitcnt lgkmcnt(0)
	ds_bpermute_b32 v6, v23, v6
	ds_bpermute_b32 v7, v23, v7
	s_mov_b64 s[6:7], -1
	s_mov_b64 s[34:35], -1
	s_and_saveexec_b64 s[28:29], s[30:31]
	s_cbranch_execz .LBB174_518
; %bb.515:                              ;   in Loop: Header=BB174_508 Depth=1
	v_and_b32_e32 v10, s4, v25
	v_and_b32_e32 v2, s5, v24
	v_bcnt_u32_b32 v10, v10, 0
	v_bcnt_u32_b32 v2, v2, v10
	s_waitcnt lgkmcnt(0)
	v_add_co_u32_e64 v10, s[4:5], v6, v2
	v_addc_co_u32_e64 v11, s[4:5], 0, v7, s[4:5]
	v_cmp_gt_u64_e64 s[4:5], s[66:67], v[10:11]
	s_mov_b64 s[30:31], 0
	s_and_saveexec_b64 s[34:35], s[4:5]
; %bb.516:                              ;   in Loop: Header=BB174_508 Depth=1
	v_mul_lo_u32 v2, v11, s18
	v_mul_lo_u32 v19, v10, s19
	v_mad_u64_u32 v[17:18], s[4:5], v10, s18, 0
	v_mul_lo_u32 v20, v11, s20
	v_mul_lo_u32 v21, v10, s21
	v_mad_u64_u32 v[10:11], s[4:5], v10, s20, 0
	v_add3_u32 v18, v18, v19, v2
	v_lshlrev_b64 v[17:18], 1, v[17:18]
	v_add3_u32 v11, v11, v21, v20
	v_mov_b32_e32 v2, s1
	v_add_co_u32_e64 v17, s[4:5], s0, v17
	v_lshlrev_b64 v[10:11], 3, v[10:11]
	v_addc_co_u32_e64 v18, s[4:5], v2, v18, s[4:5]
	v_mov_b32_e32 v2, s39
	v_add_co_u32_e64 v10, s[4:5], s38, v10
	s_mov_b64 s[30:31], exec
	v_addc_co_u32_e64 v11, s[4:5], v2, v11, s[4:5]
	global_store_short v[17:18], v14, off
	global_store_dwordx2 v[10:11], v[8:9], off
; %bb.517:                              ;   in Loop: Header=BB174_508 Depth=1
	s_or_b64 exec, exec, s[34:35]
	s_orn2_b64 s[34:35], s[30:31], exec
.LBB174_518:                            ;   in Loop: Header=BB174_508 Depth=1
	s_or_b64 exec, exec, s[28:29]
	s_mov_b64 s[28:29], -1
	s_and_saveexec_b64 s[30:31], s[34:35]
	s_cbranch_execz .LBB174_507
; %bb.519:                              ;   in Loop: Header=BB174_508 Depth=1
	v_cmp_le_u64_e64 s[4:5], s[8:9], v[4:5]
	s_xor_b64 s[28:29], exec, -1
	s_orn2_b64 s[6:7], s[4:5], exec
	s_branch .LBB174_507
.LBB174_520:
	s_or_b64 exec, exec, s[24:25]
	s_mov_b64 s[4:5], exec
	s_orn2_b64 s[24:25], s[26:27], exec
	s_or_b64 exec, exec, s[22:23]
	s_and_saveexec_b64 s[6:7], s[24:25]
	s_cbranch_execz .LBB174_497
.LBB174_521:
	v_mov_b32_e32 v2, 0
	s_waitcnt vmcnt(0) lgkmcnt(0)
	s_barrier
	s_mov_b64 s[2:3], exec
	v_readlane_b32 s22, v50, 44
	v_readlane_b32 s23, v50, 45
	s_and_b64 s[22:23], s[2:3], s[22:23]
	s_mov_b64 exec, s[22:23]
	s_cbranch_execz .LBB174_523
; %bb.522:
	global_load_ushort v2, v[12:13], off
.LBB174_523:
	s_or_b64 exec, exec, s[2:3]
	s_mov_b64 s[2:3], 0
	s_and_saveexec_b64 s[22:23], vcc
	s_cbranch_execz .LBB174_543
; %bb.524:
	s_mov_b64 s[24:25], 0
	v_mov_b32_e32 v3, 0
                                        ; implicit-def: $sgpr26_sgpr27
                                        ; implicit-def: $vgpr6_vgpr7
	s_branch .LBB174_527
.LBB174_525:                            ;   in Loop: Header=BB174_527 Depth=1
	s_or_b64 exec, exec, s[30:31]
	s_orn2_b64 s[34:35], s[36:37], exec
	s_orn2_b64 s[30:31], s[28:29], exec
.LBB174_526:                            ;   in Loop: Header=BB174_527 Depth=1
	s_or_b64 exec, exec, s[2:3]
	s_xor_b64 s[2:3], s[34:35], -1
	s_and_b64 s[28:29], exec, s[30:31]
	s_or_b64 s[24:25], s[28:29], s[24:25]
	s_andn2_b64 s[26:27], s[26:27], exec
	s_and_b64 s[2:3], s[2:3], exec
	v_mov_b32_e32 v0, v4
	s_or_b64 s[26:27], s[26:27], s[2:3]
	v_mov_b32_e32 v1, v5
	v_mov_b32_e32 v2, v10
	s_andn2_b64 exec, exec, s[24:25]
	s_cbranch_execz .LBB174_541
.LBB174_527:                            ; =>This Inner Loop Header: Depth=1
	v_add_co_u32_e32 v4, vcc, s83, v0
	v_addc_co_u32_e32 v5, vcc, 0, v1, vcc
	v_cmp_gt_u64_e32 vcc, s[64:65], v[4:5]
	v_mov_b32_e32 v10, 0
	s_and_saveexec_b64 s[2:3], vcc
	s_cbranch_execz .LBB174_529
; %bb.528:                              ;   in Loop: Header=BB174_527 Depth=1
	v_mul_lo_u32 v10, v5, s62
	v_mul_lo_u32 v11, v4, s63
	v_mad_u64_u32 v[8:9], s[28:29], v4, s62, 0
	v_add3_u32 v9, v9, v11, v10
	v_lshlrev_b64 v[8:9], 1, v[8:9]
	v_mov_b32_e32 v10, s82
	v_add_co_u32_e32 v8, vcc, s33, v8
	v_addc_co_u32_e32 v9, vcc, v10, v9, vcc
	global_load_ushort v10, v[8:9], off
.LBB174_529:                            ;   in Loop: Header=BB174_527 Depth=1
	s_or_b64 exec, exec, s[2:3]
	v_cmp_gt_u64_e32 vcc, s[64:65], v[0:1]
	s_waitcnt vmcnt(0)
	v_cmp_eq_u16_e64 s[2:3], v2, v36
	s_and_b64 s[28:29], vcc, s[2:3]
	v_cndmask_b32_e64 v2, 0, 1, s[28:29]
	v_cmp_ne_u32_e32 vcc, 0, v2
	s_cmp_lg_u64 vcc, 0
	s_cselect_b64 s[2:3], -1, 0
	s_and_b64 s[2:3], s[94:95], s[2:3]
	s_and_saveexec_b64 s[30:31], s[2:3]
	s_cbranch_execz .LBB174_533
; %bb.530:                              ;   in Loop: Header=BB174_527 Depth=1
	s_mov_b64 s[36:37], exec
	v_mbcnt_lo_u32_b32 v2, s36, 0
	v_mbcnt_hi_u32_b32 v8, s37, v2
	s_bcnt1_i32_b64 s40, vcc
	v_cmp_eq_u32_e64 s[2:3], 0, v8
                                        ; implicit-def: $vgpr6_vgpr7
	s_and_saveexec_b64 s[34:35], s[2:3]
; %bb.531:                              ;   in Loop: Header=BB174_527 Depth=1
	s_bcnt1_i32_b64 s2, s[36:37]
	s_mul_i32 s2, s40, s2
	v_mov_b32_e32 v2, s2
	ds_add_rtn_u64 v[6:7], v3, v[2:3] offset:5136
; %bb.532:                              ;   in Loop: Header=BB174_527 Depth=1
	s_or_b64 exec, exec, s[34:35]
	s_waitcnt lgkmcnt(0)
	v_readfirstlane_b32 s2, v7
	v_readfirstlane_b32 s3, v6
	v_mov_b32_e32 v6, s3
	v_mov_b32_e32 v7, s2
	v_mad_u64_u32 v[6:7], s[2:3], s40, v8, v[6:7]
.LBB174_533:                            ;   in Loop: Header=BB174_527 Depth=1
	s_or_b64 exec, exec, s[30:31]
	ds_bpermute_b32 v6, v23, v6
	ds_bpermute_b32 v7, v23, v7
	s_cmp_eq_u64 vcc, 0
	s_cselect_b64 s[34:35], -1, 0
	s_mov_b64 s[30:31], -1
	s_waitcnt lgkmcnt(0)
	v_cmp_gt_u64_e64 s[2:3], s[66:67], v[6:7]
	s_or_b64 s[36:37], s[34:35], s[2:3]
	s_mov_b64 s[34:35], -1
	s_and_saveexec_b64 s[2:3], s[36:37]
	s_cbranch_execz .LBB174_526
; %bb.534:                              ;   in Loop: Header=BB174_527 Depth=1
	v_and_b32_e32 v8, vcc_lo, v25
	v_and_b32_e32 v2, vcc_hi, v24
	v_bcnt_u32_b32 v8, v8, 0
	v_bcnt_u32_b32 v2, v2, v8
	v_mov_b32_e32 v9, s67
	v_sub_co_u32_e32 v8, vcc, s66, v6
	v_subb_co_u32_e32 v9, vcc, v9, v7, vcc
	v_cmp_gt_u64_e32 vcc, v[8:9], v[2:3]
	s_mov_b64 s[36:37], -1
	s_and_b64 s[40:41], s[28:29], vcc
	s_mov_b64 s[28:29], -1
	s_and_saveexec_b64 s[30:31], s[40:41]
	s_cbranch_execz .LBB174_538
; %bb.535:                              ;   in Loop: Header=BB174_527 Depth=1
	v_add_co_u32_e32 v8, vcc, v6, v2
	v_addc_co_u32_e32 v9, vcc, 0, v7, vcc
	v_cmp_gt_u64_e32 vcc, s[66:67], v[8:9]
	s_mov_b64 s[34:35], 0
	s_and_saveexec_b64 s[36:37], vcc
; %bb.536:                              ;   in Loop: Header=BB174_527 Depth=1
	v_mul_lo_u32 v2, v9, s18
	v_mul_lo_u32 v13, v8, s19
	v_mad_u64_u32 v[11:12], s[40:41], v8, s18, 0
	v_mul_lo_u32 v14, v9, s20
	v_mul_lo_u32 v15, v8, s21
	v_mad_u64_u32 v[8:9], s[40:41], v8, s20, 0
	v_add3_u32 v12, v12, v13, v2
	v_lshlrev_b64 v[11:12], 1, v[11:12]
	v_add3_u32 v9, v9, v15, v14
	v_mov_b32_e32 v2, s1
	v_add_co_u32_e32 v11, vcc, s0, v11
	v_lshlrev_b64 v[8:9], 3, v[8:9]
	v_addc_co_u32_e32 v12, vcc, v2, v12, vcc
	v_mov_b32_e32 v2, s39
	v_add_co_u32_e32 v8, vcc, s38, v8
	s_mov_b64 s[34:35], exec
	v_addc_co_u32_e32 v9, vcc, v2, v9, vcc
	global_store_short v[11:12], v36, off
	global_store_dwordx2 v[8:9], v[0:1], off
; %bb.537:                              ;   in Loop: Header=BB174_527 Depth=1
	s_or_b64 exec, exec, s[36:37]
	s_xor_b64 s[36:37], exec, -1
	s_orn2_b64 s[34:35], s[34:35], exec
.LBB174_538:                            ;   in Loop: Header=BB174_527 Depth=1
	s_or_b64 exec, exec, s[30:31]
	s_and_saveexec_b64 s[30:31], s[34:35]
	s_cbranch_execz .LBB174_525
; %bb.539:                              ;   in Loop: Header=BB174_527 Depth=1
	v_cmp_le_u64_e32 vcc, s[8:9], v[4:5]
	s_or_b64 s[36:37], s[36:37], exec
	s_orn2_b64 s[28:29], vcc, exec
	s_branch .LBB174_525
.LBB174_540:
	s_or_b64 s[6:7], s[6:7], exec
	s_trap 2
	s_branch .LBB174_504
.LBB174_541:
	s_or_b64 exec, exec, s[24:25]
	s_mov_b64 s[0:1], 0
	s_and_saveexec_b64 s[2:3], s[26:27]
	s_xor_b64 s[2:3], exec, s[2:3]
	s_cbranch_execnz .LBB174_547
.LBB174_542:
	s_or_b64 exec, exec, s[2:3]
	s_and_b64 s[2:3], s[0:1], exec
.LBB174_543:
	s_or_b64 exec, exec, s[22:23]
	s_and_b64 s[2:3], s[2:3], exec
	s_andn2_b64 s[4:5], s[4:5], exec
	s_or_b64 exec, exec, s[6:7]
	s_and_saveexec_b64 s[0:1], s[4:5]
	s_xor_b64 s[0:1], exec, s[0:1]
	s_cbranch_execz .LBB174_498
.LBB174_544:
	s_trap 2
	s_or_b64 s[2:3], s[2:3], exec
	s_branch .LBB174_498
.LBB174_545:
	s_or_b64 s[6:7], s[6:7], exec
	s_trap 2
	s_branch .LBB174_502
.LBB174_546:
	s_trap 2
	s_or_b64 s[6:7], s[6:7], exec
	s_branch .LBB174_500
.LBB174_547:
	s_mov_b64 s[0:1], exec
	s_trap 2
	s_branch .LBB174_542
	.section	.rodata,"a",@progbits
	.p2align	6, 0x0
	.amdhsa_kernel _ZN2at6native6sbtopk10gatherTopKIsmLi3ELb0EEEvNS_4cuda6detail10TensorInfoIKT_T0_EES8_S8_bS8_S8_NS5_IS6_S8_EES8_NS5_IlS8_EES8_PS6_
		.amdhsa_group_segment_fixed_size 5152
		.amdhsa_private_segment_fixed_size 0
		.amdhsa_kernarg_size 1568
		.amdhsa_user_sgpr_count 6
		.amdhsa_user_sgpr_private_segment_buffer 1
		.amdhsa_user_sgpr_dispatch_ptr 0
		.amdhsa_user_sgpr_queue_ptr 0
		.amdhsa_user_sgpr_kernarg_segment_ptr 1
		.amdhsa_user_sgpr_dispatch_id 0
		.amdhsa_user_sgpr_flat_scratch_init 0
		.amdhsa_user_sgpr_private_segment_size 0
		.amdhsa_uses_dynamic_stack 0
		.amdhsa_system_sgpr_private_segment_wavefront_offset 0
		.amdhsa_system_sgpr_workgroup_id_x 1
		.amdhsa_system_sgpr_workgroup_id_y 1
		.amdhsa_system_sgpr_workgroup_id_z 1
		.amdhsa_system_sgpr_workgroup_info 0
		.amdhsa_system_vgpr_workitem_id 0
		.amdhsa_next_free_vgpr 51
		.amdhsa_next_free_sgpr 96
		.amdhsa_reserve_vcc 1
		.amdhsa_reserve_flat_scratch 0
		.amdhsa_float_round_mode_32 0
		.amdhsa_float_round_mode_16_64 0
		.amdhsa_float_denorm_mode_32 3
		.amdhsa_float_denorm_mode_16_64 3
		.amdhsa_dx10_clamp 1
		.amdhsa_ieee_mode 1
		.amdhsa_fp16_overflow 0
		.amdhsa_exception_fp_ieee_invalid_op 0
		.amdhsa_exception_fp_denorm_src 0
		.amdhsa_exception_fp_ieee_div_zero 0
		.amdhsa_exception_fp_ieee_overflow 0
		.amdhsa_exception_fp_ieee_underflow 0
		.amdhsa_exception_fp_ieee_inexact 0
		.amdhsa_exception_int_div_zero 0
	.end_amdhsa_kernel
	.section	.text._ZN2at6native6sbtopk10gatherTopKIsmLi3ELb0EEEvNS_4cuda6detail10TensorInfoIKT_T0_EES8_S8_bS8_S8_NS5_IS6_S8_EES8_NS5_IlS8_EES8_PS6_,"axG",@progbits,_ZN2at6native6sbtopk10gatherTopKIsmLi3ELb0EEEvNS_4cuda6detail10TensorInfoIKT_T0_EES8_S8_bS8_S8_NS5_IS6_S8_EES8_NS5_IlS8_EES8_PS6_,comdat
.Lfunc_end174:
	.size	_ZN2at6native6sbtopk10gatherTopKIsmLi3ELb0EEEvNS_4cuda6detail10TensorInfoIKT_T0_EES8_S8_bS8_S8_NS5_IS6_S8_EES8_NS5_IlS8_EES8_PS6_, .Lfunc_end174-_ZN2at6native6sbtopk10gatherTopKIsmLi3ELb0EEEvNS_4cuda6detail10TensorInfoIKT_T0_EES8_S8_bS8_S8_NS5_IS6_S8_EES8_NS5_IlS8_EES8_PS6_
                                        ; -- End function
	.set _ZN2at6native6sbtopk10gatherTopKIsmLi3ELb0EEEvNS_4cuda6detail10TensorInfoIKT_T0_EES8_S8_bS8_S8_NS5_IS6_S8_EES8_NS5_IlS8_EES8_PS6_.num_vgpr, 51
	.set _ZN2at6native6sbtopk10gatherTopKIsmLi3ELb0EEEvNS_4cuda6detail10TensorInfoIKT_T0_EES8_S8_bS8_S8_NS5_IS6_S8_EES8_NS5_IlS8_EES8_PS6_.num_agpr, 0
	.set _ZN2at6native6sbtopk10gatherTopKIsmLi3ELb0EEEvNS_4cuda6detail10TensorInfoIKT_T0_EES8_S8_bS8_S8_NS5_IS6_S8_EES8_NS5_IlS8_EES8_PS6_.numbered_sgpr, 96
	.set _ZN2at6native6sbtopk10gatherTopKIsmLi3ELb0EEEvNS_4cuda6detail10TensorInfoIKT_T0_EES8_S8_bS8_S8_NS5_IS6_S8_EES8_NS5_IlS8_EES8_PS6_.num_named_barrier, 0
	.set _ZN2at6native6sbtopk10gatherTopKIsmLi3ELb0EEEvNS_4cuda6detail10TensorInfoIKT_T0_EES8_S8_bS8_S8_NS5_IS6_S8_EES8_NS5_IlS8_EES8_PS6_.private_seg_size, 0
	.set _ZN2at6native6sbtopk10gatherTopKIsmLi3ELb0EEEvNS_4cuda6detail10TensorInfoIKT_T0_EES8_S8_bS8_S8_NS5_IS6_S8_EES8_NS5_IlS8_EES8_PS6_.uses_vcc, 1
	.set _ZN2at6native6sbtopk10gatherTopKIsmLi3ELb0EEEvNS_4cuda6detail10TensorInfoIKT_T0_EES8_S8_bS8_S8_NS5_IS6_S8_EES8_NS5_IlS8_EES8_PS6_.uses_flat_scratch, 0
	.set _ZN2at6native6sbtopk10gatherTopKIsmLi3ELb0EEEvNS_4cuda6detail10TensorInfoIKT_T0_EES8_S8_bS8_S8_NS5_IS6_S8_EES8_NS5_IlS8_EES8_PS6_.has_dyn_sized_stack, 0
	.set _ZN2at6native6sbtopk10gatherTopKIsmLi3ELb0EEEvNS_4cuda6detail10TensorInfoIKT_T0_EES8_S8_bS8_S8_NS5_IS6_S8_EES8_NS5_IlS8_EES8_PS6_.has_recursion, 0
	.set _ZN2at6native6sbtopk10gatherTopKIsmLi3ELb0EEEvNS_4cuda6detail10TensorInfoIKT_T0_EES8_S8_bS8_S8_NS5_IS6_S8_EES8_NS5_IlS8_EES8_PS6_.has_indirect_call, 0
	.section	.AMDGPU.csdata,"",@progbits
; Kernel info:
; codeLenInByte = 27436
; TotalNumSgprs: 100
; NumVgprs: 51
; ScratchSize: 0
; MemoryBound: 0
; FloatMode: 240
; IeeeMode: 1
; LDSByteSize: 5152 bytes/workgroup (compile time only)
; SGPRBlocks: 12
; VGPRBlocks: 12
; NumSGPRsForWavesPerEU: 100
; NumVGPRsForWavesPerEU: 51
; Occupancy: 4
; WaveLimiterHint : 1
; COMPUTE_PGM_RSRC2:SCRATCH_EN: 0
; COMPUTE_PGM_RSRC2:USER_SGPR: 6
; COMPUTE_PGM_RSRC2:TRAP_HANDLER: 0
; COMPUTE_PGM_RSRC2:TGID_X_EN: 1
; COMPUTE_PGM_RSRC2:TGID_Y_EN: 1
; COMPUTE_PGM_RSRC2:TGID_Z_EN: 1
; COMPUTE_PGM_RSRC2:TIDIG_COMP_CNT: 0
	.section	.text._ZN2at6native6mbtopk23computeBlockDigitCountsIsmjLin1EEEvNS_4cuda6detail10TensorInfoIKT_T0_EEjPjjS8_iijT1_PSB_Ps,"axG",@progbits,_ZN2at6native6mbtopk23computeBlockDigitCountsIsmjLin1EEEvNS_4cuda6detail10TensorInfoIKT_T0_EEjPjjS8_iijT1_PSB_Ps,comdat
	.protected	_ZN2at6native6mbtopk23computeBlockDigitCountsIsmjLin1EEEvNS_4cuda6detail10TensorInfoIKT_T0_EEjPjjS8_iijT1_PSB_Ps ; -- Begin function _ZN2at6native6mbtopk23computeBlockDigitCountsIsmjLin1EEEvNS_4cuda6detail10TensorInfoIKT_T0_EEjPjjS8_iijT1_PSB_Ps
	.globl	_ZN2at6native6mbtopk23computeBlockDigitCountsIsmjLin1EEEvNS_4cuda6detail10TensorInfoIKT_T0_EEjPjjS8_iijT1_PSB_Ps
	.p2align	8
	.type	_ZN2at6native6mbtopk23computeBlockDigitCountsIsmjLin1EEEvNS_4cuda6detail10TensorInfoIKT_T0_EEjPjjS8_iijT1_PSB_Ps,@function
_ZN2at6native6mbtopk23computeBlockDigitCountsIsmjLin1EEEvNS_4cuda6detail10TensorInfoIKT_T0_EEjPjjS8_iijT1_PSB_Ps: ; @_ZN2at6native6mbtopk23computeBlockDigitCountsIsmjLin1EEEvNS_4cuda6detail10TensorInfoIKT_T0_EEjPjjS8_iijT1_PSB_Ps
; %bb.0:
	s_load_dwordx4 s[0:3], s[4:5], 0x1c0
	s_load_dword s9, s[4:5], 0x1b0
	s_load_dwordx2 s[10:11], s[4:5], 0x1e0
	s_mov_b32 s13, 0
	s_waitcnt lgkmcnt(0)
	v_cvt_f32_u32_e32 v1, s2
	s_mul_i32 s8, s11, s8
	s_add_i32 s7, s8, s7
	v_rcp_iflag_f32_e32 v1, v1
	s_mul_i32 s24, s7, s10
	s_sub_i32 s11, 0, s2
	s_add_i32 s24, s24, s6
	v_mul_f32_e32 v1, 0x4f7ffffe, v1
	v_cvt_u32_f32_e32 v1, v1
	v_readfirstlane_b32 s6, v1
	s_mul_i32 s11, s11, s6
	s_mul_hi_u32 s7, s6, s11
	s_add_i32 s6, s6, s7
	s_mul_hi_u32 s6, s24, s6
	s_mul_i32 s7, s6, s2
	s_sub_i32 s7, s24, s7
	s_add_i32 s8, s6, 1
	s_sub_i32 s10, s7, s2
	s_cmp_ge_u32 s7, s2
	s_cselect_b32 s6, s8, s6
	s_cselect_b32 s7, s10, s7
	s_add_i32 s8, s6, 1
	s_cmp_ge_u32 s7, s2
	s_cselect_b32 s12, s8, s6
	s_cmp_ge_u32 s12, s9
	s_cbranch_scc1 .LBB175_28
; %bb.1:
	s_load_dwordx4 s[8:11], s[4:5], 0x1d0
	s_load_dword s14, s[4:5], 0x198
	s_lshl_b64 s[6:7], s[12:13], 2
	s_mov_b64 s[20:21], s[12:13]
	s_waitcnt lgkmcnt(0)
	s_add_u32 s8, s8, s6
	s_addc_u32 s9, s9, s7
	s_cmp_lt_i32 s14, 2
	s_mov_b64 s[6:7], 0
	s_cbranch_scc1 .LBB175_7
; %bb.2:
	s_add_i32 s16, s14, -1
	s_mov_b32 s17, 0
	s_add_i32 s13, s14, 1
	s_lshl_b64 s[6:7], s[16:17], 3
	s_add_u32 s6, s4, s6
	s_addc_u32 s7, s5, s7
	s_add_u32 s18, s6, 8
	s_addc_u32 s19, s7, 0
	s_mov_b64 s[6:7], 0
.LBB175_3:                              ; =>This Inner Loop Header: Depth=1
	s_load_dwordx2 s[22:23], s[18:19], 0x0
	s_mov_b64 s[14:15], 0
	s_waitcnt lgkmcnt(0)
	v_mov_b32_e32 v1, s22
	v_mov_b32_e32 v2, s23
	v_cmp_lt_u64_e32 vcc, s[20:21], v[1:2]
	s_cbranch_vccnz .LBB175_5
; %bb.4:                                ;   in Loop: Header=BB175_3 Depth=1
	v_cvt_f32_u32_e32 v1, s22
	s_sub_i32 s14, 0, s22
	v_rcp_iflag_f32_e32 v1, v1
	v_mul_f32_e32 v1, 0x4f7ffffe, v1
	v_cvt_u32_f32_e32 v1, v1
	v_readfirstlane_b32 s15, v1
	s_mul_i32 s14, s14, s15
	s_mul_hi_u32 s14, s15, s14
	s_add_i32 s15, s15, s14
	s_mul_hi_u32 s14, s20, s15
	s_mul_i32 s16, s14, s22
	s_sub_i32 s16, s20, s16
	s_add_i32 s15, s14, 1
	s_sub_i32 s25, s16, s22
	s_cmp_ge_u32 s16, s22
	s_cselect_b32 s14, s15, s14
	s_cselect_b32 s16, s25, s16
	s_add_i32 s15, s14, 1
	s_cmp_ge_u32 s16, s22
	s_cselect_b32 s16, s15, s14
	s_mov_b64 s[14:15], s[16:17]
.LBB175_5:                              ;   in Loop: Header=BB175_3 Depth=1
	s_load_dwordx2 s[26:27], s[18:19], 0xc8
	s_mul_i32 s16, s14, s23
	s_mul_hi_u32 s23, s14, s22
	s_add_i32 s23, s23, s16
	s_mul_i32 s16, s14, s22
	s_sub_u32 s16, s20, s16
	s_subb_u32 s20, s21, s23
	s_waitcnt lgkmcnt(0)
	s_mul_i32 s20, s26, s20
	s_mul_hi_u32 s21, s26, s16
	s_add_i32 s20, s21, s20
	s_mul_i32 s21, s27, s16
	s_add_i32 s20, s20, s21
	s_mul_i32 s16, s26, s16
	s_add_u32 s6, s16, s6
	s_addc_u32 s7, s20, s7
	s_add_i32 s13, s13, -1
	s_add_u32 s18, s18, -8
	s_addc_u32 s19, s19, -1
	s_cmp_gt_u32 s13, 2
	s_cbranch_scc0 .LBB175_8
; %bb.6:                                ;   in Loop: Header=BB175_3 Depth=1
	s_mov_b64 s[20:21], s[14:15]
	s_branch .LBB175_3
.LBB175_7:
	s_mov_b64 s[14:15], s[20:21]
.LBB175_8:
	s_load_dword s13, s[8:9], 0x0
	s_movk_i32 s8, 0x100
	v_cmp_gt_u32_e32 vcc, s8, v0
	v_lshlrev_b32_e32 v1, 2, v0
	s_and_saveexec_b64 s[8:9], vcc
; %bb.9:
	v_mov_b32_e32 v2, 0
	ds_write_b32 v1, v2
; %bb.10:
	s_or_b64 exec, exec, s[8:9]
	s_load_dword s15, s[4:5], 0x1a0
	s_mul_i32 s8, s12, s2
	s_sub_i32 s8, s24, s8
	s_add_i32 s12, s8, 1
	s_mul_i32 s8, s1, s8
	s_lshl_b32 s16, s8, 8
	s_waitcnt lgkmcnt(0)
	s_sub_i32 s8, s15, s16
	s_add_u32 s8, s8, 0xff
	s_addc_u32 s9, 0, 0
	s_lshr_b64 s[8:9], s[8:9], 8
	s_cmp_lt_u32 s12, s2
	s_cselect_b32 s12, s1, s8
	s_cmp_lt_i32 s12, 1
	s_mov_b32 s1, 0
	s_barrier
	s_cbranch_scc1 .LBB175_26
; %bb.11:
	s_load_dwordx2 s[18:19], s[4:5], 0xd0
	s_load_dwordx2 s[8:9], s[4:5], 0x1b8
	;; [unrolled: 1-line block ×3, first 2 shown]
	v_add_u32_e32 v2, s16, v0
	s_waitcnt lgkmcnt(0)
	s_mul_i32 s2, s19, s14
	s_mul_hi_u32 s5, s18, s14
	s_mul_i32 s4, s18, s14
	s_add_i32 s5, s5, s2
	s_lshl_b64 s[4:5], s[4:5], 1
	s_add_u32 s2, s20, s4
	s_addc_u32 s14, s21, s5
	s_lshl_b64 s[4:5], s[6:7], 1
	s_add_u32 s6, s2, s4
	s_addc_u32 s7, s14, s5
	s_and_b32 s2, s0, 0xff
	s_cmp_eq_u32 s12, 1
	s_cbranch_scc1 .LBB175_21
; %bb.12:
	s_and_b32 s14, s12, 0x7ffffffe
	s_mov_b32 s16, 0
	v_mov_b32_e32 v3, 1
	v_mov_b32_e32 v4, v2
	s_branch .LBB175_14
.LBB175_13:                             ;   in Loop: Header=BB175_14 Depth=1
	s_or_b64 exec, exec, s[4:5]
	s_add_i32 s16, s16, 2
	s_cmp_eq_u32 s14, s16
	v_add_u32_e32 v4, 0x200, v4
	s_cbranch_scc1 .LBB175_20
.LBB175_14:                             ; =>This Inner Loop Header: Depth=1
	v_cmp_gt_u32_e64 s[0:1], s15, v4
	s_and_saveexec_b64 s[4:5], s[0:1]
	s_cbranch_execz .LBB175_17
; %bb.15:                               ;   in Loop: Header=BB175_14 Depth=1
	v_mad_u64_u32 v[5:6], s[0:1], s8, v4, 0
	v_mad_u64_u32 v[6:7], s[0:1], s9, v4, v[6:7]
	v_mov_b32_e32 v7, s7
	v_lshlrev_b64 v[5:6], 1, v[5:6]
	v_add_co_u32_e64 v5, s[0:1], s6, v5
	v_addc_co_u32_e64 v6, s[0:1], v7, v6, s[0:1]
	global_load_sshort v5, v[5:6], off
	s_waitcnt vmcnt(0)
	v_add_u32_e32 v5, 0x8000, v5
	v_xor_b32_e32 v6, s13, v5
	v_and_b32_e32 v6, s3, v6
	v_cmp_eq_u32_e64 s[0:1], 0, v6
	s_and_b64 exec, exec, s[0:1]
; %bb.16:                               ;   in Loop: Header=BB175_14 Depth=1
	v_bfe_u32 v5, v5, s2, 8
	v_lshlrev_b32_e32 v5, 2, v5
	ds_add_u32 v5, v3
.LBB175_17:                             ;   in Loop: Header=BB175_14 Depth=1
	s_or_b64 exec, exec, s[4:5]
	v_add_u32_e32 v5, 0x100, v4
	v_cmp_gt_u32_e64 s[0:1], s15, v5
	s_and_saveexec_b64 s[4:5], s[0:1]
	s_cbranch_execz .LBB175_13
; %bb.18:                               ;   in Loop: Header=BB175_14 Depth=1
	v_mad_u64_u32 v[6:7], s[0:1], s8, v5, 0
	v_mad_u64_u32 v[7:8], s[0:1], s9, v5, v[7:8]
	v_mov_b32_e32 v8, s7
	v_lshlrev_b64 v[5:6], 1, v[6:7]
	v_add_co_u32_e64 v5, s[0:1], s6, v5
	v_addc_co_u32_e64 v6, s[0:1], v8, v6, s[0:1]
	global_load_sshort v5, v[5:6], off
	s_waitcnt vmcnt(0)
	v_add_u32_e32 v5, 0x8000, v5
	v_xor_b32_e32 v6, s13, v5
	v_and_b32_e32 v6, s3, v6
	v_cmp_eq_u32_e64 s[0:1], 0, v6
	s_and_b64 exec, exec, s[0:1]
	s_cbranch_execz .LBB175_13
; %bb.19:                               ;   in Loop: Header=BB175_14 Depth=1
	v_bfe_u32 v5, v5, s2, 8
	v_lshlrev_b32_e32 v5, 2, v5
	ds_add_u32 v5, v3
	s_branch .LBB175_13
.LBB175_20:
	s_lshl_b32 s1, s14, 8
.LBB175_21:
	s_bitcmp0_b32 s12, 0
	s_cbranch_scc1 .LBB175_26
; %bb.22:
	v_add_u32_e32 v2, s1, v2
	v_cmp_gt_u32_e64 s[0:1], s15, v2
	s_and_saveexec_b64 s[4:5], s[0:1]
	s_cbranch_execz .LBB175_25
; %bb.23:
	v_mad_u64_u32 v[3:4], s[0:1], s8, v2, 0
	v_mad_u64_u32 v[4:5], s[0:1], s9, v2, v[4:5]
	v_mov_b32_e32 v5, s7
	v_lshlrev_b64 v[2:3], 1, v[3:4]
	v_add_co_u32_e64 v2, s[0:1], s6, v2
	v_addc_co_u32_e64 v3, s[0:1], v5, v3, s[0:1]
	global_load_sshort v2, v[2:3], off
	s_waitcnt vmcnt(0)
	v_add_u32_e32 v2, 0x8000, v2
	v_xor_b32_e32 v3, s13, v2
	v_and_b32_e32 v3, s3, v3
	v_cmp_eq_u32_e64 s[0:1], 0, v3
	s_and_b64 exec, exec, s[0:1]
; %bb.24:
	v_bfe_u32 v2, v2, s2, 8
	v_lshlrev_b32_e32 v2, 2, v2
	v_mov_b32_e32 v3, 1
	ds_add_u32 v2, v3
.LBB175_25:
	s_or_b64 exec, exec, s[4:5]
.LBB175_26:
	s_waitcnt lgkmcnt(0)
	s_barrier
	s_and_saveexec_b64 s[0:1], vcc
	s_cbranch_execz .LBB175_28
; %bb.27:
	v_lshl_or_b32 v2, s24, 8, v0
	v_mov_b32_e32 v3, 0
	ds_read_b32 v5, v1
	v_lshlrev_b64 v[2:3], 1, v[2:3]
	v_mov_b32_e32 v4, s11
	v_add_co_u32_e32 v0, vcc, s10, v2
	v_addc_co_u32_e32 v1, vcc, v4, v3, vcc
	s_waitcnt lgkmcnt(0)
	global_store_short v[0:1], v5, off
.LBB175_28:
	s_endpgm
	.section	.rodata,"a",@progbits
	.p2align	6, 0x0
	.amdhsa_kernel _ZN2at6native6mbtopk23computeBlockDigitCountsIsmjLin1EEEvNS_4cuda6detail10TensorInfoIKT_T0_EEjPjjS8_iijT1_PSB_Ps
		.amdhsa_group_segment_fixed_size 1024
		.amdhsa_private_segment_fixed_size 0
		.amdhsa_kernarg_size 736
		.amdhsa_user_sgpr_count 6
		.amdhsa_user_sgpr_private_segment_buffer 1
		.amdhsa_user_sgpr_dispatch_ptr 0
		.amdhsa_user_sgpr_queue_ptr 0
		.amdhsa_user_sgpr_kernarg_segment_ptr 1
		.amdhsa_user_sgpr_dispatch_id 0
		.amdhsa_user_sgpr_flat_scratch_init 0
		.amdhsa_user_sgpr_private_segment_size 0
		.amdhsa_uses_dynamic_stack 0
		.amdhsa_system_sgpr_private_segment_wavefront_offset 0
		.amdhsa_system_sgpr_workgroup_id_x 1
		.amdhsa_system_sgpr_workgroup_id_y 1
		.amdhsa_system_sgpr_workgroup_id_z 1
		.amdhsa_system_sgpr_workgroup_info 0
		.amdhsa_system_vgpr_workitem_id 0
		.amdhsa_next_free_vgpr 9
		.amdhsa_next_free_sgpr 28
		.amdhsa_reserve_vcc 1
		.amdhsa_reserve_flat_scratch 0
		.amdhsa_float_round_mode_32 0
		.amdhsa_float_round_mode_16_64 0
		.amdhsa_float_denorm_mode_32 3
		.amdhsa_float_denorm_mode_16_64 3
		.amdhsa_dx10_clamp 1
		.amdhsa_ieee_mode 1
		.amdhsa_fp16_overflow 0
		.amdhsa_exception_fp_ieee_invalid_op 0
		.amdhsa_exception_fp_denorm_src 0
		.amdhsa_exception_fp_ieee_div_zero 0
		.amdhsa_exception_fp_ieee_overflow 0
		.amdhsa_exception_fp_ieee_underflow 0
		.amdhsa_exception_fp_ieee_inexact 0
		.amdhsa_exception_int_div_zero 0
	.end_amdhsa_kernel
	.section	.text._ZN2at6native6mbtopk23computeBlockDigitCountsIsmjLin1EEEvNS_4cuda6detail10TensorInfoIKT_T0_EEjPjjS8_iijT1_PSB_Ps,"axG",@progbits,_ZN2at6native6mbtopk23computeBlockDigitCountsIsmjLin1EEEvNS_4cuda6detail10TensorInfoIKT_T0_EEjPjjS8_iijT1_PSB_Ps,comdat
.Lfunc_end175:
	.size	_ZN2at6native6mbtopk23computeBlockDigitCountsIsmjLin1EEEvNS_4cuda6detail10TensorInfoIKT_T0_EEjPjjS8_iijT1_PSB_Ps, .Lfunc_end175-_ZN2at6native6mbtopk23computeBlockDigitCountsIsmjLin1EEEvNS_4cuda6detail10TensorInfoIKT_T0_EEjPjjS8_iijT1_PSB_Ps
                                        ; -- End function
	.set _ZN2at6native6mbtopk23computeBlockDigitCountsIsmjLin1EEEvNS_4cuda6detail10TensorInfoIKT_T0_EEjPjjS8_iijT1_PSB_Ps.num_vgpr, 9
	.set _ZN2at6native6mbtopk23computeBlockDigitCountsIsmjLin1EEEvNS_4cuda6detail10TensorInfoIKT_T0_EEjPjjS8_iijT1_PSB_Ps.num_agpr, 0
	.set _ZN2at6native6mbtopk23computeBlockDigitCountsIsmjLin1EEEvNS_4cuda6detail10TensorInfoIKT_T0_EEjPjjS8_iijT1_PSB_Ps.numbered_sgpr, 28
	.set _ZN2at6native6mbtopk23computeBlockDigitCountsIsmjLin1EEEvNS_4cuda6detail10TensorInfoIKT_T0_EEjPjjS8_iijT1_PSB_Ps.num_named_barrier, 0
	.set _ZN2at6native6mbtopk23computeBlockDigitCountsIsmjLin1EEEvNS_4cuda6detail10TensorInfoIKT_T0_EEjPjjS8_iijT1_PSB_Ps.private_seg_size, 0
	.set _ZN2at6native6mbtopk23computeBlockDigitCountsIsmjLin1EEEvNS_4cuda6detail10TensorInfoIKT_T0_EEjPjjS8_iijT1_PSB_Ps.uses_vcc, 1
	.set _ZN2at6native6mbtopk23computeBlockDigitCountsIsmjLin1EEEvNS_4cuda6detail10TensorInfoIKT_T0_EEjPjjS8_iijT1_PSB_Ps.uses_flat_scratch, 0
	.set _ZN2at6native6mbtopk23computeBlockDigitCountsIsmjLin1EEEvNS_4cuda6detail10TensorInfoIKT_T0_EEjPjjS8_iijT1_PSB_Ps.has_dyn_sized_stack, 0
	.set _ZN2at6native6mbtopk23computeBlockDigitCountsIsmjLin1EEEvNS_4cuda6detail10TensorInfoIKT_T0_EEjPjjS8_iijT1_PSB_Ps.has_recursion, 0
	.set _ZN2at6native6mbtopk23computeBlockDigitCountsIsmjLin1EEEvNS_4cuda6detail10TensorInfoIKT_T0_EEjPjjS8_iijT1_PSB_Ps.has_indirect_call, 0
	.section	.AMDGPU.csdata,"",@progbits
; Kernel info:
; codeLenInByte = 1172
; TotalNumSgprs: 32
; NumVgprs: 9
; ScratchSize: 0
; MemoryBound: 0
; FloatMode: 240
; IeeeMode: 1
; LDSByteSize: 1024 bytes/workgroup (compile time only)
; SGPRBlocks: 3
; VGPRBlocks: 2
; NumSGPRsForWavesPerEU: 32
; NumVGPRsForWavesPerEU: 9
; Occupancy: 10
; WaveLimiterHint : 0
; COMPUTE_PGM_RSRC2:SCRATCH_EN: 0
; COMPUTE_PGM_RSRC2:USER_SGPR: 6
; COMPUTE_PGM_RSRC2:TRAP_HANDLER: 0
; COMPUTE_PGM_RSRC2:TGID_X_EN: 1
; COMPUTE_PGM_RSRC2:TGID_Y_EN: 1
; COMPUTE_PGM_RSRC2:TGID_Z_EN: 1
; COMPUTE_PGM_RSRC2:TIDIG_COMP_CNT: 0
	.section	.text._ZN2at6native6mbtopk10gatherTopKIsmLin1EEEvNS_4cuda6detail10TensorInfoIKT_T0_EES8_S8_bjS8_NS5_IS6_S8_EES8_NS5_IlS8_EES8_jjPS6_PjSD_j,"axG",@progbits,_ZN2at6native6mbtopk10gatherTopKIsmLin1EEEvNS_4cuda6detail10TensorInfoIKT_T0_EES8_S8_bjS8_NS5_IS6_S8_EES8_NS5_IlS8_EES8_jjPS6_PjSD_j,comdat
	.protected	_ZN2at6native6mbtopk10gatherTopKIsmLin1EEEvNS_4cuda6detail10TensorInfoIKT_T0_EES8_S8_bjS8_NS5_IS6_S8_EES8_NS5_IlS8_EES8_jjPS6_PjSD_j ; -- Begin function _ZN2at6native6mbtopk10gatherTopKIsmLin1EEEvNS_4cuda6detail10TensorInfoIKT_T0_EES8_S8_bjS8_NS5_IS6_S8_EES8_NS5_IlS8_EES8_jjPS6_PjSD_j
	.globl	_ZN2at6native6mbtopk10gatherTopKIsmLin1EEEvNS_4cuda6detail10TensorInfoIKT_T0_EES8_S8_bjS8_NS5_IS6_S8_EES8_NS5_IlS8_EES8_jjPS6_PjSD_j
	.p2align	8
	.type	_ZN2at6native6mbtopk10gatherTopKIsmLin1EEEvNS_4cuda6detail10TensorInfoIKT_T0_EES8_S8_bjS8_NS5_IS6_S8_EES8_NS5_IlS8_EES8_jjPS6_PjSD_j,@function
_ZN2at6native6mbtopk10gatherTopKIsmLin1EEEvNS_4cuda6detail10TensorInfoIKT_T0_EES8_S8_bjS8_NS5_IS6_S8_EES8_NS5_IlS8_EES8_jjPS6_PjSD_j: ; @_ZN2at6native6mbtopk10gatherTopKIsmLin1EEEvNS_4cuda6detail10TensorInfoIKT_T0_EES8_S8_bjS8_NS5_IS6_S8_EES8_NS5_IlS8_EES8_jjPS6_PjSD_j
; %bb.0:
	s_load_dwordx2 s[0:1], s[4:5], 0x538
	s_load_dword s3, s[4:5], 0x530
	s_waitcnt lgkmcnt(0)
	s_mul_i32 s1, s1, s8
	s_add_i32 s1, s1, s7
	s_mul_i32 s2, s1, s0
	s_add_i32 s2, s2, s6
	s_cmp_ge_u32 s2, s3
	s_cbranch_scc1 .LBB176_61
; %bb.1:
	s_load_dwordx2 s[20:21], s[4:5], 0x510
	s_load_dwordx4 s[8:11], s[4:5], 0x1a0
	s_mov_b32 s1, 0
	s_waitcnt lgkmcnt(0)
	v_cvt_f32_u32_e32 v1, s21
	s_sub_i32 s0, 0, s21
	s_lshl_b32 s3, s20, 8
	v_rcp_iflag_f32_e32 v1, v1
	v_mul_f32_e32 v1, 0x4f7ffffe, v1
	v_cvt_u32_f32_e32 v1, v1
	v_readfirstlane_b32 s6, v1
	s_mul_i32 s0, s0, s6
	s_mul_hi_u32 s0, s6, s0
	s_add_i32 s6, s6, s0
	s_mul_hi_u32 s0, s2, s6
	s_mul_i32 s6, s0, s21
	s_sub_i32 s6, s2, s6
	s_add_i32 s7, s0, 1
	s_sub_i32 s12, s6, s21
	s_cmp_ge_u32 s6, s21
	s_cselect_b32 s0, s7, s0
	s_cselect_b32 s6, s12, s6
	s_add_i32 s7, s0, 1
	s_cmp_ge_u32 s6, s21
	s_cselect_b32 s0, s7, s0
	s_mul_i32 s6, s0, s21
	s_sub_i32 s54, s2, s6
	s_add_i32 s2, s54, 1
	s_cmp_lt_u32 s2, s21
	s_mul_i32 s33, s54, s3
	s_cbranch_scc1 .LBB176_3
; %bb.2:
	s_sub_u32 s2, s8, s33
	s_subb_u32 s3, s9, 0
	s_add_u32 s2, s2, 0xff
	s_addc_u32 s3, s3, 0
	s_ashr_i32 s7, s3, 31
	s_lshr_b32 s7, s7, 24
	s_add_u32 s2, s2, s7
	s_addc_u32 s3, s3, 0
	s_lshr_b64 s[2:3], s[2:3], 8
	s_mov_b32 s20, s2
.LBB176_3:
	s_load_dword s2, s[4:5], 0x198
	s_mov_b64 s[22:23], 0
	s_mov_b64 s[24:25], s[0:1]
	s_waitcnt lgkmcnt(0)
	s_cmp_lt_i32 s2, 2
	s_cbranch_scc1 .LBB176_9
; %bb.4:
	s_add_i32 s7, s2, 1
	s_add_i32 s2, s2, -1
	s_mov_b32 s3, 0
	s_lshl_b64 s[12:13], s[2:3], 3
	s_add_u32 s2, s4, s12
	s_addc_u32 s13, s5, s13
	s_add_u32 s12, s2, 8
	s_addc_u32 s13, s13, 0
	s_mov_b64 s[14:15], s[0:1]
.LBB176_5:                              ; =>This Inner Loop Header: Depth=1
	s_load_dwordx2 s[16:17], s[12:13], 0x0
	s_mov_b64 s[24:25], 0
	s_waitcnt lgkmcnt(0)
	v_mov_b32_e32 v1, s16
	v_mov_b32_e32 v2, s17
	v_cmp_lt_u64_e32 vcc, s[14:15], v[1:2]
	s_cbranch_vccnz .LBB176_7
; %bb.6:                                ;   in Loop: Header=BB176_5 Depth=1
	v_cvt_f32_u32_e32 v1, s16
	s_sub_i32 s2, 0, s16
	v_rcp_iflag_f32_e32 v1, v1
	v_mul_f32_e32 v1, 0x4f7ffffe, v1
	v_cvt_u32_f32_e32 v1, v1
	v_readfirstlane_b32 s18, v1
	s_mul_i32 s2, s2, s18
	s_mul_hi_u32 s2, s18, s2
	s_add_i32 s18, s18, s2
	s_mul_hi_u32 s2, s14, s18
	s_mul_i32 s19, s2, s16
	s_sub_i32 s19, s14, s19
	s_add_i32 s18, s2, 1
	s_sub_i32 s24, s19, s16
	s_cmp_ge_u32 s19, s16
	s_cselect_b32 s2, s18, s2
	s_cselect_b32 s19, s24, s19
	s_add_i32 s18, s2, 1
	s_cmp_ge_u32 s19, s16
	s_cselect_b32 s2, s18, s2
	s_mov_b64 s[24:25], s[2:3]
.LBB176_7:                              ;   in Loop: Header=BB176_5 Depth=1
	s_load_dwordx2 s[18:19], s[12:13], 0xc8
	s_mul_i32 s2, s24, s17
	s_mul_hi_u32 s17, s24, s16
	s_add_i32 s17, s17, s2
	s_mul_i32 s2, s24, s16
	s_sub_u32 s2, s14, s2
	s_subb_u32 s14, s15, s17
	s_waitcnt lgkmcnt(0)
	s_mul_i32 s14, s18, s14
	s_mul_hi_u32 s15, s18, s2
	s_add_i32 s14, s15, s14
	s_mul_i32 s15, s19, s2
	s_add_i32 s14, s14, s15
	s_mul_i32 s2, s18, s2
	s_add_u32 s22, s2, s22
	s_addc_u32 s23, s14, s23
	s_add_i32 s7, s7, -1
	s_add_u32 s12, s12, -8
	s_addc_u32 s13, s13, -1
	s_cmp_gt_u32 s7, 2
	s_cbranch_scc0 .LBB176_9
; %bb.8:                                ;   in Loop: Header=BB176_5 Depth=1
	s_mov_b64 s[14:15], s[24:25]
	s_branch .LBB176_5
.LBB176_9:
	s_load_dword s12, s[4:5], 0x358
	s_load_dwordx2 s[28:29], s[4:5], 0xd0
	s_add_u32 s2, s4, 0x1c0
	s_addc_u32 s3, s5, 0
	s_mov_b64 s[26:27], 0
	s_waitcnt lgkmcnt(0)
	s_cmp_lt_i32 s12, 2
	s_mov_b64 s[30:31], s[0:1]
	s_cbranch_scc1 .LBB176_15
; %bb.10:
	s_add_i32 s7, s12, 1
	s_add_i32 s12, s12, -1
	s_mov_b32 s13, 0
	s_lshl_b64 s[14:15], s[12:13], 3
	s_add_u32 s12, s2, s14
	s_addc_u32 s15, s3, s15
	s_add_u32 s14, s12, 8
	s_addc_u32 s15, s15, 0
	s_mov_b64 s[16:17], s[0:1]
.LBB176_11:                             ; =>This Inner Loop Header: Depth=1
	s_load_dwordx2 s[18:19], s[14:15], 0x0
	s_mov_b64 s[30:31], 0
	s_waitcnt lgkmcnt(0)
	v_mov_b32_e32 v1, s18
	v_mov_b32_e32 v2, s19
	v_cmp_lt_u64_e32 vcc, s[16:17], v[1:2]
	s_cbranch_vccnz .LBB176_13
; %bb.12:                               ;   in Loop: Header=BB176_11 Depth=1
	v_cvt_f32_u32_e32 v1, s18
	s_sub_i32 s12, 0, s18
	v_rcp_iflag_f32_e32 v1, v1
	v_mul_f32_e32 v1, 0x4f7ffffe, v1
	v_cvt_u32_f32_e32 v1, v1
	v_readfirstlane_b32 s25, v1
	s_mul_i32 s12, s12, s25
	s_mul_hi_u32 s12, s25, s12
	s_add_i32 s25, s25, s12
	s_mul_hi_u32 s12, s16, s25
	s_mul_i32 s30, s12, s18
	s_sub_i32 s30, s16, s30
	s_add_i32 s25, s12, 1
	s_sub_i32 s31, s30, s18
	s_cmp_ge_u32 s30, s18
	s_cselect_b32 s12, s25, s12
	s_cselect_b32 s30, s31, s30
	s_add_i32 s25, s12, 1
	s_cmp_ge_u32 s30, s18
	s_cselect_b32 s12, s25, s12
	s_mov_b64 s[30:31], s[12:13]
.LBB176_13:                             ;   in Loop: Header=BB176_11 Depth=1
	s_load_dwordx2 s[34:35], s[14:15], 0xc8
	s_mul_i32 s12, s30, s19
	s_mul_hi_u32 s19, s30, s18
	s_add_i32 s19, s19, s12
	s_mul_i32 s12, s30, s18
	s_sub_u32 s12, s16, s12
	s_subb_u32 s16, s17, s19
	s_waitcnt lgkmcnt(0)
	s_mul_i32 s16, s34, s16
	s_mul_hi_u32 s17, s34, s12
	s_add_i32 s16, s17, s16
	s_mul_i32 s17, s35, s12
	s_add_i32 s16, s16, s17
	s_mul_i32 s12, s34, s12
	s_add_u32 s26, s12, s26
	s_addc_u32 s27, s16, s27
	s_add_i32 s7, s7, -1
	s_add_u32 s14, s14, -8
	s_addc_u32 s15, s15, -1
	s_cmp_gt_u32 s7, 2
	s_cbranch_scc0 .LBB176_15
; %bb.14:                               ;   in Loop: Header=BB176_11 Depth=1
	s_mov_b64 s[16:17], s[30:31]
	s_branch .LBB176_11
.LBB176_15:
	s_load_dword s14, s[4:5], 0x500
	s_load_dwordx2 s[36:37], s[2:3], 0xd0
	s_add_u32 s12, s4, 0x368
	s_addc_u32 s13, s5, 0
	s_mov_b64 s[34:35], 0
	s_waitcnt lgkmcnt(0)
	s_cmp_lt_i32 s14, 2
	s_cbranch_scc1 .LBB176_21
; %bb.16:
	s_add_i32 s2, s14, -1
	s_mov_b32 s3, 0
	s_add_i32 s7, s14, 1
	s_lshl_b64 s[14:15], s[2:3], 3
	s_add_u32 s2, s12, s14
	s_addc_u32 s13, s13, s15
	s_add_u32 s12, s2, 8
	s_addc_u32 s13, s13, 0
	s_mov_b64 s[14:15], s[0:1]
.LBB176_17:                             ; =>This Inner Loop Header: Depth=1
	s_load_dwordx2 s[16:17], s[12:13], 0x0
	s_mov_b64 s[38:39], 0
	s_waitcnt lgkmcnt(0)
	v_mov_b32_e32 v1, s16
	v_mov_b32_e32 v2, s17
	v_cmp_lt_u64_e32 vcc, s[14:15], v[1:2]
	s_cbranch_vccnz .LBB176_19
; %bb.18:                               ;   in Loop: Header=BB176_17 Depth=1
	v_cvt_f32_u32_e32 v1, s16
	s_sub_i32 s2, 0, s16
	v_rcp_iflag_f32_e32 v1, v1
	v_mul_f32_e32 v1, 0x4f7ffffe, v1
	v_cvt_u32_f32_e32 v1, v1
	v_readfirstlane_b32 s18, v1
	s_mul_i32 s2, s2, s18
	s_mul_hi_u32 s2, s18, s2
	s_add_i32 s18, s18, s2
	s_mul_hi_u32 s2, s14, s18
	s_mul_i32 s19, s2, s16
	s_sub_i32 s19, s14, s19
	s_add_i32 s18, s2, 1
	s_sub_i32 s25, s19, s16
	s_cmp_ge_u32 s19, s16
	s_cselect_b32 s2, s18, s2
	s_cselect_b32 s19, s25, s19
	s_add_i32 s18, s2, 1
	s_cmp_ge_u32 s19, s16
	s_cselect_b32 s2, s18, s2
	s_mov_b64 s[38:39], s[2:3]
.LBB176_19:                             ;   in Loop: Header=BB176_17 Depth=1
	s_load_dwordx2 s[18:19], s[12:13], 0xc8
	s_mul_i32 s2, s38, s17
	s_mul_hi_u32 s17, s38, s16
	s_add_i32 s17, s17, s2
	s_mul_i32 s2, s38, s16
	s_sub_u32 s2, s14, s2
	s_subb_u32 s14, s15, s17
	s_waitcnt lgkmcnt(0)
	s_mul_i32 s14, s18, s14
	s_mul_hi_u32 s15, s18, s2
	s_add_i32 s14, s15, s14
	s_mul_i32 s15, s19, s2
	s_add_i32 s14, s14, s15
	s_mul_i32 s2, s18, s2
	s_add_u32 s34, s2, s34
	s_addc_u32 s35, s14, s35
	s_add_i32 s7, s7, -1
	s_add_u32 s12, s12, -8
	s_addc_u32 s13, s13, -1
	s_cmp_gt_u32 s7, 2
	s_cbranch_scc0 .LBB176_22
; %bb.20:                               ;   in Loop: Header=BB176_17 Depth=1
	s_mov_b64 s[14:15], s[38:39]
	s_branch .LBB176_17
.LBB176_21:
	s_mov_b64 s[38:39], s[0:1]
.LBB176_22:
	s_load_dwordx4 s[12:15], s[4:5], 0x518
	s_lshl_b64 s[0:1], s[0:1], 1
	v_mov_b32_e32 v1, 0
	s_mov_b32 s7, 0
	v_cmp_eq_u32_e64 s[2:3], 0, v0
	s_waitcnt lgkmcnt(0)
	s_add_u32 s0, s12, s0
	s_addc_u32 s1, s13, s1
	global_load_ushort v8, v1, s[0:1]
	s_load_dwordx2 s[44:45], s[4:5], 0x438
	s_load_dwordx2 s[42:43], s[4:5], 0x0
	;; [unrolled: 1-line block ×4, first 2 shown]
	v_cmp_ne_u32_e64 s[0:1], 0, v0
	s_and_saveexec_b64 s[46:47], s[2:3]
	s_cbranch_execz .LBB176_38
; %bb.23:
	s_load_dwordx2 s[48:49], s[4:5], 0x528
	s_lshl_b64 s[50:51], s[6:7], 2
	s_add_u32 s16, s14, s50
	s_addc_u32 s17, s15, s51
	s_mov_b32 s6, 0
	s_waitcnt lgkmcnt(0)
	s_add_u32 s18, s48, s50
	s_addc_u32 s19, s49, s51
	s_mov_b32 s25, 0
	s_cmp_lt_u32 s21, 4
	s_cbranch_scc1 .LBB176_35
; %bb.24:
	s_mov_b32 s31, 0
.LBB176_25:                             ; =>This Inner Loop Header: Depth=1
	s_add_u32 s52, s14, s50
	s_addc_u32 s53, s15, s51
	s_load_dwordx4 s[16:19], s[52:53], 0x0
	s_add_u32 s52, s48, s50
	s_addc_u32 s53, s49, s51
	s_cmp_ge_u32 s31, s54
	s_cbranch_scc0 .LBB176_32
; %bb.26:                               ;   in Loop: Header=BB176_25 Depth=1
	s_add_i32 s39, s31, 1
	s_cmp_ge_u32 s39, s54
	s_cbranch_scc0 .LBB176_33
.LBB176_27:                             ;   in Loop: Header=BB176_25 Depth=1
	s_add_i32 s39, s39, 1
	s_cmp_ge_u32 s39, s54
	s_cbranch_scc0 .LBB176_34
.LBB176_28:                             ;   in Loop: Header=BB176_25 Depth=1
	s_add_i32 s39, s39, 1
	s_cmp_ge_u32 s39, s54
	s_cbranch_scc1 .LBB176_30
.LBB176_29:                             ;   in Loop: Header=BB176_25 Depth=1
	s_load_dword s52, s[52:53], 0xc
	s_waitcnt lgkmcnt(0)
	s_add_i32 s7, s7, s19
	s_add_i32 s6, s52, s6
.LBB176_30:                             ;   in Loop: Header=BB176_25 Depth=1
	s_waitcnt lgkmcnt(0)
	s_add_i32 s16, s16, s25
	s_add_i32 s16, s16, s17
	;; [unrolled: 1-line block ×4, first 2 shown]
	s_add_u32 s14, s14, 16
	s_addc_u32 s15, s15, 0
	s_add_u32 s48, s48, 16
	s_addc_u32 s49, s49, 0
	s_add_i32 s52, s39, 4
	s_add_u32 s18, s48, s50
	s_addc_u32 s19, s49, s51
	s_add_u32 s16, s14, s50
	s_addc_u32 s17, s15, s51
	s_add_i32 s39, s39, 1
	s_cmp_ge_u32 s52, s21
	s_cbranch_scc1 .LBB176_36
; %bb.31:                               ;   in Loop: Header=BB176_25 Depth=1
	s_mov_b32 s31, s39
	s_branch .LBB176_25
.LBB176_32:                             ;   in Loop: Header=BB176_25 Depth=1
	s_load_dword s39, s[52:53], 0x0
	s_waitcnt lgkmcnt(0)
	s_add_i32 s7, s16, s7
	s_add_i32 s6, s39, s6
	;; [unrolled: 1-line block ×3, first 2 shown]
	s_cmp_ge_u32 s39, s54
	s_cbranch_scc1 .LBB176_27
.LBB176_33:                             ;   in Loop: Header=BB176_25 Depth=1
	s_load_dword s55, s[52:53], 0x4
	s_waitcnt lgkmcnt(0)
	s_add_i32 s7, s7, s17
	s_add_i32 s6, s55, s6
	s_add_i32 s39, s39, 1
	s_cmp_ge_u32 s39, s54
	s_cbranch_scc1 .LBB176_28
.LBB176_34:                             ;   in Loop: Header=BB176_25 Depth=1
	s_load_dword s55, s[52:53], 0x8
	s_waitcnt lgkmcnt(0)
	s_add_i32 s7, s7, s18
	s_add_i32 s6, s55, s6
	;; [unrolled: 1-line block ×3, first 2 shown]
	s_cmp_ge_u32 s39, s54
	s_cbranch_scc0 .LBB176_29
	s_branch .LBB176_30
.LBB176_35:
	s_mov_b32 s14, 0
	s_cmp_ge_u32 s14, s21
	s_cbranch_scc0 .LBB176_59
	s_branch .LBB176_37
.LBB176_36:
	s_add_i32 s14, s31, 4
	s_cmp_ge_u32 s14, s21
	s_cbranch_scc0 .LBB176_59
.LBB176_37:
	v_mov_b32_e32 v1, s6
	v_mov_b32_e32 v2, s25
	;; [unrolled: 1-line block ×4, first 2 shown]
	ds_write_b96 v4, v[1:3] offset:1056
.LBB176_38:
	s_or_b64 exec, exec, s[46:47]
	s_cmp_eq_u32 s20, 0
	s_waitcnt vmcnt(0) lgkmcnt(0)
	s_barrier
	s_cbranch_scc1 .LBB176_61
; %bb.39:
	s_mul_i32 s14, s29, s24
	s_mul_hi_u32 s15, s28, s24
	s_mul_i32 s6, s37, s30
	s_mul_hi_u32 s7, s36, s30
	s_add_i32 s15, s15, s14
	s_mul_i32 s14, s28, s24
	s_mul_i32 s16, s45, s38
	s_mul_hi_u32 s17, s44, s38
	s_add_i32 s7, s7, s6
	s_add_i32 s17, s17, s16
	s_lshl_b64 s[14:15], s[14:15], 1
	s_add_u32 s18, s42, s14
	s_addc_u32 s19, s43, s15
	s_lshl_b64 s[14:15], s[22:23], 1
	s_mul_i32 s6, s36, s30
	s_add_u32 s21, s18, s14
	s_addc_u32 s22, s19, s15
	s_lshl_b64 s[6:7], s[6:7], 1
	v_mov_b32_e32 v5, 0
	s_add_u32 s14, s40, s6
	ds_read_b96 v[1:3], v5 offset:1056
	s_addc_u32 s15, s41, s7
	s_lshl_b64 s[6:7], s[26:27], 1
	s_mul_i32 s16, s44, s38
	s_add_u32 s23, s14, s6
	s_addc_u32 s24, s15, s7
	s_lshl_b64 s[6:7], s[16:17], 3
	s_add_u32 s12, s12, s6
	s_addc_u32 s13, s13, s7
	s_lshl_b64 s[6:7], s[34:35], 3
	s_waitcnt lgkmcnt(0)
	v_add_u32_e32 v1, v1, v2
	v_lshrrev_b32_e32 v2, 3, v0
	s_add_u32 s25, s12, s6
	s_load_dword s6, s[4:5], 0x1b0
	v_and_b32_e32 v2, 28, v2
	s_addc_u32 s26, s13, s7
	s_load_dwordx2 s[12:13], s[4:5], 0x1b8
	s_load_dwordx2 s[14:15], s[4:5], 0x360
	s_load_dwordx2 s[16:17], s[4:5], 0x508
	v_lshl_add_u32 v10, v0, 2, v2
	v_lshrrev_b32_e32 v2, 1, v0
	v_and_b32_e32 v11, 0x7c, v2
	v_add_u32_e32 v2, -1, v0
	v_lshrrev_b32_e32 v4, 3, v2
	v_and_b32_e32 v4, 0x1ffffffc, v4
	s_mov_b32 s27, 0x8000
	s_waitcnt lgkmcnt(0)
	s_bitcmp1_b32 s6, 0
	v_cmp_gt_u32_e64 s[6:7], 64, v0
	v_lshlrev_b32_e32 v12, 4, v0
	v_lshl_add_u32 v13, v2, 2, v4
	v_add_u32_e32 v4, s33, v0
	v_mbcnt_lo_u32_b32 v0, -1, 0
	v_add_u32_sdwa v9, sext(v8), s27 dst_sel:DWORD dst_unused:UNUSED_PAD src0_sel:WORD_0 src1_sel:DWORD
	s_cselect_b64 s[4:5], -1, 0
	v_mbcnt_hi_u32_b32 v0, -1, v0
                                        ; implicit-def: $vgpr14
	s_branch .LBB176_42
.LBB176_40:                             ;   in Loop: Header=BB176_42 Depth=1
	s_or_b64 exec, exec, s[18:19]
	v_add_u32_e32 v1, v2, v1
.LBB176_41:                             ;   in Loop: Header=BB176_42 Depth=1
	s_add_i32 s20, s20, -1
	v_add_u32_e32 v3, v15, v3
	s_cmp_lg_u32 s20, 0
	v_add_u32_e32 v4, 0x100, v4
	s_cbranch_scc0 .LBB176_61
.LBB176_42:                             ; =>This Inner Loop Header: Depth=1
	v_cmp_gt_u64_e32 vcc, s[8:9], v[4:5]
	v_mov_b32_e32 v2, v5
	v_mov_b32_e32 v6, v5
	s_and_saveexec_b64 s[18:19], vcc
	s_cbranch_execz .LBB176_44
; %bb.43:                               ;   in Loop: Header=BB176_42 Depth=1
	v_mad_u64_u32 v[6:7], s[28:29], s12, v4, 0
	v_mov_b32_e32 v2, v7
	v_mad_u64_u32 v[14:15], s[28:29], s13, v4, v[2:3]
	v_mov_b32_e32 v2, s22
	v_mov_b32_e32 v7, v14
	v_lshlrev_b64 v[6:7], 1, v[6:7]
	v_add_co_u32_e32 v6, vcc, s21, v6
	v_addc_co_u32_e32 v7, vcc, v2, v7, vcc
	global_load_ushort v14, v[6:7], off
	s_waitcnt vmcnt(0)
	v_add_u32_sdwa v2, sext(v14), s27 dst_sel:DWORD dst_unused:UNUSED_PAD src0_sel:WORD_0 src1_sel:DWORD
	v_cmp_gt_u32_e32 vcc, v2, v9
	v_cndmask_b32_e64 v6, 0, 1, vcc
	v_cmp_lt_u32_e32 vcc, v2, v9
	v_cndmask_b32_e64 v2, 0, 1, vcc
	v_cndmask_b32_e64 v2, v2, v6, s[4:5]
	v_cmp_eq_u16_e32 vcc, v14, v8
	v_and_b32_e32 v2, 1, v2
	v_cndmask_b32_e64 v6, 0, 1, vcc
.LBB176_44:                             ;   in Loop: Header=BB176_42 Depth=1
	s_or_b64 exec, exec, s[18:19]
	ds_write_b32 v10, v2
	s_waitcnt vmcnt(0) lgkmcnt(0)
	s_barrier
	s_and_saveexec_b64 s[18:19], s[6:7]
	s_cbranch_execz .LBB176_46
; %bb.45:                               ;   in Loop: Header=BB176_42 Depth=1
	v_add_u32_e32 v7, v11, v12
	ds_read2_b32 v[15:16], v7 offset1:1
	ds_read2_b32 v[17:18], v7 offset0:2 offset1:3
	v_and_b32_e32 v19, 15, v0
	v_cmp_ne_u32_e32 vcc, 0, v19
	s_waitcnt lgkmcnt(1)
	v_add_u32_e32 v16, v16, v15
	s_waitcnt lgkmcnt(0)
	v_add3_u32 v16, v16, v17, v18
	v_bfe_i32 v18, v0, 4, 1
	; wave barrier
	s_nop 0
	v_mov_b32_dpp v17, v16 row_shr:1 row_mask:0xf bank_mask:0xf
	v_cndmask_b32_e32 v17, 0, v17, vcc
	v_add_u32_e32 v16, v17, v16
	v_cmp_lt_u32_e32 vcc, 1, v19
	s_nop 0
	v_mov_b32_dpp v17, v16 row_shr:2 row_mask:0xf bank_mask:0xf
	v_cndmask_b32_e32 v17, 0, v17, vcc
	v_add_u32_e32 v16, v16, v17
	v_cmp_lt_u32_e32 vcc, 3, v19
	;; [unrolled: 5-line block ×4, first 2 shown]
	s_nop 0
	v_mov_b32_dpp v17, v16 row_bcast:15 row_mask:0xf bank_mask:0xf
	v_and_b32_e32 v17, v18, v17
	v_add_u32_e32 v16, v16, v17
	v_and_b32_e32 v18, 64, v0
	s_nop 0
	v_mov_b32_dpp v17, v16 row_bcast:31 row_mask:0xf bank_mask:0xf
	v_cndmask_b32_e32 v17, 0, v17, vcc
	v_add_u32_e32 v16, v16, v17
	v_add_u32_e32 v17, -1, v0
	v_cmp_lt_i32_e32 vcc, v17, v18
	v_cndmask_b32_e32 v17, v17, v0, vcc
	v_lshlrev_b32_e32 v17, 2, v17
	ds_bpermute_b32 v16, v17, v16
	s_waitcnt lgkmcnt(0)
	v_add_u32_e32 v15, v16, v15
	v_cndmask_b32_e64 v17, v15, v2, s[2:3]
	ds_write_b32 v7, v17
	; wave barrier
	ds_read2_b32 v[15:16], v7 offset0:1 offset1:2
	ds_read_b32 v18, v7 offset:12
	s_waitcnt lgkmcnt(1)
	v_add_u32_e32 v15, v15, v17
	v_add_u32_e32 v16, v16, v15
	ds_write2_b32 v7, v15, v16 offset0:1 offset1:2
	s_waitcnt lgkmcnt(1)
	v_add_u32_e32 v15, v18, v16
	ds_write_b32 v7, v15 offset:12
.LBB176_46:                             ;   in Loop: Header=BB176_42 Depth=1
	s_or_b64 exec, exec, s[18:19]
	v_mov_b32_e32 v7, 0
	s_waitcnt lgkmcnt(0)
	s_barrier
	s_and_saveexec_b64 s[18:19], s[0:1]
; %bb.47:                               ;   in Loop: Header=BB176_42 Depth=1
	ds_read_b32 v7, v13
; %bb.48:                               ;   in Loop: Header=BB176_42 Depth=1
	s_or_b64 exec, exec, s[18:19]
	ds_read_b32 v15, v5 offset:1048
	v_cmp_ne_u32_e32 vcc, 0, v2
	s_waitcnt lgkmcnt(0)
	s_barrier
	s_and_saveexec_b64 s[18:19], vcc
	s_cbranch_execz .LBB176_50
; %bb.49:                               ;   in Loop: Header=BB176_42 Depth=1
	v_add_u32_e32 v7, v7, v3
	v_mad_u64_u32 v[16:17], s[28:29], s14, v7, 0
	v_mad_u64_u32 v[18:19], s[28:29], s16, v7, 0
	v_mov_b32_e32 v2, v17
	v_mad_u64_u32 v[20:21], s[28:29], s15, v7, v[2:3]
	v_mov_b32_e32 v2, v19
	v_mov_b32_e32 v21, s24
	;; [unrolled: 1-line block ×3, first 2 shown]
	v_lshlrev_b64 v[16:17], 1, v[16:17]
	v_mad_u64_u32 v[19:20], s[28:29], s17, v7, v[2:3]
	v_add_co_u32_e32 v16, vcc, s23, v16
	v_addc_co_u32_e32 v17, vcc, v21, v17, vcc
	global_store_short v[16:17], v14, off
	v_lshlrev_b64 v[16:17], 3, v[18:19]
	v_mov_b32_e32 v2, s26
	v_add_co_u32_e32 v16, vcc, s25, v16
	v_addc_co_u32_e32 v17, vcc, v2, v17, vcc
	global_store_dwordx2 v[16:17], v[4:5], off
.LBB176_50:                             ;   in Loop: Header=BB176_42 Depth=1
	s_or_b64 exec, exec, s[18:19]
	v_mov_b32_e32 v2, v5
	v_cmp_le_u64_e32 vcc, s[10:11], v[1:2]
	s_cbranch_vccnz .LBB176_41
; %bb.51:                               ;   in Loop: Header=BB176_42 Depth=1
	ds_write_b32 v10, v6
	s_waitcnt vmcnt(0) lgkmcnt(0)
	s_barrier
	s_and_saveexec_b64 s[18:19], s[6:7]
	s_cbranch_execz .LBB176_53
; %bb.52:                               ;   in Loop: Header=BB176_42 Depth=1
	v_add_u32_e32 v2, v11, v12
	ds_read2_b32 v[16:17], v2 offset1:1
	ds_read2_b32 v[18:19], v2 offset0:2 offset1:3
	v_and_b32_e32 v7, 15, v0
	v_cmp_ne_u32_e32 vcc, 0, v7
	s_waitcnt lgkmcnt(1)
	v_add_u32_e32 v17, v17, v16
	s_waitcnt lgkmcnt(0)
	v_add3_u32 v17, v17, v18, v19
	; wave barrier
	s_nop 1
	v_mov_b32_dpp v18, v17 row_shr:1 row_mask:0xf bank_mask:0xf
	v_cndmask_b32_e32 v18, 0, v18, vcc
	v_add_u32_e32 v17, v18, v17
	v_cmp_lt_u32_e32 vcc, 1, v7
	s_nop 0
	v_mov_b32_dpp v18, v17 row_shr:2 row_mask:0xf bank_mask:0xf
	v_cndmask_b32_e32 v18, 0, v18, vcc
	v_add_u32_e32 v17, v17, v18
	v_cmp_lt_u32_e32 vcc, 3, v7
	;; [unrolled: 5-line block ×3, first 2 shown]
	s_nop 0
	v_mov_b32_dpp v18, v17 row_shr:8 row_mask:0xf bank_mask:0xf
	v_cndmask_b32_e32 v7, 0, v18, vcc
	v_add_u32_e32 v7, v17, v7
	v_bfe_i32 v18, v0, 4, 1
	v_cmp_lt_u32_e32 vcc, 31, v0
	v_mov_b32_dpp v17, v7 row_bcast:15 row_mask:0xf bank_mask:0xf
	v_and_b32_e32 v17, v18, v17
	v_add_u32_e32 v7, v7, v17
	v_and_b32_e32 v18, 64, v0
	s_nop 0
	v_mov_b32_dpp v17, v7 row_bcast:31 row_mask:0xf bank_mask:0xf
	v_cndmask_b32_e32 v17, 0, v17, vcc
	v_add_u32_e32 v7, v7, v17
	v_add_u32_e32 v17, -1, v0
	v_cmp_lt_i32_e32 vcc, v17, v18
	v_cndmask_b32_e32 v17, v17, v0, vcc
	v_lshlrev_b32_e32 v17, 2, v17
	ds_bpermute_b32 v7, v17, v7
	s_waitcnt lgkmcnt(0)
	v_add_u32_e32 v7, v7, v16
	v_cndmask_b32_e64 v7, v7, v6, s[2:3]
	ds_write_b32 v2, v7
	; wave barrier
	ds_read2_b32 v[16:17], v2 offset0:1 offset1:2
	ds_read_b32 v18, v2 offset:12
	s_waitcnt lgkmcnt(1)
	v_add_u32_e32 v7, v16, v7
	v_add_u32_e32 v16, v17, v7
	ds_write2_b32 v2, v7, v16 offset0:1 offset1:2
	s_waitcnt lgkmcnt(1)
	v_add_u32_e32 v7, v18, v16
	ds_write_b32 v2, v7 offset:12
.LBB176_53:                             ;   in Loop: Header=BB176_42 Depth=1
	s_or_b64 exec, exec, s[18:19]
	v_mov_b32_e32 v7, 0
	s_waitcnt lgkmcnt(0)
	s_barrier
	s_and_saveexec_b64 s[18:19], s[0:1]
; %bb.54:                               ;   in Loop: Header=BB176_42 Depth=1
	ds_read_b32 v7, v13
; %bb.55:                               ;   in Loop: Header=BB176_42 Depth=1
	s_or_b64 exec, exec, s[18:19]
	ds_read_b32 v2, v5 offset:1048
	v_cmp_ne_u32_e32 vcc, 0, v6
	s_waitcnt lgkmcnt(0)
	s_barrier
	s_and_saveexec_b64 s[18:19], vcc
	s_cbranch_execz .LBB176_40
; %bb.56:                               ;   in Loop: Header=BB176_42 Depth=1
	v_add_u32_e32 v6, v7, v1
	v_mov_b32_e32 v7, v5
	v_cmp_gt_u64_e32 vcc, s[10:11], v[6:7]
	s_and_b64 exec, exec, vcc
	s_cbranch_execz .LBB176_40
; %bb.57:                               ;   in Loop: Header=BB176_42 Depth=1
	v_mad_u64_u32 v[16:17], s[28:29], s14, v6, 0
	v_mad_u64_u32 v[18:19], s[28:29], s16, v6, 0
	v_mov_b32_e32 v7, v17
	v_mad_u64_u32 v[20:21], s[28:29], s15, v6, v[7:8]
	v_mov_b32_e32 v7, v19
	;; [unrolled: 2-line block ×3, first 2 shown]
	v_lshlrev_b64 v[16:17], 1, v[16:17]
	v_mov_b32_e32 v19, v6
	v_mov_b32_e32 v21, s24
	v_add_co_u32_e32 v16, vcc, s23, v16
	v_lshlrev_b64 v[6:7], 3, v[18:19]
	v_addc_co_u32_e32 v17, vcc, v21, v17, vcc
	global_store_short v[16:17], v14, off
	v_mov_b32_e32 v16, s26
	v_add_co_u32_e32 v6, vcc, s25, v6
	v_addc_co_u32_e32 v7, vcc, v16, v7, vcc
	global_store_dwordx2 v[6:7], v[4:5], off
	s_branch .LBB176_40
.LBB176_58:                             ;   in Loop: Header=BB176_59 Depth=1
	s_add_u32 s16, s16, 4
	s_addc_u32 s17, s17, 0
	s_waitcnt lgkmcnt(0)
	s_add_i32 s25, s15, s25
	s_add_u32 s18, s18, 4
	s_addc_u32 s19, s19, 0
	s_add_i32 s14, s14, 1
	s_cmp_lt_u32 s14, s21
	s_cbranch_scc0 .LBB176_37
.LBB176_59:                             ; =>This Inner Loop Header: Depth=1
	s_load_dword s15, s[16:17], 0x0
	s_cmp_ge_u32 s14, s54
	s_cbranch_scc1 .LBB176_58
; %bb.60:                               ;   in Loop: Header=BB176_59 Depth=1
	s_load_dword s31, s[18:19], 0x0
	s_waitcnt lgkmcnt(0)
	s_add_i32 s7, s15, s7
	s_add_i32 s6, s31, s6
	s_branch .LBB176_58
.LBB176_61:
	s_endpgm
	.section	.rodata,"a",@progbits
	.p2align	6, 0x0
	.amdhsa_kernel _ZN2at6native6mbtopk10gatherTopKIsmLin1EEEvNS_4cuda6detail10TensorInfoIKT_T0_EES8_S8_bjS8_NS5_IS6_S8_EES8_NS5_IlS8_EES8_jjPS6_PjSD_j
		.amdhsa_group_segment_fixed_size 1068
		.amdhsa_private_segment_fixed_size 0
		.amdhsa_kernarg_size 1592
		.amdhsa_user_sgpr_count 6
		.amdhsa_user_sgpr_private_segment_buffer 1
		.amdhsa_user_sgpr_dispatch_ptr 0
		.amdhsa_user_sgpr_queue_ptr 0
		.amdhsa_user_sgpr_kernarg_segment_ptr 1
		.amdhsa_user_sgpr_dispatch_id 0
		.amdhsa_user_sgpr_flat_scratch_init 0
		.amdhsa_user_sgpr_private_segment_size 0
		.amdhsa_uses_dynamic_stack 0
		.amdhsa_system_sgpr_private_segment_wavefront_offset 0
		.amdhsa_system_sgpr_workgroup_id_x 1
		.amdhsa_system_sgpr_workgroup_id_y 1
		.amdhsa_system_sgpr_workgroup_id_z 1
		.amdhsa_system_sgpr_workgroup_info 0
		.amdhsa_system_vgpr_workitem_id 0
		.amdhsa_next_free_vgpr 22
		.amdhsa_next_free_sgpr 56
		.amdhsa_reserve_vcc 1
		.amdhsa_reserve_flat_scratch 0
		.amdhsa_float_round_mode_32 0
		.amdhsa_float_round_mode_16_64 0
		.amdhsa_float_denorm_mode_32 3
		.amdhsa_float_denorm_mode_16_64 3
		.amdhsa_dx10_clamp 1
		.amdhsa_ieee_mode 1
		.amdhsa_fp16_overflow 0
		.amdhsa_exception_fp_ieee_invalid_op 0
		.amdhsa_exception_fp_denorm_src 0
		.amdhsa_exception_fp_ieee_div_zero 0
		.amdhsa_exception_fp_ieee_overflow 0
		.amdhsa_exception_fp_ieee_underflow 0
		.amdhsa_exception_fp_ieee_inexact 0
		.amdhsa_exception_int_div_zero 0
	.end_amdhsa_kernel
	.section	.text._ZN2at6native6mbtopk10gatherTopKIsmLin1EEEvNS_4cuda6detail10TensorInfoIKT_T0_EES8_S8_bjS8_NS5_IS6_S8_EES8_NS5_IlS8_EES8_jjPS6_PjSD_j,"axG",@progbits,_ZN2at6native6mbtopk10gatherTopKIsmLin1EEEvNS_4cuda6detail10TensorInfoIKT_T0_EES8_S8_bjS8_NS5_IS6_S8_EES8_NS5_IlS8_EES8_jjPS6_PjSD_j,comdat
.Lfunc_end176:
	.size	_ZN2at6native6mbtopk10gatherTopKIsmLin1EEEvNS_4cuda6detail10TensorInfoIKT_T0_EES8_S8_bjS8_NS5_IS6_S8_EES8_NS5_IlS8_EES8_jjPS6_PjSD_j, .Lfunc_end176-_ZN2at6native6mbtopk10gatherTopKIsmLin1EEEvNS_4cuda6detail10TensorInfoIKT_T0_EES8_S8_bjS8_NS5_IS6_S8_EES8_NS5_IlS8_EES8_jjPS6_PjSD_j
                                        ; -- End function
	.set _ZN2at6native6mbtopk10gatherTopKIsmLin1EEEvNS_4cuda6detail10TensorInfoIKT_T0_EES8_S8_bjS8_NS5_IS6_S8_EES8_NS5_IlS8_EES8_jjPS6_PjSD_j.num_vgpr, 22
	.set _ZN2at6native6mbtopk10gatherTopKIsmLin1EEEvNS_4cuda6detail10TensorInfoIKT_T0_EES8_S8_bjS8_NS5_IS6_S8_EES8_NS5_IlS8_EES8_jjPS6_PjSD_j.num_agpr, 0
	.set _ZN2at6native6mbtopk10gatherTopKIsmLin1EEEvNS_4cuda6detail10TensorInfoIKT_T0_EES8_S8_bjS8_NS5_IS6_S8_EES8_NS5_IlS8_EES8_jjPS6_PjSD_j.numbered_sgpr, 56
	.set _ZN2at6native6mbtopk10gatherTopKIsmLin1EEEvNS_4cuda6detail10TensorInfoIKT_T0_EES8_S8_bjS8_NS5_IS6_S8_EES8_NS5_IlS8_EES8_jjPS6_PjSD_j.num_named_barrier, 0
	.set _ZN2at6native6mbtopk10gatherTopKIsmLin1EEEvNS_4cuda6detail10TensorInfoIKT_T0_EES8_S8_bjS8_NS5_IS6_S8_EES8_NS5_IlS8_EES8_jjPS6_PjSD_j.private_seg_size, 0
	.set _ZN2at6native6mbtopk10gatherTopKIsmLin1EEEvNS_4cuda6detail10TensorInfoIKT_T0_EES8_S8_bjS8_NS5_IS6_S8_EES8_NS5_IlS8_EES8_jjPS6_PjSD_j.uses_vcc, 1
	.set _ZN2at6native6mbtopk10gatherTopKIsmLin1EEEvNS_4cuda6detail10TensorInfoIKT_T0_EES8_S8_bjS8_NS5_IS6_S8_EES8_NS5_IlS8_EES8_jjPS6_PjSD_j.uses_flat_scratch, 0
	.set _ZN2at6native6mbtopk10gatherTopKIsmLin1EEEvNS_4cuda6detail10TensorInfoIKT_T0_EES8_S8_bjS8_NS5_IS6_S8_EES8_NS5_IlS8_EES8_jjPS6_PjSD_j.has_dyn_sized_stack, 0
	.set _ZN2at6native6mbtopk10gatherTopKIsmLin1EEEvNS_4cuda6detail10TensorInfoIKT_T0_EES8_S8_bjS8_NS5_IS6_S8_EES8_NS5_IlS8_EES8_jjPS6_PjSD_j.has_recursion, 0
	.set _ZN2at6native6mbtopk10gatherTopKIsmLin1EEEvNS_4cuda6detail10TensorInfoIKT_T0_EES8_S8_bjS8_NS5_IS6_S8_EES8_NS5_IlS8_EES8_jjPS6_PjSD_j.has_indirect_call, 0
	.section	.AMDGPU.csdata,"",@progbits
; Kernel info:
; codeLenInByte = 3128
; TotalNumSgprs: 60
; NumVgprs: 22
; ScratchSize: 0
; MemoryBound: 0
; FloatMode: 240
; IeeeMode: 1
; LDSByteSize: 1068 bytes/workgroup (compile time only)
; SGPRBlocks: 7
; VGPRBlocks: 5
; NumSGPRsForWavesPerEU: 60
; NumVGPRsForWavesPerEU: 22
; Occupancy: 10
; WaveLimiterHint : 1
; COMPUTE_PGM_RSRC2:SCRATCH_EN: 0
; COMPUTE_PGM_RSRC2:USER_SGPR: 6
; COMPUTE_PGM_RSRC2:TRAP_HANDLER: 0
; COMPUTE_PGM_RSRC2:TGID_X_EN: 1
; COMPUTE_PGM_RSRC2:TGID_Y_EN: 1
; COMPUTE_PGM_RSRC2:TGID_Z_EN: 1
; COMPUTE_PGM_RSRC2:TIDIG_COMP_CNT: 0
	.section	.text._ZN2at6native6sbtopk10gatherTopKIsmLin1ELb0EEEvNS_4cuda6detail10TensorInfoIKT_T0_EES8_S8_bS8_S8_NS5_IS6_S8_EES8_NS5_IlS8_EES8_PS6_,"axG",@progbits,_ZN2at6native6sbtopk10gatherTopKIsmLin1ELb0EEEvNS_4cuda6detail10TensorInfoIKT_T0_EES8_S8_bS8_S8_NS5_IS6_S8_EES8_NS5_IlS8_EES8_PS6_,comdat
	.protected	_ZN2at6native6sbtopk10gatherTopKIsmLin1ELb0EEEvNS_4cuda6detail10TensorInfoIKT_T0_EES8_S8_bS8_S8_NS5_IS6_S8_EES8_NS5_IlS8_EES8_PS6_ ; -- Begin function _ZN2at6native6sbtopk10gatherTopKIsmLin1ELb0EEEvNS_4cuda6detail10TensorInfoIKT_T0_EES8_S8_bS8_S8_NS5_IS6_S8_EES8_NS5_IlS8_EES8_PS6_
	.globl	_ZN2at6native6sbtopk10gatherTopKIsmLin1ELb0EEEvNS_4cuda6detail10TensorInfoIKT_T0_EES8_S8_bS8_S8_NS5_IS6_S8_EES8_NS5_IlS8_EES8_PS6_
	.p2align	8
	.type	_ZN2at6native6sbtopk10gatherTopKIsmLin1ELb0EEEvNS_4cuda6detail10TensorInfoIKT_T0_EES8_S8_bS8_S8_NS5_IS6_S8_EES8_NS5_IlS8_EES8_PS6_,@function
_ZN2at6native6sbtopk10gatherTopKIsmLin1ELb0EEEvNS_4cuda6detail10TensorInfoIKT_T0_EES8_S8_bS8_S8_NS5_IS6_S8_EES8_NS5_IlS8_EES8_PS6_: ; @_ZN2at6native6sbtopk10gatherTopKIsmLin1ELb0EEEvNS_4cuda6detail10TensorInfoIKT_T0_EES8_S8_bS8_S8_NS5_IS6_S8_EES8_NS5_IlS8_EES8_PS6_
; %bb.0:
	s_load_dwordx2 s[12:13], s[4:5], 0x520
	s_load_dwordx4 s[24:27], s[4:5], 0x1b8
	s_mov_b64 s[38:39], s[4:5]
	s_add_u32 s2, s38, 0x520
	s_addc_u32 s3, s39, 0
	s_waitcnt lgkmcnt(0)
	s_mul_i32 s0, s13, s8
	s_add_i32 s0, s0, s7
	s_mul_i32 s0, s0, s12
	s_add_i32 s8, s0, s6
	s_mov_b32 s9, 0
	v_mov_b32_e32 v1, s8
	v_mov_b32_e32 v2, s9
	v_cmp_le_u64_e32 vcc, s[24:25], v[1:2]
	s_cbranch_vccnz .LBB177_500
; %bb.1:
	s_load_dword s10, s[38:39], 0x198
	s_mov_b64 s[0:1], 0
	s_mov_b64 s[4:5], s[8:9]
	s_waitcnt lgkmcnt(0)
	s_cmp_lt_i32 s10, 2
	s_cbranch_scc1 .LBB177_9
; %bb.2:
	s_add_i32 s7, s10, 1
	s_add_i32 s0, s10, -1
	s_mov_b32 s10, 0
	s_mov_b32 s1, s10
	s_lshl_b64 s[0:1], s[0:1], 3
	s_add_u32 s0, s38, s0
	s_addc_u32 s1, s39, s1
	s_add_u32 s14, s0, 8
	s_addc_u32 s15, s1, 0
	s_mov_b64 s[0:1], 0
	s_mov_b64 s[16:17], s[8:9]
.LBB177_3:                              ; =>This Inner Loop Header: Depth=1
	s_load_dwordx2 s[18:19], s[14:15], 0x0
	s_waitcnt lgkmcnt(0)
	s_or_b64 s[4:5], s[16:17], s[18:19]
	s_mov_b32 s11, s5
	s_cmp_lg_u64 s[10:11], 0
	s_cbranch_scc0 .LBB177_8
; %bb.4:                                ;   in Loop: Header=BB177_3 Depth=1
	v_cvt_f32_u32_e32 v1, s18
	v_cvt_f32_u32_e32 v2, s19
	s_sub_u32 s11, 0, s18
	s_subb_u32 s13, 0, s19
	v_mac_f32_e32 v1, 0x4f800000, v2
	v_rcp_f32_e32 v1, v1
	v_mul_f32_e32 v1, 0x5f7ffffc, v1
	v_mul_f32_e32 v2, 0x2f800000, v1
	v_trunc_f32_e32 v2, v2
	v_mac_f32_e32 v1, 0xcf800000, v2
	v_cvt_u32_f32_e32 v2, v2
	v_cvt_u32_f32_e32 v1, v1
	v_readfirstlane_b32 s20, v2
	v_readfirstlane_b32 s4, v1
	s_mul_i32 s5, s11, s20
	s_mul_hi_u32 s22, s11, s4
	s_mul_i32 s21, s13, s4
	s_add_i32 s5, s22, s5
	s_mul_i32 s23, s11, s4
	s_add_i32 s5, s5, s21
	s_mul_i32 s22, s4, s5
	s_mul_hi_u32 s24, s4, s23
	s_mul_hi_u32 s21, s4, s5
	s_add_u32 s22, s24, s22
	s_addc_u32 s21, 0, s21
	s_mul_hi_u32 s25, s20, s23
	s_mul_i32 s23, s20, s23
	s_add_u32 s22, s22, s23
	s_mul_hi_u32 s24, s20, s5
	s_addc_u32 s21, s21, s25
	s_addc_u32 s22, s24, 0
	s_mul_i32 s5, s20, s5
	s_add_u32 s5, s21, s5
	s_addc_u32 s21, 0, s22
	s_add_u32 s22, s4, s5
	s_cselect_b64 s[4:5], -1, 0
	s_cmp_lg_u64 s[4:5], 0
	s_addc_u32 s20, s20, s21
	s_mul_i32 s4, s11, s20
	s_mul_hi_u32 s5, s11, s22
	s_add_i32 s4, s5, s4
	s_mul_i32 s13, s13, s22
	s_add_i32 s4, s4, s13
	s_mul_i32 s11, s11, s22
	s_mul_hi_u32 s13, s20, s11
	s_mul_i32 s21, s20, s11
	s_mul_i32 s24, s22, s4
	s_mul_hi_u32 s11, s22, s11
	s_mul_hi_u32 s23, s22, s4
	s_add_u32 s11, s11, s24
	s_addc_u32 s23, 0, s23
	s_add_u32 s11, s11, s21
	s_mul_hi_u32 s5, s20, s4
	s_addc_u32 s11, s23, s13
	s_addc_u32 s5, s5, 0
	s_mul_i32 s4, s20, s4
	s_add_u32 s4, s11, s4
	s_addc_u32 s11, 0, s5
	s_add_u32 s13, s22, s4
	s_cselect_b64 s[4:5], -1, 0
	s_cmp_lg_u64 s[4:5], 0
	s_addc_u32 s4, s20, s11
	s_mul_i32 s11, s16, s4
	s_mul_hi_u32 s20, s16, s13
	s_mul_hi_u32 s5, s16, s4
	s_add_u32 s11, s20, s11
	s_addc_u32 s5, 0, s5
	s_mul_hi_u32 s21, s17, s13
	s_mul_i32 s13, s17, s13
	s_add_u32 s11, s11, s13
	s_mul_hi_u32 s20, s17, s4
	s_addc_u32 s5, s5, s21
	s_addc_u32 s11, s20, 0
	s_mul_i32 s4, s17, s4
	s_add_u32 s13, s5, s4
	s_addc_u32 s11, 0, s11
	s_mul_i32 s4, s18, s11
	s_mul_hi_u32 s5, s18, s13
	s_add_i32 s4, s5, s4
	s_mul_i32 s5, s19, s13
	s_add_i32 s22, s4, s5
	s_sub_i32 s20, s17, s22
	s_mul_i32 s4, s18, s13
	s_sub_u32 s23, s16, s4
	s_cselect_b64 s[4:5], -1, 0
	s_cmp_lg_u64 s[4:5], 0
	s_subb_u32 s24, s20, s19
	s_sub_u32 s25, s23, s18
	s_cselect_b64 s[20:21], -1, 0
	s_cmp_lg_u64 s[20:21], 0
	s_subb_u32 s20, s24, 0
	s_cmp_ge_u32 s20, s19
	s_cselect_b32 s21, -1, 0
	s_cmp_ge_u32 s25, s18
	s_cselect_b32 s24, -1, 0
	s_cmp_eq_u32 s20, s19
	s_cselect_b32 s20, s24, s21
	s_add_u32 s21, s13, 1
	s_addc_u32 s24, s11, 0
	s_add_u32 s25, s13, 2
	s_addc_u32 s28, s11, 0
	s_cmp_lg_u32 s20, 0
	s_cselect_b32 s20, s25, s21
	s_cselect_b32 s21, s28, s24
	s_cmp_lg_u64 s[4:5], 0
	s_subb_u32 s4, s17, s22
	s_cmp_ge_u32 s4, s19
	s_cselect_b32 s5, -1, 0
	s_cmp_ge_u32 s23, s18
	s_cselect_b32 s22, -1, 0
	s_cmp_eq_u32 s4, s19
	s_cselect_b32 s4, s22, s5
	s_cmp_lg_u32 s4, 0
	s_cselect_b32 s5, s21, s11
	s_cselect_b32 s4, s20, s13
	s_cbranch_execnz .LBB177_6
.LBB177_5:                              ;   in Loop: Header=BB177_3 Depth=1
	v_cvt_f32_u32_e32 v1, s18
	s_sub_i32 s4, 0, s18
	v_rcp_iflag_f32_e32 v1, v1
	v_mul_f32_e32 v1, 0x4f7ffffe, v1
	v_cvt_u32_f32_e32 v1, v1
	v_readfirstlane_b32 s5, v1
	s_mul_i32 s4, s4, s5
	s_mul_hi_u32 s4, s5, s4
	s_add_i32 s5, s5, s4
	s_mul_hi_u32 s4, s16, s5
	s_mul_i32 s11, s4, s18
	s_sub_i32 s11, s16, s11
	s_add_i32 s5, s4, 1
	s_sub_i32 s13, s11, s18
	s_cmp_ge_u32 s11, s18
	s_cselect_b32 s4, s5, s4
	s_cselect_b32 s11, s13, s11
	s_add_i32 s5, s4, 1
	s_cmp_ge_u32 s11, s18
	s_cselect_b32 s4, s5, s4
	s_mov_b32 s5, s10
.LBB177_6:                              ;   in Loop: Header=BB177_3 Depth=1
	s_mul_i32 s11, s4, s19
	s_mul_hi_u32 s13, s4, s18
	s_load_dwordx2 s[20:21], s[14:15], 0xc8
	s_add_i32 s11, s13, s11
	s_mul_i32 s13, s5, s18
	s_add_i32 s11, s11, s13
	s_mul_i32 s13, s4, s18
	s_sub_u32 s13, s16, s13
	s_subb_u32 s11, s17, s11
	s_waitcnt lgkmcnt(0)
	s_mul_i32 s11, s20, s11
	s_mul_hi_u32 s16, s20, s13
	s_add_i32 s11, s16, s11
	s_mul_i32 s16, s21, s13
	s_add_i32 s11, s11, s16
	s_mul_i32 s13, s20, s13
	s_add_u32 s0, s13, s0
	s_addc_u32 s1, s11, s1
	s_add_i32 s7, s7, -1
	s_add_u32 s14, s14, -8
	s_addc_u32 s15, s15, -1
	s_cmp_gt_u32 s7, 2
	s_cbranch_scc0 .LBB177_9
; %bb.7:                                ;   in Loop: Header=BB177_3 Depth=1
	s_mov_b64 s[16:17], s[4:5]
	s_branch .LBB177_3
.LBB177_8:                              ;   in Loop: Header=BB177_3 Depth=1
                                        ; implicit-def: $sgpr4_sgpr5
	s_branch .LBB177_5
.LBB177_9:
	s_load_dword s13, s[38:39], 0x360
	s_load_dwordx2 s[10:11], s[38:39], 0xd0
	s_add_u32 s14, s38, 0x1c8
	s_addc_u32 s15, s39, 0
	s_mov_b64 s[34:35], 0
	s_waitcnt lgkmcnt(0)
	s_cmp_lt_i32 s13, 2
	s_mov_b64 s[36:37], s[8:9]
	s_cbranch_scc1 .LBB177_17
; %bb.10:
	s_mov_b32 s16, 0
	s_add_i32 s18, s13, -1
	s_mov_b32 s19, s16
	s_add_i32 s7, s13, 1
	s_lshl_b64 s[18:19], s[18:19], 3
	s_add_u32 s13, s14, s18
	s_addc_u32 s17, s15, s19
	s_add_u32 s18, s13, 8
	s_addc_u32 s19, s17, 0
	s_mov_b64 s[20:21], s[8:9]
.LBB177_11:                             ; =>This Inner Loop Header: Depth=1
	s_load_dwordx2 s[22:23], s[18:19], 0x0
	s_waitcnt lgkmcnt(0)
	s_or_b64 s[24:25], s[20:21], s[22:23]
	s_mov_b32 s17, s25
	s_cmp_lg_u64 s[16:17], 0
	s_cbranch_scc0 .LBB177_16
; %bb.12:                               ;   in Loop: Header=BB177_11 Depth=1
	v_cvt_f32_u32_e32 v1, s22
	v_cvt_f32_u32_e32 v2, s23
	s_sub_u32 s13, 0, s22
	s_subb_u32 s17, 0, s23
	v_mac_f32_e32 v1, 0x4f800000, v2
	v_rcp_f32_e32 v1, v1
	v_mul_f32_e32 v1, 0x5f7ffffc, v1
	v_mul_f32_e32 v2, 0x2f800000, v1
	v_trunc_f32_e32 v2, v2
	v_mac_f32_e32 v1, 0xcf800000, v2
	v_cvt_u32_f32_e32 v2, v2
	v_cvt_u32_f32_e32 v1, v1
	v_readfirstlane_b32 s28, v2
	v_readfirstlane_b32 s24, v1
	s_mul_i32 s25, s13, s28
	s_mul_hi_u32 s30, s13, s24
	s_mul_i32 s29, s17, s24
	s_add_i32 s25, s30, s25
	s_mul_i32 s31, s13, s24
	s_add_i32 s25, s25, s29
	s_mul_i32 s30, s24, s25
	s_mul_hi_u32 s33, s24, s31
	s_mul_hi_u32 s29, s24, s25
	s_add_u32 s30, s33, s30
	s_addc_u32 s29, 0, s29
	s_mul_hi_u32 s36, s28, s31
	s_mul_i32 s31, s28, s31
	s_add_u32 s30, s30, s31
	s_mul_hi_u32 s33, s28, s25
	s_addc_u32 s29, s29, s36
	s_addc_u32 s30, s33, 0
	s_mul_i32 s25, s28, s25
	s_add_u32 s25, s29, s25
	s_addc_u32 s29, 0, s30
	s_add_u32 s30, s24, s25
	s_cselect_b64 s[24:25], -1, 0
	s_cmp_lg_u64 s[24:25], 0
	s_addc_u32 s28, s28, s29
	s_mul_i32 s24, s13, s28
	s_mul_hi_u32 s25, s13, s30
	s_add_i32 s24, s25, s24
	s_mul_i32 s17, s17, s30
	s_add_i32 s24, s24, s17
	s_mul_i32 s13, s13, s30
	s_mul_hi_u32 s25, s28, s13
	s_mul_i32 s29, s28, s13
	s_mul_i32 s33, s30, s24
	s_mul_hi_u32 s13, s30, s13
	s_mul_hi_u32 s31, s30, s24
	s_add_u32 s13, s13, s33
	s_addc_u32 s31, 0, s31
	s_add_u32 s13, s13, s29
	s_mul_hi_u32 s17, s28, s24
	s_addc_u32 s13, s31, s25
	s_addc_u32 s17, s17, 0
	s_mul_i32 s24, s28, s24
	s_add_u32 s13, s13, s24
	s_addc_u32 s17, 0, s17
	s_add_u32 s13, s30, s13
	s_cselect_b64 s[24:25], -1, 0
	s_cmp_lg_u64 s[24:25], 0
	s_addc_u32 s17, s28, s17
	s_mul_i32 s25, s20, s17
	s_mul_hi_u32 s28, s20, s13
	s_mul_hi_u32 s24, s20, s17
	s_add_u32 s25, s28, s25
	s_addc_u32 s24, 0, s24
	s_mul_hi_u32 s29, s21, s13
	s_mul_i32 s13, s21, s13
	s_add_u32 s13, s25, s13
	s_mul_hi_u32 s28, s21, s17
	s_addc_u32 s13, s24, s29
	s_addc_u32 s24, s28, 0
	s_mul_i32 s17, s21, s17
	s_add_u32 s13, s13, s17
	s_addc_u32 s17, 0, s24
	s_mul_i32 s24, s22, s17
	s_mul_hi_u32 s25, s22, s13
	s_add_i32 s24, s25, s24
	s_mul_i32 s25, s23, s13
	s_add_i32 s30, s24, s25
	s_sub_i32 s28, s21, s30
	s_mul_i32 s24, s22, s13
	s_sub_u32 s31, s20, s24
	s_cselect_b64 s[24:25], -1, 0
	s_cmp_lg_u64 s[24:25], 0
	s_subb_u32 s33, s28, s23
	s_sub_u32 s36, s31, s22
	s_cselect_b64 s[28:29], -1, 0
	s_cmp_lg_u64 s[28:29], 0
	s_subb_u32 s28, s33, 0
	s_cmp_ge_u32 s28, s23
	s_cselect_b32 s29, -1, 0
	s_cmp_ge_u32 s36, s22
	s_cselect_b32 s33, -1, 0
	s_cmp_eq_u32 s28, s23
	s_cselect_b32 s28, s33, s29
	s_add_u32 s29, s13, 1
	s_addc_u32 s33, s17, 0
	s_add_u32 s36, s13, 2
	s_addc_u32 s37, s17, 0
	s_cmp_lg_u32 s28, 0
	s_cselect_b32 s28, s36, s29
	s_cselect_b32 s29, s37, s33
	s_cmp_lg_u64 s[24:25], 0
	s_subb_u32 s24, s21, s30
	s_cmp_ge_u32 s24, s23
	s_cselect_b32 s25, -1, 0
	s_cmp_ge_u32 s31, s22
	s_cselect_b32 s30, -1, 0
	s_cmp_eq_u32 s24, s23
	s_cselect_b32 s24, s30, s25
	s_cmp_lg_u32 s24, 0
	s_cselect_b32 s37, s29, s17
	s_cselect_b32 s36, s28, s13
	s_cbranch_execnz .LBB177_14
.LBB177_13:                             ;   in Loop: Header=BB177_11 Depth=1
	v_cvt_f32_u32_e32 v1, s22
	s_sub_i32 s13, 0, s22
	s_mov_b32 s37, s16
	v_rcp_iflag_f32_e32 v1, v1
	v_mul_f32_e32 v1, 0x4f7ffffe, v1
	v_cvt_u32_f32_e32 v1, v1
	v_readfirstlane_b32 s17, v1
	s_mul_i32 s13, s13, s17
	s_mul_hi_u32 s13, s17, s13
	s_add_i32 s17, s17, s13
	s_mul_hi_u32 s13, s20, s17
	s_mul_i32 s24, s13, s22
	s_sub_i32 s24, s20, s24
	s_add_i32 s17, s13, 1
	s_sub_i32 s25, s24, s22
	s_cmp_ge_u32 s24, s22
	s_cselect_b32 s13, s17, s13
	s_cselect_b32 s24, s25, s24
	s_add_i32 s17, s13, 1
	s_cmp_ge_u32 s24, s22
	s_cselect_b32 s36, s17, s13
.LBB177_14:                             ;   in Loop: Header=BB177_11 Depth=1
	s_mul_i32 s13, s36, s23
	s_mul_hi_u32 s17, s36, s22
	s_load_dwordx2 s[24:25], s[18:19], 0xc8
	s_add_i32 s13, s17, s13
	s_mul_i32 s17, s37, s22
	s_add_i32 s13, s13, s17
	s_mul_i32 s17, s36, s22
	s_sub_u32 s17, s20, s17
	s_subb_u32 s13, s21, s13
	s_waitcnt lgkmcnt(0)
	s_mul_i32 s13, s24, s13
	s_mul_hi_u32 s20, s24, s17
	s_add_i32 s13, s20, s13
	s_mul_i32 s20, s25, s17
	s_add_i32 s13, s13, s20
	s_mul_i32 s17, s24, s17
	s_add_u32 s34, s17, s34
	s_addc_u32 s35, s13, s35
	s_add_i32 s7, s7, -1
	s_add_u32 s18, s18, -8
	s_addc_u32 s19, s19, -1
	s_cmp_gt_u32 s7, 2
	s_cbranch_scc0 .LBB177_17
; %bb.15:                               ;   in Loop: Header=BB177_11 Depth=1
	s_mov_b64 s[20:21], s[36:37]
	s_branch .LBB177_11
.LBB177_16:                             ;   in Loop: Header=BB177_11 Depth=1
                                        ; implicit-def: $sgpr36_sgpr37
	s_branch .LBB177_13
.LBB177_17:
	s_load_dword s16, s[38:39], 0x508
	s_load_dwordx2 s[18:19], s[14:15], 0xd0
	s_add_u32 s13, s38, 0x370
                                        ; implicit-def: $vgpr56 : SGPR spill to VGPR lane
                                        ; kill: killed $sgpr14 killed $sgpr15
	s_addc_u32 s15, s39, 0
	s_mov_b64 s[46:47], 0
	s_waitcnt lgkmcnt(0)
	s_cmp_lt_i32 s16, 2
	v_writelane_b32 v56, s18, 0
	v_writelane_b32 v56, s19, 1
	s_cbranch_scc1 .LBB177_25
; %bb.18:
	s_mov_b32 s14, 0
	s_add_i32 s7, s16, 1
	s_add_i32 s16, s16, -1
	s_mov_b32 s17, s14
	s_lshl_b64 s[16:17], s[16:17], 3
	s_add_u32 s13, s13, s16
	s_addc_u32 s15, s15, s17
	s_add_u32 s16, s13, 8
	s_addc_u32 s17, s15, 0
.LBB177_19:                             ; =>This Inner Loop Header: Depth=1
	s_load_dwordx2 s[18:19], s[16:17], 0x0
	s_waitcnt lgkmcnt(0)
	s_or_b64 s[20:21], s[8:9], s[18:19]
	s_mov_b32 s15, s21
	s_cmp_lg_u64 s[14:15], 0
	s_cbranch_scc0 .LBB177_24
; %bb.20:                               ;   in Loop: Header=BB177_19 Depth=1
	v_cvt_f32_u32_e32 v1, s18
	v_cvt_f32_u32_e32 v2, s19
	s_sub_u32 s13, 0, s18
	s_subb_u32 s15, 0, s19
	v_mac_f32_e32 v1, 0x4f800000, v2
	v_rcp_f32_e32 v1, v1
	v_mul_f32_e32 v1, 0x5f7ffffc, v1
	v_mul_f32_e32 v2, 0x2f800000, v1
	v_trunc_f32_e32 v2, v2
	v_mac_f32_e32 v1, 0xcf800000, v2
	v_cvt_u32_f32_e32 v2, v2
	v_cvt_u32_f32_e32 v1, v1
	v_readfirstlane_b32 s22, v2
	v_readfirstlane_b32 s20, v1
	s_mul_i32 s21, s13, s22
	s_mul_hi_u32 s24, s13, s20
	s_mul_i32 s23, s15, s20
	s_add_i32 s21, s24, s21
	s_mul_i32 s25, s13, s20
	s_add_i32 s21, s21, s23
	s_mul_i32 s24, s20, s21
	s_mul_hi_u32 s28, s20, s25
	s_mul_hi_u32 s23, s20, s21
	s_add_u32 s24, s28, s24
	s_addc_u32 s23, 0, s23
	s_mul_hi_u32 s29, s22, s25
	s_mul_i32 s25, s22, s25
	s_add_u32 s24, s24, s25
	s_mul_hi_u32 s28, s22, s21
	s_addc_u32 s23, s23, s29
	s_addc_u32 s24, s28, 0
	s_mul_i32 s21, s22, s21
	s_add_u32 s21, s23, s21
	s_addc_u32 s23, 0, s24
	s_add_u32 s24, s20, s21
	s_cselect_b64 s[20:21], -1, 0
	s_cmp_lg_u64 s[20:21], 0
	s_addc_u32 s22, s22, s23
	s_mul_i32 s20, s13, s22
	s_mul_hi_u32 s21, s13, s24
	s_add_i32 s20, s21, s20
	s_mul_i32 s15, s15, s24
	s_add_i32 s20, s20, s15
	s_mul_i32 s13, s13, s24
	s_mul_hi_u32 s21, s22, s13
	s_mul_i32 s23, s22, s13
	s_mul_i32 s28, s24, s20
	s_mul_hi_u32 s13, s24, s13
	s_mul_hi_u32 s25, s24, s20
	s_add_u32 s13, s13, s28
	s_addc_u32 s25, 0, s25
	s_add_u32 s13, s13, s23
	s_mul_hi_u32 s15, s22, s20
	s_addc_u32 s13, s25, s21
	s_addc_u32 s15, s15, 0
	s_mul_i32 s20, s22, s20
	s_add_u32 s13, s13, s20
	s_addc_u32 s15, 0, s15
	s_add_u32 s13, s24, s13
	s_cselect_b64 s[20:21], -1, 0
	s_cmp_lg_u64 s[20:21], 0
	s_addc_u32 s15, s22, s15
	s_mul_i32 s21, s8, s15
	s_mul_hi_u32 s22, s8, s13
	s_mul_hi_u32 s20, s8, s15
	s_add_u32 s21, s22, s21
	s_addc_u32 s20, 0, s20
	s_mul_hi_u32 s23, s9, s13
	s_mul_i32 s13, s9, s13
	s_add_u32 s13, s21, s13
	s_mul_hi_u32 s22, s9, s15
	s_addc_u32 s13, s20, s23
	s_addc_u32 s20, s22, 0
	s_mul_i32 s15, s9, s15
	s_add_u32 s13, s13, s15
	s_addc_u32 s15, 0, s20
	s_mul_i32 s20, s18, s15
	s_mul_hi_u32 s21, s18, s13
	s_add_i32 s20, s21, s20
	s_mul_i32 s21, s19, s13
	s_add_i32 s24, s20, s21
	s_sub_i32 s22, s9, s24
	s_mul_i32 s20, s18, s13
	s_sub_u32 s25, s8, s20
	s_cselect_b64 s[20:21], -1, 0
	s_cmp_lg_u64 s[20:21], 0
	s_subb_u32 s28, s22, s19
	s_sub_u32 s29, s25, s18
	s_cselect_b64 s[22:23], -1, 0
	s_cmp_lg_u64 s[22:23], 0
	s_subb_u32 s22, s28, 0
	s_cmp_ge_u32 s22, s19
	s_cselect_b32 s23, -1, 0
	s_cmp_ge_u32 s29, s18
	s_cselect_b32 s28, -1, 0
	s_cmp_eq_u32 s22, s19
	s_cselect_b32 s22, s28, s23
	s_add_u32 s23, s13, 1
	s_addc_u32 s28, s15, 0
	s_add_u32 s29, s13, 2
	s_addc_u32 s30, s15, 0
	s_cmp_lg_u32 s22, 0
	s_cselect_b32 s22, s29, s23
	s_cselect_b32 s23, s30, s28
	s_cmp_lg_u64 s[20:21], 0
	s_subb_u32 s20, s9, s24
	s_cmp_ge_u32 s20, s19
	s_cselect_b32 s21, -1, 0
	s_cmp_ge_u32 s25, s18
	s_cselect_b32 s24, -1, 0
	s_cmp_eq_u32 s20, s19
	s_cselect_b32 s20, s24, s21
	s_cmp_lg_u32 s20, 0
	s_cselect_b32 s51, s23, s15
	s_cselect_b32 s50, s22, s13
	s_cbranch_execnz .LBB177_22
.LBB177_21:                             ;   in Loop: Header=BB177_19 Depth=1
	v_cvt_f32_u32_e32 v1, s18
	s_sub_i32 s13, 0, s18
	s_mov_b32 s51, s14
	v_rcp_iflag_f32_e32 v1, v1
	v_mul_f32_e32 v1, 0x4f7ffffe, v1
	v_cvt_u32_f32_e32 v1, v1
	v_readfirstlane_b32 s15, v1
	s_mul_i32 s13, s13, s15
	s_mul_hi_u32 s13, s15, s13
	s_add_i32 s15, s15, s13
	s_mul_hi_u32 s13, s8, s15
	s_mul_i32 s20, s13, s18
	s_sub_i32 s20, s8, s20
	s_add_i32 s15, s13, 1
	s_sub_i32 s21, s20, s18
	s_cmp_ge_u32 s20, s18
	s_cselect_b32 s13, s15, s13
	s_cselect_b32 s20, s21, s20
	s_add_i32 s15, s13, 1
	s_cmp_ge_u32 s20, s18
	s_cselect_b32 s50, s15, s13
.LBB177_22:                             ;   in Loop: Header=BB177_19 Depth=1
	s_mul_i32 s13, s50, s19
	s_mul_hi_u32 s15, s50, s18
	s_load_dwordx2 s[20:21], s[16:17], 0xc8
	s_add_i32 s13, s15, s13
	s_mul_i32 s15, s51, s18
	s_add_i32 s13, s13, s15
	s_mul_i32 s15, s50, s18
	s_sub_u32 s8, s8, s15
	s_subb_u32 s9, s9, s13
	s_waitcnt lgkmcnt(0)
	s_mul_i32 s9, s20, s9
	s_mul_hi_u32 s13, s20, s8
	s_add_i32 s9, s13, s9
	s_mul_i32 s13, s21, s8
	s_add_i32 s9, s9, s13
	s_mul_i32 s8, s20, s8
	s_add_u32 s46, s8, s46
	s_addc_u32 s47, s9, s47
	s_add_i32 s7, s7, -1
	s_add_u32 s16, s16, -8
	s_addc_u32 s17, s17, -1
	s_cmp_gt_u32 s7, 2
	s_cbranch_scc0 .LBB177_26
; %bb.23:                               ;   in Loop: Header=BB177_19 Depth=1
	s_mov_b64 s[8:9], s[50:51]
	s_branch .LBB177_19
.LBB177_24:                             ;   in Loop: Header=BB177_19 Depth=1
                                        ; implicit-def: $sgpr50_sgpr51
	s_branch .LBB177_21
.LBB177_25:
	s_mov_b64 s[50:51], s[8:9]
.LBB177_26:
	s_load_dwordx4 s[28:31], s[38:39], 0x1a0
	s_load_dwordx2 s[16:17], s[38:39], 0x0
	s_load_dwordx2 s[8:9], s[38:39], 0x440
	s_mov_b32 s59, 0
	v_cmp_eq_u32_e64 s[14:15], 0, v0
	s_waitcnt lgkmcnt(0)
	v_writelane_b32 v56, s8, 2
	v_writelane_b32 v56, s9, 3
	s_load_dwordx2 s[8:9], s[38:39], 0x1c8
	s_waitcnt lgkmcnt(0)
	v_writelane_b32 v56, s8, 4
	v_writelane_b32 v56, s9, 5
	s_load_dwordx2 s[8:9], s[38:39], 0x370
	s_waitcnt lgkmcnt(0)
	v_writelane_b32 v56, s8, 6
	v_writelane_b32 v56, s9, 7
	s_mov_b64 s[8:9], exec
	v_writelane_b32 v56, s14, 8
	v_writelane_b32 v56, s15, 9
	s_and_b64 s[14:15], s[8:9], s[14:15]
	s_mov_b64 exec, s[14:15]
	s_cbranch_execz .LBB177_28
; %bb.27:
	v_mov_b32_e32 v1, 0
	v_mov_b32_e32 v3, s28
	;; [unrolled: 1-line block ×4, first 2 shown]
	ds_write_b32 v1, v1 offset:5144
	ds_write_b128 v1, v[1:4] offset:5120
.LBB177_28:
	s_or_b64 exec, exec, s[8:9]
	s_mul_i32 s5, s10, s5
	s_mul_hi_u32 s7, s10, s4
	s_add_i32 s5, s7, s5
	s_mul_i32 s7, s11, s4
	s_add_i32 s5, s5, s7
	s_mul_i32 s4, s10, s4
	s_lshl_b64 s[8:9], s[4:5], 1
	v_writelane_b32 v56, s38, 10
	s_load_dword s7, s[38:39], 0x1b0
	s_add_u32 s4, s16, s8
	s_addc_u32 s5, s17, s9
	s_lshl_b64 s[44:45], s[0:1], 1
	s_add_u32 s76, s4, s44
	s_addc_u32 s77, s5, s45
	s_waitcnt lgkmcnt(0)
	s_bitcmp1_b32 s7, 0
	v_writelane_b32 v56, s39, 11
	s_cselect_b64 s[0:1], -1, 0
	v_writelane_b32 v56, s0, 12
	v_writelane_b32 v56, s1, 13
	s_xor_b64 s[0:1], s[0:1], -1
	v_mbcnt_lo_u32_b32 v1, -1, 0
	v_writelane_b32 v56, s0, 14
	v_mbcnt_hi_u32_b32 v44, -1, v1
	v_writelane_b32 v56, s1, 15
	v_cmp_eq_u32_e64 s[0:1], 0, v44
	v_writelane_b32 v56, s0, 16
	v_writelane_b32 v56, s1, 17
	v_mad_u64_u32 v[6:7], s[0:1], s26, v0, 0
	v_cmp_gt_u32_e32 vcc, 64, v0
	v_cmp_gt_i32_e64 s[10:11], 4, v44
	s_and_b64 s[0:1], vcc, s[10:11]
	v_writelane_b32 v56, s0, 18
	v_mov_b32_e32 v1, 0x600
	v_mov_b32_e32 v3, v7
	v_writelane_b32 v56, s1, 19
	v_mov_b32_e32 v2, 0
	v_mad_u64_u32 v[4:5], s[0:1], s27, v0, v[3:4]
	v_cmp_gt_u64_e64 s[0:1], s[28:29], v[1:2]
	v_mov_b32_e32 v3, 0
	v_writelane_b32 v56, s0, 20
	v_mov_b32_e32 v1, v3
	v_writelane_b32 v56, s1, 21
	v_cmp_gt_u64_e64 s[0:1], s[28:29], v[0:1]
	v_writelane_b32 v56, s0, 22
	s_barrier
	v_writelane_b32 v56, s1, 23
	s_load_dword s0, s[2:3], 0xc
	v_cmp_gt_u32_e64 s[10:11], 2, v0
	v_writelane_b32 v56, s10, 24
	v_writelane_b32 v56, s11, 25
	v_lshlrev_b64 v[8:9], v44, -1
	s_waitcnt lgkmcnt(0)
	s_and_b32 s33, s0, 0xffff
	s_bfe_u32 s0, s0, 0xa0006
	s_cmp_gt_u32 s33, 63
	s_cselect_b64 s[10:11], -1, 0
	v_writelane_b32 v56, s10, 26
	s_add_u32 s1, s33, -1
	v_writelane_b32 v56, s11, 27
	s_addc_u32 s7, 0, -1
	v_writelane_b32 v56, s1, 28
	s_add_u32 s1, s1, s28
	v_writelane_b32 v56, s1, 29
	v_writelane_b32 v56, s7, 30
	s_addc_u32 s1, s7, s29
	v_writelane_b32 v56, s0, 31
	s_cmp_lt_u32 s6, s12
	v_writelane_b32 v56, s1, 32
	s_cselect_b32 s1, 12, 18
	s_add_u32 s2, s2, s1
	s_addc_u32 s3, s3, 0
	v_writelane_b32 v56, s2, 33
	s_add_i32 s1, s0, -1
	v_writelane_b32 v56, s3, 34
	s_bfe_u32 s2, s33, 0x30006
	s_and_b32 s1, s1, 0xffff
	s_cmp_gt_u32 s1, 6
	s_cselect_b64 s[6:7], -1, 0
	v_writelane_b32 v56, s6, 35
	s_and_b32 s66, s0, 0x3f8
	v_writelane_b32 v56, s7, 36
	s_cmp_lg_u32 s2, 0
	v_not_b32_e32 v41, v9
	v_writelane_b32 v56, s2, 37
	s_cselect_b64 s[0:1], -1, 0
	v_lshlrev_b32_e32 v45, 3, v0
	v_mov_b32_e32 v10, s5
	v_writelane_b32 v56, s0, 38
	v_or_b32_e32 v11, 6, v45
	v_mov_b32_e32 v9, s4
	v_mov_b32_e32 v7, v4
	v_writelane_b32 v56, s1, 39
	s_add_u32 s2, s8, s44
	v_mad_u64_u32 v[16:17], s[0:1], s26, v11, v[9:10]
	v_lshlrev_b64 v[4:5], 1, v[6:7]
	s_addc_u32 s3, s9, s45
	s_add_u32 s0, s16, s2
	v_mov_b32_e32 v2, s77
	v_add_co_u32_e32 v12, vcc, s76, v4
	s_addc_u32 s1, s17, s3
	v_addc_co_u32_e32 v13, vcc, v2, v5, vcc
	v_writelane_b32 v56, s0, 40
	v_mov_b32_e32 v2, v17
	v_writelane_b32 v56, s1, 41
	v_mad_u64_u32 v[17:18], s[0:1], s27, v11, v[2:3]
	s_lshl_b64 s[0:1], s[26:27], 3
	v_writelane_b32 v56, s0, 42
	s_lshl_b64 s[20:21], s[26:27], 1
	v_writelane_b32 v56, s1, 43
	v_lshlrev_b64 v[6:7], 3, v[6:7]
	s_lshl_b32 s0, s33, 1
	v_writelane_b32 v56, s0, 44
	s_add_u32 s0, s16, s44
	v_mov_b32_e32 v2, s5
	v_add_co_u32_e32 v18, vcc, s4, v6
	v_writelane_b32 v56, s16, 45
	s_addc_u32 s1, s17, s45
	v_addc_co_u32_e32 v19, vcc, v2, v7, vcc
	v_writelane_b32 v56, s17, 46
	s_add_u32 s0, s0, s8
	v_writelane_b32 v56, s8, 47
	s_addc_u32 s1, s1, s9
	v_add_co_u32_e32 v20, vcc, s0, v4
	v_or_b32_e32 v4, 4, v45
	v_mov_b32_e32 v2, s1
	v_mad_u64_u32 v[22:23], s[0:1], s26, v4, v[9:10]
	v_addc_co_u32_e32 v21, vcc, v2, v5, vcc
	v_mov_b32_e32 v2, v23
	v_mad_u64_u32 v[4:5], s[0:1], s27, v4, v[2:3]
	v_or_b32_e32 v5, 2, v45
	v_mad_u64_u32 v[24:25], s[0:1], s26, v5, v[9:10]
	v_mov_b32_e32 v23, v4
	v_add_u32_e32 v2, 2, v0
	v_mov_b32_e32 v4, v25
	v_mad_u64_u32 v[4:5], s[0:1], s27, v5, v[4:5]
	v_cmp_gt_u64_e32 vcc, s[28:29], v[2:3]
	v_mov_b32_e32 v5, s29
	v_mov_b32_e32 v25, v4
	;; [unrolled: 1-line block ×3, first 2 shown]
	v_cndmask_b32_e32 v2, v2, v4, vcc
	v_not_b32_e32 v4, v0
	v_cndmask_b32_e32 v5, 0, v5, vcc
	v_add_co_u32_e32 v4, vcc, v2, v4
	v_addc_co_u32_e32 v5, vcc, -1, v5, vcc
	v_cmp_lt_u64_e64 s[0:1], 1, v[4:5]
	v_writelane_b32 v56, s9, 48
	v_writelane_b32 v56, s0, 49
	v_and_b32_e32 v26, -2, v4
	v_mov_b32_e32 v27, v5
	v_writelane_b32 v56, s1, 50
	s_mov_b32 s0, s27
	v_cmp_ne_u64_e64 s[2:3], v[4:5], v[26:27]
	v_writelane_b32 v56, s0, 51
	s_mul_i32 s0, s27, s33
	s_mul_hi_u32 s1, s26, s33
	s_add_i32 s1, s1, s0
	s_mul_i32 s0, s26, s33
	v_writelane_b32 v56, s2, 52
	v_lshrrev_b32_e32 v2, 1, v0
	s_lshl_b64 s[40:41], s[0:1], 1
	v_writelane_b32 v56, s3, 53
	s_mov_b32 s1, 0
	v_and_b32_e32 v2, 0x1e0, v2
	v_writelane_b32 v56, s1, 54
	v_lshlrev_b32_e32 v6, 2, v44
	v_or_b32_e32 v46, 0xc00, v2
	v_mov_b32_e32 v2, 0xc00
	v_lshlrev_b32_e32 v49, 1, v0
	v_mov_b32_e32 v29, s30
	v_writelane_b32 v56, s20, 55
	v_lshlrev_b32_e32 v14, 2, v0
	v_mov_b32_e32 v15, v3
	v_not_b32_e32 v42, v8
	v_and_b32_e32 v43, 0x100, v6
	s_mov_b32 s58, s26
	v_lshl_or_b32 v47, v44, 3, v2
	s_mov_b32 s0, 14
	s_mov_b64 s[80:81], 0
	s_mov_b32 s67, 0x8000
	v_add_u32_e32 v50, 0xc00, v49
	v_mov_b32_e32 v51, 0x4f800000
	v_mov_b32_e32 v52, 0x5040100
	;; [unrolled: 1-line block ×4, first 2 shown]
	v_add_co_u32_e32 v28, vcc, v26, v0
	v_mov_b32_e32 v30, s31
	v_mov_b32_e32 v53, 0
	v_writelane_b32 v56, s21, 56
                                        ; implicit-def: $sgpr82_sgpr83
                                        ; implicit-def: $sgpr84_sgpr85
                                        ; implicit-def: $sgpr88_sgpr89
                                        ; implicit-def: $sgpr90_sgpr91
                                        ; implicit-def: $sgpr86_sgpr87
                                        ; implicit-def: $sgpr92_sgpr93
                                        ; implicit-def: $sgpr94_sgpr95
                                        ; implicit-def: $sgpr52_sgpr53
                                        ; implicit-def: $sgpr54_sgpr55
                                        ; implicit-def: $sgpr56_sgpr57
	v_writelane_b32 v56, s58, 57
	s_branch .LBB177_31
.LBB177_29:                             ;   in Loop: Header=BB177_31 Depth=1
	s_or_b64 exec, exec, s[8:9]
	s_andn2_b64 s[8:9], s[56:57], exec
	s_and_b64 s[6:7], s[6:7], exec
	v_mov_b32_e32 v30, v5
	s_or_b64 s[56:57], s[8:9], s[6:7]
	s_andn2_b64 s[54:55], s[54:55], exec
	s_andn2_b64 s[52:53], s[52:53], exec
	;; [unrolled: 1-line block ×4, first 2 shown]
	s_orn2_b64 s[4:5], s[4:5], exec
	v_mov_b32_e32 v29, v4
.LBB177_30:                             ;   in Loop: Header=BB177_31 Depth=1
	s_or_b64 exec, exec, s[2:3]
	s_and_b64 s[2:3], exec, s[4:5]
	s_or_b64 s[80:81], s[2:3], s[80:81]
	s_andn2_b64 s[2:3], s[86:87], exec
	s_and_b64 s[4:5], s[56:57], exec
	s_or_b64 s[86:87], s[2:3], s[4:5]
	s_andn2_b64 s[2:3], s[90:91], exec
	s_and_b64 s[4:5], s[54:55], exec
	s_or_b64 s[90:91], s[2:3], s[4:5]
	s_andn2_b64 s[2:3], s[88:89], exec
	s_and_b64 s[4:5], s[52:53], exec
	s_or_b64 s[88:89], s[2:3], s[4:5]
	s_andn2_b64 s[2:3], s[84:85], exec
	s_and_b64 s[4:5], s[94:95], exec
	s_or_b64 s[84:85], s[2:3], s[4:5]
	s_andn2_b64 s[2:3], s[82:83], exec
	s_and_b64 s[4:5], s[92:93], exec
	s_or_b64 s[82:83], s[2:3], s[4:5]
	s_andn2_b64 exec, exec, s[80:81]
	s_cbranch_execz .LBB177_496
.LBB177_31:                             ; =>This Loop Header: Depth=1
                                        ;     Child Loop BB177_36 Depth 2
                                        ;     Child Loop BB177_50 Depth 2
	;; [unrolled: 1-line block ×25, first 2 shown]
	ds_read_b128 v[4:7], v3 offset:5120
	s_waitcnt lgkmcnt(0)
	v_readfirstlane_b32 s3, v5
	v_readfirstlane_b32 s2, v4
	s_cmp_lg_u64 s[2:3], 0
	s_cbranch_scc1 .LBB177_63
; %bb.32:                               ;   in Loop: Header=BB177_31 Depth=1
	v_readlane_b32 s2, v56, 20
	v_readlane_b32 s3, v56, 21
	s_and_b64 vcc, exec, s[2:3]
	s_cbranch_vccz .LBB177_44
; %bb.33:                               ;   in Loop: Header=BB177_31 Depth=1
	s_mov_b64 s[2:3], 0x601
	v_cmp_gt_u64_e32 vcc, s[2:3], v[6:7]
	s_mov_b64 s[2:3], 0
	s_mov_b64 s[4:5], 0
	s_cbranch_vccz .LBB177_45
; %bb.34:                               ;   in Loop: Header=BB177_31 Depth=1
	v_readlane_b32 s4, v56, 33
	v_readlane_b32 s5, v56, 34
	global_load_ushort v8, v[12:13], off
	s_nop 3
	global_load_ushort v6, v3, s[4:5]
	s_waitcnt vmcnt(0)
	v_and_b32_e32 v2, 0xffff, v6
	v_add_co_u32_e32 v7, vcc, v0, v2
	v_addc_co_u32_e64 v4, s[4:5], 0, 0, vcc
	v_readlane_b32 s4, v56, 40
	v_mul_lo_u32 v9, s20, v4
	v_readlane_b32 s5, v56, 41
	v_mov_b32_e32 v4, s4
	v_mov_b32_e32 v5, s5
	v_mul_lo_u32 v10, s21, v7
	v_mad_u64_u32 v[4:5], s[4:5], s20, v7, v[4:5]
	v_readfirstlane_b32 s1, v6
	s_and_b32 s4, 0xffff, s1
	s_mul_i32 s1, s21, s4
	s_mul_hi_u32 s5, s20, s4
	v_mov_b32_e32 v7, v1
	v_add3_u32 v5, v10, v5, v9
	s_add_i32 s1, s5, s1
	s_mul_i32 s14, s20, s4
	s_mov_b64 s[4:5], 0
	v_mov_b32_e32 v6, v0
	s_branch .LBB177_36
.LBB177_35:                             ;   in Loop: Header=BB177_36 Depth=2
	s_or_b64 exec, exec, s[6:7]
	v_mov_b32_e32 v8, s1
	v_add_co_u32_e32 v4, vcc, s14, v4
	v_addc_co_u32_e32 v5, vcc, v5, v8, vcc
	s_waitcnt vmcnt(0)
	v_mov_b32_e32 v8, v9
	s_andn2_b64 exec, exec, s[4:5]
	s_cbranch_execz .LBB177_118
.LBB177_36:                             ;   Parent Loop BB177_31 Depth=1
                                        ; =>  This Inner Loop Header: Depth=2
	v_add_co_u32_e32 v6, vcc, v6, v2
	v_addc_co_u32_e32 v7, vcc, 0, v7, vcc
	v_cmp_gt_u64_e64 s[6:7], s[28:29], v[6:7]
	v_cmp_le_u64_e32 vcc, s[28:29], v[6:7]
	s_waitcnt lgkmcnt(0)
	v_mov_b32_e32 v10, 0
	v_mov_b32_e32 v9, 0
	s_and_saveexec_b64 s[8:9], s[6:7]
	s_cbranch_execz .LBB177_38
; %bb.37:                               ;   in Loop: Header=BB177_36 Depth=2
	global_load_ushort v9, v[4:5], off
.LBB177_38:                             ;   in Loop: Header=BB177_36 Depth=2
	s_or_b64 exec, exec, s[8:9]
	v_add_u32_sdwa v11, sext(v8), s67 dst_sel:DWORD dst_unused:UNUSED_PAD src0_sel:WORD_0 src1_sel:DWORD
	v_and_b32_e32 v11, v11, v53
	v_cmp_eq_u32_e64 s[18:19], v11, v48
	s_cmp_lg_u64 s[18:19], 0
	v_readlane_b32 s8, v56, 16
	s_cselect_b64 s[6:7], -1, 0
	v_readlane_b32 s9, v56, 17
	s_and_b64 s[6:7], s[8:9], s[6:7]
	s_and_saveexec_b64 s[8:9], s[6:7]
	s_cbranch_execz .LBB177_42
; %bb.39:                               ;   in Loop: Header=BB177_36 Depth=2
	s_mov_b64 s[12:13], exec
	v_mbcnt_lo_u32_b32 v10, s12, 0
	v_mbcnt_hi_u32_b32 v10, s13, v10
	s_bcnt1_i32_b64 s15, s[18:19]
	v_cmp_eq_u32_e64 s[6:7], 0, v10
                                        ; implicit-def: $vgpr11
	s_and_saveexec_b64 s[10:11], s[6:7]
; %bb.40:                               ;   in Loop: Header=BB177_36 Depth=2
	s_bcnt1_i32_b64 s6, s[12:13]
	s_mul_i32 s6, s15, s6
	v_mov_b32_e32 v11, s6
	ds_add_rtn_u32 v11, v3, v11 offset:5144
; %bb.41:                               ;   in Loop: Header=BB177_36 Depth=2
	s_or_b64 exec, exec, s[10:11]
	s_waitcnt lgkmcnt(0)
	v_readfirstlane_b32 s6, v11
	v_mov_b32_e32 v11, s6
	v_mad_u32_u24 v10, s15, v10, v11
.LBB177_42:                             ;   in Loop: Header=BB177_36 Depth=2
	s_or_b64 exec, exec, s[8:9]
	ds_bpermute_b32 v10, v43, v10
	s_and_b64 s[6:7], exec, vcc
	s_or_b64 s[4:5], s[6:7], s[4:5]
	s_and_saveexec_b64 s[6:7], s[18:19]
	s_cbranch_execz .LBB177_35
; %bb.43:                               ;   in Loop: Header=BB177_36 Depth=2
	v_and_b32_e32 v31, s18, v42
	v_and_b32_e32 v11, s19, v41
	v_bcnt_u32_b32 v31, v31, 0
	v_bcnt_u32_b32 v11, v11, v31
	v_lshlrev_b32_e32 v11, 1, v11
	s_waitcnt lgkmcnt(0)
	v_lshl_add_u32 v10, v10, 1, v11
	ds_write_b16 v10, v8
	s_branch .LBB177_35
.LBB177_44:                             ;   in Loop: Header=BB177_31 Depth=1
	s_mov_b64 s[2:3], -1
	s_mov_b64 s[4:5], 0
.LBB177_45:                             ;   in Loop: Header=BB177_31 Depth=1
	s_and_b64 vcc, exec, s[2:3]
	s_cbranch_vccz .LBB177_61
.LBB177_46:                             ;   in Loop: Header=BB177_31 Depth=1
	s_mov_b64 s[2:3], exec
	v_readlane_b32 s4, v56, 22
	v_readlane_b32 s5, v56, 23
	s_and_b64 s[4:5], s[2:3], s[4:5]
	s_mov_b64 exec, s[4:5]
	s_cbranch_execz .LBB177_58
; %bb.47:                               ;   in Loop: Header=BB177_31 Depth=1
	v_readlane_b32 s4, v56, 33
	v_readlane_b32 s5, v56, 34
	s_nop 4
	global_load_ushort v2, v3, s[4:5]
	global_load_ushort v11, v[12:13], off
	v_mov_b32_e32 v8, v0
	s_waitcnt vmcnt(1)
	v_readfirstlane_b32 s1, v2
	v_add_u32_sdwa v2, v2, v0 dst_sel:DWORD dst_unused:UNUSED_PAD src0_sel:WORD_0 src1_sel:DWORD
	v_cmp_gt_u64_e32 vcc, s[28:29], v[2:3]
	s_and_saveexec_b64 s[8:9], vcc
	s_cbranch_execz .LBB177_57
; %bb.48:                               ;   in Loop: Header=BB177_31 Depth=1
	s_and_b32 s1, s1, 0xffff
	s_cmp_eq_u32 s1, 1
	v_readlane_b32 s6, v56, 49
                                        ; implicit-def: $vgpr8_vgpr9
	s_cselect_b64 s[4:5], -1, 0
	v_readlane_b32 s7, v56, 50
	v_mov_b32_e32 v10, v1
	v_mov_b32_e32 v5, v3
	s_and_b64 s[10:11], s[6:7], s[4:5]
	s_mov_b64 s[6:7], -1
	v_mov_b32_e32 v9, v0
	v_mov_b32_e32 v4, v2
	s_and_saveexec_b64 s[4:5], s[10:11]
	s_cbranch_execz .LBB177_52
; %bb.49:                               ;   in Loop: Header=BB177_31 Depth=1
	v_add_co_u32_e32 v4, vcc, 1, v2
	v_addc_co_u32_e64 v5, s[6:7], 0, 0, vcc
	v_mov_b32_e32 v8, v26
	v_mov_b32_e32 v7, v5
	s_waitcnt vmcnt(0)
	v_lshlrev_b32_e32 v31, 16, v11
	s_mov_b64 s[6:7], 0
	v_mov_b32_e32 v9, v27
	v_mov_b32_e32 v10, v49
	;; [unrolled: 1-line block ×5, first 2 shown]
	v_readlane_b32 s12, v56, 51
.LBB177_50:                             ;   Parent Loop BB177_31 Depth=1
                                        ; =>  This Inner Loop Header: Depth=2
	v_mul_lo_u32 v11, v7, s26
	v_mul_lo_u32 v34, v6, s27
	v_mad_u64_u32 v[32:33], s[10:11], v6, s26, 0
	v_mul_lo_u32 v36, v4, s12
	v_add3_u32 v33, v33, v34, v11
	v_mul_lo_u32 v11, v5, s58
	v_mad_u64_u32 v[34:35], s[10:11], v4, s58, 0
	v_lshlrev_b64 v[32:33], 1, v[32:33]
	s_mov_b32 s10, 0x5040100
	v_add3_u32 v35, v35, v36, v11
	v_lshlrev_b64 v[34:35], 1, v[34:35]
	v_mov_b32_e32 v11, s77
	v_add_co_u32_e32 v34, vcc, s76, v34
	v_addc_co_u32_e32 v35, vcc, v11, v35, vcc
	v_add_co_u32_e32 v32, vcc, s76, v32
	v_addc_co_u32_e32 v33, vcc, v11, v33, vcc
	global_load_ushort v34, v[34:35], off
	s_nop 0
	global_load_ushort v11, v[32:33], off
	v_add_co_u32_e32 v6, vcc, 2, v6
	v_addc_co_u32_e32 v7, vcc, 0, v7, vcc
	v_add_co_u32_e32 v4, vcc, 2, v4
	v_addc_co_u32_e32 v5, vcc, 0, v5, vcc
	v_add_co_u32_e32 v8, vcc, -2, v8
	v_addc_co_u32_e32 v9, vcc, -1, v9, vcc
	v_cmp_eq_u64_e32 vcc, 0, v[8:9]
	s_or_b64 s[6:7], vcc, s[6:7]
	s_waitcnt vmcnt(1)
	v_alignbit_b32 v31, v34, v31, 16
	s_waitcnt vmcnt(0)
	v_perm_b32 v32, v11, v34, s10
	ds_write_b32 v10, v31
	v_add_u32_e32 v10, 4, v10
	v_mov_b32_e32 v31, v32
	s_andn2_b64 exec, exec, s[6:7]
	s_cbranch_execnz .LBB177_50
; %bb.51:                               ;   in Loop: Header=BB177_31 Depth=1
	s_or_b64 exec, exec, s[6:7]
	v_readlane_b32 s6, v56, 52
	v_add_co_u32_e32 v4, vcc, v2, v26
	v_readlane_b32 s7, v56, 53
	v_addc_co_u32_e32 v5, vcc, 0, v27, vcc
	v_add_co_u32_e32 v8, vcc, -1, v4
	s_orn2_b64 s[6:7], s[6:7], exec
	v_mov_b32_e32 v9, v28
	v_mov_b32_e32 v10, v29
.LBB177_52:                             ;   in Loop: Header=BB177_31 Depth=1
	s_or_b64 exec, exec, s[4:5]
	s_and_saveexec_b64 s[4:5], s[6:7]
	s_cbranch_execz .LBB177_56
; %bb.53:                               ;   in Loop: Header=BB177_31 Depth=1
	v_readlane_b32 s6, v56, 40
	v_readlane_b32 s7, v56, 41
	v_mov_b32_e32 v6, s6
	v_mov_b32_e32 v7, s7
	v_mad_u64_u32 v[6:7], s[6:7], s20, v4, v[6:7]
	v_mul_lo_u32 v2, s20, v5
	v_mul_lo_u32 v8, s21, v4
	s_mul_i32 s6, s21, s1
	s_mul_hi_u32 s7, s20, s1
	s_mov_b64 s[10:11], 0
	s_sub_u32 s12, 0, s1
	v_add3_u32 v7, v8, v7, v2
	s_add_i32 s13, s7, s6
.LBB177_54:                             ;   Parent Loop BB177_31 Depth=1
                                        ; =>  This Inner Loop Header: Depth=2
	global_load_ushort v2, v[6:7], off
	v_mov_b32_e32 v32, v5
	v_mov_b32_e32 v31, v4
	v_lshlrev_b32_e32 v4, 1, v9
	s_waitcnt vmcnt(1)
	ds_write_b16 v4, v11
	v_add_co_u32_e32 v4, vcc, s1, v31
	v_addc_co_u32_e32 v5, vcc, 0, v32, vcc
	s_mul_i32 s6, s20, s1
	v_add_co_u32_e32 v6, vcc, s6, v6
	v_mov_b32_e32 v8, s13
	v_addc_co_u32_e32 v7, vcc, v7, v8, vcc
	v_cmp_le_u64_e32 vcc, s[28:29], v[4:5]
	v_add_co_u32_e64 v8, s[6:7], s12, v4
	s_or_b64 s[10:11], vcc, s[10:11]
	v_mov_b32_e32 v9, v31
	v_mov_b32_e32 v10, v32
	s_waitcnt vmcnt(0)
	v_mov_b32_e32 v11, v2
	s_andn2_b64 exec, exec, s[10:11]
	s_cbranch_execnz .LBB177_54
; %bb.55:                               ;   in Loop: Header=BB177_31 Depth=1
	s_or_b64 exec, exec, s[10:11]
	v_mov_b32_e32 v11, v2
.LBB177_56:                             ;   in Loop: Header=BB177_31 Depth=1
	s_or_b64 exec, exec, s[4:5]
.LBB177_57:                             ;   in Loop: Header=BB177_31 Depth=1
	s_or_b64 exec, exec, s[8:9]
	v_lshlrev_b32_e32 v2, 1, v8
	s_waitcnt vmcnt(0)
	ds_write_b16 v2, v11
.LBB177_58:                             ;   in Loop: Header=BB177_31 Depth=1
	s_or_b64 exec, exec, s[2:3]
	s_waitcnt lgkmcnt(0)
	s_barrier
	s_mov_b64 s[2:3], exec
	v_readlane_b32 s4, v56, 8
	v_readlane_b32 s5, v56, 9
	s_and_b64 s[4:5], s[2:3], s[4:5]
	s_mov_b64 exec, s[4:5]
; %bb.59:                               ;   in Loop: Header=BB177_31 Depth=1
	v_mov_b32_e32 v4, s28
	v_mov_b32_e32 v5, s29
	ds_write_b64 v3, v[4:5] offset:5120
; %bb.60:                               ;   in Loop: Header=BB177_31 Depth=1
	s_or_b64 exec, exec, s[2:3]
	s_waitcnt lgkmcnt(0)
	s_barrier
	s_mov_b64 s[4:5], -1
.LBB177_61:                             ;   in Loop: Header=BB177_31 Depth=1
	s_mov_b64 s[2:3], 0
	s_and_b64 vcc, exec, s[4:5]
	s_cbranch_vccz .LBB177_63
; %bb.62:                               ;   in Loop: Header=BB177_31 Depth=1
	ds_read_b64 v[4:5], v3 offset:5120
	s_waitcnt lgkmcnt(0)
	v_readfirstlane_b32 s2, v4
.LBB177_63:                             ;   in Loop: Header=BB177_31 Depth=1
	s_cmp_lt_i32 s2, 1
	s_mov_b64 s[4:5], -1
                                        ; implicit-def: $vgpr4_vgpr5
                                        ; implicit-def: $vgpr8_vgpr9
	s_cbranch_scc0 .LBB177_78
; %bb.64:                               ;   in Loop: Header=BB177_31 Depth=1
	v_readlane_b32 s4, v56, 33
	v_readlane_b32 s5, v56, 34
	s_nop 4
	global_load_ushort v2, v3, s[4:5]
	s_mov_b32 s4, s59
	s_mov_b32 s5, s29
	s_waitcnt vmcnt(0)
	v_readfirstlane_b32 s1, v2
	s_and_b32 s1, s1, 0xffff
	s_lshl_b32 s3, s1, 2
	s_cmp_lg_u64 s[4:5], 0
	s_cbranch_scc0 .LBB177_96
; %bb.65:                               ;   in Loop: Header=BB177_31 Depth=1
	v_cvt_f32_u32_e32 v2, s3
	s_sub_u32 s6, 0, s3
	s_subb_u32 s7, 0, 0
	v_mac_f32_e32 v2, 0, v51
	v_rcp_f32_e32 v2, v2
	v_mul_f32_e32 v2, 0x5f7ffffc, v2
	v_mul_f32_e32 v4, 0x2f800000, v2
	v_trunc_f32_e32 v4, v4
	v_mac_f32_e32 v2, 0xcf800000, v4
	v_cvt_u32_f32_e32 v4, v4
	v_cvt_u32_f32_e32 v2, v2
	v_readfirstlane_b32 s8, v4
	v_readfirstlane_b32 s4, v2
	s_mul_i32 s5, s6, s8
	s_mul_hi_u32 s10, s6, s4
	s_mul_i32 s9, s7, s4
	s_add_i32 s5, s10, s5
	s_mul_i32 s11, s6, s4
	s_add_i32 s5, s5, s9
	s_mul_hi_u32 s10, s4, s11
	s_mul_i32 s12, s4, s5
	s_mul_hi_u32 s9, s4, s5
	s_add_u32 s10, s10, s12
	s_addc_u32 s9, 0, s9
	s_mul_hi_u32 s13, s8, s11
	s_mul_i32 s11, s8, s11
	s_add_u32 s10, s10, s11
	s_mul_hi_u32 s12, s8, s5
	s_addc_u32 s9, s9, s13
	s_addc_u32 s10, s12, 0
	s_mul_i32 s5, s8, s5
	s_add_u32 s5, s9, s5
	s_addc_u32 s9, 0, s10
	s_add_u32 s10, s4, s5
	s_cselect_b64 s[4:5], -1, 0
	s_cmp_lg_u64 s[4:5], 0
	s_addc_u32 s8, s8, s9
	s_mul_i32 s4, s6, s8
	s_mul_hi_u32 s5, s6, s10
	s_add_i32 s4, s5, s4
	s_mul_i32 s7, s7, s10
	s_add_i32 s4, s4, s7
	s_mul_i32 s6, s6, s10
	s_mul_hi_u32 s7, s8, s6
	s_mul_i32 s9, s8, s6
	s_mul_i32 s12, s10, s4
	s_mul_hi_u32 s6, s10, s6
	s_mul_hi_u32 s11, s10, s4
	s_add_u32 s6, s6, s12
	s_addc_u32 s11, 0, s11
	s_add_u32 s6, s6, s9
	s_mul_hi_u32 s5, s8, s4
	s_addc_u32 s6, s11, s7
	s_addc_u32 s5, s5, 0
	s_mul_i32 s4, s8, s4
	s_add_u32 s4, s6, s4
	s_addc_u32 s6, 0, s5
	s_add_u32 s7, s10, s4
	s_cselect_b64 s[4:5], -1, 0
	s_cmp_lg_u64 s[4:5], 0
	s_addc_u32 s4, s8, s6
	s_mul_i32 s6, s28, s4
	s_mul_hi_u32 s8, s28, s7
	s_mul_hi_u32 s5, s28, s4
	s_add_u32 s6, s8, s6
	s_addc_u32 s5, 0, s5
	s_mul_hi_u32 s9, s29, s7
	s_mul_i32 s7, s29, s7
	s_add_u32 s6, s6, s7
	s_mul_hi_u32 s8, s29, s4
	s_addc_u32 s5, s5, s9
	s_addc_u32 s6, s8, 0
	s_mul_i32 s4, s29, s4
	s_add_u32 s4, s5, s4
	s_addc_u32 s5, 0, s6
	s_mul_i32 s5, s3, s5
	s_mul_hi_u32 s6, s3, s4
	s_add_i32 s6, s6, s5
	s_mul_i32 s4, s3, s4
	s_sub_u32 s7, s28, s4
	s_cselect_b64 s[4:5], -1, 0
	s_cmp_lg_u64 s[4:5], 0
	s_subb_u32 s6, s29, s6
	s_sub_u32 s8, s7, s3
	s_cselect_b64 s[4:5], -1, 0
	s_cmp_lg_u64 s[4:5], 0
	s_subb_u32 s9, s6, 0
	;; [unrolled: 4-line block ×3, first 2 shown]
	s_cmp_ge_u32 s8, s3
	s_cselect_b32 s5, -1, 0
	s_cmp_eq_u32 s9, 0
	s_cselect_b32 s5, s5, -1
	s_cmp_lg_u32 s5, 0
	s_cselect_b32 s4, s4, s9
	s_cselect_b32 s8, s10, s8
	s_cmp_ge_u32 s7, s3
	s_cselect_b32 s5, -1, 0
	s_cmp_eq_u32 s6, 0
	s_cselect_b32 s5, s5, -1
	s_cmp_lg_u32 s5, 0
	s_cselect_b32 s5, s4, s6
	s_cselect_b32 s4, s8, s7
	s_cbranch_execnz .LBB177_67
.LBB177_66:                             ;   in Loop: Header=BB177_31 Depth=1
	v_cvt_f32_u32_e32 v2, s3
	s_sub_i32 s4, 0, s3
	v_rcp_iflag_f32_e32 v2, v2
	v_mul_f32_e32 v2, 0x4f7ffffe, v2
	v_cvt_u32_f32_e32 v2, v2
	v_readfirstlane_b32 s5, v2
	s_mul_i32 s4, s4, s5
	s_mul_hi_u32 s4, s5, s4
	s_add_i32 s5, s5, s4
	s_mul_hi_u32 s4, s28, s5
	s_mul_i32 s4, s4, s3
	s_sub_i32 s4, s28, s4
	s_sub_i32 s5, s4, s3
	s_cmp_ge_u32 s4, s3
	s_cselect_b32 s4, s5, s4
	s_sub_i32 s5, s4, s3
	s_cmp_ge_u32 s4, s3
	s_cselect_b32 s58, s5, s4
	s_mov_b64 s[4:5], s[58:59]
	v_readlane_b32 s58, v56, 57
.LBB177_67:                             ;   in Loop: Header=BB177_31 Depth=1
	s_sub_u32 s8, s28, s4
	s_subb_u32 s9, s29, s5
	v_cmp_gt_u64_e32 vcc, s[8:9], v[14:15]
	v_mov_b32_e32 v4, 0
	v_mov_b32_e32 v6, 0
	;; [unrolled: 1-line block ×8, first 2 shown]
	s_and_saveexec_b64 s[14:15], vcc
	s_cbranch_execz .LBB177_71
; %bb.68:                               ;   in Loop: Header=BB177_31 Depth=1
	v_readlane_b32 s6, v56, 42
	v_readlane_b32 s7, v56, 43
	s_mul_i32 s4, s7, s1
	s_mul_hi_u32 s5, s6, s1
	v_mov_b32_e32 v32, v19
	v_mov_b32_e32 v34, v25
	;; [unrolled: 1-line block ×5, first 2 shown]
	s_add_i32 s4, s5, s4
	s_mul_i32 s5, s6, s1
	s_mov_b64 s[10:11], 0
	v_mov_b32_e32 v31, v18
	v_mov_b32_e32 v33, v24
	;; [unrolled: 1-line block ×4, first 2 shown]
	s_mov_b64 s[16:17], 0
	s_mov_b64 s[20:21], 0
	;; [unrolled: 1-line block ×4, first 2 shown]
	v_mov_b32_e32 v39, v14
.LBB177_69:                             ;   Parent Loop BB177_31 Depth=1
                                        ; =>  This Inner Loop Header: Depth=2
	v_add_co_u32_e32 v4, vcc, s44, v31
	v_mov_b32_e32 v2, s45
	v_addc_co_u32_e32 v5, vcc, v32, v2, vcc
	global_load_sshort v6, v[4:5], off
	v_add_co_u32_e32 v4, vcc, s44, v33
	v_addc_co_u32_e32 v5, vcc, v34, v2, vcc
	global_load_sshort v7, v[4:5], off
	v_add_co_u32_e32 v4, vcc, s44, v35
	;; [unrolled: 3-line block ×3, first 2 shown]
	v_addc_co_u32_e32 v5, vcc, v38, v2, vcc
	global_load_sshort v2, v[4:5], off
	s_waitcnt vmcnt(3)
	v_add_u32_e32 v4, 0x8000, v6
	s_waitcnt vmcnt(2)
	v_add_u32_e32 v5, 0x8000, v7
	v_and_b32_e32 v7, v4, v53
	v_bfe_u32 v4, v4, s0, 2
	v_cmp_eq_u32_e32 vcc, v7, v48
	v_and_b32_e32 v7, v5, v53
	s_waitcnt vmcnt(1)
	v_add_u32_e32 v6, 0x8000, v8
	v_bfe_u32 v5, v5, s0, 2
	v_cmp_eq_u32_e64 s[24:25], 0, v4
	v_cmp_eq_u32_e64 s[6:7], v7, v48
	v_and_b32_e32 v7, v6, v53
	s_waitcnt vmcnt(0)
	v_add_u32_e32 v2, 0x8000, v2
	v_bfe_u32 v6, v6, s0, 2
	s_and_b64 s[12:13], vcc, s[24:25]
	v_cmp_eq_u32_e64 s[24:25], 0, v5
	v_cmp_eq_u32_e64 s[18:19], v7, v48
	v_and_b32_e32 v7, v2, v53
	v_bfe_u32 v2, v2, s0, 2
	s_and_b64 s[48:49], s[6:7], s[24:25]
	v_cmp_eq_u32_e64 s[24:25], 0, v6
	v_cmp_eq_u32_e64 s[22:23], v7, v48
	s_and_b64 s[60:61], s[18:19], s[24:25]
	v_cmp_eq_u32_e64 s[24:25], 0, v2
	v_cndmask_b32_e64 v7, 0, 1, s[12:13]
	s_and_b64 s[62:63], s[22:23], s[24:25]
	v_cmp_ne_u32_e64 s[24:25], 0, v7
	v_cndmask_b32_e64 v7, 0, 1, s[48:49]
	s_bcnt1_i32_b64 s12, s[24:25]
	v_cmp_ne_u32_e64 s[24:25], 0, v7
	v_cndmask_b32_e64 v7, 0, 1, s[60:61]
	s_bcnt1_i32_b64 s13, s[24:25]
	v_cmp_ne_u32_e64 s[24:25], 0, v7
	v_cndmask_b32_e64 v7, 0, 1, s[62:63]
	s_bcnt1_i32_b64 s48, s[24:25]
	v_cmp_ne_u32_e64 s[24:25], 0, v7
	s_bcnt1_i32_b64 s24, s[24:25]
	s_add_u32 s12, s12, s42
	s_addc_u32 s25, 0, s43
	s_add_u32 s12, s12, s13
	s_addc_u32 s13, s25, 0
	;; [unrolled: 2-line block ×3, first 2 shown]
	s_add_u32 s42, s12, s24
	v_cmp_eq_u32_e64 s[24:25], 1, v4
	s_addc_u32 s43, s13, 0
	s_and_b64 s[12:13], vcc, s[24:25]
	v_cmp_eq_u32_e64 s[24:25], 1, v5
	s_and_b64 s[48:49], s[6:7], s[24:25]
	v_cmp_eq_u32_e64 s[24:25], 1, v6
	s_and_b64 s[60:61], s[18:19], s[24:25]
	v_cmp_eq_u32_e64 s[24:25], 1, v2
	v_cndmask_b32_e64 v7, 0, 1, s[12:13]
	s_and_b64 s[62:63], s[22:23], s[24:25]
	v_cmp_ne_u32_e64 s[24:25], 0, v7
	v_cndmask_b32_e64 v7, 0, 1, s[48:49]
	s_bcnt1_i32_b64 s12, s[24:25]
	v_cmp_ne_u32_e64 s[24:25], 0, v7
	v_cndmask_b32_e64 v7, 0, 1, s[60:61]
	s_bcnt1_i32_b64 s13, s[24:25]
	;; [unrolled: 3-line block ×3, first 2 shown]
	v_cmp_ne_u32_e64 s[24:25], 0, v7
	s_bcnt1_i32_b64 s24, s[24:25]
	s_add_u32 s12, s12, s38
	s_addc_u32 s25, 0, s39
	s_add_u32 s12, s12, s13
	s_addc_u32 s13, s25, 0
	;; [unrolled: 2-line block ×3, first 2 shown]
	s_add_u32 s38, s12, s24
	v_cmp_eq_u32_e64 s[24:25], 2, v4
	s_addc_u32 s39, s13, 0
	s_and_b64 s[12:13], vcc, s[24:25]
	v_cmp_eq_u32_e64 s[24:25], 2, v5
	s_and_b64 s[48:49], s[6:7], s[24:25]
	v_cmp_eq_u32_e64 s[24:25], 2, v6
	s_and_b64 s[60:61], s[18:19], s[24:25]
	v_cmp_eq_u32_e64 s[24:25], 2, v2
	v_cndmask_b32_e64 v7, 0, 1, s[12:13]
	s_and_b64 s[62:63], s[22:23], s[24:25]
	v_cmp_ne_u32_e64 s[24:25], 0, v7
	v_cndmask_b32_e64 v7, 0, 1, s[48:49]
	s_bcnt1_i32_b64 s12, s[24:25]
	v_cmp_ne_u32_e64 s[24:25], 0, v7
	v_cndmask_b32_e64 v7, 0, 1, s[60:61]
	s_bcnt1_i32_b64 s13, s[24:25]
	v_cmp_ne_u32_e64 s[24:25], 0, v7
	v_cndmask_b32_e64 v7, 0, 1, s[62:63]
	s_bcnt1_i32_b64 s48, s[24:25]
	v_cmp_ne_u32_e64 s[24:25], 0, v7
	s_bcnt1_i32_b64 s24, s[24:25]
	s_add_u32 s12, s12, s20
	s_addc_u32 s20, 0, s21
	s_add_u32 s12, s12, s13
	s_addc_u32 s13, s20, 0
	;; [unrolled: 2-line block ×3, first 2 shown]
	s_add_u32 s20, s12, s24
	v_cmp_eq_u32_e64 s[24:25], 3, v4
	s_addc_u32 s21, s13, 0
	s_and_b64 s[12:13], vcc, s[24:25]
	v_cmp_eq_u32_e32 vcc, 3, v5
	s_and_b64 s[6:7], s[6:7], vcc
	v_cmp_eq_u32_e32 vcc, 3, v6
	s_and_b64 s[18:19], s[18:19], vcc
	v_cmp_eq_u32_e32 vcc, 3, v2
	v_cndmask_b32_e64 v2, 0, 1, s[12:13]
	s_and_b64 s[22:23], s[22:23], vcc
	v_cmp_ne_u32_e32 vcc, 0, v2
	v_cndmask_b32_e64 v2, 0, 1, s[6:7]
	s_bcnt1_i32_b64 s12, vcc
	v_cmp_ne_u32_e32 vcc, 0, v2
	v_cndmask_b32_e64 v2, 0, 1, s[18:19]
	s_bcnt1_i32_b64 s6, vcc
	;; [unrolled: 3-line block ×3, first 2 shown]
	v_cmp_ne_u32_e32 vcc, 0, v2
	s_bcnt1_i32_b64 s13, vcc
	v_add_co_u32_e32 v39, vcc, s3, v39
	v_addc_co_u32_e32 v40, vcc, 0, v40, vcc
	v_add_co_u32_e32 v37, vcc, s5, v37
	v_mov_b32_e32 v2, s4
	v_addc_co_u32_e32 v38, vcc, v38, v2, vcc
	s_add_u32 s12, s12, s16
	v_add_co_u32_e32 v35, vcc, s5, v35
	s_addc_u32 s16, 0, s17
	v_addc_co_u32_e32 v36, vcc, v36, v2, vcc
	s_add_u32 s6, s12, s6
	v_add_co_u32_e32 v33, vcc, s5, v33
	s_addc_u32 s12, s16, 0
	;; [unrolled: 4-line block ×3, first 2 shown]
	v_addc_co_u32_e32 v32, vcc, v32, v2, vcc
	s_add_u32 s16, s6, s13
	v_cmp_le_u64_e32 vcc, s[8:9], v[39:40]
	s_addc_u32 s17, s7, 0
	v_mov_b32_e32 v4, s42
	v_mov_b32_e32 v6, s38
	;; [unrolled: 1-line block ×4, first 2 shown]
	s_or_b64 s[10:11], vcc, s[10:11]
	v_mov_b32_e32 v5, s43
	v_mov_b32_e32 v7, s39
	;; [unrolled: 1-line block ×4, first 2 shown]
	s_andn2_b64 exec, exec, s[10:11]
	s_cbranch_execnz .LBB177_69
; %bb.70:                               ;   in Loop: Header=BB177_31 Depth=1
	s_or_b64 exec, exec, s[10:11]
.LBB177_71:                             ;   in Loop: Header=BB177_31 Depth=1
	s_or_b64 exec, exec, s[14:15]
	v_mov_b32_e32 v2, s9
	v_add_co_u32_e32 v31, vcc, s8, v0
	v_addc_co_u32_e32 v32, vcc, 0, v2, vcc
	v_cmp_gt_u64_e32 vcc, s[28:29], v[31:32]
	s_and_saveexec_b64 s[4:5], vcc
	s_cbranch_execz .LBB177_77
; %bb.72:                               ;   in Loop: Header=BB177_31 Depth=1
	v_mul_lo_u32 v2, v32, s26
	v_mul_lo_u32 v35, v31, s27
	v_mad_u64_u32 v[33:34], s[6:7], v31, s26, 0
	s_mov_b64 s[8:9], 0
	v_add3_u32 v34, v34, v35, v2
	v_lshlrev_b64 v[33:34], 1, v[33:34]
	v_mov_b32_e32 v2, s77
	v_add_co_u32_e32 v33, vcc, s76, v33
	v_addc_co_u32_e32 v34, vcc, v2, v34, vcc
	global_load_ushort v33, v[33:34], off
	s_branch .LBB177_74
.LBB177_73:                             ;   in Loop: Header=BB177_74 Depth=2
	s_or_b64 exec, exec, s[10:11]
	s_waitcnt vmcnt(0)
	v_add_u32_sdwa v33, sext(v33), s67 dst_sel:DWORD dst_unused:UNUSED_PAD src0_sel:WORD_0 src1_sel:DWORD
	s_and_b64 s[6:7], exec, vcc
	v_and_b32_e32 v34, v33, v53
	v_bfe_u32 v33, v33, s0, 2
	s_or_b64 s[8:9], s[6:7], s[8:9]
	v_cmp_eq_u32_e32 vcc, v34, v48
	v_cmp_eq_u32_e64 s[6:7], 0, v33
	s_and_b64 s[6:7], vcc, s[6:7]
	v_cndmask_b32_e64 v34, 0, 1, s[6:7]
	v_cmp_ne_u32_e64 s[6:7], 0, v34
	s_bcnt1_i32_b64 s3, s[6:7]
	v_add_co_u32_e64 v4, s[6:7], s3, v4
	v_addc_co_u32_e64 v5, s[6:7], 0, v5, s[6:7]
	v_cmp_eq_u32_e64 s[6:7], 1, v33
	s_and_b64 s[6:7], vcc, s[6:7]
	v_cndmask_b32_e64 v34, 0, 1, s[6:7]
	v_cmp_ne_u32_e64 s[6:7], 0, v34
	s_bcnt1_i32_b64 s3, s[6:7]
	v_add_co_u32_e64 v6, s[6:7], s3, v6
	v_addc_co_u32_e64 v7, s[6:7], 0, v7, s[6:7]
	;; [unrolled: 7-line block ×3, first 2 shown]
	v_cmp_eq_u32_e64 s[6:7], 3, v33
	s_and_b64 s[6:7], vcc, s[6:7]
	v_cndmask_b32_e64 v33, 0, 1, s[6:7]
	v_cmp_ne_u32_e32 vcc, 0, v33
	s_bcnt1_i32_b64 s3, vcc
	v_add_co_u32_e32 v10, vcc, s3, v10
	v_addc_co_u32_e32 v11, vcc, 0, v11, vcc
	v_mov_b32_e32 v33, v2
	s_andn2_b64 exec, exec, s[8:9]
	s_cbranch_execz .LBB177_76
.LBB177_74:                             ;   Parent Loop BB177_31 Depth=1
                                        ; =>  This Inner Loop Header: Depth=2
	v_add_co_u32_e32 v31, vcc, s1, v31
	v_addc_co_u32_e32 v32, vcc, 0, v32, vcc
	v_cmp_gt_u64_e64 s[6:7], s[28:29], v[31:32]
	v_cmp_le_u64_e32 vcc, s[28:29], v[31:32]
	v_mov_b32_e32 v2, 0
	s_and_saveexec_b64 s[10:11], s[6:7]
	s_cbranch_execz .LBB177_73
; %bb.75:                               ;   in Loop: Header=BB177_74 Depth=2
	v_mul_lo_u32 v2, v32, s26
	v_mul_lo_u32 v36, v31, s27
	v_mad_u64_u32 v[34:35], s[6:7], v31, s26, 0
	v_add3_u32 v35, v35, v36, v2
	v_lshlrev_b64 v[34:35], 1, v[34:35]
	v_mov_b32_e32 v2, s77
	v_add_co_u32_e64 v34, s[6:7], s76, v34
	v_addc_co_u32_e64 v35, s[6:7], v2, v35, s[6:7]
	global_load_ushort v2, v[34:35], off
	s_branch .LBB177_73
.LBB177_76:                             ;   in Loop: Header=BB177_31 Depth=1
	s_or_b64 exec, exec, s[8:9]
.LBB177_77:                             ;   in Loop: Header=BB177_31 Depth=1
	s_or_b64 exec, exec, s[4:5]
	s_mov_b64 s[4:5], 0
.LBB177_78:                             ;   in Loop: Header=BB177_31 Depth=1
	s_and_b64 vcc, exec, s[4:5]
	s_cbranch_vccz .LBB177_88
; %bb.79:                               ;   in Loop: Header=BB177_31 Depth=1
	v_readlane_b32 s4, v56, 33
	v_readlane_b32 s5, v56, 34
	v_mov_b32_e32 v8, 0
	v_mov_b32_e32 v9, 0
	s_nop 2
	global_load_ushort v2, v3, s[4:5]
	s_waitcnt vmcnt(0)
	v_readfirstlane_b32 s1, v2
	s_and_b32 s1, 0xffff, s1
	s_lshl_b32 s3, s1, 2
	v_cvt_f32_u32_e32 v4, s3
	s_sub_i32 s4, 0, s3
	v_rcp_iflag_f32_e32 v6, v4
	v_mov_b32_e32 v4, 0
	v_mov_b32_e32 v5, 0
	v_mul_f32_e32 v6, 0x4f7ffffe, v6
	v_cvt_u32_f32_e32 v10, v6
	v_mov_b32_e32 v6, 0
	v_mov_b32_e32 v7, 0
	v_readfirstlane_b32 s5, v10
	s_mul_i32 s4, s4, s5
	s_mul_hi_u32 s4, s5, s4
	s_add_i32 s5, s5, s4
	s_mul_hi_u32 s4, s2, s5
	s_mul_i32 s5, s4, s3
	s_sub_i32 s5, s2, s5
	s_add_i32 s6, s4, 1
	s_sub_i32 s7, s5, s3
	s_cmp_ge_u32 s5, s3
	s_cselect_b32 s4, s6, s4
	s_cselect_b32 s5, s7, s5
	s_add_i32 s6, s4, 1
	s_cmp_ge_u32 s5, s3
	s_cselect_b32 s4, s6, s4
	s_mul_hi_u32 s9, s1, s4
	s_mul_i32 s8, s1, s4
	s_lshl_b64 s[10:11], s[8:9], 2
	v_cmp_gt_u64_e32 vcc, s[10:11], v[14:15]
	v_mov_b32_e32 v10, 0
	v_mov_b32_e32 v11, 0
	s_and_saveexec_b64 s[14:15], vcc
	s_cbranch_execz .LBB177_83
; %bb.80:                               ;   in Loop: Header=BB177_31 Depth=1
	v_mov_b32_e32 v32, v15
	s_lshl_b32 s4, s1, 3
	s_mov_b64 s[16:17], 0
	v_mov_b32_e32 v33, v45
	s_mov_b64 s[20:21], 0
	s_mov_b64 s[38:39], 0
	;; [unrolled: 1-line block ×4, first 2 shown]
	v_mov_b32_e32 v31, v14
.LBB177_81:                             ;   Parent Loop BB177_31 Depth=1
                                        ; =>  This Inner Loop Header: Depth=2
	ds_read_b64 v[4:5], v33
	v_add_u32_e32 v33, s4, v33
	s_waitcnt lgkmcnt(0)
	v_add_u32_sdwa v6, sext(v4), s67 dst_sel:DWORD dst_unused:UNUSED_PAD src0_sel:WORD_0 src1_sel:DWORD
	v_add_u32_sdwa v4, sext(v4), s67 dst_sel:DWORD dst_unused:UNUSED_PAD src0_sel:WORD_1 src1_sel:DWORD
	v_and_b32_e32 v8, v6, v53
	v_bfe_u32 v6, v6, s0, 2
	v_add_u32_sdwa v7, sext(v5), s67 dst_sel:DWORD dst_unused:UNUSED_PAD src0_sel:WORD_0 src1_sel:DWORD
	v_cmp_eq_u32_e32 vcc, v8, v48
	v_and_b32_e32 v8, v4, v53
	v_bfe_u32 v4, v4, s0, 2
	v_cmp_eq_u32_e64 s[24:25], 0, v6
	v_add_u32_sdwa v5, sext(v5), s67 dst_sel:DWORD dst_unused:UNUSED_PAD src0_sel:WORD_1 src1_sel:DWORD
	v_cmp_eq_u32_e64 s[6:7], v8, v48
	v_and_b32_e32 v8, v7, v53
	v_bfe_u32 v7, v7, s0, 2
	s_and_b64 s[12:13], vcc, s[24:25]
	v_cmp_eq_u32_e64 s[24:25], 0, v4
	v_cmp_eq_u32_e64 s[18:19], v8, v48
	v_and_b32_e32 v8, v5, v53
	v_bfe_u32 v5, v5, s0, 2
	s_and_b64 s[60:61], s[6:7], s[24:25]
	v_cmp_eq_u32_e64 s[24:25], 0, v7
	v_cmp_eq_u32_e64 s[22:23], v8, v48
	s_and_b64 s[62:63], s[18:19], s[24:25]
	v_cmp_eq_u32_e64 s[24:25], 0, v5
	v_cndmask_b32_e64 v8, 0, 1, s[12:13]
	s_and_b64 s[64:65], s[22:23], s[24:25]
	v_cmp_ne_u32_e64 s[24:25], 0, v8
	v_cndmask_b32_e64 v8, 0, 1, s[60:61]
	s_bcnt1_i32_b64 s5, s[24:25]
	v_cmp_ne_u32_e64 s[24:25], 0, v8
	v_cndmask_b32_e64 v8, 0, 1, s[62:63]
	s_bcnt1_i32_b64 s9, s[24:25]
	v_cmp_ne_u32_e64 s[24:25], 0, v8
	v_cndmask_b32_e64 v8, 0, 1, s[64:65]
	s_bcnt1_i32_b64 s12, s[24:25]
	v_cmp_ne_u32_e64 s[24:25], 0, v8
	s_bcnt1_i32_b64 s13, s[24:25]
	s_add_u32 s5, s5, s48
	s_addc_u32 s24, 0, s49
	s_add_u32 s5, s5, s9
	s_addc_u32 s9, s24, 0
	;; [unrolled: 2-line block ×3, first 2 shown]
	s_add_u32 s48, s5, s13
	v_cmp_eq_u32_e64 s[24:25], 1, v6
	s_addc_u32 s49, s9, 0
	s_and_b64 s[12:13], vcc, s[24:25]
	v_cmp_eq_u32_e64 s[24:25], 1, v4
	s_and_b64 s[60:61], s[6:7], s[24:25]
	v_cmp_eq_u32_e64 s[24:25], 1, v7
	s_and_b64 s[62:63], s[18:19], s[24:25]
	v_cmp_eq_u32_e64 s[24:25], 1, v5
	v_cndmask_b32_e64 v8, 0, 1, s[12:13]
	s_and_b64 s[64:65], s[22:23], s[24:25]
	v_cmp_ne_u32_e64 s[24:25], 0, v8
	v_cndmask_b32_e64 v8, 0, 1, s[60:61]
	s_bcnt1_i32_b64 s5, s[24:25]
	v_cmp_ne_u32_e64 s[24:25], 0, v8
	v_cndmask_b32_e64 v8, 0, 1, s[62:63]
	s_bcnt1_i32_b64 s9, s[24:25]
	;; [unrolled: 3-line block ×3, first 2 shown]
	v_cmp_ne_u32_e64 s[24:25], 0, v8
	s_bcnt1_i32_b64 s13, s[24:25]
	s_add_u32 s5, s5, s42
	s_addc_u32 s24, 0, s43
	s_add_u32 s5, s5, s9
	s_addc_u32 s9, s24, 0
	;; [unrolled: 2-line block ×3, first 2 shown]
	s_add_u32 s42, s5, s13
	v_cmp_eq_u32_e64 s[24:25], 2, v6
	s_addc_u32 s43, s9, 0
	s_and_b64 s[12:13], vcc, s[24:25]
	v_cmp_eq_u32_e64 s[24:25], 2, v4
	s_and_b64 s[60:61], s[6:7], s[24:25]
	v_cmp_eq_u32_e64 s[24:25], 2, v7
	s_and_b64 s[62:63], s[18:19], s[24:25]
	v_cmp_eq_u32_e64 s[24:25], 2, v5
	v_cndmask_b32_e64 v8, 0, 1, s[12:13]
	s_and_b64 s[64:65], s[22:23], s[24:25]
	v_cmp_ne_u32_e64 s[24:25], 0, v8
	v_cndmask_b32_e64 v8, 0, 1, s[60:61]
	s_bcnt1_i32_b64 s5, s[24:25]
	v_cmp_ne_u32_e64 s[24:25], 0, v8
	v_cndmask_b32_e64 v8, 0, 1, s[62:63]
	s_bcnt1_i32_b64 s9, s[24:25]
	;; [unrolled: 3-line block ×3, first 2 shown]
	v_cmp_ne_u32_e64 s[24:25], 0, v8
	s_bcnt1_i32_b64 s13, s[24:25]
	s_add_u32 s5, s5, s38
	s_addc_u32 s24, 0, s39
	s_add_u32 s5, s5, s9
	s_addc_u32 s9, s24, 0
	;; [unrolled: 2-line block ×3, first 2 shown]
	s_add_u32 s38, s5, s13
	v_cmp_eq_u32_e64 s[24:25], 3, v6
	s_addc_u32 s39, s9, 0
	s_and_b64 s[12:13], vcc, s[24:25]
	v_cmp_eq_u32_e32 vcc, 3, v4
	s_and_b64 s[6:7], s[6:7], vcc
	v_cmp_eq_u32_e32 vcc, 3, v7
	s_and_b64 s[18:19], s[18:19], vcc
	v_cmp_eq_u32_e32 vcc, 3, v5
	v_cndmask_b32_e64 v4, 0, 1, s[12:13]
	s_and_b64 s[22:23], s[22:23], vcc
	v_cmp_ne_u32_e32 vcc, 0, v4
	v_cndmask_b32_e64 v4, 0, 1, s[6:7]
	s_bcnt1_i32_b64 s5, vcc
	v_cmp_ne_u32_e32 vcc, 0, v4
	v_cndmask_b32_e64 v4, 0, 1, s[18:19]
	s_bcnt1_i32_b64 s6, vcc
	;; [unrolled: 3-line block ×3, first 2 shown]
	v_cmp_ne_u32_e32 vcc, 0, v4
	s_bcnt1_i32_b64 s9, vcc
	s_add_u32 s5, s5, s20
	s_addc_u32 s12, 0, s21
	s_add_u32 s5, s5, s6
	s_addc_u32 s6, s12, 0
	s_add_u32 s5, s5, s7
	v_add_co_u32_e32 v31, vcc, s3, v31
	s_addc_u32 s6, s6, 0
	v_addc_co_u32_e32 v32, vcc, 0, v32, vcc
	s_add_u32 s20, s5, s9
	v_cmp_le_u64_e32 vcc, s[10:11], v[31:32]
	s_addc_u32 s21, s6, 0
	v_mov_b32_e32 v4, s48
	v_mov_b32_e32 v6, s42
	;; [unrolled: 1-line block ×4, first 2 shown]
	s_or_b64 s[16:17], vcc, s[16:17]
	v_mov_b32_e32 v5, s49
	v_mov_b32_e32 v7, s43
	;; [unrolled: 1-line block ×4, first 2 shown]
	s_andn2_b64 exec, exec, s[16:17]
	s_cbranch_execnz .LBB177_81
; %bb.82:                               ;   in Loop: Header=BB177_31 Depth=1
	s_or_b64 exec, exec, s[16:17]
.LBB177_83:                             ;   in Loop: Header=BB177_31 Depth=1
	s_or_b64 exec, exec, s[14:15]
	v_mov_b32_e32 v32, s11
	v_add_co_u32_e32 v31, vcc, s10, v0
	s_and_b32 s58, s2, 0x7fffffff
	v_addc_co_u32_e32 v32, vcc, 0, v32, vcc
	v_cmp_gt_u64_e32 vcc, s[58:59], v[31:32]
	s_and_saveexec_b64 s[2:3], vcc
	s_cbranch_execz .LBB177_87
; %bb.84:                               ;   in Loop: Header=BB177_31 Depth=1
	v_lshl_add_u32 v33, s8, 3, v49
	s_lshl_b32 s1, s1, 1
	s_mov_b64 s[8:9], 0
.LBB177_85:                             ;   Parent Loop BB177_31 Depth=1
                                        ; =>  This Inner Loop Header: Depth=2
	ds_read_i16 v34, v33
	v_add_u32_e32 v33, s1, v33
	s_waitcnt lgkmcnt(0)
	v_add_u32_e32 v34, 0x8000, v34
	v_and_b32_e32 v35, v34, v53
	v_bfe_u32 v34, v34, s0, 2
	v_cmp_eq_u32_e32 vcc, v35, v48
	v_cmp_eq_u32_e64 s[6:7], 0, v34
	s_and_b64 s[4:5], vcc, s[6:7]
	v_cndmask_b32_e64 v35, 0, 1, s[4:5]
	v_cmp_ne_u32_e64 s[6:7], 0, v35
	s_bcnt1_i32_b64 s4, s[6:7]
	v_add_co_u32_e64 v4, s[6:7], s4, v4
	v_addc_co_u32_e64 v5, s[6:7], 0, v5, s[6:7]
	v_cmp_eq_u32_e64 s[6:7], 1, v34
	s_and_b64 s[4:5], vcc, s[6:7]
	v_cndmask_b32_e64 v35, 0, 1, s[4:5]
	v_cmp_ne_u32_e64 s[6:7], 0, v35
	s_bcnt1_i32_b64 s4, s[6:7]
	v_add_co_u32_e64 v6, s[6:7], s4, v6
	v_addc_co_u32_e64 v7, s[6:7], 0, v7, s[6:7]
	;; [unrolled: 7-line block ×3, first 2 shown]
	v_cmp_eq_u32_e64 s[6:7], 3, v34
	s_and_b64 s[4:5], vcc, s[6:7]
	v_cndmask_b32_e64 v34, 0, 1, s[4:5]
	v_cmp_ne_u32_e32 vcc, 0, v34
	s_bcnt1_i32_b64 s4, vcc
	v_add_co_u32_e32 v10, vcc, s4, v10
	v_addc_co_u32_e32 v11, vcc, 0, v11, vcc
	v_add_co_u32_sdwa v31, vcc, v31, v2 dst_sel:DWORD dst_unused:UNUSED_PAD src0_sel:DWORD src1_sel:WORD_0
	v_addc_co_u32_e32 v32, vcc, 0, v32, vcc
	v_cmp_le_u64_e32 vcc, s[58:59], v[31:32]
	s_or_b64 s[8:9], vcc, s[8:9]
	s_andn2_b64 exec, exec, s[8:9]
	s_cbranch_execnz .LBB177_85
; %bb.86:                               ;   in Loop: Header=BB177_31 Depth=1
	s_or_b64 exec, exec, s[8:9]
.LBB177_87:                             ;   in Loop: Header=BB177_31 Depth=1
	s_or_b64 exec, exec, s[2:3]
	v_readlane_b32 s58, v56, 57
.LBB177_88:                             ;   in Loop: Header=BB177_31 Depth=1
	v_readlane_b32 s1, v56, 54
	s_lshl_b32 s1, s1, 6
	s_mov_b64 s[2:3], exec
	v_readlane_b32 s4, v56, 16
	v_readlane_b32 s5, v56, 17
	s_and_b64 s[4:5], s[2:3], s[4:5]
	s_mov_b64 exec, s[4:5]
	s_cbranch_execz .LBB177_90
; %bb.89:                               ;   in Loop: Header=BB177_31 Depth=1
	v_lshl_add_u32 v2, s1, 3, v46
	ds_write_b128 v2, v[4:7]
	ds_write_b128 v2, v[8:11] offset:16
.LBB177_90:                             ;   in Loop: Header=BB177_31 Depth=1
	s_or_b64 exec, exec, s[2:3]
	s_waitcnt lgkmcnt(0)
	s_barrier
	s_mov_b64 s[2:3], exec
	v_readlane_b32 s4, v56, 18
	v_readlane_b32 s5, v56, 19
	s_and_b64 s[4:5], s[2:3], s[4:5]
	s_mov_b64 exec, s[4:5]
	s_cbranch_execz .LBB177_102
; %bb.91:                               ;   in Loop: Header=BB177_31 Depth=1
	v_readlane_b32 s4, v56, 26
	v_mov_b32_e32 v4, 0
	v_readlane_b32 s5, v56, 27
	v_mov_b32_e32 v5, 0
	s_andn2_b64 vcc, exec, s[4:5]
	s_cbranch_vccnz .LBB177_101
; %bb.92:                               ;   in Loop: Header=BB177_31 Depth=1
	v_readlane_b32 s4, v56, 35
	v_readlane_b32 s5, v56, 36
	s_andn2_b64 vcc, exec, s[4:5]
	s_cbranch_vccnz .LBB177_97
; %bb.93:                               ;   in Loop: Header=BB177_31 Depth=1
	v_readlane_b32 s4, v56, 54
	v_mov_b32_e32 v4, 0
	v_lshl_add_u32 v2, s4, 9, v47
	v_mov_b32_e32 v5, 0
	s_mov_b32 s4, 0
.LBB177_94:                             ;   Parent Loop BB177_31 Depth=1
                                        ; =>  This Inner Loop Header: Depth=2
	ds_read2_b64 v[6:9], v2 offset1:4
	s_add_i32 s4, s4, 8
	s_cmp_eq_u32 s66, s4
	s_waitcnt lgkmcnt(0)
	v_add_co_u32_e32 v4, vcc, v6, v4
	v_addc_co_u32_e32 v5, vcc, v7, v5, vcc
	v_add_co_u32_e32 v8, vcc, v8, v4
	v_addc_co_u32_e32 v9, vcc, v9, v5, vcc
	ds_read2_b64 v[4:7], v2 offset0:8 offset1:12
	s_waitcnt lgkmcnt(0)
	v_add_co_u32_e32 v4, vcc, v4, v8
	v_addc_co_u32_e32 v5, vcc, v5, v9, vcc
	v_add_co_u32_e32 v8, vcc, v6, v4
	v_addc_co_u32_e32 v9, vcc, v7, v5, vcc
	ds_read2_b64 v[4:7], v2 offset0:16 offset1:20
	;; [unrolled: 6-line block ×3, first 2 shown]
	v_add_u32_e32 v2, 0x100, v2
	s_waitcnt lgkmcnt(0)
	v_add_co_u32_e32 v4, vcc, v4, v8
	v_addc_co_u32_e32 v5, vcc, v5, v9, vcc
	v_add_co_u32_e32 v4, vcc, v6, v4
	v_addc_co_u32_e32 v5, vcc, v7, v5, vcc
	s_cbranch_scc0 .LBB177_94
; %bb.95:                               ;   in Loop: Header=BB177_31 Depth=1
	s_mov_b32 s4, s66
	s_branch .LBB177_98
.LBB177_96:                             ;   in Loop: Header=BB177_31 Depth=1
                                        ; implicit-def: $sgpr4_sgpr5
	s_branch .LBB177_66
.LBB177_97:                             ;   in Loop: Header=BB177_31 Depth=1
	v_mov_b32_e32 v4, 0
	v_mov_b32_e32 v5, 0
	s_mov_b32 s4, 0
.LBB177_98:                             ;   in Loop: Header=BB177_31 Depth=1
	v_readlane_b32 s6, v56, 38
	v_readlane_b32 s7, v56, 39
	s_andn2_b64 vcc, exec, s[6:7]
	s_cbranch_vccnz .LBB177_101
; %bb.99:                               ;   in Loop: Header=BB177_31 Depth=1
	v_readlane_b32 s5, v56, 54
	s_lshl_b32 s5, s5, 9
	s_lshl_b32 s4, s4, 5
	s_add_i32 s5, s5, s4
	v_add_u32_e32 v2, s5, v47
	v_readlane_b32 s4, v56, 37
.LBB177_100:                            ;   Parent Loop BB177_31 Depth=1
                                        ; =>  This Inner Loop Header: Depth=2
	ds_read_b64 v[6:7], v2
	s_add_i32 s4, s4, -1
	v_add_u32_e32 v2, 32, v2
	s_cmp_lg_u32 s4, 0
	s_waitcnt lgkmcnt(0)
	v_add_co_u32_e32 v4, vcc, v6, v4
	v_addc_co_u32_e32 v5, vcc, v7, v5, vcc
	s_cbranch_scc1 .LBB177_100
.LBB177_101:                            ;   in Loop: Header=BB177_31 Depth=1
	v_add_lshl_u32 v2, s1, v44, 3
	ds_write_b64 v2, v[4:5] offset:3072
.LBB177_102:                            ;   in Loop: Header=BB177_31 Depth=1
	s_or_b64 exec, exec, s[2:3]
	s_lshl_b32 s1, s1, 3
	v_mov_b32_e32 v2, s1
	s_waitcnt lgkmcnt(0)
	s_barrier
	ds_read_b128 v[4:7], v2 offset:3072
	ds_read_b128 v[8:11], v2 offset:3088
	s_lshl_b32 s1, 3, s0
	s_not_b32 s2, s1
	v_writelane_b32 v56, s2, 58
	v_readlane_b32 s2, v56, 14
	v_cmp_eq_u64_e64 s[18:19], 1, v[29:30]
	v_readlane_b32 s3, v56, 15
	s_waitcnt lgkmcnt(1)
	v_readfirstlane_b32 s23, v5
	v_readfirstlane_b32 s22, v4
	;; [unrolled: 1-line block ×4, first 2 shown]
	s_waitcnt lgkmcnt(0)
	v_readfirstlane_b32 s17, v9
	v_readfirstlane_b32 s16, v8
	;; [unrolled: 1-line block ×4, first 2 shown]
	s_mov_b64 s[20:21], -1
	s_mov_b64 s[24:25], 0
	s_andn2_b64 vcc, exec, s[2:3]
	s_mov_b64 s[38:39], 0
	s_mov_b64 s[2:3], 0
                                        ; implicit-def: $sgpr42_sgpr43
                                        ; implicit-def: $sgpr74_sgpr75
                                        ; implicit-def: $vgpr4_vgpr5
                                        ; implicit-def: $vgpr2
                                        ; implicit-def: $vgpr11
                                        ; implicit-def: $vgpr10
                                        ; implicit-def: $vgpr8
                                        ; implicit-def: $vgpr55 : SGPR spill to VGPR lane
	s_cbranch_vccnz .LBB177_298
; %bb.103:                              ;   in Loop: Header=BB177_31 Depth=1
	s_cmp_eq_u64 s[22:23], 1
	s_cselect_b64 s[2:3], -1, 0
	s_and_b64 s[6:7], s[2:3], s[18:19]
	s_mov_b64 s[4:5], -1
	v_mov_b32_e32 v11, v48
	v_mov_b32_e32 v10, v53
	;; [unrolled: 1-line block ×3, first 2 shown]
                                        ; implicit-def: $sgpr74_sgpr75
                                        ; implicit-def: $sgpr42_sgpr43
	s_and_saveexec_b64 s[2:3], s[6:7]
	s_cbranch_execz .LBB177_138
; %bb.104:                              ;   in Loop: Header=BB177_31 Depth=1
	ds_read_b64 v[4:5], v3 offset:5120
	s_waitcnt lgkmcnt(0)
	s_barrier
	v_readfirstlane_b32 s8, v4
	v_readfirstlane_b32 s9, v5
	s_mov_b64 s[4:5], exec
	v_readlane_b32 s10, v56, 24
	v_readlane_b32 s11, v56, 25
	s_and_b64 s[10:11], s[4:5], s[10:11]
	s_mov_b64 exec, s[10:11]
; %bb.105:                              ;   in Loop: Header=BB177_31 Depth=1
	ds_write_b16 v50, v3
; %bb.106:                              ;   in Loop: Header=BB177_31 Depth=1
	s_or_b64 exec, exec, s[4:5]
	v_readlane_b32 s4, v56, 58
	v_and_b32_e32 v11, s4, v48
	v_or_b32_e32 v10, s1, v53
	s_mov_b64 s[42:43], -1
	s_mov_b64 s[74:75], 0
	s_cmp_eq_u64 s[8:9], 0
	s_mov_b64 s[4:5], 0
	s_mov_b64 s[10:11], -1
	s_waitcnt lgkmcnt(0)
	s_barrier
                                        ; implicit-def: $vgpr8
	s_cbranch_scc1 .LBB177_123
; %bb.107:                              ;   in Loop: Header=BB177_31 Depth=1
	v_readlane_b32 s4, v56, 28
	s_add_u32 s20, s8, s4
	v_readlane_b32 s4, v56, 30
	s_addc_u32 s5, s9, s4
	s_mov_b32 s4, s59
	s_cmp_lg_u64 s[4:5], 0
	s_cbranch_scc0 .LBB177_164
; %bb.108:                              ;   in Loop: Header=BB177_31 Depth=1
	v_cvt_f32_u32_e32 v2, s33
	s_sub_u32 s4, 0, s33
	s_subb_u32 s12, 0, 0
	v_mac_f32_e32 v2, 0, v51
	v_rcp_f32_e32 v2, v2
	v_mul_f32_e32 v2, 0x5f7ffffc, v2
	v_mul_f32_e32 v4, 0x2f800000, v2
	v_trunc_f32_e32 v4, v4
	v_mac_f32_e32 v2, 0xcf800000, v4
	v_cvt_u32_f32_e32 v4, v4
	v_cvt_u32_f32_e32 v2, v2
	v_readfirstlane_b32 s13, v4
	v_readfirstlane_b32 s10, v2
	s_mul_i32 s11, s4, s13
	s_mul_hi_u32 s38, s4, s10
	s_mul_i32 s21, s12, s10
	s_add_i32 s11, s38, s11
	s_mul_i32 s39, s4, s10
	s_add_i32 s11, s11, s21
	s_mul_hi_u32 s38, s10, s39
	s_mul_i32 s58, s10, s11
	s_mul_hi_u32 s21, s10, s11
	s_add_u32 s38, s38, s58
	s_addc_u32 s21, 0, s21
	s_mul_hi_u32 s60, s13, s39
	s_mul_i32 s39, s13, s39
	s_add_u32 s38, s38, s39
	s_mul_hi_u32 s58, s13, s11
	s_addc_u32 s21, s21, s60
	s_addc_u32 s38, s58, 0
	s_mul_i32 s11, s13, s11
	s_add_u32 s11, s21, s11
	s_addc_u32 s21, 0, s38
	s_add_u32 s38, s10, s11
	s_cselect_b64 s[10:11], -1, 0
	s_cmp_lg_u64 s[10:11], 0
	s_addc_u32 s13, s13, s21
	s_mul_i32 s10, s4, s13
	s_mul_hi_u32 s11, s4, s38
	s_add_i32 s10, s11, s10
	s_mul_i32 s12, s12, s38
	s_add_i32 s10, s10, s12
	s_mul_i32 s4, s4, s38
	s_mul_hi_u32 s12, s13, s4
	s_mul_i32 s21, s13, s4
	s_mul_i32 s58, s38, s10
	s_mul_hi_u32 s4, s38, s4
	s_mul_hi_u32 s39, s38, s10
	s_add_u32 s4, s4, s58
	s_addc_u32 s39, 0, s39
	s_add_u32 s4, s4, s21
	s_mul_hi_u32 s11, s13, s10
	s_addc_u32 s4, s39, s12
	s_addc_u32 s11, s11, 0
	s_mul_i32 s10, s13, s10
	s_add_u32 s4, s4, s10
	s_addc_u32 s12, 0, s11
	s_add_u32 s4, s38, s4
	s_cselect_b64 s[10:11], -1, 0
	s_cmp_lg_u64 s[10:11], 0
	s_addc_u32 s10, s13, s12
	s_mul_i32 s12, s20, s10
	s_mul_hi_u32 s13, s20, s4
	s_mul_hi_u32 s11, s20, s10
	s_add_u32 s12, s13, s12
	s_addc_u32 s11, 0, s11
	s_mul_hi_u32 s21, s5, s4
	s_mul_i32 s4, s5, s4
	s_add_u32 s4, s12, s4
	s_mul_hi_u32 s13, s5, s10
	s_addc_u32 s4, s11, s21
	s_addc_u32 s11, s13, 0
	s_mul_i32 s10, s5, s10
	s_add_u32 s4, s4, s10
	s_addc_u32 s10, 0, s11
	s_mul_i32 s10, s33, s10
	s_mul_hi_u32 s11, s33, s4
	s_add_i32 s12, s11, s10
	s_mul_i32 s4, s33, s4
	s_sub_u32 s4, s20, s4
	s_cselect_b64 s[10:11], -1, 0
	s_cmp_lg_u64 s[10:11], 0
	s_subb_u32 s12, s5, s12
	s_sub_u32 s13, s4, s33
	s_cselect_b64 s[10:11], -1, 0
	s_cmp_lg_u64 s[10:11], 0
	s_subb_u32 s21, s12, 0
	;; [unrolled: 4-line block ×3, first 2 shown]
	s_cmp_ge_u32 s13, s33
	s_cselect_b32 s11, -1, 0
	s_cmp_eq_u32 s21, 0
	s_cselect_b32 s11, s11, -1
	s_cmp_lg_u32 s11, 0
	s_cselect_b32 s10, s10, s21
	s_cselect_b32 s13, s38, s13
	s_cmp_ge_u32 s4, s33
	s_cselect_b32 s11, -1, 0
	s_cmp_eq_u32 s12, 0
	s_cselect_b32 s11, s11, -1
	s_cmp_lg_u32 s11, 0
	s_cselect_b32 s11, s10, s12
	s_cselect_b32 s10, s13, s4
	s_cbranch_execnz .LBB177_110
.LBB177_109:                            ;   in Loop: Header=BB177_31 Depth=1
	v_cvt_f32_u32_e32 v2, s33
	s_sub_i32 s4, 0, s33
	v_rcp_iflag_f32_e32 v2, v2
	v_mul_f32_e32 v2, 0x4f7ffffe, v2
	v_cvt_u32_f32_e32 v2, v2
	v_readfirstlane_b32 s10, v2
	s_mul_i32 s4, s4, s10
	s_mul_hi_u32 s4, s10, s4
	s_add_i32 s10, s10, s4
	s_mul_hi_u32 s4, s20, s10
	s_mul_i32 s4, s4, s33
	s_sub_i32 s4, s20, s4
	s_sub_i32 s10, s4, s33
	s_cmp_ge_u32 s4, s33
	s_cselect_b32 s4, s10, s4
	s_sub_i32 s10, s4, s33
	s_cmp_ge_u32 s4, s33
	s_cselect_b32 s58, s10, s4
	s_mov_b64 s[10:11], s[58:59]
.LBB177_110:                            ;   in Loop: Header=BB177_31 Depth=1
	s_sub_u32 s20, s20, s10
	s_subb_u32 s21, s5, s11
	v_cmp_gt_u64_e32 vcc, s[20:21], v[0:1]
	s_mov_b64 s[10:11], 0
	s_mov_b64 s[4:5], 0
                                        ; implicit-def: $vgpr8
	s_and_saveexec_b64 s[12:13], vcc
	v_readlane_b32 s58, v56, 57
	s_cbranch_execz .LBB177_122
; %bb.111:                              ;   in Loop: Header=BB177_31 Depth=1
	v_mov_b32_e32 v5, v1
	v_mov_b32_e32 v2, v49
	;; [unrolled: 1-line block ×3, first 2 shown]
                                        ; implicit-def: $sgpr38_sgpr39
	s_branch .LBB177_114
.LBB177_112:                            ;   in Loop: Header=BB177_114 Depth=2
	s_or_b64 exec, exec, s[60:61]
	s_waitcnt lgkmcnt(0)
	s_barrier
	ds_read_b32 v6, v3 offset:3072
	s_mov_b64 s[60:61], -1
	s_waitcnt lgkmcnt(0)
	s_barrier
	v_cmp_ne_u32_sdwa s[62:63], v6, v3 src0_sel:WORD_0 src1_sel:DWORD
	s_and_b64 vcc, exec, s[62:63]
	s_mov_b64 s[62:63], -1
	s_cbranch_vccz .LBB177_117
.LBB177_113:                            ;   in Loop: Header=BB177_114 Depth=2
	s_and_b64 s[60:61], exec, s[60:61]
	s_or_b64 s[4:5], s[60:61], s[4:5]
	s_andn2_b64 s[38:39], s[38:39], exec
	s_and_b64 s[60:61], s[62:63], exec
	s_or_b64 s[38:39], s[38:39], s[60:61]
	s_andn2_b64 exec, exec, s[4:5]
	s_cbranch_execz .LBB177_121
.LBB177_114:                            ;   Parent Loop BB177_31 Depth=1
                                        ; =>  This Inner Loop Header: Depth=2
	v_cmp_gt_u64_e32 vcc, s[8:9], v[4:5]
	s_and_saveexec_b64 s[60:61], vcc
	s_cbranch_execz .LBB177_112
; %bb.115:                              ;   in Loop: Header=BB177_114 Depth=2
	ds_read_u16 v6, v2
	s_waitcnt lgkmcnt(0)
	v_add_u32_sdwa v7, sext(v6), s67 dst_sel:DWORD dst_unused:UNUSED_PAD src0_sel:WORD_0 src1_sel:DWORD
	v_and_b32_e32 v7, v7, v10
	v_cmp_eq_u32_e32 vcc, v7, v11
	s_and_b64 exec, exec, vcc
	s_cbranch_execz .LBB177_112
; %bb.116:                              ;   in Loop: Header=BB177_114 Depth=2
	v_perm_b32 v6, v6, 1, v52
	ds_write_b32 v3, v6 offset:3072
	s_branch .LBB177_112
.LBB177_117:                            ;   in Loop: Header=BB177_114 Depth=2
	v_add_co_u32_e32 v4, vcc, s33, v4
	v_addc_co_u32_e32 v5, vcc, 0, v5, vcc
	v_cmp_le_u64_e32 vcc, s[20:21], v[4:5]
	v_readlane_b32 s58, v56, 44
	v_add_u32_e32 v2, s58, v2
	v_readlane_b32 s58, v56, 57
	s_mov_b64 s[62:63], 0
	s_orn2_b64 s[60:61], vcc, exec
	s_branch .LBB177_113
.LBB177_118:                            ;   in Loop: Header=BB177_31 Depth=1
	s_or_b64 exec, exec, s[4:5]
	s_waitcnt lgkmcnt(0)
	s_barrier
	s_mov_b64 s[4:5], exec
	v_readlane_b32 s6, v56, 8
	v_readlane_b32 s7, v56, 9
	s_and_b64 s[6:7], s[4:5], s[6:7]
	s_mov_b64 exec, s[6:7]
	s_cbranch_execz .LBB177_120
; %bb.119:                              ;   in Loop: Header=BB177_31 Depth=1
	ds_read_b32 v4, v3 offset:5144
	s_waitcnt lgkmcnt(0)
	v_ashrrev_i32_e32 v5, 31, v4
	ds_write_b64 v3, v[4:5] offset:5120
.LBB177_120:                            ;   in Loop: Header=BB177_31 Depth=1
	s_or_b64 exec, exec, s[4:5]
	s_waitcnt lgkmcnt(0)
	s_barrier
	s_mov_b64 s[4:5], -1
	s_and_b64 vcc, exec, s[2:3]
	s_cbranch_vccnz .LBB177_46
	s_branch .LBB177_61
.LBB177_121:                            ;   in Loop: Header=BB177_31 Depth=1
	s_or_b64 exec, exec, s[4:5]
	v_lshrrev_b32_e32 v8, 16, v6
	s_and_b64 s[4:5], s[38:39], exec
.LBB177_122:                            ;   in Loop: Header=BB177_31 Depth=1
	s_or_b64 exec, exec, s[12:13]
.LBB177_123:                            ;   in Loop: Header=BB177_31 Depth=1
	s_and_b64 vcc, exec, s[10:11]
	s_cbranch_vccz .LBB177_137
; %bb.124:                              ;   in Loop: Header=BB177_31 Depth=1
	v_readlane_b32 s42, v56, 31
	v_readlane_b32 s43, v56, 32
	s_mov_b32 s42, s59
	s_cmp_lg_u64 s[42:43], 0
	v_writelane_b32 v56, s42, 31
	v_writelane_b32 v56, s43, 32
	s_cbranch_scc0 .LBB177_165
; %bb.125:                              ;   in Loop: Header=BB177_31 Depth=1
	v_cvt_f32_u32_e32 v2, s33
	s_sub_u32 s10, 0, s33
	s_subb_u32 s11, 0, 0
	v_mac_f32_e32 v2, 0, v51
	v_rcp_f32_e32 v2, v2
	v_mul_f32_e32 v2, 0x5f7ffffc, v2
	v_mul_f32_e32 v4, 0x2f800000, v2
	v_trunc_f32_e32 v4, v4
	v_mac_f32_e32 v2, 0xcf800000, v4
	v_cvt_u32_f32_e32 v4, v4
	v_cvt_u32_f32_e32 v2, v2
	v_readfirstlane_b32 s12, v4
	v_readfirstlane_b32 s8, v2
	s_mul_i32 s9, s10, s12
	s_mul_hi_u32 s20, s10, s8
	s_mul_i32 s13, s11, s8
	s_add_i32 s9, s20, s9
	s_mul_i32 s21, s10, s8
	s_add_i32 s9, s9, s13
	s_mul_hi_u32 s20, s8, s21
	s_mul_i32 s38, s8, s9
	s_mul_hi_u32 s13, s8, s9
	s_add_u32 s20, s20, s38
	s_addc_u32 s13, 0, s13
	s_mul_hi_u32 s39, s12, s21
	s_mul_i32 s21, s12, s21
	s_add_u32 s20, s20, s21
	s_mul_hi_u32 s38, s12, s9
	s_addc_u32 s13, s13, s39
	s_addc_u32 s20, s38, 0
	s_mul_i32 s9, s12, s9
	s_add_u32 s9, s13, s9
	s_addc_u32 s13, 0, s20
	s_add_u32 s20, s8, s9
	s_cselect_b64 s[8:9], -1, 0
	s_cmp_lg_u64 s[8:9], 0
	s_addc_u32 s12, s12, s13
	s_mul_i32 s8, s10, s12
	s_mul_hi_u32 s9, s10, s20
	s_add_i32 s8, s9, s8
	s_mul_i32 s11, s11, s20
	s_add_i32 s8, s8, s11
	s_mul_i32 s10, s10, s20
	s_mul_hi_u32 s11, s12, s10
	s_mul_i32 s13, s12, s10
	s_mul_i32 s38, s20, s8
	s_mul_hi_u32 s10, s20, s10
	s_mul_hi_u32 s21, s20, s8
	s_add_u32 s10, s10, s38
	s_addc_u32 s21, 0, s21
	s_add_u32 s10, s10, s13
	s_mul_hi_u32 s9, s12, s8
	s_addc_u32 s10, s21, s11
	s_addc_u32 s9, s9, 0
	s_mul_i32 s8, s12, s8
	s_add_u32 s8, s10, s8
	s_addc_u32 s10, 0, s9
	s_add_u32 s11, s20, s8
	s_cselect_b64 s[8:9], -1, 0
	s_cmp_lg_u64 s[8:9], 0
	s_addc_u32 s8, s12, s10
	v_readlane_b32 s20, v56, 29
	s_mul_i32 s10, s20, s8
	s_mul_hi_u32 s12, s20, s11
	s_mul_hi_u32 s9, s20, s8
	s_add_u32 s10, s12, s10
	s_addc_u32 s9, 0, s9
	s_mul_hi_u32 s13, s43, s11
	s_mul_i32 s11, s43, s11
	s_add_u32 s10, s10, s11
	s_mul_hi_u32 s12, s43, s8
	s_addc_u32 s9, s9, s13
	s_addc_u32 s10, s12, 0
	s_mul_i32 s8, s43, s8
	s_add_u32 s8, s9, s8
	s_addc_u32 s9, 0, s10
	s_mul_i32 s9, s33, s9
	s_mul_hi_u32 s10, s33, s8
	s_add_i32 s10, s10, s9
	s_mul_i32 s8, s33, s8
	s_sub_u32 s11, s20, s8
	s_cselect_b64 s[8:9], -1, 0
	s_cmp_lg_u64 s[8:9], 0
	s_subb_u32 s10, s43, s10
	s_sub_u32 s12, s11, s33
	s_cselect_b64 s[8:9], -1, 0
	s_cmp_lg_u64 s[8:9], 0
	s_subb_u32 s13, s10, 0
	;; [unrolled: 4-line block ×3, first 2 shown]
	s_cmp_ge_u32 s12, s33
	s_cselect_b32 s9, -1, 0
	s_cmp_eq_u32 s13, 0
	s_cselect_b32 s9, s9, -1
	s_cmp_lg_u32 s9, 0
	s_cselect_b32 s8, s8, s13
	s_cselect_b32 s12, s20, s12
	s_cmp_ge_u32 s11, s33
	s_cselect_b32 s9, -1, 0
	s_cmp_eq_u32 s10, 0
	s_cselect_b32 s9, s9, -1
	s_cmp_lg_u32 s9, 0
	s_cselect_b32 s9, s8, s10
	s_cselect_b32 s8, s12, s11
	s_cbranch_execnz .LBB177_127
.LBB177_126:                            ;   in Loop: Header=BB177_31 Depth=1
	v_cvt_f32_u32_e32 v2, s33
	s_sub_i32 s8, 0, s33
	v_readlane_b32 s10, v56, 29
	v_rcp_iflag_f32_e32 v2, v2
	v_mul_f32_e32 v2, 0x4f7ffffe, v2
	v_cvt_u32_f32_e32 v2, v2
	v_readfirstlane_b32 s9, v2
	s_mul_i32 s8, s8, s9
	s_mul_hi_u32 s8, s9, s8
	s_add_i32 s9, s9, s8
	s_mul_hi_u32 s8, s10, s9
	s_mul_i32 s8, s8, s33
	s_sub_i32 s8, s10, s8
	s_sub_i32 s9, s8, s33
	s_cmp_ge_u32 s8, s33
	s_cselect_b32 s8, s9, s8
	s_sub_i32 s9, s8, s33
	s_cmp_ge_u32 s8, s33
	s_cselect_b32 s58, s9, s8
	s_mov_b64 s[8:9], s[58:59]
	v_readlane_b32 s58, v56, 57
.LBB177_127:                            ;   in Loop: Header=BB177_31 Depth=1
	v_readlane_b32 s10, v56, 29
	v_readlane_b32 s12, v56, 31
	s_sub_u32 s10, s10, s8
	v_readlane_b32 s13, v56, 32
	s_subb_u32 s11, s13, s9
	v_cmp_gt_u64_e32 vcc, s[10:11], v[0:1]
                                        ; implicit-def: $vgpr8
	s_and_saveexec_b64 s[8:9], vcc
	s_cbranch_execz .LBB177_136
; %bb.128:                              ;   in Loop: Header=BB177_31 Depth=1
	v_mov_b32_e32 v4, v20
	v_mov_b32_e32 v7, v1
	s_mov_b64 s[12:13], 0
	v_mov_b32_e32 v5, v21
	v_mov_b32_e32 v6, v0
                                        ; implicit-def: $sgpr20_sgpr21
	s_branch .LBB177_131
.LBB177_129:                            ;   in Loop: Header=BB177_131 Depth=2
	s_or_b64 exec, exec, s[38:39]
	s_waitcnt lgkmcnt(0)
	s_barrier
	ds_read_b32 v2, v3 offset:3072
	s_mov_b64 s[38:39], -1
	s_waitcnt lgkmcnt(0)
	s_barrier
	v_cmp_ne_u32_sdwa s[42:43], v2, v3 src0_sel:WORD_0 src1_sel:DWORD
	s_and_b64 vcc, exec, s[42:43]
	s_mov_b64 s[42:43], -1
	s_cbranch_vccz .LBB177_134
.LBB177_130:                            ;   in Loop: Header=BB177_131 Depth=2
	s_and_b64 s[38:39], exec, s[38:39]
	s_or_b64 s[12:13], s[38:39], s[12:13]
	s_andn2_b64 s[20:21], s[20:21], exec
	s_and_b64 s[38:39], s[42:43], exec
	s_or_b64 s[20:21], s[20:21], s[38:39]
	s_andn2_b64 exec, exec, s[12:13]
	s_cbranch_execz .LBB177_135
.LBB177_131:                            ;   Parent Loop BB177_31 Depth=1
                                        ; =>  This Inner Loop Header: Depth=2
	v_cmp_gt_u64_e32 vcc, s[28:29], v[6:7]
	s_and_saveexec_b64 s[38:39], vcc
	s_cbranch_execz .LBB177_129
; %bb.132:                              ;   in Loop: Header=BB177_131 Depth=2
	global_load_ushort v2, v[4:5], off
	s_waitcnt vmcnt(0)
	v_add_u32_sdwa v8, sext(v2), s67 dst_sel:DWORD dst_unused:UNUSED_PAD src0_sel:WORD_0 src1_sel:DWORD
	v_and_b32_e32 v8, v8, v10
	v_cmp_eq_u32_e32 vcc, v8, v11
	s_and_b64 exec, exec, vcc
	s_cbranch_execz .LBB177_129
; %bb.133:                              ;   in Loop: Header=BB177_131 Depth=2
	v_perm_b32 v2, v2, 1, v52
	ds_write_b32 v3, v2 offset:3072
	s_branch .LBB177_129
.LBB177_134:                            ;   in Loop: Header=BB177_131 Depth=2
	v_add_co_u32_e32 v6, vcc, s33, v6
	v_addc_co_u32_e32 v7, vcc, 0, v7, vcc
	v_mov_b32_e32 v8, s41
	v_add_co_u32_e32 v4, vcc, s40, v4
	v_addc_co_u32_e32 v5, vcc, v5, v8, vcc
	v_cmp_le_u64_e32 vcc, s[10:11], v[6:7]
	s_mov_b64 s[42:43], 0
	s_orn2_b64 s[38:39], vcc, exec
	s_branch .LBB177_130
.LBB177_135:                            ;   in Loop: Header=BB177_31 Depth=1
	s_or_b64 exec, exec, s[12:13]
	s_andn2_b64 s[4:5], s[4:5], exec
	s_and_b64 s[10:11], s[20:21], exec
	v_lshrrev_b32_e32 v8, 16, v2
	s_or_b64 s[4:5], s[4:5], s[10:11]
.LBB177_136:                            ;   in Loop: Header=BB177_31 Depth=1
	s_or_b64 exec, exec, s[8:9]
	s_mov_b64 s[42:43], 0
	s_mov_b64 s[74:75], -1
.LBB177_137:                            ;   in Loop: Header=BB177_31 Depth=1
	s_orn2_b64 s[4:5], s[4:5], exec
.LBB177_138:                            ;   in Loop: Header=BB177_31 Depth=1
	s_or_b64 exec, exec, s[2:3]
	s_mov_b64 s[20:21], 0
	s_mov_b64 s[38:39], 0
	;; [unrolled: 1-line block ×3, first 2 shown]
                                        ; implicit-def: $vgpr4_vgpr5
                                        ; implicit-def: $vgpr2
	s_and_saveexec_b64 s[70:71], s[4:5]
	s_cbranch_execz .LBB177_297
; %bb.139:                              ;   in Loop: Header=BB177_31 Depth=1
	v_mov_b32_e32 v4, 1
	s_xor_b64 s[4:5], s[6:7], -1
	v_mov_b32_e32 v2, 1
	v_mov_b32_e32 v5, 0
	s_mov_b64 s[6:7], 0
	s_and_saveexec_b64 s[2:3], s[4:5]
	s_cbranch_execz .LBB177_148
; %bb.140:                              ;   in Loop: Header=BB177_31 Depth=1
	v_cmp_ge_u64_e32 vcc, s[22:23], v[29:30]
	s_and_saveexec_b64 s[4:5], vcc
	s_xor_b64 s[4:5], exec, s[4:5]
	s_cbranch_execz .LBB177_145
; %bb.141:                              ;   in Loop: Header=BB177_31 Depth=1
	ds_read_b64 v[4:5], v3 offset:5120
	v_readlane_b32 s6, v56, 58
	v_and_b32_e32 v11, s6, v11
	v_or_b32_e32 v10, s1, v10
	s_waitcnt lgkmcnt(0)
	v_cmp_ne_u64_e32 vcc, 0, v[4:5]
	s_cbranch_vccnz .LBB177_145
; %bb.142:                              ;   in Loop: Header=BB177_31 Depth=1
	s_mov_b64 s[6:7], exec
	v_readlane_b32 s8, v56, 8
	v_readlane_b32 s9, v56, 9
	s_and_b64 s[8:9], s[6:7], s[8:9]
	s_mov_b64 exec, s[8:9]
; %bb.143:                              ;   in Loop: Header=BB177_31 Depth=1
	v_mov_b32_e32 v4, s22
	v_mov_b32_e32 v5, s23
	ds_write_b64 v3, v[4:5] offset:5128
; %bb.144:                              ;   in Loop: Header=BB177_31 Depth=1
	s_or_b64 exec, exec, s[6:7]
	s_waitcnt lgkmcnt(0)
	s_barrier
.LBB177_145:                            ;   in Loop: Header=BB177_31 Depth=1
	s_or_saveexec_b64 s[4:5], s[4:5]
	v_mov_b32_e32 v4, v29
	s_mov_b64 s[6:7], 0
	v_mov_b32_e32 v2, 8
	v_mov_b32_e32 v5, v30
	s_xor_b64 exec, exec, s[4:5]
; %bb.146:                              ;   in Loop: Header=BB177_31 Depth=1
	v_subrev_co_u32_e32 v4, vcc, s22, v29
	v_mov_b32_e32 v2, s23
	v_subb_co_u32_e32 v5, vcc, v30, v2, vcc
	v_mov_b32_e32 v2, 0
	s_mov_b64 s[6:7], exec
; %bb.147:                              ;   in Loop: Header=BB177_31 Depth=1
	s_or_b64 exec, exec, s[4:5]
	s_and_b64 s[6:7], s[6:7], exec
.LBB177_148:                            ;   in Loop: Header=BB177_31 Depth=1
	s_or_b64 exec, exec, s[2:3]
	s_mov_b64 s[4:5], -1
                                        ; implicit-def: $sgpr38_sgpr39
                                        ; implicit-def: $sgpr72_sgpr73
	s_and_saveexec_b64 s[2:3], s[6:7]
	s_xor_b64 s[2:3], exec, s[2:3]
	s_cbranch_execz .LBB177_294
; %bb.149:                              ;   in Loop: Header=BB177_31 Depth=1
	s_cmp_eq_u64 s[48:49], 1
	v_cmp_eq_u64_e32 vcc, 1, v[4:5]
	s_cselect_b64 s[4:5], -1, 0
	s_and_b64 s[8:9], s[4:5], vcc
	s_mov_b64 s[4:5], -1
                                        ; implicit-def: $sgpr72_sgpr73
                                        ; implicit-def: $sgpr38_sgpr39
	s_and_saveexec_b64 s[6:7], s[8:9]
	s_cbranch_execz .LBB177_183
; %bb.150:                              ;   in Loop: Header=BB177_31 Depth=1
	ds_read_b64 v[6:7], v3 offset:5120
	s_waitcnt lgkmcnt(0)
	s_barrier
	v_readfirstlane_b32 s4, v6
	v_readfirstlane_b32 s5, v7
	s_mov_b64 s[10:11], exec
	v_readlane_b32 s12, v56, 24
	v_readlane_b32 s13, v56, 25
	s_and_b64 s[12:13], s[10:11], s[12:13]
	s_mov_b64 exec, s[12:13]
; %bb.151:                              ;   in Loop: Header=BB177_31 Depth=1
	ds_write_b16 v50, v3
; %bb.152:                              ;   in Loop: Header=BB177_31 Depth=1
	s_or_b64 exec, exec, s[10:11]
	v_readlane_b32 s10, v56, 58
	v_and_b32_e32 v6, s10, v11
	v_lshl_or_b32 v11, 1, s0, v6
	v_or_b32_e32 v10, s1, v10
	s_mov_b64 s[38:39], -1
	s_mov_b64 s[72:73], 0
	s_cmp_eq_u64 s[4:5], 0
	s_mov_b64 s[10:11], 0
	s_mov_b64 s[12:13], -1
	s_waitcnt lgkmcnt(0)
	s_barrier
                                        ; implicit-def: $vgpr8
	s_cbranch_scc1 .LBB177_168
; %bb.153:                              ;   in Loop: Header=BB177_31 Depth=1
	v_readlane_b32 s10, v56, 28
	s_add_u32 s62, s4, s10
	v_readlane_b32 s10, v56, 30
	s_addc_u32 s11, s5, s10
	s_mov_b32 s10, s59
	s_cmp_lg_u64 s[10:11], 0
	s_cbranch_scc0 .LBB177_209
; %bb.154:                              ;   in Loop: Header=BB177_31 Depth=1
	v_cvt_f32_u32_e32 v6, s33
	s_sub_u32 s10, 0, s33
	s_subb_u32 s58, 0, 0
	v_mac_f32_e32 v6, 0, v51
	v_rcp_f32_e32 v6, v6
	v_mul_f32_e32 v6, 0x5f7ffffc, v6
	v_mul_f32_e32 v7, 0x2f800000, v6
	v_trunc_f32_e32 v7, v7
	v_mac_f32_e32 v6, 0xcf800000, v7
	v_cvt_u32_f32_e32 v7, v7
	v_cvt_u32_f32_e32 v6, v6
	v_readfirstlane_b32 s60, v7
	v_readfirstlane_b32 s12, v6
	s_mul_i32 s13, s10, s60
	s_mul_hi_u32 s63, s10, s12
	s_mul_i32 s61, s58, s12
	s_add_i32 s13, s63, s13
	s_mul_i32 s64, s10, s12
	s_add_i32 s13, s13, s61
	s_mul_hi_u32 s63, s12, s64
	s_mul_i32 s65, s12, s13
	s_mul_hi_u32 s61, s12, s13
	s_add_u32 s63, s63, s65
	s_addc_u32 s61, 0, s61
	s_mul_hi_u32 s68, s60, s64
	s_mul_i32 s64, s60, s64
	s_add_u32 s63, s63, s64
	s_mul_hi_u32 s65, s60, s13
	s_addc_u32 s61, s61, s68
	s_addc_u32 s63, s65, 0
	s_mul_i32 s13, s60, s13
	s_add_u32 s13, s61, s13
	s_addc_u32 s61, 0, s63
	s_add_u32 s63, s12, s13
	s_cselect_b64 s[12:13], -1, 0
	s_cmp_lg_u64 s[12:13], 0
	s_addc_u32 s60, s60, s61
	s_mul_i32 s12, s10, s60
	s_mul_hi_u32 s13, s10, s63
	s_add_i32 s12, s13, s12
	s_mul_i32 s58, s58, s63
	s_add_i32 s12, s12, s58
	s_mul_i32 s10, s10, s63
	s_mul_hi_u32 s58, s60, s10
	s_mul_i32 s61, s60, s10
	s_mul_i32 s65, s63, s12
	s_mul_hi_u32 s10, s63, s10
	s_mul_hi_u32 s64, s63, s12
	s_add_u32 s10, s10, s65
	s_addc_u32 s64, 0, s64
	s_add_u32 s10, s10, s61
	s_mul_hi_u32 s13, s60, s12
	s_addc_u32 s10, s64, s58
	s_addc_u32 s13, s13, 0
	s_mul_i32 s12, s60, s12
	s_add_u32 s10, s10, s12
	s_addc_u32 s58, 0, s13
	s_add_u32 s10, s63, s10
	s_cselect_b64 s[12:13], -1, 0
	s_cmp_lg_u64 s[12:13], 0
	s_addc_u32 s12, s60, s58
	s_mul_i32 s58, s62, s12
	s_mul_hi_u32 s60, s62, s10
	s_mul_hi_u32 s13, s62, s12
	s_add_u32 s58, s60, s58
	s_addc_u32 s13, 0, s13
	s_mul_hi_u32 s61, s11, s10
	s_mul_i32 s10, s11, s10
	s_add_u32 s10, s58, s10
	s_mul_hi_u32 s60, s11, s12
	s_addc_u32 s10, s13, s61
	s_addc_u32 s13, s60, 0
	s_mul_i32 s12, s11, s12
	s_add_u32 s10, s10, s12
	s_addc_u32 s12, 0, s13
	s_mul_i32 s12, s33, s12
	s_mul_hi_u32 s13, s33, s10
	s_add_i32 s58, s13, s12
	s_mul_i32 s10, s33, s10
	s_sub_u32 s10, s62, s10
	s_cselect_b64 s[12:13], -1, 0
	s_cmp_lg_u64 s[12:13], 0
	s_subb_u32 s58, s11, s58
	s_sub_u32 s60, s10, s33
	s_cselect_b64 s[12:13], -1, 0
	s_cmp_lg_u64 s[12:13], 0
	s_subb_u32 s61, s58, 0
	;; [unrolled: 4-line block ×3, first 2 shown]
	s_cmp_ge_u32 s60, s33
	s_cselect_b32 s13, -1, 0
	s_cmp_eq_u32 s61, 0
	s_cselect_b32 s13, s13, -1
	s_cmp_lg_u32 s13, 0
	s_cselect_b32 s12, s12, s61
	s_cselect_b32 s60, s63, s60
	s_cmp_ge_u32 s10, s33
	s_cselect_b32 s13, -1, 0
	s_cmp_eq_u32 s58, 0
	s_cselect_b32 s13, s13, -1
	s_cmp_lg_u32 s13, 0
	s_cselect_b32 s13, s12, s58
	s_cselect_b32 s12, s60, s10
	s_cbranch_execnz .LBB177_156
.LBB177_155:                            ;   in Loop: Header=BB177_31 Depth=1
	v_cvt_f32_u32_e32 v6, s33
	s_sub_i32 s10, 0, s33
	v_rcp_iflag_f32_e32 v6, v6
	v_mul_f32_e32 v6, 0x4f7ffffe, v6
	v_cvt_u32_f32_e32 v6, v6
	v_readfirstlane_b32 s12, v6
	s_mul_i32 s10, s10, s12
	s_mul_hi_u32 s10, s12, s10
	s_add_i32 s12, s12, s10
	s_mul_hi_u32 s10, s62, s12
	s_mul_i32 s10, s10, s33
	s_sub_i32 s10, s62, s10
	s_sub_i32 s12, s10, s33
	s_cmp_ge_u32 s10, s33
	s_cselect_b32 s10, s12, s10
	s_sub_i32 s12, s10, s33
	s_cmp_ge_u32 s10, s33
	s_cselect_b32 s58, s12, s10
	s_mov_b64 s[12:13], s[58:59]
.LBB177_156:                            ;   in Loop: Header=BB177_31 Depth=1
	s_sub_u32 s60, s62, s12
	s_subb_u32 s61, s11, s13
	v_cmp_gt_u64_e32 vcc, s[60:61], v[0:1]
	s_mov_b64 s[12:13], 0
	s_mov_b64 s[10:11], 0
                                        ; implicit-def: $vgpr8
	s_and_saveexec_b64 s[64:65], vcc
	v_readlane_b32 s58, v56, 57
	s_cbranch_execz .LBB177_167
; %bb.157:                              ;   in Loop: Header=BB177_31 Depth=1
	v_mov_b32_e32 v7, v1
	v_mov_b32_e32 v8, v49
	;; [unrolled: 1-line block ×3, first 2 shown]
                                        ; implicit-def: $sgpr62_sgpr63
	s_branch .LBB177_160
.LBB177_158:                            ;   in Loop: Header=BB177_160 Depth=2
	s_or_b64 exec, exec, s[68:69]
	s_waitcnt lgkmcnt(0)
	s_barrier
	ds_read_b32 v9, v3 offset:3072
	s_mov_b64 s[68:69], -1
	s_waitcnt lgkmcnt(0)
	s_barrier
	v_cmp_ne_u32_sdwa s[78:79], v9, v3 src0_sel:WORD_0 src1_sel:DWORD
	s_and_b64 vcc, exec, s[78:79]
	s_mov_b64 s[78:79], -1
	s_cbranch_vccz .LBB177_163
.LBB177_159:                            ;   in Loop: Header=BB177_160 Depth=2
	s_and_b64 s[68:69], exec, s[68:69]
	s_or_b64 s[10:11], s[68:69], s[10:11]
	s_andn2_b64 s[62:63], s[62:63], exec
	s_and_b64 s[68:69], s[78:79], exec
	s_or_b64 s[62:63], s[62:63], s[68:69]
	s_andn2_b64 exec, exec, s[10:11]
	s_cbranch_execz .LBB177_166
.LBB177_160:                            ;   Parent Loop BB177_31 Depth=1
                                        ; =>  This Inner Loop Header: Depth=2
	v_cmp_gt_u64_e32 vcc, s[4:5], v[6:7]
	s_and_saveexec_b64 s[68:69], vcc
	s_cbranch_execz .LBB177_158
; %bb.161:                              ;   in Loop: Header=BB177_160 Depth=2
	ds_read_u16 v9, v8
	s_waitcnt lgkmcnt(0)
	v_add_u32_sdwa v31, sext(v9), s67 dst_sel:DWORD dst_unused:UNUSED_PAD src0_sel:WORD_0 src1_sel:DWORD
	v_and_b32_e32 v31, v31, v10
	v_cmp_eq_u32_e32 vcc, v31, v11
	s_and_b64 exec, exec, vcc
	s_cbranch_execz .LBB177_158
; %bb.162:                              ;   in Loop: Header=BB177_160 Depth=2
	v_perm_b32 v9, v9, 1, v52
	ds_write_b32 v3, v9 offset:3072
	s_branch .LBB177_158
.LBB177_163:                            ;   in Loop: Header=BB177_160 Depth=2
	v_add_co_u32_e32 v6, vcc, s33, v6
	v_addc_co_u32_e32 v7, vcc, 0, v7, vcc
	v_cmp_le_u64_e32 vcc, s[60:61], v[6:7]
	v_readlane_b32 s58, v56, 44
	v_add_u32_e32 v8, s58, v8
	v_readlane_b32 s58, v56, 57
	s_mov_b64 s[78:79], 0
	s_orn2_b64 s[68:69], vcc, exec
	s_branch .LBB177_159
.LBB177_164:                            ;   in Loop: Header=BB177_31 Depth=1
                                        ; implicit-def: $sgpr10_sgpr11
	s_branch .LBB177_109
.LBB177_165:                            ;   in Loop: Header=BB177_31 Depth=1
                                        ; implicit-def: $sgpr8_sgpr9
	s_branch .LBB177_126
.LBB177_166:                            ;   in Loop: Header=BB177_31 Depth=1
	s_or_b64 exec, exec, s[10:11]
	v_lshrrev_b32_e32 v8, 16, v9
	s_and_b64 s[10:11], s[62:63], exec
.LBB177_167:                            ;   in Loop: Header=BB177_31 Depth=1
	s_or_b64 exec, exec, s[64:65]
.LBB177_168:                            ;   in Loop: Header=BB177_31 Depth=1
	s_and_b64 vcc, exec, s[12:13]
	s_cbranch_vccz .LBB177_182
; %bb.169:                              ;   in Loop: Header=BB177_31 Depth=1
	v_readlane_b32 s62, v56, 31
	v_readlane_b32 s63, v56, 32
	s_mov_b32 s62, s59
	s_cmp_lg_u64 s[62:63], 0
	v_writelane_b32 v56, s62, 31
	v_writelane_b32 v56, s63, 32
	s_cbranch_scc0 .LBB177_210
; %bb.170:                              ;   in Loop: Header=BB177_31 Depth=1
	v_cvt_f32_u32_e32 v6, s33
	s_sub_u32 s12, 0, s33
	s_subb_u32 s13, 0, 0
	v_mac_f32_e32 v6, 0, v51
	v_rcp_f32_e32 v6, v6
	v_mul_f32_e32 v6, 0x5f7ffffc, v6
	v_mul_f32_e32 v7, 0x2f800000, v6
	v_trunc_f32_e32 v7, v7
	v_mac_f32_e32 v6, 0xcf800000, v7
	v_cvt_u32_f32_e32 v7, v7
	v_cvt_u32_f32_e32 v6, v6
	v_readfirstlane_b32 s38, v7
	v_readfirstlane_b32 s4, v6
	s_mul_i32 s5, s12, s38
	s_mul_hi_u32 s58, s12, s4
	s_mul_i32 s39, s13, s4
	s_add_i32 s5, s58, s5
	s_mul_i32 s60, s12, s4
	s_add_i32 s5, s5, s39
	s_mul_hi_u32 s58, s4, s60
	s_mul_i32 s61, s4, s5
	s_mul_hi_u32 s39, s4, s5
	s_add_u32 s58, s58, s61
	s_addc_u32 s39, 0, s39
	s_mul_hi_u32 s62, s38, s60
	s_mul_i32 s60, s38, s60
	s_add_u32 s58, s58, s60
	s_mul_hi_u32 s61, s38, s5
	s_addc_u32 s39, s39, s62
	s_addc_u32 s58, s61, 0
	s_mul_i32 s5, s38, s5
	s_add_u32 s5, s39, s5
	s_addc_u32 s39, 0, s58
	s_add_u32 s58, s4, s5
	s_cselect_b64 s[4:5], -1, 0
	s_cmp_lg_u64 s[4:5], 0
	s_addc_u32 s38, s38, s39
	s_mul_i32 s4, s12, s38
	s_mul_hi_u32 s5, s12, s58
	s_add_i32 s4, s5, s4
	s_mul_i32 s13, s13, s58
	s_add_i32 s4, s4, s13
	s_mul_i32 s12, s12, s58
	s_mul_hi_u32 s13, s38, s12
	s_mul_i32 s39, s38, s12
	s_mul_i32 s61, s58, s4
	s_mul_hi_u32 s12, s58, s12
	s_mul_hi_u32 s60, s58, s4
	s_add_u32 s12, s12, s61
	s_addc_u32 s60, 0, s60
	s_add_u32 s12, s12, s39
	s_mul_hi_u32 s5, s38, s4
	s_addc_u32 s12, s60, s13
	s_addc_u32 s5, s5, 0
	s_mul_i32 s4, s38, s4
	s_add_u32 s4, s12, s4
	s_addc_u32 s12, 0, s5
	s_add_u32 s13, s58, s4
	s_cselect_b64 s[4:5], -1, 0
	s_cmp_lg_u64 s[4:5], 0
	s_addc_u32 s4, s38, s12
	v_readlane_b32 s58, v56, 29
	s_mul_i32 s12, s58, s4
	s_mul_hi_u32 s38, s58, s13
	s_mul_hi_u32 s5, s58, s4
	s_add_u32 s12, s38, s12
	s_addc_u32 s5, 0, s5
	s_mul_hi_u32 s39, s63, s13
	s_mul_i32 s13, s63, s13
	s_add_u32 s12, s12, s13
	s_mul_hi_u32 s38, s63, s4
	s_addc_u32 s5, s5, s39
	s_addc_u32 s12, s38, 0
	s_mul_i32 s4, s63, s4
	s_add_u32 s4, s5, s4
	s_addc_u32 s5, 0, s12
	s_mul_i32 s5, s33, s5
	s_mul_hi_u32 s12, s33, s4
	s_add_i32 s12, s12, s5
	s_mul_i32 s4, s33, s4
	s_sub_u32 s13, s58, s4
	s_cselect_b64 s[4:5], -1, 0
	s_cmp_lg_u64 s[4:5], 0
	s_subb_u32 s12, s63, s12
	s_sub_u32 s38, s13, s33
	s_cselect_b64 s[4:5], -1, 0
	s_cmp_lg_u64 s[4:5], 0
	s_subb_u32 s39, s12, 0
	s_sub_u32 s58, s38, s33
	s_cselect_b64 s[4:5], -1, 0
	s_cmp_lg_u64 s[4:5], 0
	s_subb_u32 s4, s39, 0
	s_cmp_ge_u32 s38, s33
	s_cselect_b32 s5, -1, 0
	s_cmp_eq_u32 s39, 0
	s_cselect_b32 s5, s5, -1
	s_cmp_lg_u32 s5, 0
	s_cselect_b32 s4, s4, s39
	s_cselect_b32 s38, s58, s38
	s_cmp_ge_u32 s13, s33
	s_cselect_b32 s5, -1, 0
	s_cmp_eq_u32 s12, 0
	s_cselect_b32 s5, s5, -1
	s_cmp_lg_u32 s5, 0
	s_cselect_b32 s5, s4, s12
	s_cselect_b32 s4, s38, s13
	s_cbranch_execnz .LBB177_172
.LBB177_171:                            ;   in Loop: Header=BB177_31 Depth=1
	v_cvt_f32_u32_e32 v6, s33
	s_sub_i32 s4, 0, s33
	v_readlane_b32 s12, v56, 29
	v_rcp_iflag_f32_e32 v6, v6
	v_mul_f32_e32 v6, 0x4f7ffffe, v6
	v_cvt_u32_f32_e32 v6, v6
	v_readfirstlane_b32 s5, v6
	s_mul_i32 s4, s4, s5
	s_mul_hi_u32 s4, s5, s4
	s_add_i32 s5, s5, s4
	s_mul_hi_u32 s4, s12, s5
	s_mul_i32 s4, s4, s33
	s_sub_i32 s4, s12, s4
	s_sub_i32 s5, s4, s33
	s_cmp_ge_u32 s4, s33
	s_cselect_b32 s4, s5, s4
	s_sub_i32 s5, s4, s33
	s_cmp_ge_u32 s4, s33
	s_cselect_b32 s58, s5, s4
	s_mov_b64 s[4:5], s[58:59]
.LBB177_172:                            ;   in Loop: Header=BB177_31 Depth=1
	v_readlane_b32 s12, v56, 29
	v_readlane_b32 s38, v56, 31
	s_sub_u32 s12, s12, s4
	v_readlane_b32 s39, v56, 32
	s_subb_u32 s13, s39, s5
	v_cmp_gt_u64_e32 vcc, s[12:13], v[0:1]
                                        ; implicit-def: $vgpr8
	s_and_saveexec_b64 s[4:5], vcc
	v_readlane_b32 s58, v56, 57
	s_cbranch_execz .LBB177_181
; %bb.173:                              ;   in Loop: Header=BB177_31 Depth=1
	v_mov_b32_e32 v6, v20
	v_mov_b32_e32 v9, v1
	s_mov_b64 s[38:39], 0
	v_mov_b32_e32 v7, v21
	v_mov_b32_e32 v8, v0
                                        ; implicit-def: $sgpr60_sgpr61
	s_branch .LBB177_176
.LBB177_174:                            ;   in Loop: Header=BB177_176 Depth=2
	s_or_b64 exec, exec, s[62:63]
	s_waitcnt lgkmcnt(0)
	s_barrier
	ds_read_b32 v31, v3 offset:3072
	s_mov_b64 s[62:63], -1
	s_waitcnt lgkmcnt(0)
	s_barrier
	v_cmp_eq_u32_sdwa s[64:65], v31, v3 src0_sel:WORD_0 src1_sel:DWORD
	s_and_b64 vcc, exec, s[64:65]
	s_mov_b64 s[64:65], -1
	s_cbranch_vccnz .LBB177_179
.LBB177_175:                            ;   in Loop: Header=BB177_176 Depth=2
	s_and_b64 s[62:63], exec, s[62:63]
	s_or_b64 s[38:39], s[62:63], s[38:39]
	s_andn2_b64 s[60:61], s[60:61], exec
	s_and_b64 s[62:63], s[64:65], exec
	s_or_b64 s[60:61], s[60:61], s[62:63]
	s_andn2_b64 exec, exec, s[38:39]
	s_cbranch_execz .LBB177_180
.LBB177_176:                            ;   Parent Loop BB177_31 Depth=1
                                        ; =>  This Inner Loop Header: Depth=2
	v_cmp_gt_u64_e32 vcc, s[28:29], v[8:9]
	s_and_saveexec_b64 s[62:63], vcc
	s_cbranch_execz .LBB177_174
; %bb.177:                              ;   in Loop: Header=BB177_176 Depth=2
	global_load_ushort v31, v[6:7], off
	s_waitcnt vmcnt(0)
	v_add_u32_sdwa v32, sext(v31), s67 dst_sel:DWORD dst_unused:UNUSED_PAD src0_sel:WORD_0 src1_sel:DWORD
	v_and_b32_e32 v32, v32, v10
	v_cmp_eq_u32_e32 vcc, v32, v11
	s_and_b64 exec, exec, vcc
	s_cbranch_execz .LBB177_174
; %bb.178:                              ;   in Loop: Header=BB177_176 Depth=2
	v_perm_b32 v31, v31, 1, v52
	ds_write_b32 v3, v31 offset:3072
	s_branch .LBB177_174
.LBB177_179:                            ;   in Loop: Header=BB177_176 Depth=2
	v_add_co_u32_e32 v8, vcc, s33, v8
	v_addc_co_u32_e32 v9, vcc, 0, v9, vcc
	v_mov_b32_e32 v32, s41
	v_add_co_u32_e32 v6, vcc, s40, v6
	v_addc_co_u32_e32 v7, vcc, v7, v32, vcc
	v_cmp_le_u64_e32 vcc, s[12:13], v[8:9]
	s_mov_b64 s[64:65], 0
	s_orn2_b64 s[62:63], vcc, exec
	s_branch .LBB177_175
.LBB177_180:                            ;   in Loop: Header=BB177_31 Depth=1
	s_or_b64 exec, exec, s[38:39]
	s_andn2_b64 s[10:11], s[10:11], exec
	s_and_b64 s[12:13], s[60:61], exec
	v_lshrrev_b32_e32 v8, 16, v31
	s_or_b64 s[10:11], s[10:11], s[12:13]
.LBB177_181:                            ;   in Loop: Header=BB177_31 Depth=1
	s_or_b64 exec, exec, s[4:5]
	s_mov_b64 s[38:39], 0
	s_mov_b64 s[72:73], -1
.LBB177_182:                            ;   in Loop: Header=BB177_31 Depth=1
	s_orn2_b64 s[4:5], s[10:11], exec
.LBB177_183:                            ;   in Loop: Header=BB177_31 Depth=1
	s_or_b64 exec, exec, s[6:7]
	s_mov_b64 s[10:11], 0
	s_and_saveexec_b64 s[6:7], s[4:5]
	s_cbranch_execz .LBB177_293
; %bb.184:                              ;   in Loop: Header=BB177_31 Depth=1
	v_mov_b32_e32 v6, 1
	s_xor_b64 s[8:9], s[8:9], -1
	v_mov_b32_e32 v2, 1
	v_mov_b32_e32 v7, 0
	s_and_saveexec_b64 s[4:5], s[8:9]
	s_cbranch_execz .LBB177_193
; %bb.185:                              ;   in Loop: Header=BB177_31 Depth=1
	v_cmp_ge_u64_e32 vcc, s[48:49], v[4:5]
	s_and_saveexec_b64 s[8:9], vcc
	s_xor_b64 s[8:9], exec, s[8:9]
	s_cbranch_execz .LBB177_190
; %bb.186:                              ;   in Loop: Header=BB177_31 Depth=1
	ds_read_b64 v[6:7], v3 offset:5120
	v_readlane_b32 s10, v56, 58
	v_and_b32_e32 v2, s10, v11
	v_lshl_or_b32 v11, 1, s0, v2
	v_or_b32_e32 v10, s1, v10
	s_waitcnt lgkmcnt(0)
	v_cmp_ne_u64_e32 vcc, 0, v[6:7]
	s_cbranch_vccnz .LBB177_190
; %bb.187:                              ;   in Loop: Header=BB177_31 Depth=1
	s_mov_b64 s[10:11], exec
	v_readlane_b32 s12, v56, 8
	v_readlane_b32 s13, v56, 9
	s_and_b64 s[12:13], s[10:11], s[12:13]
	s_mov_b64 exec, s[12:13]
; %bb.188:                              ;   in Loop: Header=BB177_31 Depth=1
	v_mov_b32_e32 v6, s48
	v_mov_b32_e32 v7, s49
	ds_write_b64 v3, v[6:7] offset:5128
; %bb.189:                              ;   in Loop: Header=BB177_31 Depth=1
	s_or_b64 exec, exec, s[10:11]
	s_waitcnt lgkmcnt(0)
	s_barrier
.LBB177_190:                            ;   in Loop: Header=BB177_31 Depth=1
	s_or_saveexec_b64 s[8:9], s[8:9]
	s_mov_b64 s[10:11], 0
	v_mov_b32_e32 v2, 8
	s_xor_b64 exec, exec, s[8:9]
; %bb.191:                              ;   in Loop: Header=BB177_31 Depth=1
	v_subrev_co_u32_e32 v4, vcc, s48, v4
	v_mov_b32_e32 v2, s49
	v_subb_co_u32_e32 v5, vcc, v5, v2, vcc
	v_mov_b32_e32 v2, 0
	s_mov_b64 s[10:11], exec
; %bb.192:                              ;   in Loop: Header=BB177_31 Depth=1
	s_or_b64 exec, exec, s[8:9]
	v_mov_b32_e32 v7, v5
	s_and_b64 s[10:11], s[10:11], exec
	v_mov_b32_e32 v6, v4
.LBB177_193:                            ;   in Loop: Header=BB177_31 Depth=1
	s_or_b64 exec, exec, s[4:5]
	s_mov_b64 s[4:5], -1
                                        ; implicit-def: $sgpr8_sgpr9
                                        ; kill: killed $sgpr8_sgpr9
                                        ; implicit-def: $sgpr8_sgpr9
                                        ; kill: killed $sgpr8_sgpr9
	s_and_saveexec_b64 s[78:79], s[10:11]
	s_cbranch_execz .LBB177_292
; %bb.194:                              ;   in Loop: Header=BB177_31 Depth=1
	s_cmp_eq_u64 s[16:17], 1
	v_cmp_eq_u64_e32 vcc, 1, v[6:7]
	s_cselect_b64 s[4:5], -1, 0
	s_and_b64 s[10:11], s[4:5], vcc
	s_mov_b64 s[4:5], -1
                                        ; implicit-def: $sgpr8_sgpr9
                                        ; kill: killed $sgpr8_sgpr9
                                        ; implicit-def: $sgpr8_sgpr9
                                        ; kill: killed $sgpr8_sgpr9
	v_writelane_b32 v56, s10, 63
	v_writelane_b32 v55, s11, 0
	s_and_saveexec_b64 s[12:13], s[10:11]
	s_cbranch_execz .LBB177_228
; %bb.195:                              ;   in Loop: Header=BB177_31 Depth=1
	ds_read_b64 v[4:5], v3 offset:5120
	s_waitcnt lgkmcnt(0)
	s_barrier
	v_readfirstlane_b32 s10, v4
	v_readfirstlane_b32 s11, v5
	s_mov_b64 s[4:5], exec
	v_readlane_b32 s8, v56, 24
	v_readlane_b32 s9, v56, 25
	s_and_b64 s[8:9], s[4:5], s[8:9]
	s_mov_b64 exec, s[8:9]
; %bb.196:                              ;   in Loop: Header=BB177_31 Depth=1
	ds_write_b16 v50, v3
; %bb.197:                              ;   in Loop: Header=BB177_31 Depth=1
	s_or_b64 exec, exec, s[4:5]
	v_readlane_b32 s4, v56, 58
	v_and_b32_e32 v4, s4, v11
	s_mov_b64 s[4:5], -1
	v_writelane_b32 v56, s4, 61
	v_writelane_b32 v56, s5, 62
	s_mov_b64 s[4:5], 0
	v_writelane_b32 v56, s4, 59
	v_lshl_or_b32 v11, 2, s0, v4
	v_or_b32_e32 v10, s1, v10
	v_writelane_b32 v56, s5, 60
	s_cmp_eq_u64 s[10:11], 0
	s_mov_b64 s[4:5], 0
	s_mov_b64 s[64:65], -1
	s_waitcnt lgkmcnt(0)
	s_barrier
                                        ; implicit-def: $vgpr8
	s_cbranch_scc1 .LBB177_213
; %bb.198:                              ;   in Loop: Header=BB177_31 Depth=1
	v_readlane_b32 s4, v56, 28
	s_add_u32 s62, s10, s4
	v_readlane_b32 s4, v56, 30
	s_addc_u32 s5, s11, s4
	s_mov_b32 s4, s59
	s_cmp_lg_u64 s[4:5], 0
	s_cbranch_scc0 .LBB177_245
; %bb.199:                              ;   in Loop: Header=BB177_31 Depth=1
	v_cvt_f32_u32_e32 v4, s33
	s_sub_u32 s4, 0, s33
	s_subb_u32 s58, 0, 0
	v_mac_f32_e32 v4, 0, v51
	v_rcp_f32_e32 v4, v4
	v_mul_f32_e32 v4, 0x5f7ffffc, v4
	v_mul_f32_e32 v5, 0x2f800000, v4
	v_trunc_f32_e32 v5, v5
	v_mac_f32_e32 v4, 0xcf800000, v5
	v_cvt_u32_f32_e32 v5, v5
	v_cvt_u32_f32_e32 v4, v4
	v_readfirstlane_b32 s60, v5
	v_readfirstlane_b32 s8, v4
	s_mul_i32 s9, s4, s60
	s_mul_hi_u32 s63, s4, s8
	s_mul_i32 s61, s58, s8
	s_add_i32 s9, s63, s9
	s_mul_i32 s64, s4, s8
	s_add_i32 s9, s9, s61
	s_mul_hi_u32 s63, s8, s64
	s_mul_i32 s65, s8, s9
	s_mul_hi_u32 s61, s8, s9
	s_add_u32 s63, s63, s65
	s_addc_u32 s61, 0, s61
	s_mul_hi_u32 s68, s60, s64
	s_mul_i32 s64, s60, s64
	s_add_u32 s63, s63, s64
	s_mul_hi_u32 s65, s60, s9
	s_addc_u32 s61, s61, s68
	s_addc_u32 s63, s65, 0
	s_mul_i32 s9, s60, s9
	s_add_u32 s9, s61, s9
	s_addc_u32 s61, 0, s63
	s_add_u32 s63, s8, s9
	s_cselect_b64 s[8:9], -1, 0
	s_cmp_lg_u64 s[8:9], 0
	s_addc_u32 s60, s60, s61
	s_mul_i32 s8, s4, s60
	s_mul_hi_u32 s9, s4, s63
	s_add_i32 s8, s9, s8
	s_mul_i32 s58, s58, s63
	s_add_i32 s8, s8, s58
	s_mul_i32 s4, s4, s63
	s_mul_hi_u32 s58, s60, s4
	s_mul_i32 s61, s60, s4
	s_mul_i32 s65, s63, s8
	s_mul_hi_u32 s4, s63, s4
	s_mul_hi_u32 s64, s63, s8
	s_add_u32 s4, s4, s65
	s_addc_u32 s64, 0, s64
	s_add_u32 s4, s4, s61
	s_mul_hi_u32 s9, s60, s8
	s_addc_u32 s4, s64, s58
	s_addc_u32 s9, s9, 0
	s_mul_i32 s8, s60, s8
	s_add_u32 s4, s4, s8
	s_addc_u32 s58, 0, s9
	s_add_u32 s4, s63, s4
	s_cselect_b64 s[8:9], -1, 0
	s_cmp_lg_u64 s[8:9], 0
	s_addc_u32 s8, s60, s58
	s_mul_i32 s58, s62, s8
	s_mul_hi_u32 s60, s62, s4
	s_mul_hi_u32 s9, s62, s8
	s_add_u32 s58, s60, s58
	s_addc_u32 s9, 0, s9
	s_mul_hi_u32 s61, s5, s4
	s_mul_i32 s4, s5, s4
	s_add_u32 s4, s58, s4
	s_mul_hi_u32 s60, s5, s8
	s_addc_u32 s4, s9, s61
	s_addc_u32 s9, s60, 0
	s_mul_i32 s8, s5, s8
	s_add_u32 s4, s4, s8
	s_addc_u32 s8, 0, s9
	s_mul_i32 s8, s33, s8
	s_mul_hi_u32 s9, s33, s4
	s_add_i32 s58, s9, s8
	s_mul_i32 s4, s33, s4
	s_sub_u32 s4, s62, s4
	s_cselect_b64 s[8:9], -1, 0
	s_cmp_lg_u64 s[8:9], 0
	s_subb_u32 s58, s5, s58
	s_sub_u32 s60, s4, s33
	s_cselect_b64 s[8:9], -1, 0
	s_cmp_lg_u64 s[8:9], 0
	s_subb_u32 s61, s58, 0
	;; [unrolled: 4-line block ×3, first 2 shown]
	s_cmp_ge_u32 s60, s33
	s_cselect_b32 s9, -1, 0
	s_cmp_eq_u32 s61, 0
	s_cselect_b32 s9, s9, -1
	s_cmp_lg_u32 s9, 0
	s_cselect_b32 s8, s8, s61
	s_cselect_b32 s9, s63, s60
	s_cmp_ge_u32 s4, s33
	s_cselect_b32 s60, -1, 0
	s_cmp_eq_u32 s58, 0
	s_cselect_b32 s60, s60, -1
	s_cmp_lg_u32 s60, 0
	s_cselect_b32 s61, s8, s58
	s_cselect_b32 s60, s9, s4
	s_cbranch_execnz .LBB177_201
.LBB177_200:                            ;   in Loop: Header=BB177_31 Depth=1
	v_cvt_f32_u32_e32 v4, s33
	s_sub_i32 s4, 0, s33
	v_rcp_iflag_f32_e32 v4, v4
	v_mul_f32_e32 v4, 0x4f7ffffe, v4
	v_cvt_u32_f32_e32 v4, v4
	v_readfirstlane_b32 s8, v4
	s_mul_i32 s4, s4, s8
	s_mul_hi_u32 s4, s8, s4
	s_add_i32 s8, s8, s4
	s_mul_hi_u32 s4, s62, s8
	s_mul_i32 s4, s4, s33
	s_sub_i32 s4, s62, s4
	s_sub_i32 s8, s4, s33
	s_cmp_ge_u32 s4, s33
	s_cselect_b32 s4, s8, s4
	s_sub_i32 s8, s4, s33
	s_cmp_ge_u32 s4, s33
	s_cselect_b32 s58, s8, s4
	s_mov_b64 s[60:61], s[58:59]
.LBB177_201:                            ;   in Loop: Header=BB177_31 Depth=1
	s_sub_u32 s62, s62, s60
	s_subb_u32 s63, s5, s61
	v_cmp_gt_u64_e32 vcc, s[62:63], v[0:1]
	s_mov_b64 s[64:65], 0
	s_mov_b64 s[4:5], 0
                                        ; implicit-def: $vgpr8
	s_and_saveexec_b64 s[60:61], vcc
	v_readlane_b32 s58, v56, 57
	s_cbranch_execz .LBB177_212
; %bb.202:                              ;   in Loop: Header=BB177_31 Depth=1
	v_mov_b32_e32 v5, v1
	v_writelane_b32 v55, s78, 1
	v_mov_b32_e32 v8, v49
	v_mov_b32_e32 v4, v0
	v_writelane_b32 v55, s79, 2
                                        ; implicit-def: $sgpr68_sgpr69
	s_branch .LBB177_205
.LBB177_203:                            ;   in Loop: Header=BB177_205 Depth=2
	s_or_b64 exec, exec, s[8:9]
	s_waitcnt lgkmcnt(0)
	s_barrier
	ds_read_b32 v9, v3 offset:3072
	s_mov_b64 s[8:9], -1
	s_waitcnt lgkmcnt(0)
	s_barrier
	v_cmp_ne_u32_sdwa s[78:79], v9, v3 src0_sel:WORD_0 src1_sel:DWORD
	s_and_b64 vcc, exec, s[78:79]
	s_mov_b64 s[78:79], -1
	s_cbranch_vccz .LBB177_208
.LBB177_204:                            ;   in Loop: Header=BB177_205 Depth=2
	s_and_b64 s[8:9], exec, s[8:9]
	s_or_b64 s[4:5], s[8:9], s[4:5]
	s_andn2_b64 s[8:9], s[68:69], exec
	s_and_b64 s[68:69], s[78:79], exec
	s_or_b64 s[68:69], s[8:9], s[68:69]
	s_andn2_b64 exec, exec, s[4:5]
	s_cbranch_execz .LBB177_211
.LBB177_205:                            ;   Parent Loop BB177_31 Depth=1
                                        ; =>  This Inner Loop Header: Depth=2
	v_cmp_gt_u64_e32 vcc, s[10:11], v[4:5]
	s_and_saveexec_b64 s[8:9], vcc
	s_cbranch_execz .LBB177_203
; %bb.206:                              ;   in Loop: Header=BB177_205 Depth=2
	ds_read_u16 v9, v8
	s_waitcnt lgkmcnt(0)
	v_add_u32_sdwa v31, sext(v9), s67 dst_sel:DWORD dst_unused:UNUSED_PAD src0_sel:WORD_0 src1_sel:DWORD
	v_and_b32_e32 v31, v31, v10
	v_cmp_eq_u32_e32 vcc, v31, v11
	s_and_b64 exec, exec, vcc
	s_cbranch_execz .LBB177_203
; %bb.207:                              ;   in Loop: Header=BB177_205 Depth=2
	v_perm_b32 v9, v9, 1, v52
	ds_write_b32 v3, v9 offset:3072
	s_branch .LBB177_203
.LBB177_208:                            ;   in Loop: Header=BB177_205 Depth=2
	v_add_co_u32_e32 v4, vcc, s33, v4
	v_addc_co_u32_e32 v5, vcc, 0, v5, vcc
	v_cmp_le_u64_e32 vcc, s[62:63], v[4:5]
	v_readlane_b32 s8, v56, 44
	v_add_u32_e32 v8, s8, v8
	s_mov_b64 s[78:79], 0
	s_orn2_b64 s[8:9], vcc, exec
	s_branch .LBB177_204
.LBB177_209:                            ;   in Loop: Header=BB177_31 Depth=1
                                        ; implicit-def: $sgpr12_sgpr13
	s_branch .LBB177_155
.LBB177_210:                            ;   in Loop: Header=BB177_31 Depth=1
                                        ; implicit-def: $sgpr4_sgpr5
	s_branch .LBB177_171
.LBB177_211:                            ;   in Loop: Header=BB177_31 Depth=1
	s_or_b64 exec, exec, s[4:5]
	v_readlane_b32 s78, v55, 1
	v_lshrrev_b32_e32 v8, 16, v9
	s_and_b64 s[4:5], s[68:69], exec
	v_readlane_b32 s79, v55, 2
.LBB177_212:                            ;   in Loop: Header=BB177_31 Depth=1
	s_or_b64 exec, exec, s[60:61]
.LBB177_213:                            ;   in Loop: Header=BB177_31 Depth=1
	s_and_b64 vcc, exec, s[64:65]
	s_cbranch_vccz .LBB177_227
; %bb.214:                              ;   in Loop: Header=BB177_31 Depth=1
	v_readlane_b32 s64, v56, 31
	v_readlane_b32 s65, v56, 32
	s_mov_b32 s64, s59
	s_cmp_lg_u64 s[64:65], 0
	v_writelane_b32 v56, s64, 31
	v_writelane_b32 v56, s65, 32
	s_cbranch_scc0 .LBB177_246
; %bb.215:                              ;   in Loop: Header=BB177_31 Depth=1
	v_cvt_f32_u32_e32 v4, s33
	s_sub_u32 s10, 0, s33
	s_subb_u32 s11, 0, 0
	v_mac_f32_e32 v4, 0, v51
	v_rcp_f32_e32 v4, v4
	v_mul_f32_e32 v4, 0x5f7ffffc, v4
	v_mul_f32_e32 v5, 0x2f800000, v4
	v_trunc_f32_e32 v5, v5
	v_mac_f32_e32 v4, 0xcf800000, v5
	v_cvt_u32_f32_e32 v5, v5
	v_cvt_u32_f32_e32 v4, v4
	v_readfirstlane_b32 s58, v5
	v_readfirstlane_b32 s8, v4
	s_mul_i32 s9, s10, s58
	s_mul_hi_u32 s61, s10, s8
	s_mul_i32 s60, s11, s8
	s_add_i32 s9, s61, s9
	s_mul_i32 s62, s10, s8
	s_add_i32 s9, s9, s60
	s_mul_hi_u32 s61, s8, s62
	s_mul_i32 s63, s8, s9
	s_mul_hi_u32 s60, s8, s9
	s_add_u32 s61, s61, s63
	s_addc_u32 s60, 0, s60
	s_mul_hi_u32 s64, s58, s62
	s_mul_i32 s62, s58, s62
	s_add_u32 s61, s61, s62
	s_mul_hi_u32 s63, s58, s9
	s_addc_u32 s60, s60, s64
	s_addc_u32 s61, s63, 0
	s_mul_i32 s9, s58, s9
	s_add_u32 s9, s60, s9
	s_addc_u32 s60, 0, s61
	s_add_u32 s61, s8, s9
	s_cselect_b64 s[8:9], -1, 0
	s_cmp_lg_u64 s[8:9], 0
	s_addc_u32 s58, s58, s60
	s_mul_i32 s8, s10, s58
	s_mul_hi_u32 s9, s10, s61
	s_add_i32 s8, s9, s8
	s_mul_i32 s11, s11, s61
	s_add_i32 s8, s8, s11
	s_mul_i32 s10, s10, s61
	s_mul_hi_u32 s11, s58, s10
	s_mul_i32 s60, s58, s10
	s_mul_i32 s63, s61, s8
	s_mul_hi_u32 s10, s61, s10
	s_mul_hi_u32 s62, s61, s8
	s_add_u32 s10, s10, s63
	s_addc_u32 s62, 0, s62
	s_add_u32 s10, s10, s60
	s_mul_hi_u32 s9, s58, s8
	s_addc_u32 s10, s62, s11
	s_addc_u32 s9, s9, 0
	s_mul_i32 s8, s58, s8
	s_add_u32 s8, s10, s8
	s_addc_u32 s10, 0, s9
	s_add_u32 s11, s61, s8
	s_cselect_b64 s[8:9], -1, 0
	s_cmp_lg_u64 s[8:9], 0
	s_addc_u32 s8, s58, s10
	v_readlane_b32 s61, v56, 29
	s_mul_i32 s10, s61, s8
	s_mul_hi_u32 s58, s61, s11
	s_mul_hi_u32 s9, s61, s8
	s_add_u32 s10, s58, s10
	s_addc_u32 s9, 0, s9
	s_mul_hi_u32 s60, s65, s11
	s_mul_i32 s11, s65, s11
	s_add_u32 s10, s10, s11
	s_mul_hi_u32 s58, s65, s8
	s_addc_u32 s9, s9, s60
	s_addc_u32 s10, s58, 0
	s_mul_i32 s8, s65, s8
	s_add_u32 s8, s9, s8
	s_addc_u32 s9, 0, s10
	s_mul_i32 s9, s33, s9
	s_mul_hi_u32 s10, s33, s8
	s_add_i32 s10, s10, s9
	s_mul_i32 s8, s33, s8
	s_sub_u32 s58, s61, s8
	s_cselect_b64 s[8:9], -1, 0
	s_cmp_lg_u64 s[8:9], 0
	s_subb_u32 s10, s65, s10
	s_sub_u32 s11, s58, s33
	s_cselect_b64 s[8:9], -1, 0
	s_cmp_lg_u64 s[8:9], 0
	s_subb_u32 s60, s10, 0
	;; [unrolled: 4-line block ×3, first 2 shown]
	s_cmp_ge_u32 s11, s33
	s_cselect_b32 s9, -1, 0
	s_cmp_eq_u32 s60, 0
	s_cselect_b32 s9, s9, -1
	s_cmp_lg_u32 s9, 0
	s_cselect_b32 s8, s8, s60
	s_cselect_b32 s9, s61, s11
	s_cmp_ge_u32 s58, s33
	s_cselect_b32 s11, -1, 0
	s_cmp_eq_u32 s10, 0
	s_cselect_b32 s11, s11, -1
	s_cmp_lg_u32 s11, 0
	s_cselect_b32 s11, s8, s10
	s_cselect_b32 s10, s9, s58
	s_cbranch_execnz .LBB177_217
.LBB177_216:                            ;   in Loop: Header=BB177_31 Depth=1
	v_cvt_f32_u32_e32 v4, s33
	s_sub_i32 s8, 0, s33
	v_readlane_b32 s10, v56, 29
	v_rcp_iflag_f32_e32 v4, v4
	v_mul_f32_e32 v4, 0x4f7ffffe, v4
	v_cvt_u32_f32_e32 v4, v4
	v_readfirstlane_b32 s9, v4
	s_mul_i32 s8, s8, s9
	s_mul_hi_u32 s8, s9, s8
	s_add_i32 s9, s9, s8
	s_mul_hi_u32 s8, s10, s9
	s_mul_i32 s8, s8, s33
	s_sub_i32 s8, s10, s8
	s_sub_i32 s9, s8, s33
	s_cmp_ge_u32 s8, s33
	s_cselect_b32 s8, s9, s8
	s_sub_i32 s9, s8, s33
	s_cmp_ge_u32 s8, s33
	s_cselect_b32 s58, s9, s8
	s_mov_b64 s[10:11], s[58:59]
.LBB177_217:                            ;   in Loop: Header=BB177_31 Depth=1
	v_readlane_b32 s8, v56, 29
	s_sub_u32 s64, s8, s10
	v_readlane_b32 s8, v56, 31
	v_readlane_b32 s9, v56, 32
	s_subb_u32 s65, s9, s11
	v_cmp_gt_u64_e32 vcc, s[64:65], v[0:1]
                                        ; implicit-def: $vgpr8
	s_and_saveexec_b64 s[10:11], vcc
	v_readlane_b32 s58, v56, 57
	s_cbranch_execz .LBB177_226
; %bb.218:                              ;   in Loop: Header=BB177_31 Depth=1
	v_mov_b32_e32 v4, v20
	v_mov_b32_e32 v9, v1
	s_mov_b64 s[60:61], 0
	v_mov_b32_e32 v5, v21
	v_mov_b32_e32 v8, v0
                                        ; implicit-def: $sgpr62_sgpr63
	s_branch .LBB177_221
.LBB177_219:                            ;   in Loop: Header=BB177_221 Depth=2
	s_or_b64 exec, exec, s[8:9]
	s_waitcnt lgkmcnt(0)
	s_barrier
	ds_read_b32 v31, v3 offset:3072
	s_mov_b64 s[8:9], -1
	s_waitcnt lgkmcnt(0)
	s_barrier
	v_cmp_eq_u32_sdwa s[68:69], v31, v3 src0_sel:WORD_0 src1_sel:DWORD
	s_and_b64 vcc, exec, s[68:69]
	s_mov_b64 s[68:69], -1
	s_cbranch_vccnz .LBB177_224
.LBB177_220:                            ;   in Loop: Header=BB177_221 Depth=2
	s_and_b64 s[8:9], exec, s[8:9]
	s_or_b64 s[60:61], s[8:9], s[60:61]
	s_andn2_b64 s[8:9], s[62:63], exec
	s_and_b64 s[62:63], s[68:69], exec
	s_or_b64 s[62:63], s[8:9], s[62:63]
	s_andn2_b64 exec, exec, s[60:61]
	s_cbranch_execz .LBB177_225
.LBB177_221:                            ;   Parent Loop BB177_31 Depth=1
                                        ; =>  This Inner Loop Header: Depth=2
	v_cmp_gt_u64_e32 vcc, s[28:29], v[8:9]
	s_and_saveexec_b64 s[8:9], vcc
	s_cbranch_execz .LBB177_219
; %bb.222:                              ;   in Loop: Header=BB177_221 Depth=2
	global_load_ushort v31, v[4:5], off
	s_waitcnt vmcnt(0)
	v_add_u32_sdwa v32, sext(v31), s67 dst_sel:DWORD dst_unused:UNUSED_PAD src0_sel:WORD_0 src1_sel:DWORD
	v_and_b32_e32 v32, v32, v10
	v_cmp_eq_u32_e32 vcc, v32, v11
	s_and_b64 exec, exec, vcc
	s_cbranch_execz .LBB177_219
; %bb.223:                              ;   in Loop: Header=BB177_221 Depth=2
	v_perm_b32 v31, v31, 1, v52
	ds_write_b32 v3, v31 offset:3072
	s_branch .LBB177_219
.LBB177_224:                            ;   in Loop: Header=BB177_221 Depth=2
	v_add_co_u32_e32 v8, vcc, s33, v8
	v_addc_co_u32_e32 v9, vcc, 0, v9, vcc
	v_mov_b32_e32 v32, s41
	v_add_co_u32_e32 v4, vcc, s40, v4
	v_addc_co_u32_e32 v5, vcc, v5, v32, vcc
	v_cmp_le_u64_e32 vcc, s[64:65], v[8:9]
	s_mov_b64 s[68:69], 0
	s_orn2_b64 s[8:9], vcc, exec
	s_branch .LBB177_220
.LBB177_225:                            ;   in Loop: Header=BB177_31 Depth=1
	s_or_b64 exec, exec, s[60:61]
	s_andn2_b64 s[4:5], s[4:5], exec
	s_and_b64 s[8:9], s[62:63], exec
	v_lshrrev_b32_e32 v8, 16, v31
	s_or_b64 s[4:5], s[4:5], s[8:9]
.LBB177_226:                            ;   in Loop: Header=BB177_31 Depth=1
	s_or_b64 exec, exec, s[10:11]
	s_mov_b64 s[8:9], 0
	v_writelane_b32 v56, s8, 61
	v_writelane_b32 v56, s9, 62
	s_mov_b64 s[8:9], -1
	v_writelane_b32 v56, s8, 59
	v_writelane_b32 v56, s9, 60
.LBB177_227:                            ;   in Loop: Header=BB177_31 Depth=1
	s_orn2_b64 s[4:5], s[4:5], exec
.LBB177_228:                            ;   in Loop: Header=BB177_31 Depth=1
	s_or_b64 exec, exec, s[12:13]
	s_mov_b64 s[10:11], 0
	s_and_saveexec_b64 s[12:13], s[4:5]
	s_cbranch_execz .LBB177_291
; %bb.229:                              ;   in Loop: Header=BB177_31 Depth=1
	v_readlane_b32 s4, v56, 63
	v_readlane_b32 s5, v55, 0
	v_mov_b32_e32 v4, 1
	s_xor_b64 s[8:9], s[4:5], -1
	v_mov_b32_e32 v2, 1
	v_mov_b32_e32 v5, 0
	s_and_saveexec_b64 s[4:5], s[8:9]
	s_cbranch_execz .LBB177_238
; %bb.230:                              ;   in Loop: Header=BB177_31 Depth=1
	v_cmp_ge_u64_e32 vcc, s[16:17], v[6:7]
	s_and_saveexec_b64 s[8:9], vcc
	s_xor_b64 s[10:11], exec, s[8:9]
	s_cbranch_execz .LBB177_235
; %bb.231:                              ;   in Loop: Header=BB177_31 Depth=1
	ds_read_b64 v[4:5], v3 offset:5120
	v_readlane_b32 s8, v56, 58
	v_and_b32_e32 v2, s8, v11
	v_lshl_or_b32 v11, 2, s0, v2
	v_or_b32_e32 v10, s1, v10
	s_waitcnt lgkmcnt(0)
	v_cmp_ne_u64_e32 vcc, 0, v[4:5]
	s_cbranch_vccnz .LBB177_235
; %bb.232:                              ;   in Loop: Header=BB177_31 Depth=1
	s_mov_b64 s[8:9], exec
	v_readlane_b32 s60, v56, 8
	v_readlane_b32 s61, v56, 9
	s_and_b64 s[60:61], s[8:9], s[60:61]
	s_mov_b64 exec, s[60:61]
; %bb.233:                              ;   in Loop: Header=BB177_31 Depth=1
	v_mov_b32_e32 v4, s16
	v_mov_b32_e32 v5, s17
	ds_write_b64 v3, v[4:5] offset:5128
; %bb.234:                              ;   in Loop: Header=BB177_31 Depth=1
	s_or_b64 exec, exec, s[8:9]
	s_waitcnt lgkmcnt(0)
	s_barrier
.LBB177_235:                            ;   in Loop: Header=BB177_31 Depth=1
	s_or_saveexec_b64 s[10:11], s[10:11]
	s_mov_b64 s[60:61], 0
	v_mov_b32_e32 v2, 8
	s_xor_b64 exec, exec, s[10:11]
; %bb.236:                              ;   in Loop: Header=BB177_31 Depth=1
	v_subrev_co_u32_e32 v6, vcc, s16, v6
	v_mov_b32_e32 v2, s17
	v_subb_co_u32_e32 v7, vcc, v7, v2, vcc
	v_mov_b32_e32 v2, 0
	s_mov_b64 s[60:61], exec
; %bb.237:                              ;   in Loop: Header=BB177_31 Depth=1
	s_or_b64 exec, exec, s[10:11]
	v_mov_b32_e32 v4, v6
	s_and_b64 s[10:11], s[60:61], exec
	v_mov_b32_e32 v5, v7
.LBB177_238:                            ;   in Loop: Header=BB177_31 Depth=1
	s_or_b64 exec, exec, s[4:5]
	s_mov_b64 s[4:5], -1
                                        ; implicit-def: $sgpr8_sgpr9
                                        ; kill: killed $sgpr8_sgpr9
                                        ; implicit-def: $sgpr64_sgpr65
	s_and_saveexec_b64 s[62:63], s[10:11]
	s_cbranch_execz .LBB177_290
; %bb.239:                              ;   in Loop: Header=BB177_31 Depth=1
	s_cmp_eq_u64 s[14:15], 1
	v_cmp_eq_u64_e32 vcc, 1, v[4:5]
	v_writelane_b32 v55, s62, 3
	s_cselect_b64 s[4:5], -1, 0
	s_mov_b64 s[10:11], -1
	v_writelane_b32 v55, s63, 4
	s_and_b64 s[4:5], s[4:5], vcc
                                        ; implicit-def: $sgpr8_sgpr9
                                        ; kill: killed $sgpr8_sgpr9
                                        ; implicit-def: $sgpr64_sgpr65
	s_mov_b64 s[8:9], exec
	v_writelane_b32 v55, s4, 5
	v_writelane_b32 v55, s5, 6
	;; [unrolled: 1-line block ×3, first 2 shown]
	s_and_b64 s[4:5], s[8:9], s[4:5]
	v_writelane_b32 v55, s9, 8
	s_mov_b64 exec, s[4:5]
	s_cbranch_execz .LBB177_278
; %bb.240:                              ;   in Loop: Header=BB177_31 Depth=1
	ds_read_b64 v[6:7], v3 offset:5120
	s_waitcnt lgkmcnt(0)
	s_barrier
	v_readfirstlane_b32 s10, v6
	v_readfirstlane_b32 s11, v7
	s_mov_b64 s[4:5], exec
	v_readlane_b32 s8, v56, 24
	v_readlane_b32 s9, v56, 25
	s_and_b64 s[8:9], s[4:5], s[8:9]
	s_mov_b64 exec, s[8:9]
; %bb.241:                              ;   in Loop: Header=BB177_31 Depth=1
	ds_write_b16 v50, v3
; %bb.242:                              ;   in Loop: Header=BB177_31 Depth=1
	s_or_b64 exec, exec, s[4:5]
	s_mov_b64 s[4:5], 0
	v_writelane_b32 v56, s4, 63
	v_or_b32_e32 v11, s1, v11
	v_or_b32_e32 v10, s1, v10
	v_writelane_b32 v55, s5, 0
	s_cmp_eq_u64 s[10:11], 0
	s_mov_b64 s[4:5], 0
	s_mov_b64 s[64:65], -1
	s_waitcnt lgkmcnt(0)
	s_barrier
                                        ; implicit-def: $vgpr8
	s_cbranch_scc1 .LBB177_260
; %bb.243:                              ;   in Loop: Header=BB177_31 Depth=1
	v_readlane_b32 s4, v56, 28
	s_add_u32 s62, s10, s4
	v_readlane_b32 s4, v56, 30
	s_addc_u32 s5, s11, s4
	s_mov_b32 s4, s59
	s_cmp_lg_u64 s[4:5], 0
	s_cbranch_scc0 .LBB177_247
; %bb.244:                              ;   in Loop: Header=BB177_31 Depth=1
	v_cvt_f32_u32_e32 v6, s33
	s_sub_u32 s4, 0, s33
	s_subb_u32 s58, 0, 0
	v_mac_f32_e32 v6, 0, v51
	v_rcp_f32_e32 v6, v6
	v_mul_f32_e32 v6, 0x5f7ffffc, v6
	v_mul_f32_e32 v7, 0x2f800000, v6
	v_trunc_f32_e32 v7, v7
	v_mac_f32_e32 v6, 0xcf800000, v7
	v_cvt_u32_f32_e32 v7, v7
	v_cvt_u32_f32_e32 v6, v6
	v_readfirstlane_b32 s60, v7
	v_readfirstlane_b32 s8, v6
	s_mul_i32 s9, s4, s60
	s_mul_hi_u32 s63, s4, s8
	s_mul_i32 s61, s58, s8
	s_add_i32 s9, s63, s9
	s_mul_i32 s64, s4, s8
	s_add_i32 s9, s9, s61
	s_mul_hi_u32 s63, s8, s64
	s_mul_i32 s65, s8, s9
	s_mul_hi_u32 s61, s8, s9
	s_add_u32 s63, s63, s65
	s_addc_u32 s61, 0, s61
	s_mul_hi_u32 s68, s60, s64
	s_mul_i32 s64, s60, s64
	s_add_u32 s63, s63, s64
	s_mul_hi_u32 s65, s60, s9
	s_addc_u32 s61, s61, s68
	s_addc_u32 s63, s65, 0
	s_mul_i32 s9, s60, s9
	s_add_u32 s9, s61, s9
	s_addc_u32 s61, 0, s63
	s_add_u32 s63, s8, s9
	s_cselect_b64 s[8:9], -1, 0
	s_cmp_lg_u64 s[8:9], 0
	s_addc_u32 s60, s60, s61
	s_mul_i32 s8, s4, s60
	s_mul_hi_u32 s9, s4, s63
	s_add_i32 s8, s9, s8
	s_mul_i32 s58, s58, s63
	s_add_i32 s8, s8, s58
	s_mul_i32 s4, s4, s63
	s_mul_hi_u32 s58, s60, s4
	s_mul_i32 s61, s60, s4
	s_mul_i32 s65, s63, s8
	s_mul_hi_u32 s4, s63, s4
	s_mul_hi_u32 s64, s63, s8
	s_add_u32 s4, s4, s65
	s_addc_u32 s64, 0, s64
	s_add_u32 s4, s4, s61
	s_mul_hi_u32 s9, s60, s8
	s_addc_u32 s4, s64, s58
	s_addc_u32 s9, s9, 0
	s_mul_i32 s8, s60, s8
	s_add_u32 s4, s4, s8
	s_addc_u32 s58, 0, s9
	s_add_u32 s4, s63, s4
	s_cselect_b64 s[8:9], -1, 0
	s_cmp_lg_u64 s[8:9], 0
	s_addc_u32 s8, s60, s58
	s_mul_i32 s58, s62, s8
	s_mul_hi_u32 s60, s62, s4
	s_mul_hi_u32 s9, s62, s8
	s_add_u32 s58, s60, s58
	s_addc_u32 s9, 0, s9
	s_mul_hi_u32 s61, s5, s4
	s_mul_i32 s4, s5, s4
	s_add_u32 s4, s58, s4
	s_mul_hi_u32 s60, s5, s8
	s_addc_u32 s4, s9, s61
	s_addc_u32 s9, s60, 0
	s_mul_i32 s8, s5, s8
	s_add_u32 s4, s4, s8
	s_addc_u32 s8, 0, s9
	s_mul_i32 s8, s33, s8
	s_mul_hi_u32 s9, s33, s4
	s_add_i32 s58, s9, s8
	s_mul_i32 s4, s33, s4
	s_sub_u32 s4, s62, s4
	s_cselect_b64 s[8:9], -1, 0
	s_cmp_lg_u64 s[8:9], 0
	s_subb_u32 s58, s5, s58
	s_sub_u32 s60, s4, s33
	s_cselect_b64 s[8:9], -1, 0
	s_cmp_lg_u64 s[8:9], 0
	s_subb_u32 s61, s58, 0
	;; [unrolled: 4-line block ×3, first 2 shown]
	s_cmp_ge_u32 s60, s33
	s_cselect_b32 s9, -1, 0
	s_cmp_eq_u32 s61, 0
	s_cselect_b32 s9, s9, -1
	s_cmp_lg_u32 s9, 0
	s_cselect_b32 s8, s8, s61
	s_cselect_b32 s9, s63, s60
	s_cmp_ge_u32 s4, s33
	s_cselect_b32 s60, -1, 0
	s_cmp_eq_u32 s58, 0
	s_cselect_b32 s60, s60, -1
	s_cmp_lg_u32 s60, 0
	s_cselect_b32 s61, s8, s58
	v_readlane_b32 s58, v56, 57
	s_cselect_b32 s60, s9, s4
	s_mov_b64 s[8:9], 0
	s_branch .LBB177_248
.LBB177_245:                            ;   in Loop: Header=BB177_31 Depth=1
                                        ; implicit-def: $sgpr60_sgpr61
	s_branch .LBB177_200
.LBB177_246:                            ;   in Loop: Header=BB177_31 Depth=1
                                        ; implicit-def: $sgpr10_sgpr11
	s_branch .LBB177_216
.LBB177_247:                            ;   in Loop: Header=BB177_31 Depth=1
	s_mov_b64 s[8:9], -1
                                        ; implicit-def: $sgpr60_sgpr61
.LBB177_248:                            ;   in Loop: Header=BB177_31 Depth=1
	s_andn2_b64 vcc, exec, s[8:9]
	s_cbranch_vccnz .LBB177_250
; %bb.249:                              ;   in Loop: Header=BB177_31 Depth=1
	v_cvt_f32_u32_e32 v6, s33
	s_sub_i32 s4, 0, s33
	v_rcp_iflag_f32_e32 v6, v6
	v_mul_f32_e32 v6, 0x4f7ffffe, v6
	v_cvt_u32_f32_e32 v6, v6
	v_readfirstlane_b32 s8, v6
	s_mul_i32 s4, s4, s8
	s_mul_hi_u32 s4, s8, s4
	s_add_i32 s8, s8, s4
	s_mul_hi_u32 s4, s62, s8
	s_mul_i32 s4, s4, s33
	s_sub_i32 s4, s62, s4
	s_sub_i32 s8, s4, s33
	s_cmp_ge_u32 s4, s33
	s_cselect_b32 s4, s8, s4
	s_sub_i32 s8, s4, s33
	s_cmp_ge_u32 s4, s33
	s_cselect_b32 s58, s8, s4
	s_mov_b64 s[60:61], s[58:59]
	v_readlane_b32 s58, v56, 57
.LBB177_250:                            ;   in Loop: Header=BB177_31 Depth=1
	s_sub_u32 s62, s62, s60
	s_subb_u32 s63, s5, s61
	v_cmp_gt_u64_e32 vcc, s[62:63], v[0:1]
	s_mov_b64 s[64:65], 0
	s_mov_b64 s[4:5], 0
                                        ; implicit-def: $vgpr8
	s_and_saveexec_b64 s[60:61], vcc
	s_cbranch_execz .LBB177_259
; %bb.251:                              ;   in Loop: Header=BB177_31 Depth=1
	v_mov_b32_e32 v7, v1
	v_writelane_b32 v55, s78, 1
	v_mov_b32_e32 v8, v49
	v_mov_b32_e32 v6, v0
	v_writelane_b32 v55, s79, 2
                                        ; implicit-def: $sgpr68_sgpr69
	s_branch .LBB177_254
.LBB177_252:                            ;   in Loop: Header=BB177_254 Depth=2
	s_or_b64 exec, exec, s[8:9]
	s_waitcnt lgkmcnt(0)
	s_barrier
	ds_read_b32 v9, v3 offset:3072
	s_mov_b64 s[8:9], -1
	s_waitcnt lgkmcnt(0)
	s_barrier
	v_cmp_ne_u32_sdwa s[78:79], v9, v3 src0_sel:WORD_0 src1_sel:DWORD
	s_and_b64 vcc, exec, s[78:79]
	s_mov_b64 s[78:79], -1
	s_cbranch_vccz .LBB177_257
.LBB177_253:                            ;   in Loop: Header=BB177_254 Depth=2
	s_and_b64 s[8:9], exec, s[8:9]
	s_or_b64 s[4:5], s[8:9], s[4:5]
	s_andn2_b64 s[8:9], s[68:69], exec
	s_and_b64 s[68:69], s[78:79], exec
	s_or_b64 s[68:69], s[8:9], s[68:69]
	s_andn2_b64 exec, exec, s[4:5]
	s_cbranch_execz .LBB177_258
.LBB177_254:                            ;   Parent Loop BB177_31 Depth=1
                                        ; =>  This Inner Loop Header: Depth=2
	v_cmp_gt_u64_e32 vcc, s[10:11], v[6:7]
	s_and_saveexec_b64 s[8:9], vcc
	s_cbranch_execz .LBB177_252
; %bb.255:                              ;   in Loop: Header=BB177_254 Depth=2
	ds_read_u16 v9, v8
	s_waitcnt lgkmcnt(0)
	v_add_u32_sdwa v31, sext(v9), s67 dst_sel:DWORD dst_unused:UNUSED_PAD src0_sel:WORD_0 src1_sel:DWORD
	v_and_b32_e32 v31, v31, v10
	v_cmp_eq_u32_e32 vcc, v31, v11
	s_and_b64 exec, exec, vcc
	s_cbranch_execz .LBB177_252
; %bb.256:                              ;   in Loop: Header=BB177_254 Depth=2
	v_perm_b32 v9, v9, 1, v52
	ds_write_b32 v3, v9 offset:3072
	s_branch .LBB177_252
.LBB177_257:                            ;   in Loop: Header=BB177_254 Depth=2
	v_add_co_u32_e32 v6, vcc, s33, v6
	v_addc_co_u32_e32 v7, vcc, 0, v7, vcc
	v_cmp_le_u64_e32 vcc, s[62:63], v[6:7]
	v_readlane_b32 s8, v56, 44
	v_add_u32_e32 v8, s8, v8
	s_mov_b64 s[78:79], 0
	s_orn2_b64 s[8:9], vcc, exec
	s_branch .LBB177_253
.LBB177_258:                            ;   in Loop: Header=BB177_31 Depth=1
	s_or_b64 exec, exec, s[4:5]
	v_readlane_b32 s78, v55, 1
	v_lshrrev_b32_e32 v8, 16, v9
	s_and_b64 s[4:5], s[68:69], exec
	v_readlane_b32 s79, v55, 2
.LBB177_259:                            ;   in Loop: Header=BB177_31 Depth=1
	s_or_b64 exec, exec, s[60:61]
.LBB177_260:                            ;   in Loop: Header=BB177_31 Depth=1
	s_and_b64 vcc, exec, s[64:65]
	s_cbranch_vccz .LBB177_263
; %bb.261:                              ;   in Loop: Header=BB177_31 Depth=1
	v_readlane_b32 s64, v56, 31
	v_readlane_b32 s65, v56, 32
	s_mov_b32 s64, s59
	s_cmp_lg_u64 s[64:65], 0
	v_writelane_b32 v56, s64, 31
	v_writelane_b32 v56, s65, 32
	s_cbranch_scc0 .LBB177_264
; %bb.262:                              ;   in Loop: Header=BB177_31 Depth=1
	v_cvt_f32_u32_e32 v6, s33
	s_sub_u32 s10, 0, s33
	s_subb_u32 s11, 0, 0
	v_mac_f32_e32 v6, 0, v51
	v_rcp_f32_e32 v6, v6
	v_mul_f32_e32 v6, 0x5f7ffffc, v6
	v_mul_f32_e32 v7, 0x2f800000, v6
	v_trunc_f32_e32 v7, v7
	v_mac_f32_e32 v6, 0xcf800000, v7
	v_cvt_u32_f32_e32 v7, v7
	v_cvt_u32_f32_e32 v6, v6
	v_readfirstlane_b32 s58, v7
	v_readfirstlane_b32 s8, v6
	s_mul_i32 s9, s10, s58
	s_mul_hi_u32 s61, s10, s8
	s_mul_i32 s60, s11, s8
	s_add_i32 s9, s61, s9
	s_mul_i32 s62, s10, s8
	s_add_i32 s9, s9, s60
	s_mul_hi_u32 s61, s8, s62
	s_mul_i32 s63, s8, s9
	s_mul_hi_u32 s60, s8, s9
	s_add_u32 s61, s61, s63
	s_addc_u32 s60, 0, s60
	s_mul_hi_u32 s64, s58, s62
	s_mul_i32 s62, s58, s62
	s_add_u32 s61, s61, s62
	s_mul_hi_u32 s63, s58, s9
	s_addc_u32 s60, s60, s64
	s_addc_u32 s61, s63, 0
	s_mul_i32 s9, s58, s9
	s_add_u32 s9, s60, s9
	s_addc_u32 s60, 0, s61
	s_add_u32 s61, s8, s9
	s_cselect_b64 s[8:9], -1, 0
	s_cmp_lg_u64 s[8:9], 0
	s_addc_u32 s58, s58, s60
	s_mul_i32 s8, s10, s58
	s_mul_hi_u32 s9, s10, s61
	s_add_i32 s8, s9, s8
	s_mul_i32 s11, s11, s61
	s_add_i32 s8, s8, s11
	s_mul_i32 s10, s10, s61
	s_mul_hi_u32 s11, s58, s10
	s_mul_i32 s60, s58, s10
	s_mul_i32 s63, s61, s8
	s_mul_hi_u32 s10, s61, s10
	s_mul_hi_u32 s62, s61, s8
	s_add_u32 s10, s10, s63
	s_addc_u32 s62, 0, s62
	s_add_u32 s10, s10, s60
	s_mul_hi_u32 s9, s58, s8
	s_addc_u32 s10, s62, s11
	s_addc_u32 s9, s9, 0
	s_mul_i32 s8, s58, s8
	s_add_u32 s8, s10, s8
	s_addc_u32 s10, 0, s9
	s_add_u32 s11, s61, s8
	s_cselect_b64 s[8:9], -1, 0
	s_cmp_lg_u64 s[8:9], 0
	s_addc_u32 s8, s58, s10
	v_readlane_b32 s61, v56, 29
	s_mul_i32 s10, s61, s8
	s_mul_hi_u32 s58, s61, s11
	s_mul_hi_u32 s9, s61, s8
	s_add_u32 s10, s58, s10
	s_addc_u32 s9, 0, s9
	s_mul_hi_u32 s60, s65, s11
	s_mul_i32 s11, s65, s11
	s_add_u32 s10, s10, s11
	s_mul_hi_u32 s58, s65, s8
	s_addc_u32 s9, s9, s60
	s_addc_u32 s10, s58, 0
	s_mul_i32 s8, s65, s8
	s_add_u32 s8, s9, s8
	s_addc_u32 s9, 0, s10
	s_mul_i32 s9, s33, s9
	s_mul_hi_u32 s10, s33, s8
	s_add_i32 s10, s10, s9
	s_mul_i32 s8, s33, s8
	s_sub_u32 s58, s61, s8
	s_cselect_b64 s[8:9], -1, 0
	s_cmp_lg_u64 s[8:9], 0
	s_subb_u32 s10, s65, s10
	s_sub_u32 s11, s58, s33
	s_cselect_b64 s[8:9], -1, 0
	s_cmp_lg_u64 s[8:9], 0
	s_subb_u32 s60, s10, 0
	;; [unrolled: 4-line block ×3, first 2 shown]
	s_cmp_ge_u32 s11, s33
	s_cselect_b32 s9, -1, 0
	s_cmp_eq_u32 s60, 0
	s_cselect_b32 s9, s9, -1
	s_cmp_lg_u32 s9, 0
	s_cselect_b32 s8, s8, s60
	s_cselect_b32 s9, s61, s11
	s_cmp_ge_u32 s58, s33
	s_cselect_b32 s11, -1, 0
	s_cmp_eq_u32 s10, 0
	s_cselect_b32 s11, s11, -1
	s_cmp_lg_u32 s11, 0
	s_cselect_b32 s11, s8, s10
	s_cselect_b32 s10, s9, s58
	s_mov_b64 s[8:9], 0
	s_branch .LBB177_265
.LBB177_263:                            ;   in Loop: Header=BB177_31 Depth=1
	s_mov_b64 s[64:65], -1
	s_branch .LBB177_277
.LBB177_264:                            ;   in Loop: Header=BB177_31 Depth=1
	s_mov_b64 s[8:9], -1
                                        ; implicit-def: $sgpr10_sgpr11
.LBB177_265:                            ;   in Loop: Header=BB177_31 Depth=1
	s_andn2_b64 vcc, exec, s[8:9]
	s_cbranch_vccnz .LBB177_267
; %bb.266:                              ;   in Loop: Header=BB177_31 Depth=1
	v_cvt_f32_u32_e32 v6, s33
	s_sub_i32 s8, 0, s33
	v_readlane_b32 s10, v56, 29
	v_rcp_iflag_f32_e32 v6, v6
	v_mul_f32_e32 v6, 0x4f7ffffe, v6
	v_cvt_u32_f32_e32 v6, v6
	v_readfirstlane_b32 s9, v6
	s_mul_i32 s8, s8, s9
	s_mul_hi_u32 s8, s9, s8
	s_add_i32 s9, s9, s8
	s_mul_hi_u32 s8, s10, s9
	s_mul_i32 s8, s8, s33
	s_sub_i32 s8, s10, s8
	s_sub_i32 s9, s8, s33
	s_cmp_ge_u32 s8, s33
	s_cselect_b32 s8, s9, s8
	s_sub_i32 s9, s8, s33
	s_cmp_ge_u32 s8, s33
	s_cselect_b32 s58, s9, s8
	s_mov_b64 s[10:11], s[58:59]
.LBB177_267:                            ;   in Loop: Header=BB177_31 Depth=1
	v_readlane_b32 s8, v56, 29
	s_sub_u32 s64, s8, s10
	v_readlane_b32 s8, v56, 31
	v_readlane_b32 s9, v56, 32
	s_subb_u32 s65, s9, s11
	v_cmp_gt_u64_e32 vcc, s[64:65], v[0:1]
                                        ; implicit-def: $vgpr8
	s_and_saveexec_b64 s[10:11], vcc
	v_readlane_b32 s58, v56, 57
	s_cbranch_execz .LBB177_276
; %bb.268:                              ;   in Loop: Header=BB177_31 Depth=1
	v_mov_b32_e32 v6, v20
	v_mov_b32_e32 v9, v1
	s_mov_b64 s[60:61], 0
	v_mov_b32_e32 v7, v21
	v_mov_b32_e32 v8, v0
                                        ; implicit-def: $sgpr62_sgpr63
	s_branch .LBB177_271
.LBB177_269:                            ;   in Loop: Header=BB177_271 Depth=2
	s_or_b64 exec, exec, s[8:9]
	s_waitcnt lgkmcnt(0)
	s_barrier
	ds_read_b32 v31, v3 offset:3072
	s_mov_b64 s[8:9], -1
	s_waitcnt lgkmcnt(0)
	s_barrier
	v_cmp_eq_u32_sdwa s[68:69], v31, v3 src0_sel:WORD_0 src1_sel:DWORD
	s_and_b64 vcc, exec, s[68:69]
	s_mov_b64 s[68:69], -1
	s_cbranch_vccnz .LBB177_274
.LBB177_270:                            ;   in Loop: Header=BB177_271 Depth=2
	s_and_b64 s[8:9], exec, s[8:9]
	s_or_b64 s[60:61], s[8:9], s[60:61]
	s_andn2_b64 s[8:9], s[62:63], exec
	s_and_b64 s[62:63], s[68:69], exec
	s_or_b64 s[62:63], s[8:9], s[62:63]
	s_andn2_b64 exec, exec, s[60:61]
	s_cbranch_execz .LBB177_275
.LBB177_271:                            ;   Parent Loop BB177_31 Depth=1
                                        ; =>  This Inner Loop Header: Depth=2
	v_cmp_gt_u64_e32 vcc, s[28:29], v[8:9]
	s_and_saveexec_b64 s[8:9], vcc
	s_cbranch_execz .LBB177_269
; %bb.272:                              ;   in Loop: Header=BB177_271 Depth=2
	global_load_ushort v31, v[6:7], off
	s_waitcnt vmcnt(0)
	v_add_u32_sdwa v32, sext(v31), s67 dst_sel:DWORD dst_unused:UNUSED_PAD src0_sel:WORD_0 src1_sel:DWORD
	v_and_b32_e32 v32, v32, v10
	v_cmp_eq_u32_e32 vcc, v32, v11
	s_and_b64 exec, exec, vcc
	s_cbranch_execz .LBB177_269
; %bb.273:                              ;   in Loop: Header=BB177_271 Depth=2
	v_perm_b32 v31, v31, 1, v52
	ds_write_b32 v3, v31 offset:3072
	s_branch .LBB177_269
.LBB177_274:                            ;   in Loop: Header=BB177_271 Depth=2
	v_add_co_u32_e32 v8, vcc, s33, v8
	v_addc_co_u32_e32 v9, vcc, 0, v9, vcc
	v_mov_b32_e32 v32, s41
	v_add_co_u32_e32 v6, vcc, s40, v6
	v_addc_co_u32_e32 v7, vcc, v7, v32, vcc
	v_cmp_le_u64_e32 vcc, s[64:65], v[8:9]
	s_mov_b64 s[68:69], 0
	s_orn2_b64 s[8:9], vcc, exec
	s_branch .LBB177_270
.LBB177_275:                            ;   in Loop: Header=BB177_31 Depth=1
	s_or_b64 exec, exec, s[60:61]
	s_andn2_b64 s[4:5], s[4:5], exec
	s_and_b64 s[8:9], s[62:63], exec
	v_lshrrev_b32_e32 v8, 16, v31
	s_or_b64 s[4:5], s[4:5], s[8:9]
.LBB177_276:                            ;   in Loop: Header=BB177_31 Depth=1
	s_or_b64 exec, exec, s[10:11]
	s_mov_b64 s[8:9], -1
	s_mov_b64 s[64:65], 0
	v_writelane_b32 v56, s8, 63
	v_writelane_b32 v55, s9, 0
.LBB177_277:                            ;   in Loop: Header=BB177_31 Depth=1
	s_orn2_b64 s[10:11], s[4:5], exec
.LBB177_278:                            ;   in Loop: Header=BB177_31 Depth=1
	v_readlane_b32 s4, v55, 7
	v_readlane_b32 s5, v55, 8
	s_or_b64 exec, exec, s[4:5]
	s_mov_b64 s[60:61], 0
	s_and_saveexec_b64 s[4:5], s[10:11]
	v_readlane_b32 s62, v55, 3
	v_readlane_b32 s63, v55, 4
	s_cbranch_execz .LBB177_289
; %bb.279:                              ;   in Loop: Header=BB177_31 Depth=1
	v_readlane_b32 s8, v55, 5
	v_readlane_b32 s9, v55, 6
	v_mov_b32_e32 v6, 1
	s_xor_b64 s[8:9], s[8:9], -1
	v_mov_b32_e32 v7, 0
	v_mov_b32_e32 v2, 1
	s_and_saveexec_b64 s[10:11], s[8:9]
	s_cbranch_execz .LBB177_288
; %bb.280:                              ;   in Loop: Header=BB177_31 Depth=1
	v_cmp_ge_u64_e32 vcc, s[14:15], v[4:5]
	s_and_saveexec_b64 s[8:9], vcc
	s_xor_b64 s[60:61], exec, s[8:9]
	s_cbranch_execz .LBB177_285
; %bb.281:                              ;   in Loop: Header=BB177_31 Depth=1
	ds_read_b64 v[6:7], v3 offset:5120
	v_or_b32_e32 v11, s1, v11
	v_or_b32_e32 v10, s1, v10
	s_waitcnt lgkmcnt(0)
	v_cmp_ne_u64_e32 vcc, 0, v[6:7]
	s_cbranch_vccnz .LBB177_285
; %bb.282:                              ;   in Loop: Header=BB177_31 Depth=1
	s_mov_b64 s[8:9], exec
	v_readlane_b32 s62, v56, 8
	v_readlane_b32 s63, v56, 9
	s_and_b64 s[62:63], s[8:9], s[62:63]
	s_mov_b64 exec, s[62:63]
; %bb.283:                              ;   in Loop: Header=BB177_31 Depth=1
	v_mov_b32_e32 v6, s14
	v_mov_b32_e32 v7, s15
	ds_write_b64 v3, v[6:7] offset:5128
; %bb.284:                              ;   in Loop: Header=BB177_31 Depth=1
	s_or_b64 exec, exec, s[8:9]
	s_waitcnt lgkmcnt(0)
	s_barrier
.LBB177_285:                            ;   in Loop: Header=BB177_31 Depth=1
	s_andn2_saveexec_b64 s[60:61], s[60:61]
; %bb.286:                              ;   in Loop: Header=BB177_31 Depth=1
	v_mov_b32_e32 v2, s15
	v_subrev_co_u32_e32 v4, vcc, s14, v4
	v_subb_co_u32_e32 v5, vcc, v5, v2, vcc
; %bb.287:                              ;   in Loop: Header=BB177_31 Depth=1
	s_or_b64 exec, exec, s[60:61]
	v_mov_b32_e32 v7, v5
	v_readlane_b32 s62, v55, 3
	v_mov_b32_e32 v2, 8
	v_mov_b32_e32 v6, v4
	v_readlane_b32 s63, v55, 4
.LBB177_288:                            ;   in Loop: Header=BB177_31 Depth=1
	s_or_b64 exec, exec, s[10:11]
	v_mov_b32_e32 v4, v6
	s_mov_b64 s[60:61], exec
	v_mov_b32_e32 v5, v7
.LBB177_289:                            ;   in Loop: Header=BB177_31 Depth=1
	s_or_b64 exec, exec, s[4:5]
	s_orn2_b64 s[4:5], s[60:61], exec
.LBB177_290:                            ;   in Loop: Header=BB177_31 Depth=1
	s_or_b64 exec, exec, s[62:63]
	v_readlane_b32 s8, v56, 59
	v_readlane_b32 s10, v56, 63
	;; [unrolled: 1-line block ×4, first 2 shown]
	s_andn2_b64 s[8:9], s[8:9], exec
	s_and_b64 s[10:11], s[10:11], exec
	s_or_b64 s[8:9], s[8:9], s[10:11]
	v_writelane_b32 v56, s8, 59
	v_writelane_b32 v56, s9, 60
	v_readlane_b32 s8, v56, 61
	v_readlane_b32 s9, v56, 62
	s_andn2_b64 s[8:9], s[8:9], exec
	s_and_b64 s[10:11], s[64:65], exec
	s_or_b64 s[8:9], s[8:9], s[10:11]
	v_mov_b32_e32 v7, v5
	v_writelane_b32 v56, s8, 61
	s_and_b64 s[10:11], s[4:5], exec
	v_mov_b32_e32 v6, v4
	v_writelane_b32 v56, s9, 62
.LBB177_291:                            ;   in Loop: Header=BB177_31 Depth=1
	s_or_b64 exec, exec, s[12:13]
	s_orn2_b64 s[4:5], s[10:11], exec
.LBB177_292:                            ;   in Loop: Header=BB177_31 Depth=1
	s_or_b64 exec, exec, s[78:79]
	v_readlane_b32 s10, v56, 59
	v_readlane_b32 s11, v56, 60
	s_andn2_b64 s[8:9], s[72:73], exec
	s_and_b64 s[10:11], s[10:11], exec
	s_or_b64 s[72:73], s[8:9], s[10:11]
	v_readlane_b32 s10, v56, 61
	v_readlane_b32 s11, v56, 62
	s_andn2_b64 s[8:9], s[38:39], exec
	s_and_b64 s[10:11], s[10:11], exec
	v_mov_b32_e32 v4, v6
	s_or_b64 s[38:39], s[8:9], s[10:11]
	s_and_b64 s[10:11], s[4:5], exec
	v_mov_b32_e32 v5, v7
.LBB177_293:                            ;   in Loop: Header=BB177_31 Depth=1
	s_or_b64 exec, exec, s[6:7]
	s_orn2_b64 s[4:5], s[10:11], exec
.LBB177_294:                            ;   in Loop: Header=BB177_31 Depth=1
	s_or_b64 exec, exec, s[2:3]
	s_mov_b64 s[6:7], 0
	s_mov_b64 s[2:3], 0
	s_and_saveexec_b64 s[8:9], s[4:5]
	s_xor_b64 s[4:5], exec, s[8:9]
; %bb.295:                              ;   in Loop: Header=BB177_31 Depth=1
	v_cmp_eq_u32_e32 vcc, 8, v2
	v_cmp_ne_u32_e64 s[6:7], 8, v2
	s_and_b64 s[2:3], s[6:7], exec
	s_and_b64 s[6:7], vcc, exec
; %bb.296:                              ;   in Loop: Header=BB177_31 Depth=1
	s_or_b64 exec, exec, s[4:5]
	s_andn2_b64 s[4:5], s[74:75], exec
	s_and_b64 s[8:9], s[72:73], exec
	s_or_b64 s[74:75], s[4:5], s[8:9]
	s_andn2_b64 s[4:5], s[42:43], exec
	s_and_b64 s[8:9], s[38:39], exec
	s_or_b64 s[42:43], s[4:5], s[8:9]
	s_and_b64 s[2:3], s[2:3], exec
	s_and_b64 s[38:39], s[6:7], exec
.LBB177_297:                            ;   in Loop: Header=BB177_31 Depth=1
	s_or_b64 exec, exec, s[70:71]
.LBB177_298:                            ;   in Loop: Header=BB177_31 Depth=1
	s_and_b64 vcc, exec, s[20:21]
	s_cbranch_vccz .LBB177_314
; %bb.299:                              ;   in Loop: Header=BB177_31 Depth=1
	s_cmp_eq_u64 s[14:15], 1
	s_cselect_b64 s[4:5], -1, 0
	s_and_b64 s[6:7], s[4:5], s[18:19]
	s_mov_b64 s[4:5], -1
                                        ; implicit-def: $sgpr18_sgpr19
                                        ; implicit-def: $sgpr24_sgpr25
	s_and_saveexec_b64 s[8:9], s[6:7]
	s_cbranch_execz .LBB177_332
; %bb.300:                              ;   in Loop: Header=BB177_31 Depth=1
	ds_read_b64 v[4:5], v3 offset:5120
	s_waitcnt lgkmcnt(0)
	s_barrier
	v_readfirstlane_b32 s4, v4
	v_readfirstlane_b32 s5, v5
	s_mov_b64 s[10:11], exec
	v_readlane_b32 s12, v56, 24
	v_readlane_b32 s13, v56, 25
	s_and_b64 s[12:13], s[10:11], s[12:13]
	s_mov_b64 exec, s[12:13]
; %bb.301:                              ;   in Loop: Header=BB177_31 Depth=1
	ds_write_b16 v50, v3
; %bb.302:                              ;   in Loop: Header=BB177_31 Depth=1
	s_or_b64 exec, exec, s[10:11]
	v_or_b32_e32 v48, s1, v48
	v_or_b32_e32 v53, s1, v53
	s_mov_b64 s[24:25], -1
	s_mov_b64 s[18:19], 0
	s_cmp_eq_u64 s[4:5], 0
	s_mov_b64 s[10:11], 0
	s_mov_b64 s[12:13], -1
	s_waitcnt lgkmcnt(0)
	s_barrier
                                        ; implicit-def: $vgpr54
	s_cbranch_scc1 .LBB177_317
; %bb.303:                              ;   in Loop: Header=BB177_31 Depth=1
	v_readlane_b32 s10, v56, 28
	s_add_u32 s42, s4, s10
	v_readlane_b32 s10, v56, 30
	s_addc_u32 s11, s5, s10
	s_mov_b32 s10, s59
	s_cmp_lg_u64 s[10:11], 0
	s_cbranch_scc0 .LBB177_358
; %bb.304:                              ;   in Loop: Header=BB177_31 Depth=1
	v_cvt_f32_u32_e32 v2, s33
	s_sub_u32 s10, 0, s33
	s_subb_u32 s20, 0, 0
	v_mac_f32_e32 v2, 0, v51
	v_rcp_f32_e32 v2, v2
	v_mul_f32_e32 v2, 0x5f7ffffc, v2
	v_mul_f32_e32 v4, 0x2f800000, v2
	v_trunc_f32_e32 v4, v4
	v_mac_f32_e32 v2, 0xcf800000, v4
	v_cvt_u32_f32_e32 v4, v4
	v_cvt_u32_f32_e32 v2, v2
	v_readfirstlane_b32 s21, v4
	v_readfirstlane_b32 s12, v2
	s_mul_i32 s13, s10, s21
	s_mul_hi_u32 s58, s10, s12
	s_mul_i32 s43, s20, s12
	s_add_i32 s13, s58, s13
	s_mul_i32 s60, s10, s12
	s_add_i32 s13, s13, s43
	s_mul_hi_u32 s58, s12, s60
	s_mul_i32 s61, s12, s13
	s_mul_hi_u32 s43, s12, s13
	s_add_u32 s58, s58, s61
	s_addc_u32 s43, 0, s43
	s_mul_hi_u32 s62, s21, s60
	s_mul_i32 s60, s21, s60
	s_add_u32 s58, s58, s60
	s_mul_hi_u32 s61, s21, s13
	s_addc_u32 s43, s43, s62
	s_addc_u32 s58, s61, 0
	s_mul_i32 s13, s21, s13
	s_add_u32 s13, s43, s13
	s_addc_u32 s43, 0, s58
	s_add_u32 s58, s12, s13
	s_cselect_b64 s[12:13], -1, 0
	s_cmp_lg_u64 s[12:13], 0
	s_addc_u32 s21, s21, s43
	s_mul_i32 s12, s10, s21
	s_mul_hi_u32 s13, s10, s58
	s_add_i32 s12, s13, s12
	s_mul_i32 s20, s20, s58
	s_add_i32 s12, s12, s20
	s_mul_i32 s10, s10, s58
	s_mul_hi_u32 s20, s21, s10
	s_mul_i32 s43, s21, s10
	s_mul_i32 s61, s58, s12
	s_mul_hi_u32 s10, s58, s10
	s_mul_hi_u32 s60, s58, s12
	s_add_u32 s10, s10, s61
	s_addc_u32 s60, 0, s60
	s_add_u32 s10, s10, s43
	s_mul_hi_u32 s13, s21, s12
	s_addc_u32 s10, s60, s20
	s_addc_u32 s13, s13, 0
	s_mul_i32 s12, s21, s12
	s_add_u32 s10, s10, s12
	s_addc_u32 s20, 0, s13
	s_add_u32 s10, s58, s10
	s_cselect_b64 s[12:13], -1, 0
	s_cmp_lg_u64 s[12:13], 0
	s_addc_u32 s12, s21, s20
	s_mul_i32 s20, s42, s12
	s_mul_hi_u32 s21, s42, s10
	s_mul_hi_u32 s13, s42, s12
	s_add_u32 s20, s21, s20
	s_addc_u32 s13, 0, s13
	s_mul_hi_u32 s43, s11, s10
	s_mul_i32 s10, s11, s10
	s_add_u32 s10, s20, s10
	s_mul_hi_u32 s21, s11, s12
	s_addc_u32 s10, s13, s43
	s_addc_u32 s13, s21, 0
	s_mul_i32 s12, s11, s12
	s_add_u32 s10, s10, s12
	s_addc_u32 s12, 0, s13
	s_mul_i32 s12, s33, s12
	s_mul_hi_u32 s13, s33, s10
	s_add_i32 s20, s13, s12
	s_mul_i32 s10, s33, s10
	s_sub_u32 s10, s42, s10
	s_cselect_b64 s[12:13], -1, 0
	s_cmp_lg_u64 s[12:13], 0
	s_subb_u32 s20, s11, s20
	s_sub_u32 s21, s10, s33
	s_cselect_b64 s[12:13], -1, 0
	s_cmp_lg_u64 s[12:13], 0
	s_subb_u32 s43, s20, 0
	;; [unrolled: 4-line block ×3, first 2 shown]
	s_cmp_ge_u32 s21, s33
	s_cselect_b32 s13, -1, 0
	s_cmp_eq_u32 s43, 0
	s_cselect_b32 s13, s13, -1
	s_cmp_lg_u32 s13, 0
	s_cselect_b32 s12, s12, s43
	s_cselect_b32 s21, s58, s21
	s_cmp_ge_u32 s10, s33
	s_cselect_b32 s13, -1, 0
	s_cmp_eq_u32 s20, 0
	s_cselect_b32 s13, s13, -1
	s_cmp_lg_u32 s13, 0
	s_cselect_b32 s13, s12, s20
	s_cselect_b32 s12, s21, s10
	s_cbranch_execnz .LBB177_306
.LBB177_305:                            ;   in Loop: Header=BB177_31 Depth=1
	v_cvt_f32_u32_e32 v2, s33
	s_sub_i32 s10, 0, s33
	v_rcp_iflag_f32_e32 v2, v2
	v_mul_f32_e32 v2, 0x4f7ffffe, v2
	v_cvt_u32_f32_e32 v2, v2
	v_readfirstlane_b32 s12, v2
	s_mul_i32 s10, s10, s12
	s_mul_hi_u32 s10, s12, s10
	s_add_i32 s12, s12, s10
	s_mul_hi_u32 s10, s42, s12
	s_mul_i32 s10, s10, s33
	s_sub_i32 s10, s42, s10
	s_sub_i32 s12, s10, s33
	s_cmp_ge_u32 s10, s33
	s_cselect_b32 s10, s12, s10
	s_sub_i32 s12, s10, s33
	s_cmp_ge_u32 s10, s33
	s_cselect_b32 s58, s12, s10
	s_mov_b64 s[12:13], s[58:59]
.LBB177_306:                            ;   in Loop: Header=BB177_31 Depth=1
	s_sub_u32 s42, s42, s12
	s_subb_u32 s43, s11, s13
	v_cmp_gt_u64_e32 vcc, s[42:43], v[0:1]
	s_mov_b64 s[12:13], 0
	s_mov_b64 s[10:11], 0
                                        ; implicit-def: $vgpr54
	s_and_saveexec_b64 s[20:21], vcc
	v_readlane_b32 s58, v56, 57
	s_cbranch_execz .LBB177_316
; %bb.307:                              ;   in Loop: Header=BB177_31 Depth=1
	v_mov_b32_e32 v5, v1
	v_mov_b32_e32 v2, v49
	;; [unrolled: 1-line block ×3, first 2 shown]
                                        ; implicit-def: $sgpr60_sgpr61
	s_branch .LBB177_310
.LBB177_308:                            ;   in Loop: Header=BB177_310 Depth=2
	s_or_b64 exec, exec, s[62:63]
	s_waitcnt lgkmcnt(0)
	s_barrier
	ds_read_b32 v6, v3 offset:3072
	s_mov_b64 s[62:63], -1
	s_waitcnt lgkmcnt(0)
	s_barrier
	v_cmp_ne_u32_sdwa s[64:65], v6, v3 src0_sel:WORD_0 src1_sel:DWORD
	s_and_b64 vcc, exec, s[64:65]
	s_mov_b64 s[64:65], -1
	s_cbranch_vccz .LBB177_313
.LBB177_309:                            ;   in Loop: Header=BB177_310 Depth=2
	s_and_b64 s[62:63], exec, s[62:63]
	s_or_b64 s[10:11], s[62:63], s[10:11]
	s_andn2_b64 s[60:61], s[60:61], exec
	s_and_b64 s[62:63], s[64:65], exec
	s_or_b64 s[60:61], s[60:61], s[62:63]
	s_andn2_b64 exec, exec, s[10:11]
	s_cbranch_execz .LBB177_315
.LBB177_310:                            ;   Parent Loop BB177_31 Depth=1
                                        ; =>  This Inner Loop Header: Depth=2
	v_cmp_gt_u64_e32 vcc, s[4:5], v[4:5]
	s_and_saveexec_b64 s[62:63], vcc
	s_cbranch_execz .LBB177_308
; %bb.311:                              ;   in Loop: Header=BB177_310 Depth=2
	ds_read_u16 v6, v2
	s_waitcnt lgkmcnt(0)
	v_add_u32_sdwa v7, sext(v6), s67 dst_sel:DWORD dst_unused:UNUSED_PAD src0_sel:WORD_0 src1_sel:DWORD
	v_and_b32_e32 v7, v7, v53
	v_cmp_eq_u32_e32 vcc, v7, v48
	s_and_b64 exec, exec, vcc
	s_cbranch_execz .LBB177_308
; %bb.312:                              ;   in Loop: Header=BB177_310 Depth=2
	v_perm_b32 v6, v6, 1, v52
	ds_write_b32 v3, v6 offset:3072
	s_branch .LBB177_308
.LBB177_313:                            ;   in Loop: Header=BB177_310 Depth=2
	v_add_co_u32_e32 v4, vcc, s33, v4
	v_addc_co_u32_e32 v5, vcc, 0, v5, vcc
	v_cmp_le_u64_e32 vcc, s[42:43], v[4:5]
	v_readlane_b32 s58, v56, 44
	v_add_u32_e32 v2, s58, v2
	v_readlane_b32 s58, v56, 57
	s_mov_b64 s[64:65], 0
	s_orn2_b64 s[62:63], vcc, exec
	s_branch .LBB177_309
.LBB177_314:                            ;   in Loop: Header=BB177_31 Depth=1
	s_mov_b64 s[18:19], 0
	v_mov_b32_e32 v48, v11
	v_mov_b32_e32 v53, v10
	;; [unrolled: 1-line block ×3, first 2 shown]
	s_and_saveexec_b64 s[4:5], s[38:39]
	s_cbranch_execnz .LBB177_492
	s_branch .LBB177_493
.LBB177_315:                            ;   in Loop: Header=BB177_31 Depth=1
	s_or_b64 exec, exec, s[10:11]
	v_lshrrev_b32_e32 v54, 16, v6
	s_and_b64 s[10:11], s[60:61], exec
.LBB177_316:                            ;   in Loop: Header=BB177_31 Depth=1
	s_or_b64 exec, exec, s[20:21]
.LBB177_317:                            ;   in Loop: Header=BB177_31 Depth=1
	s_and_b64 vcc, exec, s[12:13]
	s_cbranch_vccz .LBB177_331
; %bb.318:                              ;   in Loop: Header=BB177_31 Depth=1
	v_readlane_b32 s42, v56, 31
	v_readlane_b32 s43, v56, 32
	s_mov_b32 s42, s59
	s_cmp_lg_u64 s[42:43], 0
	v_writelane_b32 v56, s42, 31
	v_writelane_b32 v56, s43, 32
	s_cbranch_scc0 .LBB177_359
; %bb.319:                              ;   in Loop: Header=BB177_31 Depth=1
	v_cvt_f32_u32_e32 v2, s33
	s_sub_u32 s12, 0, s33
	s_subb_u32 s13, 0, 0
	v_mac_f32_e32 v2, 0, v51
	v_rcp_f32_e32 v2, v2
	v_mul_f32_e32 v2, 0x5f7ffffc, v2
	v_mul_f32_e32 v4, 0x2f800000, v2
	v_trunc_f32_e32 v4, v4
	v_mac_f32_e32 v2, 0xcf800000, v4
	v_cvt_u32_f32_e32 v4, v4
	v_cvt_u32_f32_e32 v2, v2
	v_readfirstlane_b32 s18, v4
	v_readfirstlane_b32 s4, v2
	s_mul_i32 s5, s12, s18
	s_mul_hi_u32 s20, s12, s4
	s_mul_i32 s19, s13, s4
	s_add_i32 s5, s20, s5
	s_mul_i32 s21, s12, s4
	s_add_i32 s5, s5, s19
	s_mul_hi_u32 s20, s4, s21
	s_mul_i32 s24, s4, s5
	s_mul_hi_u32 s19, s4, s5
	s_add_u32 s20, s20, s24
	s_addc_u32 s19, 0, s19
	s_mul_hi_u32 s25, s18, s21
	s_mul_i32 s21, s18, s21
	s_add_u32 s20, s20, s21
	s_mul_hi_u32 s24, s18, s5
	s_addc_u32 s19, s19, s25
	s_addc_u32 s20, s24, 0
	s_mul_i32 s5, s18, s5
	s_add_u32 s5, s19, s5
	s_addc_u32 s19, 0, s20
	s_add_u32 s20, s4, s5
	s_cselect_b64 s[4:5], -1, 0
	s_cmp_lg_u64 s[4:5], 0
	s_addc_u32 s18, s18, s19
	s_mul_i32 s4, s12, s18
	s_mul_hi_u32 s5, s12, s20
	s_add_i32 s4, s5, s4
	s_mul_i32 s13, s13, s20
	s_add_i32 s4, s4, s13
	s_mul_i32 s12, s12, s20
	s_mul_hi_u32 s13, s18, s12
	s_mul_i32 s19, s18, s12
	s_mul_i32 s24, s20, s4
	s_mul_hi_u32 s12, s20, s12
	s_mul_hi_u32 s21, s20, s4
	s_add_u32 s12, s12, s24
	s_addc_u32 s21, 0, s21
	s_add_u32 s12, s12, s19
	s_mul_hi_u32 s5, s18, s4
	s_addc_u32 s12, s21, s13
	s_addc_u32 s5, s5, 0
	s_mul_i32 s4, s18, s4
	s_add_u32 s4, s12, s4
	s_addc_u32 s12, 0, s5
	s_add_u32 s13, s20, s4
	s_cselect_b64 s[4:5], -1, 0
	s_cmp_lg_u64 s[4:5], 0
	s_addc_u32 s4, s18, s12
	v_readlane_b32 s20, v56, 29
	s_mul_i32 s12, s20, s4
	s_mul_hi_u32 s18, s20, s13
	s_mul_hi_u32 s5, s20, s4
	s_add_u32 s12, s18, s12
	s_addc_u32 s5, 0, s5
	s_mul_hi_u32 s19, s43, s13
	s_mul_i32 s13, s43, s13
	s_add_u32 s12, s12, s13
	s_mul_hi_u32 s18, s43, s4
	s_addc_u32 s5, s5, s19
	s_addc_u32 s12, s18, 0
	s_mul_i32 s4, s43, s4
	s_add_u32 s4, s5, s4
	s_addc_u32 s5, 0, s12
	s_mul_i32 s5, s33, s5
	s_mul_hi_u32 s12, s33, s4
	s_add_i32 s12, s12, s5
	s_mul_i32 s4, s33, s4
	s_sub_u32 s13, s20, s4
	s_cselect_b64 s[4:5], -1, 0
	s_cmp_lg_u64 s[4:5], 0
	s_subb_u32 s12, s43, s12
	s_sub_u32 s18, s13, s33
	s_cselect_b64 s[4:5], -1, 0
	s_cmp_lg_u64 s[4:5], 0
	s_subb_u32 s19, s12, 0
	;; [unrolled: 4-line block ×3, first 2 shown]
	s_cmp_ge_u32 s18, s33
	s_cselect_b32 s5, -1, 0
	s_cmp_eq_u32 s19, 0
	s_cselect_b32 s5, s5, -1
	s_cmp_lg_u32 s5, 0
	s_cselect_b32 s4, s4, s19
	s_cselect_b32 s18, s20, s18
	s_cmp_ge_u32 s13, s33
	s_cselect_b32 s5, -1, 0
	s_cmp_eq_u32 s12, 0
	s_cselect_b32 s5, s5, -1
	s_cmp_lg_u32 s5, 0
	s_cselect_b32 s5, s4, s12
	s_cselect_b32 s4, s18, s13
	s_cbranch_execnz .LBB177_321
.LBB177_320:                            ;   in Loop: Header=BB177_31 Depth=1
	v_cvt_f32_u32_e32 v2, s33
	s_sub_i32 s4, 0, s33
	v_readlane_b32 s12, v56, 29
	v_rcp_iflag_f32_e32 v2, v2
	v_mul_f32_e32 v2, 0x4f7ffffe, v2
	v_cvt_u32_f32_e32 v2, v2
	v_readfirstlane_b32 s5, v2
	s_mul_i32 s4, s4, s5
	s_mul_hi_u32 s4, s5, s4
	s_add_i32 s5, s5, s4
	s_mul_hi_u32 s4, s12, s5
	s_mul_i32 s4, s4, s33
	s_sub_i32 s4, s12, s4
	s_sub_i32 s5, s4, s33
	s_cmp_ge_u32 s4, s33
	s_cselect_b32 s4, s5, s4
	s_sub_i32 s5, s4, s33
	s_cmp_ge_u32 s4, s33
	s_cselect_b32 s58, s5, s4
	s_mov_b64 s[4:5], s[58:59]
	v_readlane_b32 s58, v56, 57
.LBB177_321:                            ;   in Loop: Header=BB177_31 Depth=1
	v_readlane_b32 s12, v56, 29
	v_readlane_b32 s18, v56, 31
	s_sub_u32 s12, s12, s4
	v_readlane_b32 s19, v56, 32
	s_subb_u32 s13, s19, s5
	v_cmp_gt_u64_e32 vcc, s[12:13], v[0:1]
                                        ; implicit-def: $vgpr54
	s_and_saveexec_b64 s[4:5], vcc
	s_cbranch_execz .LBB177_330
; %bb.322:                              ;   in Loop: Header=BB177_31 Depth=1
	v_mov_b32_e32 v4, v20
	v_mov_b32_e32 v7, v1
	s_mov_b64 s[18:19], 0
	v_mov_b32_e32 v5, v21
	v_mov_b32_e32 v6, v0
                                        ; implicit-def: $sgpr20_sgpr21
	s_branch .LBB177_325
.LBB177_323:                            ;   in Loop: Header=BB177_325 Depth=2
	s_or_b64 exec, exec, s[24:25]
	s_waitcnt lgkmcnt(0)
	s_barrier
	ds_read_b32 v2, v3 offset:3072
	s_mov_b64 s[24:25], -1
	s_waitcnt lgkmcnt(0)
	s_barrier
	v_cmp_ne_u32_sdwa s[42:43], v2, v3 src0_sel:WORD_0 src1_sel:DWORD
	s_and_b64 vcc, exec, s[42:43]
	s_mov_b64 s[42:43], -1
	s_cbranch_vccz .LBB177_328
.LBB177_324:                            ;   in Loop: Header=BB177_325 Depth=2
	s_and_b64 s[24:25], exec, s[24:25]
	s_or_b64 s[18:19], s[24:25], s[18:19]
	s_andn2_b64 s[20:21], s[20:21], exec
	s_and_b64 s[24:25], s[42:43], exec
	s_or_b64 s[20:21], s[20:21], s[24:25]
	s_andn2_b64 exec, exec, s[18:19]
	s_cbranch_execz .LBB177_329
.LBB177_325:                            ;   Parent Loop BB177_31 Depth=1
                                        ; =>  This Inner Loop Header: Depth=2
	v_cmp_gt_u64_e32 vcc, s[28:29], v[6:7]
	s_and_saveexec_b64 s[24:25], vcc
	s_cbranch_execz .LBB177_323
; %bb.326:                              ;   in Loop: Header=BB177_325 Depth=2
	global_load_ushort v2, v[4:5], off
	s_waitcnt vmcnt(0)
	v_add_u32_sdwa v8, sext(v2), s67 dst_sel:DWORD dst_unused:UNUSED_PAD src0_sel:WORD_0 src1_sel:DWORD
	v_and_b32_e32 v8, v8, v53
	v_cmp_eq_u32_e32 vcc, v8, v48
	s_and_b64 exec, exec, vcc
	s_cbranch_execz .LBB177_323
; %bb.327:                              ;   in Loop: Header=BB177_325 Depth=2
	v_perm_b32 v2, v2, 1, v52
	ds_write_b32 v3, v2 offset:3072
	s_branch .LBB177_323
.LBB177_328:                            ;   in Loop: Header=BB177_325 Depth=2
	v_add_co_u32_e32 v6, vcc, s33, v6
	v_addc_co_u32_e32 v7, vcc, 0, v7, vcc
	v_mov_b32_e32 v8, s41
	v_add_co_u32_e32 v4, vcc, s40, v4
	v_addc_co_u32_e32 v5, vcc, v5, v8, vcc
	v_cmp_le_u64_e32 vcc, s[12:13], v[6:7]
	s_mov_b64 s[42:43], 0
	s_orn2_b64 s[24:25], vcc, exec
	s_branch .LBB177_324
.LBB177_329:                            ;   in Loop: Header=BB177_31 Depth=1
	s_or_b64 exec, exec, s[18:19]
	s_andn2_b64 s[10:11], s[10:11], exec
	s_and_b64 s[12:13], s[20:21], exec
	v_lshrrev_b32_e32 v54, 16, v2
	s_or_b64 s[10:11], s[10:11], s[12:13]
.LBB177_330:                            ;   in Loop: Header=BB177_31 Depth=1
	s_or_b64 exec, exec, s[4:5]
	s_mov_b64 s[24:25], 0
	s_mov_b64 s[18:19], -1
.LBB177_331:                            ;   in Loop: Header=BB177_31 Depth=1
	s_orn2_b64 s[4:5], s[10:11], exec
.LBB177_332:                            ;   in Loop: Header=BB177_31 Depth=1
	s_or_b64 exec, exec, s[8:9]
                                        ; implicit-def: $vgpr4_vgpr5
                                        ; implicit-def: $vgpr2
	s_and_saveexec_b64 s[20:21], s[4:5]
	s_cbranch_execz .LBB177_491
; %bb.333:                              ;   in Loop: Header=BB177_31 Depth=1
	v_mov_b32_e32 v4, 1
	s_xor_b64 s[8:9], s[6:7], -1
	v_mov_b32_e32 v2, 1
	v_mov_b32_e32 v5, 0
	s_mov_b64 s[6:7], 0
	s_and_saveexec_b64 s[4:5], s[8:9]
	s_cbranch_execz .LBB177_342
; %bb.334:                              ;   in Loop: Header=BB177_31 Depth=1
	v_cmp_ge_u64_e32 vcc, s[14:15], v[29:30]
	s_and_saveexec_b64 s[6:7], vcc
	s_xor_b64 s[6:7], exec, s[6:7]
	s_cbranch_execz .LBB177_339
; %bb.335:                              ;   in Loop: Header=BB177_31 Depth=1
	ds_read_b64 v[4:5], v3 offset:5120
	v_or_b32_e32 v48, s1, v48
	v_or_b32_e32 v53, s1, v53
	s_waitcnt lgkmcnt(0)
	v_cmp_ne_u64_e32 vcc, 0, v[4:5]
	s_cbranch_vccnz .LBB177_339
; %bb.336:                              ;   in Loop: Header=BB177_31 Depth=1
	s_mov_b64 s[8:9], exec
	v_readlane_b32 s10, v56, 8
	v_readlane_b32 s11, v56, 9
	s_and_b64 s[10:11], s[8:9], s[10:11]
	s_mov_b64 exec, s[10:11]
; %bb.337:                              ;   in Loop: Header=BB177_31 Depth=1
	v_mov_b32_e32 v4, s14
	v_mov_b32_e32 v5, s15
	ds_write_b64 v3, v[4:5] offset:5128
; %bb.338:                              ;   in Loop: Header=BB177_31 Depth=1
	s_or_b64 exec, exec, s[8:9]
	s_waitcnt lgkmcnt(0)
	s_barrier
.LBB177_339:                            ;   in Loop: Header=BB177_31 Depth=1
	s_or_saveexec_b64 s[6:7], s[6:7]
	s_mov_b64 s[8:9], 0
	v_mov_b32_e32 v2, 5
	s_xor_b64 exec, exec, s[6:7]
; %bb.340:                              ;   in Loop: Header=BB177_31 Depth=1
	v_subrev_co_u32_e32 v29, vcc, s14, v29
	v_mov_b32_e32 v2, s15
	v_subb_co_u32_e32 v30, vcc, v30, v2, vcc
	v_mov_b32_e32 v2, 0
	s_mov_b64 s[8:9], exec
; %bb.341:                              ;   in Loop: Header=BB177_31 Depth=1
	s_or_b64 exec, exec, s[6:7]
	v_mov_b32_e32 v4, v29
	s_and_b64 s[6:7], s[8:9], exec
	v_mov_b32_e32 v5, v30
.LBB177_342:                            ;   in Loop: Header=BB177_31 Depth=1
	s_or_b64 exec, exec, s[4:5]
	s_mov_b64 s[4:5], -1
                                        ; implicit-def: $sgpr14_sgpr15
                                        ; implicit-def: $sgpr42_sgpr43
	s_and_saveexec_b64 s[8:9], s[6:7]
	s_xor_b64 s[6:7], exec, s[8:9]
	s_cbranch_execz .LBB177_488
; %bb.343:                              ;   in Loop: Header=BB177_31 Depth=1
	s_cmp_eq_u64 s[16:17], 1
	v_cmp_eq_u64_e32 vcc, 1, v[4:5]
	s_cselect_b64 s[4:5], -1, 0
	s_and_b64 s[8:9], s[4:5], vcc
	s_mov_b64 s[4:5], -1
                                        ; implicit-def: $sgpr42_sgpr43
                                        ; implicit-def: $sgpr14_sgpr15
	s_and_saveexec_b64 s[10:11], s[8:9]
	s_cbranch_execz .LBB177_377
; %bb.344:                              ;   in Loop: Header=BB177_31 Depth=1
	ds_read_b64 v[6:7], v3 offset:5120
	s_waitcnt lgkmcnt(0)
	s_barrier
	v_readfirstlane_b32 s4, v6
	v_readfirstlane_b32 s5, v7
	s_mov_b64 s[12:13], exec
	v_readlane_b32 s14, v56, 24
	v_readlane_b32 s15, v56, 25
	s_and_b64 s[14:15], s[12:13], s[14:15]
	s_mov_b64 exec, s[14:15]
; %bb.345:                              ;   in Loop: Header=BB177_31 Depth=1
	ds_write_b16 v50, v3
; %bb.346:                              ;   in Loop: Header=BB177_31 Depth=1
	s_or_b64 exec, exec, s[12:13]
	v_readlane_b32 s12, v56, 58
	v_and_b32_e32 v6, s12, v48
	v_lshl_or_b32 v48, 2, s0, v6
	v_or_b32_e32 v53, s1, v53
	s_mov_b64 s[14:15], -1
	s_mov_b64 s[42:43], 0
	s_cmp_eq_u64 s[4:5], 0
	s_mov_b64 s[12:13], 0
	s_mov_b64 s[64:65], -1
	s_waitcnt lgkmcnt(0)
	s_barrier
                                        ; implicit-def: $vgpr54
	s_cbranch_scc1 .LBB177_362
; %bb.347:                              ;   in Loop: Header=BB177_31 Depth=1
	v_readlane_b32 s12, v56, 28
	s_add_u32 s64, s4, s12
	v_readlane_b32 s12, v56, 30
	s_addc_u32 s13, s5, s12
	s_mov_b32 s12, s59
	s_cmp_lg_u64 s[12:13], 0
	s_cbranch_scc0 .LBB177_403
; %bb.348:                              ;   in Loop: Header=BB177_31 Depth=1
	v_cvt_f32_u32_e32 v6, s33
	s_sub_u32 s12, 0, s33
	s_subb_u32 s58, 0, 0
	v_mac_f32_e32 v6, 0, v51
	v_rcp_f32_e32 v6, v6
	v_mul_f32_e32 v6, 0x5f7ffffc, v6
	v_mul_f32_e32 v7, 0x2f800000, v6
	v_trunc_f32_e32 v7, v7
	v_mac_f32_e32 v6, 0xcf800000, v7
	v_cvt_u32_f32_e32 v7, v7
	v_cvt_u32_f32_e32 v6, v6
	v_readfirstlane_b32 s62, v7
	v_readfirstlane_b32 s60, v6
	s_mul_i32 s61, s12, s62
	s_mul_hi_u32 s65, s12, s60
	s_mul_i32 s63, s58, s60
	s_add_i32 s61, s65, s61
	s_mul_i32 s68, s12, s60
	s_add_i32 s61, s61, s63
	s_mul_hi_u32 s65, s60, s68
	s_mul_i32 s69, s60, s61
	s_mul_hi_u32 s63, s60, s61
	s_add_u32 s65, s65, s69
	s_addc_u32 s63, 0, s63
	s_mul_hi_u32 s70, s62, s68
	s_mul_i32 s68, s62, s68
	s_add_u32 s65, s65, s68
	s_mul_hi_u32 s69, s62, s61
	s_addc_u32 s63, s63, s70
	s_addc_u32 s65, s69, 0
	s_mul_i32 s61, s62, s61
	s_add_u32 s61, s63, s61
	s_addc_u32 s63, 0, s65
	s_add_u32 s65, s60, s61
	s_cselect_b64 s[60:61], -1, 0
	s_cmp_lg_u64 s[60:61], 0
	s_addc_u32 s62, s62, s63
	s_mul_i32 s60, s12, s62
	s_mul_hi_u32 s61, s12, s65
	s_add_i32 s60, s61, s60
	s_mul_i32 s58, s58, s65
	s_add_i32 s60, s60, s58
	s_mul_i32 s12, s12, s65
	s_mul_hi_u32 s61, s62, s12
	s_mul_i32 s63, s62, s12
	s_mul_i32 s69, s65, s60
	s_mul_hi_u32 s12, s65, s12
	s_mul_hi_u32 s68, s65, s60
	s_add_u32 s12, s12, s69
	s_addc_u32 s68, 0, s68
	s_add_u32 s12, s12, s63
	s_mul_hi_u32 s58, s62, s60
	s_addc_u32 s12, s68, s61
	s_addc_u32 s58, s58, 0
	s_mul_i32 s60, s62, s60
	s_add_u32 s12, s12, s60
	s_addc_u32 s58, 0, s58
	s_add_u32 s12, s65, s12
	s_cselect_b64 s[60:61], -1, 0
	s_cmp_lg_u64 s[60:61], 0
	s_addc_u32 s58, s62, s58
	s_mul_i32 s61, s64, s58
	s_mul_hi_u32 s62, s64, s12
	s_mul_hi_u32 s60, s64, s58
	s_add_u32 s61, s62, s61
	s_addc_u32 s60, 0, s60
	s_mul_hi_u32 s63, s13, s12
	s_mul_i32 s12, s13, s12
	s_add_u32 s12, s61, s12
	s_mul_hi_u32 s62, s13, s58
	s_addc_u32 s12, s60, s63
	s_addc_u32 s60, s62, 0
	s_mul_i32 s58, s13, s58
	s_add_u32 s12, s12, s58
	s_addc_u32 s58, 0, s60
	s_mul_i32 s58, s33, s58
	s_mul_hi_u32 s60, s33, s12
	s_add_i32 s58, s60, s58
	s_mul_i32 s12, s33, s12
	s_sub_u32 s12, s64, s12
	s_cselect_b64 s[60:61], -1, 0
	s_cmp_lg_u64 s[60:61], 0
	s_subb_u32 s58, s13, s58
	s_sub_u32 s62, s12, s33
	s_cselect_b64 s[60:61], -1, 0
	s_cmp_lg_u64 s[60:61], 0
	s_subb_u32 s63, s58, 0
	;; [unrolled: 4-line block ×3, first 2 shown]
	s_cmp_ge_u32 s62, s33
	s_cselect_b32 s61, -1, 0
	s_cmp_eq_u32 s63, 0
	s_cselect_b32 s61, s61, -1
	s_cmp_lg_u32 s61, 0
	s_cselect_b32 s60, s60, s63
	s_cselect_b32 s62, s65, s62
	s_cmp_ge_u32 s12, s33
	s_cselect_b32 s61, -1, 0
	s_cmp_eq_u32 s58, 0
	s_cselect_b32 s61, s61, -1
	s_cmp_lg_u32 s61, 0
	s_cselect_b32 s61, s60, s58
	s_cselect_b32 s60, s62, s12
	s_cbranch_execnz .LBB177_350
.LBB177_349:                            ;   in Loop: Header=BB177_31 Depth=1
	v_cvt_f32_u32_e32 v6, s33
	s_sub_i32 s12, 0, s33
	v_rcp_iflag_f32_e32 v6, v6
	v_mul_f32_e32 v6, 0x4f7ffffe, v6
	v_cvt_u32_f32_e32 v6, v6
	v_readfirstlane_b32 s58, v6
	s_mul_i32 s12, s12, s58
	s_mul_hi_u32 s12, s58, s12
	s_add_i32 s58, s58, s12
	s_mul_hi_u32 s12, s64, s58
	s_mul_i32 s12, s12, s33
	s_sub_i32 s12, s64, s12
	s_sub_i32 s58, s12, s33
	s_cmp_ge_u32 s12, s33
	s_cselect_b32 s12, s58, s12
	s_sub_i32 s58, s12, s33
	s_cmp_ge_u32 s12, s33
	s_cselect_b32 s58, s58, s12
	s_mov_b64 s[60:61], s[58:59]
.LBB177_350:                            ;   in Loop: Header=BB177_31 Depth=1
	s_sub_u32 s60, s64, s60
	s_subb_u32 s61, s13, s61
	v_cmp_gt_u64_e32 vcc, s[60:61], v[0:1]
	s_mov_b64 s[64:65], 0
	s_mov_b64 s[12:13], 0
                                        ; implicit-def: $vgpr54
	s_and_saveexec_b64 s[70:71], vcc
	v_readlane_b32 s58, v56, 57
	s_cbranch_execz .LBB177_361
; %bb.351:                              ;   in Loop: Header=BB177_31 Depth=1
	v_mov_b32_e32 v7, v1
	v_mov_b32_e32 v8, v49
	;; [unrolled: 1-line block ×3, first 2 shown]
                                        ; implicit-def: $sgpr62_sgpr63
	s_branch .LBB177_354
.LBB177_352:                            ;   in Loop: Header=BB177_354 Depth=2
	s_or_b64 exec, exec, s[68:69]
	s_waitcnt lgkmcnt(0)
	s_barrier
	ds_read_b32 v9, v3 offset:3072
	s_mov_b64 s[68:69], -1
	s_waitcnt lgkmcnt(0)
	s_barrier
	v_cmp_ne_u32_sdwa s[72:73], v9, v3 src0_sel:WORD_0 src1_sel:DWORD
	s_and_b64 vcc, exec, s[72:73]
	s_mov_b64 s[72:73], -1
	s_cbranch_vccz .LBB177_357
.LBB177_353:                            ;   in Loop: Header=BB177_354 Depth=2
	s_and_b64 s[68:69], exec, s[68:69]
	s_or_b64 s[12:13], s[68:69], s[12:13]
	s_andn2_b64 s[62:63], s[62:63], exec
	s_and_b64 s[68:69], s[72:73], exec
	s_or_b64 s[62:63], s[62:63], s[68:69]
	s_andn2_b64 exec, exec, s[12:13]
	s_cbranch_execz .LBB177_360
.LBB177_354:                            ;   Parent Loop BB177_31 Depth=1
                                        ; =>  This Inner Loop Header: Depth=2
	v_cmp_gt_u64_e32 vcc, s[4:5], v[6:7]
	s_and_saveexec_b64 s[68:69], vcc
	s_cbranch_execz .LBB177_352
; %bb.355:                              ;   in Loop: Header=BB177_354 Depth=2
	ds_read_u16 v9, v8
	s_waitcnt lgkmcnt(0)
	v_add_u32_sdwa v10, sext(v9), s67 dst_sel:DWORD dst_unused:UNUSED_PAD src0_sel:WORD_0 src1_sel:DWORD
	v_and_b32_e32 v10, v10, v53
	v_cmp_eq_u32_e32 vcc, v10, v48
	s_and_b64 exec, exec, vcc
	s_cbranch_execz .LBB177_352
; %bb.356:                              ;   in Loop: Header=BB177_354 Depth=2
	v_perm_b32 v9, v9, 1, v52
	ds_write_b32 v3, v9 offset:3072
	s_branch .LBB177_352
.LBB177_357:                            ;   in Loop: Header=BB177_354 Depth=2
	v_add_co_u32_e32 v6, vcc, s33, v6
	v_addc_co_u32_e32 v7, vcc, 0, v7, vcc
	v_cmp_le_u64_e32 vcc, s[60:61], v[6:7]
	v_readlane_b32 s58, v56, 44
	v_add_u32_e32 v8, s58, v8
	v_readlane_b32 s58, v56, 57
	s_mov_b64 s[72:73], 0
	s_orn2_b64 s[68:69], vcc, exec
	s_branch .LBB177_353
.LBB177_358:                            ;   in Loop: Header=BB177_31 Depth=1
                                        ; implicit-def: $sgpr12_sgpr13
	s_branch .LBB177_305
.LBB177_359:                            ;   in Loop: Header=BB177_31 Depth=1
                                        ; implicit-def: $sgpr4_sgpr5
	s_branch .LBB177_320
.LBB177_360:                            ;   in Loop: Header=BB177_31 Depth=1
	s_or_b64 exec, exec, s[12:13]
	v_lshrrev_b32_e32 v54, 16, v9
	s_and_b64 s[12:13], s[62:63], exec
.LBB177_361:                            ;   in Loop: Header=BB177_31 Depth=1
	s_or_b64 exec, exec, s[70:71]
.LBB177_362:                            ;   in Loop: Header=BB177_31 Depth=1
	s_and_b64 vcc, exec, s[64:65]
	s_cbranch_vccz .LBB177_376
; %bb.363:                              ;   in Loop: Header=BB177_31 Depth=1
	v_readlane_b32 s62, v56, 31
	v_readlane_b32 s63, v56, 32
	s_mov_b32 s62, s59
	s_cmp_lg_u64 s[62:63], 0
	v_writelane_b32 v56, s62, 31
	v_writelane_b32 v56, s63, 32
	s_cbranch_scc0 .LBB177_404
; %bb.364:                              ;   in Loop: Header=BB177_31 Depth=1
	v_cvt_f32_u32_e32 v6, s33
	s_sub_u32 s14, 0, s33
	s_subb_u32 s15, 0, 0
	v_mac_f32_e32 v6, 0, v51
	v_rcp_f32_e32 v6, v6
	v_mul_f32_e32 v6, 0x5f7ffffc, v6
	v_mul_f32_e32 v7, 0x2f800000, v6
	v_trunc_f32_e32 v7, v7
	v_mac_f32_e32 v6, 0xcf800000, v7
	v_cvt_u32_f32_e32 v7, v7
	v_cvt_u32_f32_e32 v6, v6
	v_readfirstlane_b32 s42, v7
	v_readfirstlane_b32 s4, v6
	s_mul_i32 s5, s14, s42
	s_mul_hi_u32 s58, s14, s4
	s_mul_i32 s43, s15, s4
	s_add_i32 s5, s58, s5
	s_mul_i32 s60, s14, s4
	s_add_i32 s5, s5, s43
	s_mul_hi_u32 s58, s4, s60
	s_mul_i32 s61, s4, s5
	s_mul_hi_u32 s43, s4, s5
	s_add_u32 s58, s58, s61
	s_addc_u32 s43, 0, s43
	s_mul_hi_u32 s62, s42, s60
	s_mul_i32 s60, s42, s60
	s_add_u32 s58, s58, s60
	s_mul_hi_u32 s61, s42, s5
	s_addc_u32 s43, s43, s62
	s_addc_u32 s58, s61, 0
	s_mul_i32 s5, s42, s5
	s_add_u32 s5, s43, s5
	s_addc_u32 s43, 0, s58
	s_add_u32 s58, s4, s5
	s_cselect_b64 s[4:5], -1, 0
	s_cmp_lg_u64 s[4:5], 0
	s_addc_u32 s42, s42, s43
	s_mul_i32 s4, s14, s42
	s_mul_hi_u32 s5, s14, s58
	s_add_i32 s4, s5, s4
	s_mul_i32 s15, s15, s58
	s_add_i32 s4, s4, s15
	s_mul_i32 s14, s14, s58
	s_mul_hi_u32 s15, s42, s14
	s_mul_i32 s43, s42, s14
	s_mul_i32 s61, s58, s4
	s_mul_hi_u32 s14, s58, s14
	s_mul_hi_u32 s60, s58, s4
	s_add_u32 s14, s14, s61
	s_addc_u32 s60, 0, s60
	s_add_u32 s14, s14, s43
	s_mul_hi_u32 s5, s42, s4
	s_addc_u32 s14, s60, s15
	s_addc_u32 s5, s5, 0
	s_mul_i32 s4, s42, s4
	s_add_u32 s4, s14, s4
	s_addc_u32 s14, 0, s5
	s_add_u32 s15, s58, s4
	s_cselect_b64 s[4:5], -1, 0
	s_cmp_lg_u64 s[4:5], 0
	s_addc_u32 s4, s42, s14
	v_readlane_b32 s58, v56, 29
	s_mul_i32 s14, s58, s4
	s_mul_hi_u32 s42, s58, s15
	s_mul_hi_u32 s5, s58, s4
	s_add_u32 s14, s42, s14
	s_addc_u32 s5, 0, s5
	s_mul_hi_u32 s43, s63, s15
	s_mul_i32 s15, s63, s15
	s_add_u32 s14, s14, s15
	s_mul_hi_u32 s42, s63, s4
	s_addc_u32 s5, s5, s43
	s_addc_u32 s14, s42, 0
	s_mul_i32 s4, s63, s4
	s_add_u32 s4, s5, s4
	s_addc_u32 s5, 0, s14
	s_mul_i32 s5, s33, s5
	s_mul_hi_u32 s14, s33, s4
	s_add_i32 s14, s14, s5
	s_mul_i32 s4, s33, s4
	s_sub_u32 s15, s58, s4
	s_cselect_b64 s[4:5], -1, 0
	s_cmp_lg_u64 s[4:5], 0
	s_subb_u32 s14, s63, s14
	s_sub_u32 s42, s15, s33
	s_cselect_b64 s[4:5], -1, 0
	s_cmp_lg_u64 s[4:5], 0
	s_subb_u32 s43, s14, 0
	;; [unrolled: 4-line block ×3, first 2 shown]
	s_cmp_ge_u32 s42, s33
	s_cselect_b32 s5, -1, 0
	s_cmp_eq_u32 s43, 0
	s_cselect_b32 s5, s5, -1
	s_cmp_lg_u32 s5, 0
	s_cselect_b32 s4, s4, s43
	s_cselect_b32 s42, s58, s42
	s_cmp_ge_u32 s15, s33
	s_cselect_b32 s5, -1, 0
	s_cmp_eq_u32 s14, 0
	s_cselect_b32 s5, s5, -1
	s_cmp_lg_u32 s5, 0
	s_cselect_b32 s5, s4, s14
	s_cselect_b32 s4, s42, s15
	s_cbranch_execnz .LBB177_366
.LBB177_365:                            ;   in Loop: Header=BB177_31 Depth=1
	v_cvt_f32_u32_e32 v6, s33
	s_sub_i32 s4, 0, s33
	v_readlane_b32 s14, v56, 29
	v_rcp_iflag_f32_e32 v6, v6
	v_mul_f32_e32 v6, 0x4f7ffffe, v6
	v_cvt_u32_f32_e32 v6, v6
	v_readfirstlane_b32 s5, v6
	s_mul_i32 s4, s4, s5
	s_mul_hi_u32 s4, s5, s4
	s_add_i32 s5, s5, s4
	s_mul_hi_u32 s4, s14, s5
	s_mul_i32 s4, s4, s33
	s_sub_i32 s4, s14, s4
	s_sub_i32 s5, s4, s33
	s_cmp_ge_u32 s4, s33
	s_cselect_b32 s4, s5, s4
	s_sub_i32 s5, s4, s33
	s_cmp_ge_u32 s4, s33
	s_cselect_b32 s58, s5, s4
	s_mov_b64 s[4:5], s[58:59]
.LBB177_366:                            ;   in Loop: Header=BB177_31 Depth=1
	v_readlane_b32 s14, v56, 29
	v_readlane_b32 s42, v56, 31
	s_sub_u32 s14, s14, s4
	v_readlane_b32 s43, v56, 32
	s_subb_u32 s15, s43, s5
	v_cmp_gt_u64_e32 vcc, s[14:15], v[0:1]
                                        ; implicit-def: $vgpr54
	s_and_saveexec_b64 s[4:5], vcc
	v_readlane_b32 s58, v56, 57
	s_cbranch_execz .LBB177_375
; %bb.367:                              ;   in Loop: Header=BB177_31 Depth=1
	v_mov_b32_e32 v6, v20
	v_mov_b32_e32 v9, v1
	s_mov_b64 s[42:43], 0
	v_mov_b32_e32 v7, v21
	v_mov_b32_e32 v8, v0
                                        ; implicit-def: $sgpr60_sgpr61
	s_branch .LBB177_370
.LBB177_368:                            ;   in Loop: Header=BB177_370 Depth=2
	s_or_b64 exec, exec, s[62:63]
	s_waitcnt lgkmcnt(0)
	s_barrier
	ds_read_b32 v10, v3 offset:3072
	s_mov_b64 s[62:63], -1
	s_waitcnt lgkmcnt(0)
	s_barrier
	v_cmp_eq_u32_sdwa s[64:65], v10, v3 src0_sel:WORD_0 src1_sel:DWORD
	s_and_b64 vcc, exec, s[64:65]
	s_mov_b64 s[64:65], -1
	s_cbranch_vccnz .LBB177_373
.LBB177_369:                            ;   in Loop: Header=BB177_370 Depth=2
	s_and_b64 s[62:63], exec, s[62:63]
	s_or_b64 s[42:43], s[62:63], s[42:43]
	s_andn2_b64 s[60:61], s[60:61], exec
	s_and_b64 s[62:63], s[64:65], exec
	s_or_b64 s[60:61], s[60:61], s[62:63]
	s_andn2_b64 exec, exec, s[42:43]
	s_cbranch_execz .LBB177_374
.LBB177_370:                            ;   Parent Loop BB177_31 Depth=1
                                        ; =>  This Inner Loop Header: Depth=2
	v_cmp_gt_u64_e32 vcc, s[28:29], v[8:9]
	s_and_saveexec_b64 s[62:63], vcc
	s_cbranch_execz .LBB177_368
; %bb.371:                              ;   in Loop: Header=BB177_370 Depth=2
	global_load_ushort v10, v[6:7], off
	s_waitcnt vmcnt(0)
	v_add_u32_sdwa v11, sext(v10), s67 dst_sel:DWORD dst_unused:UNUSED_PAD src0_sel:WORD_0 src1_sel:DWORD
	v_and_b32_e32 v11, v11, v53
	v_cmp_eq_u32_e32 vcc, v11, v48
	s_and_b64 exec, exec, vcc
	s_cbranch_execz .LBB177_368
; %bb.372:                              ;   in Loop: Header=BB177_370 Depth=2
	v_perm_b32 v10, v10, 1, v52
	ds_write_b32 v3, v10 offset:3072
	s_branch .LBB177_368
.LBB177_373:                            ;   in Loop: Header=BB177_370 Depth=2
	v_add_co_u32_e32 v8, vcc, s33, v8
	v_addc_co_u32_e32 v9, vcc, 0, v9, vcc
	v_mov_b32_e32 v11, s41
	v_add_co_u32_e32 v6, vcc, s40, v6
	v_addc_co_u32_e32 v7, vcc, v7, v11, vcc
	v_cmp_le_u64_e32 vcc, s[14:15], v[8:9]
	s_mov_b64 s[64:65], 0
	s_orn2_b64 s[62:63], vcc, exec
	s_branch .LBB177_369
.LBB177_374:                            ;   in Loop: Header=BB177_31 Depth=1
	s_or_b64 exec, exec, s[42:43]
	s_andn2_b64 s[12:13], s[12:13], exec
	s_and_b64 s[14:15], s[60:61], exec
	v_lshrrev_b32_e32 v54, 16, v10
	s_or_b64 s[12:13], s[12:13], s[14:15]
.LBB177_375:                            ;   in Loop: Header=BB177_31 Depth=1
	s_or_b64 exec, exec, s[4:5]
	s_mov_b64 s[14:15], 0
	s_mov_b64 s[42:43], -1
.LBB177_376:                            ;   in Loop: Header=BB177_31 Depth=1
	s_orn2_b64 s[4:5], s[12:13], exec
.LBB177_377:                            ;   in Loop: Header=BB177_31 Depth=1
	s_or_b64 exec, exec, s[10:11]
	s_mov_b64 s[10:11], 0
	s_and_saveexec_b64 s[70:71], s[4:5]
	s_cbranch_execz .LBB177_487
; %bb.378:                              ;   in Loop: Header=BB177_31 Depth=1
	v_mov_b32_e32 v6, 1
	s_xor_b64 s[8:9], s[8:9], -1
	v_mov_b32_e32 v2, 1
	v_mov_b32_e32 v7, 0
	s_and_saveexec_b64 s[4:5], s[8:9]
	s_cbranch_execz .LBB177_387
; %bb.379:                              ;   in Loop: Header=BB177_31 Depth=1
	v_cmp_ge_u64_e32 vcc, s[16:17], v[4:5]
	s_and_saveexec_b64 s[8:9], vcc
	s_xor_b64 s[8:9], exec, s[8:9]
	s_cbranch_execz .LBB177_384
; %bb.380:                              ;   in Loop: Header=BB177_31 Depth=1
	ds_read_b64 v[6:7], v3 offset:5120
	v_readlane_b32 s10, v56, 58
	v_and_b32_e32 v2, s10, v48
	v_lshl_or_b32 v48, 2, s0, v2
	v_or_b32_e32 v53, s1, v53
	s_waitcnt lgkmcnt(0)
	v_cmp_ne_u64_e32 vcc, 0, v[6:7]
	s_cbranch_vccnz .LBB177_384
; %bb.381:                              ;   in Loop: Header=BB177_31 Depth=1
	s_mov_b64 s[10:11], exec
	v_readlane_b32 s12, v56, 8
	v_readlane_b32 s13, v56, 9
	s_and_b64 s[12:13], s[10:11], s[12:13]
	s_mov_b64 exec, s[12:13]
; %bb.382:                              ;   in Loop: Header=BB177_31 Depth=1
	v_mov_b32_e32 v6, s16
	v_mov_b32_e32 v7, s17
	ds_write_b64 v3, v[6:7] offset:5128
; %bb.383:                              ;   in Loop: Header=BB177_31 Depth=1
	s_or_b64 exec, exec, s[10:11]
	s_waitcnt lgkmcnt(0)
	s_barrier
.LBB177_384:                            ;   in Loop: Header=BB177_31 Depth=1
	s_or_saveexec_b64 s[8:9], s[8:9]
	s_mov_b64 s[10:11], 0
	v_mov_b32_e32 v2, 5
	s_xor_b64 exec, exec, s[8:9]
; %bb.385:                              ;   in Loop: Header=BB177_31 Depth=1
	v_subrev_co_u32_e32 v4, vcc, s16, v4
	v_mov_b32_e32 v2, s17
	v_subb_co_u32_e32 v5, vcc, v5, v2, vcc
	v_mov_b32_e32 v2, 0
	s_mov_b64 s[10:11], exec
; %bb.386:                              ;   in Loop: Header=BB177_31 Depth=1
	s_or_b64 exec, exec, s[8:9]
	v_mov_b32_e32 v7, v5
	s_and_b64 s[10:11], s[10:11], exec
	v_mov_b32_e32 v6, v4
.LBB177_387:                            ;   in Loop: Header=BB177_31 Depth=1
	s_or_b64 exec, exec, s[4:5]
	s_mov_b64 s[4:5], -1
                                        ; implicit-def: $sgpr68_sgpr69
                                        ; implicit-def: $sgpr72_sgpr73
	s_and_saveexec_b64 s[16:17], s[10:11]
	s_cbranch_execz .LBB177_486
; %bb.388:                              ;   in Loop: Header=BB177_31 Depth=1
	s_cmp_eq_u64 s[48:49], 1
	v_cmp_eq_u64_e32 vcc, 1, v[6:7]
	s_cselect_b64 s[4:5], -1, 0
	s_and_b64 s[12:13], s[4:5], vcc
	s_mov_b64 s[4:5], -1
                                        ; implicit-def: $sgpr72_sgpr73
                                        ; implicit-def: $sgpr68_sgpr69
	s_and_saveexec_b64 s[10:11], s[12:13]
	s_cbranch_execz .LBB177_422
; %bb.389:                              ;   in Loop: Header=BB177_31 Depth=1
	ds_read_b64 v[4:5], v3 offset:5120
	s_waitcnt lgkmcnt(0)
	s_barrier
	v_readfirstlane_b32 s4, v4
	v_readfirstlane_b32 s5, v5
	s_mov_b64 s[8:9], exec
	v_readlane_b32 s60, v56, 24
	v_readlane_b32 s61, v56, 25
	s_and_b64 s[60:61], s[8:9], s[60:61]
	s_mov_b64 exec, s[60:61]
; %bb.390:                              ;   in Loop: Header=BB177_31 Depth=1
	ds_write_b16 v50, v3
; %bb.391:                              ;   in Loop: Header=BB177_31 Depth=1
	s_or_b64 exec, exec, s[8:9]
	v_readlane_b32 s8, v56, 58
	v_and_b32_e32 v4, s8, v48
	v_lshl_or_b32 v48, 1, s0, v4
	v_or_b32_e32 v53, s1, v53
	s_mov_b64 s[68:69], -1
	s_mov_b64 s[72:73], 0
	s_cmp_eq_u64 s[4:5], 0
	s_mov_b64 s[64:65], 0
	s_mov_b64 s[74:75], -1
	s_waitcnt lgkmcnt(0)
	s_barrier
                                        ; implicit-def: $vgpr54
	s_cbranch_scc1 .LBB177_407
; %bb.392:                              ;   in Loop: Header=BB177_31 Depth=1
	v_readlane_b32 s8, v56, 28
	s_add_u32 s62, s4, s8
	v_readlane_b32 s8, v56, 30
	s_addc_u32 s65, s5, s8
	s_mov_b32 s64, s59
	s_cmp_lg_u64 s[64:65], 0
	s_cbranch_scc0 .LBB177_439
; %bb.393:                              ;   in Loop: Header=BB177_31 Depth=1
	v_cvt_f32_u32_e32 v4, s33
	s_sub_u32 s58, 0, s33
	s_subb_u32 s60, 0, 0
	v_mac_f32_e32 v4, 0, v51
	v_rcp_f32_e32 v4, v4
	v_mul_f32_e32 v4, 0x5f7ffffc, v4
	v_mul_f32_e32 v5, 0x2f800000, v4
	v_trunc_f32_e32 v5, v5
	v_mac_f32_e32 v4, 0xcf800000, v5
	v_cvt_u32_f32_e32 v5, v5
	v_cvt_u32_f32_e32 v4, v4
	v_readfirstlane_b32 s61, v5
	v_readfirstlane_b32 s8, v4
	s_mul_i32 s9, s58, s61
	s_mul_hi_u32 s64, s58, s8
	s_mul_i32 s63, s60, s8
	s_add_i32 s9, s64, s9
	s_mul_i32 s68, s58, s8
	s_add_i32 s9, s9, s63
	s_mul_hi_u32 s64, s8, s68
	s_mul_i32 s69, s8, s9
	s_mul_hi_u32 s63, s8, s9
	s_add_u32 s64, s64, s69
	s_addc_u32 s63, 0, s63
	s_mul_hi_u32 s74, s61, s68
	s_mul_i32 s68, s61, s68
	s_add_u32 s64, s64, s68
	s_mul_hi_u32 s69, s61, s9
	s_addc_u32 s63, s63, s74
	s_addc_u32 s64, s69, 0
	s_mul_i32 s9, s61, s9
	s_add_u32 s9, s63, s9
	s_addc_u32 s63, 0, s64
	s_add_u32 s64, s8, s9
	s_cselect_b64 s[8:9], -1, 0
	s_cmp_lg_u64 s[8:9], 0
	s_addc_u32 s61, s61, s63
	s_mul_i32 s8, s58, s61
	s_mul_hi_u32 s9, s58, s64
	s_add_i32 s8, s9, s8
	s_mul_i32 s60, s60, s64
	s_add_i32 s8, s8, s60
	s_mul_i32 s58, s58, s64
	s_mul_hi_u32 s60, s61, s58
	s_mul_i32 s63, s61, s58
	s_mul_i32 s69, s64, s8
	s_mul_hi_u32 s58, s64, s58
	s_mul_hi_u32 s68, s64, s8
	s_add_u32 s58, s58, s69
	s_addc_u32 s68, 0, s68
	s_add_u32 s58, s58, s63
	s_mul_hi_u32 s9, s61, s8
	s_addc_u32 s58, s68, s60
	s_addc_u32 s9, s9, 0
	s_mul_i32 s8, s61, s8
	s_add_u32 s8, s58, s8
	s_addc_u32 s58, 0, s9
	s_add_u32 s60, s64, s8
	s_cselect_b64 s[8:9], -1, 0
	s_cmp_lg_u64 s[8:9], 0
	s_addc_u32 s8, s61, s58
	s_mul_i32 s58, s62, s8
	s_mul_hi_u32 s61, s62, s60
	s_mul_hi_u32 s9, s62, s8
	s_add_u32 s58, s61, s58
	s_addc_u32 s9, 0, s9
	s_mul_hi_u32 s63, s65, s60
	s_mul_i32 s60, s65, s60
	s_add_u32 s58, s58, s60
	s_mul_hi_u32 s61, s65, s8
	s_addc_u32 s9, s9, s63
	s_addc_u32 s58, s61, 0
	s_mul_i32 s8, s65, s8
	s_add_u32 s8, s9, s8
	s_addc_u32 s9, 0, s58
	s_mul_i32 s9, s33, s9
	s_mul_hi_u32 s58, s33, s8
	s_add_i32 s58, s58, s9
	s_mul_i32 s8, s33, s8
	s_sub_u32 s60, s62, s8
	s_cselect_b64 s[8:9], -1, 0
	s_cmp_lg_u64 s[8:9], 0
	s_subb_u32 s58, s65, s58
	s_sub_u32 s61, s60, s33
	s_cselect_b64 s[8:9], -1, 0
	s_cmp_lg_u64 s[8:9], 0
	s_subb_u32 s63, s58, 0
	;; [unrolled: 4-line block ×3, first 2 shown]
	s_cmp_ge_u32 s61, s33
	s_cselect_b32 s9, -1, 0
	s_cmp_eq_u32 s63, 0
	s_cselect_b32 s9, s9, -1
	s_cmp_lg_u32 s9, 0
	s_cselect_b32 s8, s8, s63
	s_cselect_b32 s9, s64, s61
	s_cmp_ge_u32 s60, s33
	s_cselect_b32 s61, -1, 0
	s_cmp_eq_u32 s58, 0
	s_cselect_b32 s61, s61, -1
	s_cmp_lg_u32 s61, 0
	s_cselect_b32 s61, s8, s58
	s_cselect_b32 s60, s9, s60
	s_cbranch_execnz .LBB177_395
.LBB177_394:                            ;   in Loop: Header=BB177_31 Depth=1
	v_cvt_f32_u32_e32 v4, s33
	s_sub_i32 s8, 0, s33
	v_rcp_iflag_f32_e32 v4, v4
	v_mul_f32_e32 v4, 0x4f7ffffe, v4
	v_cvt_u32_f32_e32 v4, v4
	v_readfirstlane_b32 s9, v4
	s_mul_i32 s8, s8, s9
	s_mul_hi_u32 s8, s9, s8
	s_add_i32 s9, s9, s8
	s_mul_hi_u32 s8, s62, s9
	s_mul_i32 s8, s8, s33
	s_sub_i32 s8, s62, s8
	s_sub_i32 s9, s8, s33
	s_cmp_ge_u32 s8, s33
	s_cselect_b32 s8, s9, s8
	s_sub_i32 s9, s8, s33
	s_cmp_ge_u32 s8, s33
	s_cselect_b32 s58, s9, s8
	s_mov_b64 s[60:61], s[58:59]
.LBB177_395:                            ;   in Loop: Header=BB177_31 Depth=1
	s_sub_u32 s60, s62, s60
	s_subb_u32 s61, s65, s61
	v_cmp_gt_u64_e32 vcc, s[60:61], v[0:1]
	s_mov_b64 s[74:75], 0
	s_mov_b64 s[64:65], 0
                                        ; implicit-def: $vgpr54
	s_and_saveexec_b64 s[78:79], vcc
	v_readlane_b32 s58, v56, 57
	s_cbranch_execz .LBB177_406
; %bb.396:                              ;   in Loop: Header=BB177_31 Depth=1
	v_mov_b32_e32 v5, v1
	s_mov_b64 s[62:63], 0
	v_mov_b32_e32 v8, v49
	v_mov_b32_e32 v4, v0
                                        ; implicit-def: $sgpr64_sgpr65
	s_branch .LBB177_399
.LBB177_397:                            ;   in Loop: Header=BB177_399 Depth=2
	s_or_b64 exec, exec, s[68:69]
	s_waitcnt lgkmcnt(0)
	s_barrier
	ds_read_b32 v9, v3 offset:3072
	s_mov_b64 s[68:69], -1
	s_waitcnt lgkmcnt(0)
	s_barrier
	v_cmp_ne_u32_sdwa s[8:9], v9, v3 src0_sel:WORD_0 src1_sel:DWORD
	s_and_b64 vcc, exec, s[8:9]
	s_mov_b64 s[8:9], -1
	s_cbranch_vccz .LBB177_402
.LBB177_398:                            ;   in Loop: Header=BB177_399 Depth=2
	s_and_b64 s[68:69], exec, s[68:69]
	s_or_b64 s[62:63], s[68:69], s[62:63]
	s_andn2_b64 s[64:65], s[64:65], exec
	s_and_b64 s[8:9], s[8:9], exec
	s_or_b64 s[64:65], s[64:65], s[8:9]
	s_andn2_b64 exec, exec, s[62:63]
	s_cbranch_execz .LBB177_405
.LBB177_399:                            ;   Parent Loop BB177_31 Depth=1
                                        ; =>  This Inner Loop Header: Depth=2
	v_cmp_gt_u64_e32 vcc, s[4:5], v[4:5]
	s_and_saveexec_b64 s[68:69], vcc
	s_cbranch_execz .LBB177_397
; %bb.400:                              ;   in Loop: Header=BB177_399 Depth=2
	ds_read_u16 v9, v8
	s_waitcnt lgkmcnt(0)
	v_add_u32_sdwa v10, sext(v9), s67 dst_sel:DWORD dst_unused:UNUSED_PAD src0_sel:WORD_0 src1_sel:DWORD
	v_and_b32_e32 v10, v10, v53
	v_cmp_eq_u32_e32 vcc, v10, v48
	s_and_b64 exec, exec, vcc
	s_cbranch_execz .LBB177_397
; %bb.401:                              ;   in Loop: Header=BB177_399 Depth=2
	v_perm_b32 v9, v9, 1, v52
	ds_write_b32 v3, v9 offset:3072
	s_branch .LBB177_397
.LBB177_402:                            ;   in Loop: Header=BB177_399 Depth=2
	v_add_co_u32_e32 v4, vcc, s33, v4
	v_addc_co_u32_e32 v5, vcc, 0, v5, vcc
	v_cmp_le_u64_e32 vcc, s[60:61], v[4:5]
	v_readlane_b32 s8, v56, 44
	v_add_u32_e32 v8, s8, v8
	s_mov_b64 s[8:9], 0
	s_orn2_b64 s[68:69], vcc, exec
	s_branch .LBB177_398
.LBB177_403:                            ;   in Loop: Header=BB177_31 Depth=1
                                        ; implicit-def: $sgpr60_sgpr61
	s_branch .LBB177_349
.LBB177_404:                            ;   in Loop: Header=BB177_31 Depth=1
                                        ; implicit-def: $sgpr4_sgpr5
	s_branch .LBB177_365
.LBB177_405:                            ;   in Loop: Header=BB177_31 Depth=1
	s_or_b64 exec, exec, s[62:63]
	v_lshrrev_b32_e32 v54, 16, v9
	s_and_b64 s[64:65], s[64:65], exec
.LBB177_406:                            ;   in Loop: Header=BB177_31 Depth=1
	s_or_b64 exec, exec, s[78:79]
	s_mov_b64 s[68:69], -1
.LBB177_407:                            ;   in Loop: Header=BB177_31 Depth=1
	s_and_b64 vcc, exec, s[74:75]
	s_cbranch_vccz .LBB177_421
; %bb.408:                              ;   in Loop: Header=BB177_31 Depth=1
	v_readlane_b32 s68, v56, 31
	v_readlane_b32 s69, v56, 32
	s_mov_b32 s68, s59
	s_cmp_lg_u64 s[68:69], 0
	v_writelane_b32 v56, s68, 31
	v_writelane_b32 v56, s69, 32
	s_cbranch_scc0 .LBB177_440
; %bb.409:                              ;   in Loop: Header=BB177_31 Depth=1
	v_cvt_f32_u32_e32 v4, s33
	s_sub_u32 s8, 0, s33
	s_subb_u32 s9, 0, 0
	v_mac_f32_e32 v4, 0, v51
	v_rcp_f32_e32 v4, v4
	v_mul_f32_e32 v4, 0x5f7ffffc, v4
	v_mul_f32_e32 v5, 0x2f800000, v4
	v_trunc_f32_e32 v5, v5
	v_mac_f32_e32 v4, 0xcf800000, v5
	v_cvt_u32_f32_e32 v5, v5
	v_cvt_u32_f32_e32 v4, v4
	v_readfirstlane_b32 s58, v5
	v_readfirstlane_b32 s4, v4
	s_mul_i32 s5, s8, s58
	s_mul_hi_u32 s61, s8, s4
	s_mul_i32 s60, s9, s4
	s_add_i32 s5, s61, s5
	s_mul_i32 s62, s8, s4
	s_add_i32 s5, s5, s60
	s_mul_hi_u32 s61, s4, s62
	s_mul_i32 s63, s4, s5
	s_mul_hi_u32 s60, s4, s5
	s_add_u32 s61, s61, s63
	s_addc_u32 s60, 0, s60
	s_mul_hi_u32 s68, s58, s62
	s_mul_i32 s62, s58, s62
	s_add_u32 s61, s61, s62
	s_mul_hi_u32 s63, s58, s5
	s_addc_u32 s60, s60, s68
	s_addc_u32 s61, s63, 0
	s_mul_i32 s5, s58, s5
	s_add_u32 s5, s60, s5
	s_addc_u32 s60, 0, s61
	s_add_u32 s61, s4, s5
	s_cselect_b64 s[4:5], -1, 0
	s_cmp_lg_u64 s[4:5], 0
	s_addc_u32 s58, s58, s60
	s_mul_i32 s4, s8, s58
	s_mul_hi_u32 s5, s8, s61
	s_add_i32 s4, s5, s4
	s_mul_i32 s9, s9, s61
	s_add_i32 s4, s4, s9
	s_mul_i32 s8, s8, s61
	s_mul_hi_u32 s9, s58, s8
	s_mul_i32 s60, s58, s8
	s_mul_i32 s63, s61, s4
	s_mul_hi_u32 s8, s61, s8
	s_mul_hi_u32 s62, s61, s4
	s_add_u32 s8, s8, s63
	s_addc_u32 s62, 0, s62
	s_add_u32 s8, s8, s60
	s_mul_hi_u32 s5, s58, s4
	s_addc_u32 s8, s62, s9
	s_addc_u32 s5, s5, 0
	s_mul_i32 s4, s58, s4
	s_add_u32 s4, s8, s4
	s_addc_u32 s8, 0, s5
	s_add_u32 s9, s61, s4
	s_cselect_b64 s[4:5], -1, 0
	s_cmp_lg_u64 s[4:5], 0
	s_addc_u32 s4, s58, s8
	v_readlane_b32 s61, v56, 29
	s_mul_i32 s8, s61, s4
	s_mul_hi_u32 s58, s61, s9
	s_mul_hi_u32 s5, s61, s4
	s_add_u32 s8, s58, s8
	s_addc_u32 s5, 0, s5
	s_mul_hi_u32 s60, s69, s9
	s_mul_i32 s9, s69, s9
	s_add_u32 s8, s8, s9
	s_mul_hi_u32 s58, s69, s4
	s_addc_u32 s5, s5, s60
	s_addc_u32 s8, s58, 0
	s_mul_i32 s4, s69, s4
	s_add_u32 s4, s5, s4
	s_addc_u32 s5, 0, s8
	s_mul_i32 s5, s33, s5
	s_mul_hi_u32 s8, s33, s4
	s_add_i32 s8, s8, s5
	s_mul_i32 s4, s33, s4
	s_sub_u32 s9, s61, s4
	s_cselect_b64 s[4:5], -1, 0
	s_cmp_lg_u64 s[4:5], 0
	s_subb_u32 s8, s69, s8
	s_sub_u32 s58, s9, s33
	s_cselect_b64 s[4:5], -1, 0
	s_cmp_lg_u64 s[4:5], 0
	s_subb_u32 s60, s8, 0
	;; [unrolled: 4-line block ×3, first 2 shown]
	s_cmp_ge_u32 s58, s33
	s_cselect_b32 s5, -1, 0
	s_cmp_eq_u32 s60, 0
	s_cselect_b32 s5, s5, -1
	s_cmp_lg_u32 s5, 0
	s_cselect_b32 s4, s4, s60
	s_cselect_b32 s58, s61, s58
	s_cmp_ge_u32 s9, s33
	s_cselect_b32 s5, -1, 0
	s_cmp_eq_u32 s8, 0
	s_cselect_b32 s5, s5, -1
	s_cmp_lg_u32 s5, 0
	s_cselect_b32 s5, s4, s8
	s_cselect_b32 s4, s58, s9
	s_cbranch_execnz .LBB177_411
.LBB177_410:                            ;   in Loop: Header=BB177_31 Depth=1
	v_cvt_f32_u32_e32 v4, s33
	s_sub_i32 s4, 0, s33
	v_readlane_b32 s8, v56, 29
	v_rcp_iflag_f32_e32 v4, v4
	v_mul_f32_e32 v4, 0x4f7ffffe, v4
	v_cvt_u32_f32_e32 v4, v4
	v_readfirstlane_b32 s5, v4
	s_mul_i32 s4, s4, s5
	s_mul_hi_u32 s4, s5, s4
	s_add_i32 s5, s5, s4
	s_mul_hi_u32 s4, s8, s5
	s_mul_i32 s4, s4, s33
	s_sub_i32 s4, s8, s4
	s_sub_i32 s5, s4, s33
	s_cmp_ge_u32 s4, s33
	s_cselect_b32 s4, s5, s4
	s_sub_i32 s5, s4, s33
	s_cmp_ge_u32 s4, s33
	s_cselect_b32 s58, s5, s4
	s_mov_b64 s[4:5], s[58:59]
.LBB177_411:                            ;   in Loop: Header=BB177_31 Depth=1
	v_readlane_b32 s8, v56, 29
	v_readlane_b32 s60, v56, 31
	s_sub_u32 s8, s8, s4
	v_readlane_b32 s61, v56, 32
	s_subb_u32 s9, s61, s5
	v_cmp_gt_u64_e32 vcc, s[8:9], v[0:1]
                                        ; implicit-def: $vgpr54
	s_and_saveexec_b64 s[4:5], vcc
	v_readlane_b32 s58, v56, 57
	s_cbranch_execz .LBB177_420
; %bb.412:                              ;   in Loop: Header=BB177_31 Depth=1
	v_mov_b32_e32 v4, v20
	v_mov_b32_e32 v9, v1
	s_mov_b64 s[60:61], 0
	v_mov_b32_e32 v5, v21
	v_mov_b32_e32 v8, v0
                                        ; implicit-def: $sgpr62_sgpr63
	s_branch .LBB177_415
.LBB177_413:                            ;   in Loop: Header=BB177_415 Depth=2
	s_or_b64 exec, exec, s[68:69]
	s_waitcnt lgkmcnt(0)
	s_barrier
	ds_read_b32 v10, v3 offset:3072
	s_mov_b64 s[68:69], -1
	s_waitcnt lgkmcnt(0)
	s_barrier
	v_cmp_eq_u32_sdwa s[72:73], v10, v3 src0_sel:WORD_0 src1_sel:DWORD
	s_and_b64 vcc, exec, s[72:73]
	s_mov_b64 s[72:73], -1
	s_cbranch_vccnz .LBB177_418
.LBB177_414:                            ;   in Loop: Header=BB177_415 Depth=2
	s_and_b64 s[68:69], exec, s[68:69]
	s_or_b64 s[60:61], s[68:69], s[60:61]
	s_andn2_b64 s[62:63], s[62:63], exec
	s_and_b64 s[68:69], s[72:73], exec
	s_or_b64 s[62:63], s[62:63], s[68:69]
	s_andn2_b64 exec, exec, s[60:61]
	s_cbranch_execz .LBB177_419
.LBB177_415:                            ;   Parent Loop BB177_31 Depth=1
                                        ; =>  This Inner Loop Header: Depth=2
	v_cmp_gt_u64_e32 vcc, s[28:29], v[8:9]
	s_and_saveexec_b64 s[68:69], vcc
	s_cbranch_execz .LBB177_413
; %bb.416:                              ;   in Loop: Header=BB177_415 Depth=2
	global_load_ushort v10, v[4:5], off
	s_waitcnt vmcnt(0)
	v_add_u32_sdwa v11, sext(v10), s67 dst_sel:DWORD dst_unused:UNUSED_PAD src0_sel:WORD_0 src1_sel:DWORD
	v_and_b32_e32 v11, v11, v53
	v_cmp_eq_u32_e32 vcc, v11, v48
	s_and_b64 exec, exec, vcc
	s_cbranch_execz .LBB177_413
; %bb.417:                              ;   in Loop: Header=BB177_415 Depth=2
	v_perm_b32 v10, v10, 1, v52
	ds_write_b32 v3, v10 offset:3072
	s_branch .LBB177_413
.LBB177_418:                            ;   in Loop: Header=BB177_415 Depth=2
	v_add_co_u32_e32 v8, vcc, s33, v8
	v_addc_co_u32_e32 v9, vcc, 0, v9, vcc
	v_mov_b32_e32 v11, s41
	v_add_co_u32_e32 v4, vcc, s40, v4
	v_addc_co_u32_e32 v5, vcc, v5, v11, vcc
	v_cmp_le_u64_e32 vcc, s[8:9], v[8:9]
	s_mov_b64 s[72:73], 0
	s_orn2_b64 s[68:69], vcc, exec
	s_branch .LBB177_414
.LBB177_419:                            ;   in Loop: Header=BB177_31 Depth=1
	s_or_b64 exec, exec, s[60:61]
	s_andn2_b64 s[8:9], s[64:65], exec
	s_and_b64 s[60:61], s[62:63], exec
	v_lshrrev_b32_e32 v54, 16, v10
	s_or_b64 s[64:65], s[8:9], s[60:61]
.LBB177_420:                            ;   in Loop: Header=BB177_31 Depth=1
	s_or_b64 exec, exec, s[4:5]
	s_mov_b64 s[68:69], 0
	s_mov_b64 s[72:73], -1
.LBB177_421:                            ;   in Loop: Header=BB177_31 Depth=1
	s_orn2_b64 s[4:5], s[64:65], exec
.LBB177_422:                            ;   in Loop: Header=BB177_31 Depth=1
	s_or_b64 exec, exec, s[10:11]
	s_mov_b64 s[60:61], 0
	s_and_saveexec_b64 s[10:11], s[4:5]
	s_cbranch_execz .LBB177_485
; %bb.423:                              ;   in Loop: Header=BB177_31 Depth=1
	v_mov_b32_e32 v4, 1
	s_xor_b64 s[8:9], s[12:13], -1
	v_mov_b32_e32 v2, 1
	v_mov_b32_e32 v5, 0
	s_and_saveexec_b64 s[4:5], s[8:9]
	s_cbranch_execz .LBB177_432
; %bb.424:                              ;   in Loop: Header=BB177_31 Depth=1
	v_cmp_ge_u64_e32 vcc, s[48:49], v[6:7]
	s_and_saveexec_b64 s[8:9], vcc
	s_xor_b64 s[12:13], exec, s[8:9]
	s_cbranch_execz .LBB177_429
; %bb.425:                              ;   in Loop: Header=BB177_31 Depth=1
	ds_read_b64 v[4:5], v3 offset:5120
	v_readlane_b32 s8, v56, 58
	v_and_b32_e32 v2, s8, v48
	v_lshl_or_b32 v48, 1, s0, v2
	v_or_b32_e32 v53, s1, v53
	s_waitcnt lgkmcnt(0)
	v_cmp_ne_u64_e32 vcc, 0, v[4:5]
	s_cbranch_vccnz .LBB177_429
; %bb.426:                              ;   in Loop: Header=BB177_31 Depth=1
	s_mov_b64 s[8:9], exec
	v_readlane_b32 s60, v56, 8
	v_readlane_b32 s61, v56, 9
	s_and_b64 s[60:61], s[8:9], s[60:61]
	s_mov_b64 exec, s[60:61]
; %bb.427:                              ;   in Loop: Header=BB177_31 Depth=1
	v_mov_b32_e32 v4, s48
	v_mov_b32_e32 v5, s49
	ds_write_b64 v3, v[4:5] offset:5128
; %bb.428:                              ;   in Loop: Header=BB177_31 Depth=1
	s_or_b64 exec, exec, s[8:9]
	s_waitcnt lgkmcnt(0)
	s_barrier
.LBB177_429:                            ;   in Loop: Header=BB177_31 Depth=1
	s_or_saveexec_b64 s[12:13], s[12:13]
	s_mov_b64 s[60:61], 0
	v_mov_b32_e32 v2, 5
	s_xor_b64 exec, exec, s[12:13]
; %bb.430:                              ;   in Loop: Header=BB177_31 Depth=1
	v_subrev_co_u32_e32 v6, vcc, s48, v6
	v_mov_b32_e32 v2, s49
	v_subb_co_u32_e32 v7, vcc, v7, v2, vcc
	v_mov_b32_e32 v2, 0
	s_mov_b64 s[60:61], exec
; %bb.431:                              ;   in Loop: Header=BB177_31 Depth=1
	s_or_b64 exec, exec, s[12:13]
	v_mov_b32_e32 v4, v6
	s_and_b64 s[60:61], s[60:61], exec
	v_mov_b32_e32 v5, v7
.LBB177_432:                            ;   in Loop: Header=BB177_31 Depth=1
	s_or_b64 exec, exec, s[4:5]
	s_mov_b64 s[4:5], -1
                                        ; implicit-def: $sgpr78_sgpr79
                                        ; implicit-def: $sgpr64_sgpr65
	s_and_saveexec_b64 s[12:13], s[60:61]
	s_cbranch_execz .LBB177_484
; %bb.433:                              ;   in Loop: Header=BB177_31 Depth=1
	s_cmp_eq_u64 s[22:23], 1
	v_cmp_eq_u64_e32 vcc, 1, v[4:5]
	s_cselect_b64 s[4:5], -1, 0
	s_mov_b64 s[48:49], -1
	s_and_b64 s[4:5], s[4:5], vcc
                                        ; implicit-def: $sgpr78_sgpr79
                                        ; implicit-def: $sgpr64_sgpr65
	s_mov_b64 s[8:9], exec
	v_writelane_b32 v56, s4, 59
	v_writelane_b32 v56, s5, 60
	;; [unrolled: 1-line block ×3, first 2 shown]
	s_and_b64 s[4:5], s[8:9], s[4:5]
	v_writelane_b32 v56, s9, 62
	s_mov_b64 exec, s[4:5]
	s_cbranch_execz .LBB177_472
; %bb.434:                              ;   in Loop: Header=BB177_31 Depth=1
	ds_read_b64 v[6:7], v3 offset:5120
	s_waitcnt lgkmcnt(0)
	s_barrier
	v_readfirstlane_b32 s4, v6
	v_readfirstlane_b32 s5, v7
	s_mov_b64 s[8:9], exec
	v_readlane_b32 s48, v56, 24
	v_readlane_b32 s49, v56, 25
	s_and_b64 s[48:49], s[8:9], s[48:49]
	s_mov_b64 exec, s[48:49]
; %bb.435:                              ;   in Loop: Header=BB177_31 Depth=1
	ds_write_b16 v50, v3
; %bb.436:                              ;   in Loop: Header=BB177_31 Depth=1
	s_or_b64 exec, exec, s[8:9]
	v_readlane_b32 s8, v56, 58
	v_and_b32_e32 v48, s8, v48
	v_or_b32_e32 v53, s1, v53
	s_mov_b64 s[78:79], 0
	s_cmp_eq_u64 s[4:5], 0
	s_mov_b64 s[74:75], 0
	s_mov_b64 s[64:65], -1
	s_waitcnt lgkmcnt(0)
	s_barrier
                                        ; implicit-def: $vgpr54
	s_cbranch_scc1 .LBB177_454
; %bb.437:                              ;   in Loop: Header=BB177_31 Depth=1
	v_writelane_b32 v56, s68, 63
	v_readlane_b32 s8, v56, 28
	s_add_u32 s62, s4, s8
	v_readlane_b32 s8, v56, 30
	s_addc_u32 s49, s5, s8
	s_mov_b32 s48, s59
	s_cmp_lg_u64 s[48:49], 0
	v_writelane_b32 v55, s69, 0
	s_cbranch_scc0 .LBB177_441
; %bb.438:                              ;   in Loop: Header=BB177_31 Depth=1
	v_cvt_f32_u32_e32 v6, s33
	s_sub_u32 s48, 0, s33
	s_subb_u32 s58, 0, 0
	v_mac_f32_e32 v6, 0, v51
	v_rcp_f32_e32 v6, v6
	v_mul_f32_e32 v6, 0x5f7ffffc, v6
	v_mul_f32_e32 v7, 0x2f800000, v6
	v_trunc_f32_e32 v7, v7
	v_mac_f32_e32 v6, 0xcf800000, v7
	v_cvt_u32_f32_e32 v7, v7
	v_cvt_u32_f32_e32 v6, v6
	v_readfirstlane_b32 s60, v7
	v_readfirstlane_b32 s8, v6
	s_mul_i32 s9, s48, s60
	s_mul_hi_u32 s63, s48, s8
	s_mul_i32 s61, s58, s8
	s_add_i32 s9, s63, s9
	s_mul_i32 s64, s48, s8
	s_add_i32 s9, s9, s61
	s_mul_hi_u32 s63, s8, s64
	s_mul_i32 s65, s8, s9
	s_mul_hi_u32 s61, s8, s9
	s_add_u32 s63, s63, s65
	s_addc_u32 s61, 0, s61
	s_mul_hi_u32 s68, s60, s64
	s_mul_i32 s64, s60, s64
	s_add_u32 s63, s63, s64
	s_mul_hi_u32 s65, s60, s9
	s_addc_u32 s61, s61, s68
	s_addc_u32 s63, s65, 0
	s_mul_i32 s9, s60, s9
	s_add_u32 s9, s61, s9
	s_addc_u32 s61, 0, s63
	s_add_u32 s63, s8, s9
	s_cselect_b64 s[8:9], -1, 0
	s_cmp_lg_u64 s[8:9], 0
	s_addc_u32 s60, s60, s61
	s_mul_i32 s8, s48, s60
	s_mul_hi_u32 s9, s48, s63
	s_add_i32 s8, s9, s8
	s_mul_i32 s58, s58, s63
	s_add_i32 s8, s8, s58
	s_mul_i32 s48, s48, s63
	s_mul_hi_u32 s58, s60, s48
	s_mul_i32 s61, s60, s48
	s_mul_i32 s65, s63, s8
	s_mul_hi_u32 s48, s63, s48
	s_mul_hi_u32 s64, s63, s8
	s_add_u32 s48, s48, s65
	s_addc_u32 s64, 0, s64
	s_add_u32 s48, s48, s61
	s_mul_hi_u32 s9, s60, s8
	s_addc_u32 s48, s64, s58
	s_addc_u32 s9, s9, 0
	s_mul_i32 s8, s60, s8
	s_add_u32 s8, s48, s8
	s_addc_u32 s48, 0, s9
	s_add_u32 s58, s63, s8
	s_cselect_b64 s[8:9], -1, 0
	s_cmp_lg_u64 s[8:9], 0
	s_addc_u32 s8, s60, s48
	s_mul_i32 s48, s62, s8
	s_mul_hi_u32 s60, s62, s58
	s_mul_hi_u32 s9, s62, s8
	s_add_u32 s48, s60, s48
	s_addc_u32 s9, 0, s9
	s_mul_hi_u32 s61, s49, s58
	s_mul_i32 s58, s49, s58
	s_add_u32 s48, s48, s58
	s_mul_hi_u32 s60, s49, s8
	s_addc_u32 s9, s9, s61
	s_addc_u32 s48, s60, 0
	s_mul_i32 s8, s49, s8
	s_add_u32 s8, s9, s8
	s_addc_u32 s9, 0, s48
	s_mul_i32 s9, s33, s9
	s_mul_hi_u32 s48, s33, s8
	s_add_i32 s48, s48, s9
	s_mul_i32 s8, s33, s8
	s_sub_u32 s58, s62, s8
	s_cselect_b64 s[8:9], -1, 0
	s_cmp_lg_u64 s[8:9], 0
	s_subb_u32 s48, s49, s48
	s_sub_u32 s60, s58, s33
	s_cselect_b64 s[8:9], -1, 0
	s_cmp_lg_u64 s[8:9], 0
	s_subb_u32 s61, s48, 0
	;; [unrolled: 4-line block ×3, first 2 shown]
	s_cmp_ge_u32 s60, s33
	s_cselect_b32 s9, -1, 0
	s_cmp_eq_u32 s61, 0
	s_cselect_b32 s9, s9, -1
	s_cmp_lg_u32 s9, 0
	s_cselect_b32 s8, s8, s61
	s_cselect_b32 s9, s63, s60
	s_cmp_ge_u32 s58, s33
	s_cselect_b32 s60, -1, 0
	s_cmp_eq_u32 s48, 0
	s_cselect_b32 s60, s60, -1
	s_cmp_lg_u32 s60, 0
	s_cselect_b32 s61, s8, s48
	s_cselect_b32 s60, s9, s58
	s_mov_b64 s[8:9], 0
	s_branch .LBB177_442
.LBB177_439:                            ;   in Loop: Header=BB177_31 Depth=1
                                        ; implicit-def: $sgpr60_sgpr61
	s_branch .LBB177_394
.LBB177_440:                            ;   in Loop: Header=BB177_31 Depth=1
                                        ; implicit-def: $sgpr4_sgpr5
	s_branch .LBB177_410
.LBB177_441:                            ;   in Loop: Header=BB177_31 Depth=1
	s_mov_b64 s[8:9], -1
                                        ; implicit-def: $sgpr60_sgpr61
.LBB177_442:                            ;   in Loop: Header=BB177_31 Depth=1
	s_andn2_b64 vcc, exec, s[8:9]
	s_cbranch_vccnz .LBB177_444
; %bb.443:                              ;   in Loop: Header=BB177_31 Depth=1
	v_cvt_f32_u32_e32 v6, s33
	s_sub_i32 s8, 0, s33
	v_rcp_iflag_f32_e32 v6, v6
	v_mul_f32_e32 v6, 0x4f7ffffe, v6
	v_cvt_u32_f32_e32 v6, v6
	v_readfirstlane_b32 s9, v6
	s_mul_i32 s8, s8, s9
	s_mul_hi_u32 s8, s9, s8
	s_add_i32 s9, s9, s8
	s_mul_hi_u32 s8, s62, s9
	s_mul_i32 s8, s8, s33
	s_sub_i32 s8, s62, s8
	s_sub_i32 s9, s8, s33
	s_cmp_ge_u32 s8, s33
	s_cselect_b32 s8, s9, s8
	s_sub_i32 s9, s8, s33
	s_cmp_ge_u32 s8, s33
	s_cselect_b32 s58, s9, s8
	s_mov_b64 s[60:61], s[58:59]
.LBB177_444:                            ;   in Loop: Header=BB177_31 Depth=1
	s_sub_u32 s60, s62, s60
	s_subb_u32 s61, s49, s61
	v_cmp_gt_u64_e32 vcc, s[60:61], v[0:1]
	s_mov_b64 s[64:65], 0
                                        ; implicit-def: $vgpr54
	s_and_saveexec_b64 s[48:49], vcc
	v_readlane_b32 s58, v56, 57
	s_cbranch_execz .LBB177_453
; %bb.445:                              ;   in Loop: Header=BB177_31 Depth=1
	v_mov_b32_e32 v7, v1
	s_mov_b64 s[62:63], 0
	v_mov_b32_e32 v8, v49
	v_mov_b32_e32 v6, v0
                                        ; implicit-def: $sgpr74_sgpr75
	s_branch .LBB177_448
.LBB177_446:                            ;   in Loop: Header=BB177_448 Depth=2
	s_or_b64 exec, exec, s[68:69]
	s_waitcnt lgkmcnt(0)
	s_barrier
	ds_read_b32 v9, v3 offset:3072
	s_mov_b64 s[68:69], -1
	s_waitcnt lgkmcnt(0)
	s_barrier
	v_cmp_ne_u32_sdwa s[8:9], v9, v3 src0_sel:WORD_0 src1_sel:DWORD
	s_and_b64 vcc, exec, s[8:9]
	s_mov_b64 s[8:9], -1
	s_cbranch_vccz .LBB177_451
.LBB177_447:                            ;   in Loop: Header=BB177_448 Depth=2
	s_and_b64 s[68:69], exec, s[68:69]
	s_or_b64 s[62:63], s[68:69], s[62:63]
	s_andn2_b64 s[68:69], s[74:75], exec
	s_and_b64 s[8:9], s[8:9], exec
	s_or_b64 s[74:75], s[68:69], s[8:9]
	s_andn2_b64 exec, exec, s[62:63]
	s_cbranch_execz .LBB177_452
.LBB177_448:                            ;   Parent Loop BB177_31 Depth=1
                                        ; =>  This Inner Loop Header: Depth=2
	v_cmp_gt_u64_e32 vcc, s[4:5], v[6:7]
	s_and_saveexec_b64 s[68:69], vcc
	s_cbranch_execz .LBB177_446
; %bb.449:                              ;   in Loop: Header=BB177_448 Depth=2
	ds_read_u16 v9, v8
	s_waitcnt lgkmcnt(0)
	v_add_u32_sdwa v10, sext(v9), s67 dst_sel:DWORD dst_unused:UNUSED_PAD src0_sel:WORD_0 src1_sel:DWORD
	v_and_b32_e32 v10, v10, v53
	v_cmp_eq_u32_e32 vcc, v10, v48
	s_and_b64 exec, exec, vcc
	s_cbranch_execz .LBB177_446
; %bb.450:                              ;   in Loop: Header=BB177_448 Depth=2
	v_perm_b32 v9, v9, 1, v52
	ds_write_b32 v3, v9 offset:3072
	s_branch .LBB177_446
.LBB177_451:                            ;   in Loop: Header=BB177_448 Depth=2
	v_add_co_u32_e32 v6, vcc, s33, v6
	v_addc_co_u32_e32 v7, vcc, 0, v7, vcc
	v_cmp_le_u64_e32 vcc, s[60:61], v[6:7]
	v_readlane_b32 s8, v56, 44
	v_add_u32_e32 v8, s8, v8
	s_mov_b64 s[8:9], 0
	s_orn2_b64 s[68:69], vcc, exec
	s_branch .LBB177_447
.LBB177_452:                            ;   in Loop: Header=BB177_31 Depth=1
	s_or_b64 exec, exec, s[62:63]
	v_lshrrev_b32_e32 v54, 16, v9
	s_and_b64 s[74:75], s[74:75], exec
.LBB177_453:                            ;   in Loop: Header=BB177_31 Depth=1
	s_or_b64 exec, exec, s[48:49]
	v_readlane_b32 s68, v56, 63
	v_readlane_b32 s69, v55, 0
.LBB177_454:                            ;   in Loop: Header=BB177_31 Depth=1
	s_and_b64 vcc, exec, s[64:65]
	s_cbranch_vccz .LBB177_457
; %bb.455:                              ;   in Loop: Header=BB177_31 Depth=1
	v_readlane_b32 s62, v56, 31
	v_readlane_b32 s63, v56, 32
	s_mov_b32 s62, s59
	s_cmp_lg_u64 s[62:63], 0
	v_writelane_b32 v56, s62, 31
	v_writelane_b32 v56, s63, 32
	s_cbranch_scc0 .LBB177_458
; %bb.456:                              ;   in Loop: Header=BB177_31 Depth=1
	v_cvt_f32_u32_e32 v6, s33
	s_sub_u32 s8, 0, s33
	s_subb_u32 s9, 0, 0
	v_mac_f32_e32 v6, 0, v51
	v_rcp_f32_e32 v6, v6
	v_mul_f32_e32 v6, 0x5f7ffffc, v6
	v_mul_f32_e32 v7, 0x2f800000, v6
	v_trunc_f32_e32 v7, v7
	v_mac_f32_e32 v6, 0xcf800000, v7
	v_cvt_u32_f32_e32 v7, v7
	v_cvt_u32_f32_e32 v6, v6
	v_readfirstlane_b32 s48, v7
	v_readfirstlane_b32 s4, v6
	s_mul_i32 s5, s8, s48
	s_mul_hi_u32 s58, s8, s4
	s_mul_i32 s49, s9, s4
	s_add_i32 s5, s58, s5
	s_mul_i32 s60, s8, s4
	s_add_i32 s5, s5, s49
	s_mul_hi_u32 s58, s4, s60
	s_mul_i32 s61, s4, s5
	s_mul_hi_u32 s49, s4, s5
	s_add_u32 s58, s58, s61
	s_addc_u32 s49, 0, s49
	s_mul_hi_u32 s62, s48, s60
	s_mul_i32 s60, s48, s60
	s_add_u32 s58, s58, s60
	s_mul_hi_u32 s61, s48, s5
	s_addc_u32 s49, s49, s62
	s_addc_u32 s58, s61, 0
	s_mul_i32 s5, s48, s5
	s_add_u32 s5, s49, s5
	s_addc_u32 s49, 0, s58
	s_add_u32 s58, s4, s5
	s_cselect_b64 s[4:5], -1, 0
	s_cmp_lg_u64 s[4:5], 0
	s_addc_u32 s48, s48, s49
	s_mul_i32 s4, s8, s48
	s_mul_hi_u32 s5, s8, s58
	s_add_i32 s4, s5, s4
	s_mul_i32 s9, s9, s58
	s_add_i32 s4, s4, s9
	s_mul_i32 s8, s8, s58
	s_mul_hi_u32 s9, s48, s8
	s_mul_i32 s49, s48, s8
	s_mul_i32 s61, s58, s4
	s_mul_hi_u32 s8, s58, s8
	s_mul_hi_u32 s60, s58, s4
	s_add_u32 s8, s8, s61
	s_addc_u32 s60, 0, s60
	s_add_u32 s8, s8, s49
	s_mul_hi_u32 s5, s48, s4
	s_addc_u32 s8, s60, s9
	s_addc_u32 s5, s5, 0
	s_mul_i32 s4, s48, s4
	s_add_u32 s4, s8, s4
	s_addc_u32 s8, 0, s5
	s_add_u32 s9, s58, s4
	s_cselect_b64 s[4:5], -1, 0
	s_cmp_lg_u64 s[4:5], 0
	s_addc_u32 s4, s48, s8
	v_readlane_b32 s58, v56, 29
	s_mul_i32 s8, s58, s4
	s_mul_hi_u32 s48, s58, s9
	s_mul_hi_u32 s5, s58, s4
	s_add_u32 s8, s48, s8
	s_addc_u32 s5, 0, s5
	s_mul_hi_u32 s49, s63, s9
	s_mul_i32 s9, s63, s9
	s_add_u32 s8, s8, s9
	s_mul_hi_u32 s48, s63, s4
	s_addc_u32 s5, s5, s49
	s_addc_u32 s8, s48, 0
	s_mul_i32 s4, s63, s4
	s_add_u32 s4, s5, s4
	s_addc_u32 s5, 0, s8
	s_mul_i32 s5, s33, s5
	s_mul_hi_u32 s8, s33, s4
	s_add_i32 s8, s8, s5
	s_mul_i32 s4, s33, s4
	s_sub_u32 s9, s58, s4
	s_cselect_b64 s[4:5], -1, 0
	s_cmp_lg_u64 s[4:5], 0
	s_subb_u32 s8, s63, s8
	s_sub_u32 s48, s9, s33
	s_cselect_b64 s[4:5], -1, 0
	s_cmp_lg_u64 s[4:5], 0
	s_subb_u32 s49, s8, 0
	;; [unrolled: 4-line block ×3, first 2 shown]
	s_cmp_ge_u32 s48, s33
	s_cselect_b32 s5, -1, 0
	s_cmp_eq_u32 s49, 0
	s_cselect_b32 s5, s5, -1
	s_cmp_lg_u32 s5, 0
	s_cselect_b32 s4, s4, s49
	s_cselect_b32 s48, s58, s48
	s_cmp_ge_u32 s9, s33
	s_cselect_b32 s5, -1, 0
	s_cmp_eq_u32 s8, 0
	s_cselect_b32 s5, s5, -1
	s_cmp_lg_u32 s5, 0
	s_cselect_b32 s5, s4, s8
	s_cselect_b32 s4, s48, s9
	s_mov_b64 s[8:9], 0
	s_branch .LBB177_459
.LBB177_457:                            ;   in Loop: Header=BB177_31 Depth=1
	s_mov_b64 s[64:65], -1
	s_branch .LBB177_471
.LBB177_458:                            ;   in Loop: Header=BB177_31 Depth=1
	s_mov_b64 s[8:9], -1
                                        ; implicit-def: $sgpr4_sgpr5
.LBB177_459:                            ;   in Loop: Header=BB177_31 Depth=1
	s_andn2_b64 vcc, exec, s[8:9]
	s_cbranch_vccnz .LBB177_461
; %bb.460:                              ;   in Loop: Header=BB177_31 Depth=1
	v_cvt_f32_u32_e32 v6, s33
	s_sub_i32 s4, 0, s33
	v_readlane_b32 s8, v56, 29
	v_rcp_iflag_f32_e32 v6, v6
	v_mul_f32_e32 v6, 0x4f7ffffe, v6
	v_cvt_u32_f32_e32 v6, v6
	v_readfirstlane_b32 s5, v6
	s_mul_i32 s4, s4, s5
	s_mul_hi_u32 s4, s5, s4
	s_add_i32 s5, s5, s4
	s_mul_hi_u32 s4, s8, s5
	s_mul_i32 s4, s4, s33
	s_sub_i32 s4, s8, s4
	s_sub_i32 s5, s4, s33
	s_cmp_ge_u32 s4, s33
	s_cselect_b32 s4, s5, s4
	s_sub_i32 s5, s4, s33
	s_cmp_ge_u32 s4, s33
	s_cselect_b32 s58, s5, s4
	s_mov_b64 s[4:5], s[58:59]
.LBB177_461:                            ;   in Loop: Header=BB177_31 Depth=1
	v_readlane_b32 s8, v56, 29
	s_sub_u32 s64, s8, s4
	v_readlane_b32 s8, v56, 31
	v_readlane_b32 s9, v56, 32
	s_subb_u32 s65, s9, s5
	v_cmp_gt_u64_e32 vcc, s[64:65], v[0:1]
                                        ; implicit-def: $vgpr54
	s_and_saveexec_b64 s[4:5], vcc
	v_readlane_b32 s58, v56, 57
	s_cbranch_execz .LBB177_470
; %bb.462:                              ;   in Loop: Header=BB177_31 Depth=1
	v_mov_b32_e32 v6, v20
	v_mov_b32_e32 v9, v1
	s_mov_b64 s[48:49], 0
	v_mov_b32_e32 v7, v21
	v_mov_b32_e32 v8, v0
                                        ; implicit-def: $sgpr60_sgpr61
	s_branch .LBB177_465
.LBB177_463:                            ;   in Loop: Header=BB177_465 Depth=2
	s_or_b64 exec, exec, s[62:63]
	s_waitcnt lgkmcnt(0)
	s_barrier
	ds_read_b32 v10, v3 offset:3072
	s_mov_b64 s[62:63], -1
	s_waitcnt lgkmcnt(0)
	s_barrier
	v_cmp_eq_u32_sdwa s[8:9], v10, v3 src0_sel:WORD_0 src1_sel:DWORD
	s_and_b64 vcc, exec, s[8:9]
	s_mov_b64 s[8:9], -1
	s_cbranch_vccnz .LBB177_468
.LBB177_464:                            ;   in Loop: Header=BB177_465 Depth=2
	s_and_b64 s[62:63], exec, s[62:63]
	s_or_b64 s[48:49], s[62:63], s[48:49]
	s_andn2_b64 s[60:61], s[60:61], exec
	s_and_b64 s[8:9], s[8:9], exec
	s_or_b64 s[60:61], s[60:61], s[8:9]
	s_andn2_b64 exec, exec, s[48:49]
	s_cbranch_execz .LBB177_469
.LBB177_465:                            ;   Parent Loop BB177_31 Depth=1
                                        ; =>  This Inner Loop Header: Depth=2
	v_cmp_gt_u64_e32 vcc, s[28:29], v[8:9]
	s_and_saveexec_b64 s[62:63], vcc
	s_cbranch_execz .LBB177_463
; %bb.466:                              ;   in Loop: Header=BB177_465 Depth=2
	global_load_ushort v10, v[6:7], off
	s_waitcnt vmcnt(0)
	v_add_u32_sdwa v11, sext(v10), s67 dst_sel:DWORD dst_unused:UNUSED_PAD src0_sel:WORD_0 src1_sel:DWORD
	v_and_b32_e32 v11, v11, v53
	v_cmp_eq_u32_e32 vcc, v11, v48
	s_and_b64 exec, exec, vcc
	s_cbranch_execz .LBB177_463
; %bb.467:                              ;   in Loop: Header=BB177_465 Depth=2
	v_perm_b32 v10, v10, 1, v52
	ds_write_b32 v3, v10 offset:3072
	s_branch .LBB177_463
.LBB177_468:                            ;   in Loop: Header=BB177_465 Depth=2
	v_add_co_u32_e32 v8, vcc, s33, v8
	v_addc_co_u32_e32 v9, vcc, 0, v9, vcc
	v_mov_b32_e32 v11, s41
	v_add_co_u32_e32 v6, vcc, s40, v6
	v_addc_co_u32_e32 v7, vcc, v7, v11, vcc
	v_cmp_le_u64_e32 vcc, s[64:65], v[8:9]
	s_mov_b64 s[8:9], 0
	s_orn2_b64 s[62:63], vcc, exec
	s_branch .LBB177_464
.LBB177_469:                            ;   in Loop: Header=BB177_31 Depth=1
	s_or_b64 exec, exec, s[48:49]
	s_andn2_b64 s[8:9], s[74:75], exec
	s_and_b64 s[48:49], s[60:61], exec
	v_lshrrev_b32_e32 v54, 16, v10
	s_or_b64 s[74:75], s[8:9], s[48:49]
.LBB177_470:                            ;   in Loop: Header=BB177_31 Depth=1
	s_or_b64 exec, exec, s[4:5]
	s_mov_b64 s[64:65], 0
	s_mov_b64 s[78:79], -1
.LBB177_471:                            ;   in Loop: Header=BB177_31 Depth=1
	s_orn2_b64 s[48:49], s[74:75], exec
.LBB177_472:                            ;   in Loop: Header=BB177_31 Depth=1
	v_readlane_b32 s4, v56, 61
	v_readlane_b32 s5, v56, 62
	s_or_b64 exec, exec, s[4:5]
	s_mov_b64 s[60:61], 0
	s_and_saveexec_b64 s[4:5], s[48:49]
	s_cbranch_execz .LBB177_483
; %bb.473:                              ;   in Loop: Header=BB177_31 Depth=1
	v_readlane_b32 s8, v56, 59
	v_readlane_b32 s9, v56, 60
	v_mov_b32_e32 v6, 1
	s_xor_b64 s[8:9], s[8:9], -1
	v_mov_b32_e32 v7, 0
	v_mov_b32_e32 v2, 1
	s_and_saveexec_b64 s[48:49], s[8:9]
	s_cbranch_execz .LBB177_482
; %bb.474:                              ;   in Loop: Header=BB177_31 Depth=1
	v_cmp_ge_u64_e32 vcc, s[22:23], v[4:5]
	s_and_saveexec_b64 s[8:9], vcc
	s_xor_b64 s[60:61], exec, s[8:9]
	s_cbranch_execz .LBB177_479
; %bb.475:                              ;   in Loop: Header=BB177_31 Depth=1
	ds_read_b64 v[6:7], v3 offset:5120
	v_readlane_b32 s8, v56, 58
	v_and_b32_e32 v48, s8, v48
	v_or_b32_e32 v53, s1, v53
	s_waitcnt lgkmcnt(0)
	v_cmp_ne_u64_e32 vcc, 0, v[6:7]
	s_cbranch_vccnz .LBB177_479
; %bb.476:                              ;   in Loop: Header=BB177_31 Depth=1
	s_mov_b64 s[8:9], exec
	v_readlane_b32 s62, v56, 8
	v_readlane_b32 s63, v56, 9
	s_and_b64 s[62:63], s[8:9], s[62:63]
	s_mov_b64 exec, s[62:63]
; %bb.477:                              ;   in Loop: Header=BB177_31 Depth=1
	v_mov_b32_e32 v6, s22
	v_mov_b32_e32 v7, s23
	ds_write_b64 v3, v[6:7] offset:5128
; %bb.478:                              ;   in Loop: Header=BB177_31 Depth=1
	s_or_b64 exec, exec, s[8:9]
	s_waitcnt lgkmcnt(0)
	s_barrier
.LBB177_479:                            ;   in Loop: Header=BB177_31 Depth=1
	s_andn2_saveexec_b64 s[60:61], s[60:61]
; %bb.480:                              ;   in Loop: Header=BB177_31 Depth=1
	v_mov_b32_e32 v2, s23
	v_subrev_co_u32_e32 v4, vcc, s22, v4
	v_subb_co_u32_e32 v5, vcc, v5, v2, vcc
; %bb.481:                              ;   in Loop: Header=BB177_31 Depth=1
	s_or_b64 exec, exec, s[60:61]
	v_mov_b32_e32 v7, v5
	v_mov_b32_e32 v2, 5
	;; [unrolled: 1-line block ×3, first 2 shown]
.LBB177_482:                            ;   in Loop: Header=BB177_31 Depth=1
	s_or_b64 exec, exec, s[48:49]
	v_mov_b32_e32 v4, v6
	s_mov_b64 s[60:61], exec
	v_mov_b32_e32 v5, v7
.LBB177_483:                            ;   in Loop: Header=BB177_31 Depth=1
	s_or_b64 exec, exec, s[4:5]
	s_orn2_b64 s[4:5], s[60:61], exec
.LBB177_484:                            ;   in Loop: Header=BB177_31 Depth=1
	s_or_b64 exec, exec, s[12:13]
	s_andn2_b64 s[8:9], s[72:73], exec
	s_and_b64 s[12:13], s[78:79], exec
	s_or_b64 s[72:73], s[8:9], s[12:13]
	s_andn2_b64 s[8:9], s[68:69], exec
	s_and_b64 s[12:13], s[64:65], exec
	v_mov_b32_e32 v7, v5
	s_or_b64 s[68:69], s[8:9], s[12:13]
	s_and_b64 s[60:61], s[4:5], exec
	v_mov_b32_e32 v6, v4
.LBB177_485:                            ;   in Loop: Header=BB177_31 Depth=1
	s_or_b64 exec, exec, s[10:11]
	s_orn2_b64 s[4:5], s[60:61], exec
.LBB177_486:                            ;   in Loop: Header=BB177_31 Depth=1
	s_or_b64 exec, exec, s[16:17]
	s_andn2_b64 s[8:9], s[42:43], exec
	s_and_b64 s[10:11], s[72:73], exec
	s_or_b64 s[42:43], s[8:9], s[10:11]
	s_andn2_b64 s[8:9], s[14:15], exec
	s_and_b64 s[10:11], s[68:69], exec
	v_mov_b32_e32 v4, v6
	s_or_b64 s[14:15], s[8:9], s[10:11]
	s_and_b64 s[10:11], s[4:5], exec
	v_mov_b32_e32 v5, v7
.LBB177_487:                            ;   in Loop: Header=BB177_31 Depth=1
	s_or_b64 exec, exec, s[70:71]
	s_orn2_b64 s[4:5], s[10:11], exec
.LBB177_488:                            ;   in Loop: Header=BB177_31 Depth=1
	s_or_b64 exec, exec, s[6:7]
	s_mov_b64 s[6:7], s[38:39]
	s_mov_b64 s[8:9], s[2:3]
	s_and_saveexec_b64 s[10:11], s[4:5]
; %bb.489:                              ;   in Loop: Header=BB177_31 Depth=1
	v_cmp_ne_u32_e64 s[6:7], 5, v2
	v_cmp_eq_u32_e32 vcc, 5, v2
	s_andn2_b64 s[4:5], s[2:3], exec
	s_and_b64 s[6:7], s[6:7], exec
	s_or_b64 s[8:9], s[4:5], s[6:7]
	s_andn2_b64 s[4:5], s[38:39], exec
	s_and_b64 s[6:7], vcc, exec
	s_or_b64 s[6:7], s[4:5], s[6:7]
; %bb.490:                              ;   in Loop: Header=BB177_31 Depth=1
	s_or_b64 exec, exec, s[10:11]
	s_andn2_b64 s[4:5], s[18:19], exec
	s_and_b64 s[10:11], s[42:43], exec
	s_or_b64 s[18:19], s[4:5], s[10:11]
	s_andn2_b64 s[4:5], s[24:25], exec
	s_and_b64 s[10:11], s[14:15], exec
	s_or_b64 s[24:25], s[4:5], s[10:11]
	;; [unrolled: 3-line block ×4, first 2 shown]
.LBB177_491:                            ;   in Loop: Header=BB177_31 Depth=1
	s_or_b64 exec, exec, s[20:21]
	s_mov_b64 s[42:43], 0
	s_mov_b64 s[74:75], 0
	s_and_saveexec_b64 s[4:5], s[38:39]
.LBB177_492:                            ;   in Loop: Header=BB177_31 Depth=1
	v_mov_b32_e32 v2, 0
	s_or_b64 s[2:3], s[2:3], exec
.LBB177_493:                            ;   in Loop: Header=BB177_31 Depth=1
	s_or_b64 exec, exec, s[4:5]
	s_andn2_b64 s[6:7], s[54:55], exec
	s_and_b64 s[8:9], s[18:19], exec
	s_or_b64 s[54:55], s[6:7], s[8:9]
	s_andn2_b64 s[6:7], s[52:53], exec
	s_and_b64 s[8:9], s[24:25], exec
	s_or_b64 s[52:53], s[6:7], s[8:9]
	;; [unrolled: 3-line block ×3, first 2 shown]
	s_andn2_b64 s[6:7], s[92:93], exec
	s_and_b64 s[8:9], s[42:43], exec
	v_mov_b32_e32 v30, v5
	s_mov_b64 s[4:5], -1
	s_andn2_b64 s[56:57], s[56:57], exec
	s_or_b64 s[92:93], s[6:7], s[8:9]
	v_mov_b32_e32 v29, v4
	s_and_saveexec_b64 s[6:7], s[2:3]
	v_readlane_b32 s20, v56, 55
	s_xor_b64 s[2:3], exec, s[6:7]
	v_readlane_b32 s21, v56, 56
	s_cbranch_execz .LBB177_30
; %bb.494:                              ;   in Loop: Header=BB177_31 Depth=1
	v_cmp_eq_u32_e32 vcc, 0, v2
	s_mov_b64 s[6:7], -1
	s_and_saveexec_b64 s[8:9], vcc
	s_cbranch_execz .LBB177_29
; %bb.495:                              ;   in Loop: Header=BB177_31 Depth=1
	v_readlane_b32 s1, v56, 54
	s_xor_b32 s1, s1, 1
	s_add_i32 s10, s0, -2
	s_cmp_eq_u32 s0, 0
	v_writelane_b32 v56, s1, 54
	s_cselect_b64 s[0:1], -1, 0
	s_xor_b64 s[6:7], exec, -1
	s_orn2_b64 s[4:5], s[0:1], exec
	s_mov_b32 s0, s10
	s_branch .LBB177_29
.LBB177_496:
	s_or_b64 exec, exec, s[80:81]
	s_xor_b64 s[4:5], s[90:91], -1
	s_xor_b64 s[12:13], s[88:89], -1
	;; [unrolled: 1-line block ×5, first 2 shown]
	s_mov_b64 s[6:7], 0
	s_and_saveexec_b64 s[8:9], s[0:1]
	s_xor_b64 s[8:9], exec, s[8:9]
	s_cbranch_execnz .LBB177_501
; %bb.497:
	s_andn2_saveexec_b64 s[0:1], s[8:9]
	s_cbranch_execnz .LBB177_520
.LBB177_498:
	s_or_b64 exec, exec, s[0:1]
	s_and_saveexec_b64 s[0:1], s[6:7]
.LBB177_499:
	; divergent unreachable
.LBB177_500:
	s_endpgm
.LBB177_501:
	s_and_saveexec_b64 s[0:1], s[10:11]
	s_xor_b64 s[10:11], exec, s[0:1]
	s_cbranch_execz .LBB177_518
; %bb.502:
	s_and_saveexec_b64 s[0:1], s[12:13]
	s_xor_b64 s[12:13], exec, s[0:1]
	s_cbranch_execz .LBB177_516
; %bb.503:
	;; [unrolled: 4-line block ×3, first 2 shown]
	s_and_saveexec_b64 s[0:1], s[2:3]
	s_xor_b64 s[2:3], exec, s[0:1]
; %bb.505:
	v_xor_b32_e32 v54, 0xffff8000, v48
; %bb.506:
	s_or_b64 exec, exec, s[2:3]
	s_mov_b64 s[2:3], exec
	v_readlane_b32 s0, v56, 8
	v_readlane_b32 s1, v56, 9
	;; [unrolled: 1-line block ×4, first 2 shown]
	s_and_b64 s[0:1], s[2:3], s[0:1]
	v_readlane_b32 s53, v56, 46
	v_readlane_b32 s55, v56, 13
	s_mov_b64 exec, s[0:1]
; %bb.507:
	v_mov_b32_e32 v2, 0
	v_mov_b32_e32 v3, v2
	ds_write_b64 v2, v[2:3] offset:5136
; %bb.508:
	s_or_b64 exec, exec, s[2:3]
	v_mov_b32_e32 v16, 0
	s_waitcnt lgkmcnt(0)
	s_barrier
	s_mov_b64 s[2:3], exec
	v_readlane_b32 s0, v56, 22
	v_readlane_b32 s1, v56, 23
	s_and_b64 s[0:1], s[2:3], s[0:1]
	s_mov_b64 exec, s[0:1]
	s_cbranch_execz .LBB177_510
; %bb.509:
	global_load_ushort v16, v[12:13], off
.LBB177_510:
	s_or_b64 exec, exec, s[2:3]
	s_add_u32 s0, s28, 63
	v_readlane_b32 s2, v56, 0
	s_addc_u32 s17, s29, 0
	s_and_b32 s16, s0, 0xffffffc0
	v_readlane_b32 s3, v56, 1
	s_mul_i32 s0, s2, s37
	s_mul_hi_u32 s1, s2, s36
	s_add_i32 s0, s1, s0
	s_mul_i32 s1, s3, s36
	v_readlane_b32 s4, v56, 2
	s_add_i32 s1, s0, s1
	s_mul_i32 s0, s2, s36
	v_readlane_b32 s5, v56, 3
	s_mul_i32 s2, s4, s51
	s_mul_hi_u32 s3, s4, s50
	s_add_i32 s2, s3, s2
	s_mul_i32 s3, s5, s50
	s_add_i32 s3, s2, s3
	s_mul_i32 s2, s4, s50
	s_lshl_b64 s[0:1], s[0:1], 1
	v_readlane_b32 s4, v56, 4
	v_readlane_b32 s5, v56, 5
	s_add_u32 s4, s4, s0
	s_addc_u32 s5, s5, s1
	s_lshl_b64 s[0:1], s[34:35], 1
	s_add_u32 s0, s4, s0
	s_addc_u32 s1, s5, s1
	s_lshl_b64 s[2:3], s[2:3], 3
	v_readlane_b32 s4, v56, 6
	v_readlane_b32 s5, v56, 7
	s_add_u32 s4, s4, s2
	s_addc_u32 s5, s5, s3
	s_lshl_b64 s[2:3], s[46:47], 3
	s_add_u32 s48, s4, s2
	s_addc_u32 s49, s5, s3
	v_readlane_b32 s2, v56, 10
	v_readlane_b32 s3, v56, 11
	s_load_dwordx2 s[18:19], s[2:3], 0x368
	s_load_dwordx2 s[20:21], s[2:3], 0x510
	v_cmp_gt_u64_e32 vcc, s[16:17], v[0:1]
	s_mov_b64 s[24:25], -1
	s_mov_b64 s[2:3], 0
	s_mov_b64 s[4:5], 0
	s_and_saveexec_b64 s[22:23], vcc
	s_cbranch_execnz .LBB177_521
; %bb.511:
	s_or_b64 exec, exec, s[22:23]
	s_and_saveexec_b64 s[6:7], s[24:25]
	s_cbranch_execnz .LBB177_536
.LBB177_512:
	s_or_b64 exec, exec, s[6:7]
	s_and_saveexec_b64 s[0:1], s[4:5]
	s_xor_b64 s[0:1], exec, s[0:1]
	s_cbranch_execnz .LBB177_559
.LBB177_513:
	s_or_b64 exec, exec, s[0:1]
	s_and_b64 s[6:7], s[2:3], exec
.LBB177_514:
	s_andn2_saveexec_b64 s[0:1], s[14:15]
	s_cbranch_execnz .LBB177_561
.LBB177_515:
	s_or_b64 exec, exec, s[0:1]
	s_and_b64 s[6:7], s[6:7], exec
.LBB177_516:
	s_andn2_saveexec_b64 s[0:1], s[12:13]
	s_cbranch_execnz .LBB177_560
.LBB177_517:
	s_or_b64 exec, exec, s[0:1]
	s_and_b64 s[6:7], s[6:7], exec
.LBB177_518:
	s_andn2_saveexec_b64 s[0:1], s[10:11]
	s_cbranch_execnz .LBB177_555
.LBB177_519:
	s_or_b64 exec, exec, s[0:1]
	s_and_b64 s[6:7], s[6:7], exec
	s_andn2_saveexec_b64 s[0:1], s[8:9]
	s_cbranch_execz .LBB177_498
.LBB177_520:
	s_or_b64 s[6:7], s[6:7], exec
	s_trap 2
	s_or_b64 exec, exec, s[0:1]
	s_and_saveexec_b64 s[0:1], s[6:7]
	s_cbranch_execnz .LBB177_499
	s_branch .LBB177_500
.LBB177_521:
	v_add_co_u32_e64 v2, s[4:5], s33, v0
	v_addc_co_u32_e64 v3, s[4:5], 0, 0, s[4:5]
	v_mul_lo_u32 v4, s27, v2
	v_mul_lo_u32 v5, s26, v3
	v_mad_u64_u32 v[2:3], s[4:5], s26, v2, 0
	s_add_u32 s4, s52, s44
	s_addc_u32 s5, s53, s45
	v_add3_u32 v3, v3, v5, v4
	v_readlane_b32 s6, v56, 47
	v_lshlrev_b64 v[2:3], 1, v[2:3]
	v_readlane_b32 s7, v56, 48
	s_add_u32 s4, s4, s6
	s_addc_u32 s5, s5, s7
	s_mov_b32 s50, 0x8000
	v_mov_b32_e32 v4, s5
	v_add_co_u32_e64 v2, s[4:5], s4, v2
	v_mov_b32_e32 v11, v1
	v_add_u32_sdwa v17, sext(v54), s50 dst_sel:DWORD dst_unused:UNUSED_PAD src0_sel:WORD_0 src1_sel:DWORD
	v_addc_co_u32_e64 v3, s[4:5], v4, v3, s[4:5]
	s_mov_b64 s[24:25], 0
	v_mov_b32_e32 v5, 0
	v_mov_b32_e32 v10, v0
                                        ; implicit-def: $sgpr34_sgpr35
                                        ; implicit-def: $vgpr8_vgpr9
	s_branch .LBB177_523
.LBB177_522:                            ;   in Loop: Header=BB177_523 Depth=1
	s_or_b64 exec, exec, s[36:37]
	s_xor_b64 s[4:5], s[38:39], -1
	s_and_b64 s[6:7], exec, s[6:7]
	s_or_b64 s[24:25], s[6:7], s[24:25]
	s_andn2_b64 s[6:7], s[34:35], exec
	s_and_b64 s[4:5], s[4:5], exec
	v_mov_b32_e32 v11, v7
	s_or_b64 s[34:35], s[6:7], s[4:5]
	v_mov_b32_e32 v16, v18
	v_mov_b32_e32 v10, v6
	s_andn2_b64 exec, exec, s[24:25]
	s_cbranch_execz .LBB177_535
.LBB177_523:                            ; =>This Inner Loop Header: Depth=1
	v_add_co_u32_e64 v6, s[4:5], s33, v10
	v_addc_co_u32_e64 v7, s[4:5], 0, v11, s[4:5]
	v_cmp_gt_u64_e64 s[4:5], s[28:29], v[6:7]
	v_mov_b32_e32 v18, 0
	s_and_saveexec_b64 s[6:7], s[4:5]
	s_cbranch_execz .LBB177_525
; %bb.524:                              ;   in Loop: Header=BB177_523 Depth=1
	global_load_ushort v18, v[2:3], off
.LBB177_525:                            ;   in Loop: Header=BB177_523 Depth=1
	s_or_b64 exec, exec, s[6:7]
	s_waitcnt vmcnt(0)
	v_add_u32_sdwa v4, sext(v16), s50 dst_sel:DWORD dst_unused:UNUSED_PAD src0_sel:WORD_0 src1_sel:DWORD
	v_cmp_gt_u32_e64 s[6:7], v4, v17
	v_cndmask_b32_e64 v14, 0, 1, s[6:7]
	v_cmp_lt_u32_e64 s[6:7], v4, v17
	v_cndmask_b32_e64 v4, 0, 1, s[6:7]
	v_cndmask_b32_e64 v4, v4, v14, s[54:55]
	v_cmp_gt_u64_e64 s[4:5], s[28:29], v[10:11]
	v_and_b32_e32 v4, 1, v4
	v_cmp_eq_u32_e64 s[6:7], 1, v4
	s_and_b64 s[38:39], s[4:5], s[6:7]
	v_cndmask_b32_e64 v4, 0, 1, s[38:39]
	v_cmp_ne_u32_e64 s[4:5], 0, v4
	s_cmp_lg_u64 s[4:5], 0
	v_readlane_b32 s36, v56, 16
	s_cselect_b64 s[6:7], -1, 0
	v_readlane_b32 s37, v56, 17
	s_and_b64 s[6:7], s[36:37], s[6:7]
	s_and_saveexec_b64 s[36:37], s[6:7]
	s_cbranch_execz .LBB177_529
; %bb.526:                              ;   in Loop: Header=BB177_523 Depth=1
	s_mov_b64 s[46:47], exec
	v_mbcnt_lo_u32_b32 v4, s46, 0
	v_mbcnt_hi_u32_b32 v14, s47, v4
	s_bcnt1_i32_b64 s51, s[4:5]
	v_cmp_eq_u32_e64 s[6:7], 0, v14
                                        ; implicit-def: $vgpr8_vgpr9
	s_and_saveexec_b64 s[42:43], s[6:7]
	s_cbranch_execz .LBB177_528
; %bb.527:                              ;   in Loop: Header=BB177_523 Depth=1
	s_bcnt1_i32_b64 s6, s[46:47]
	s_mul_i32 s6, s51, s6
	v_mov_b32_e32 v4, s6
	s_waitcnt lgkmcnt(0)
	ds_add_rtn_u64 v[8:9], v5, v[4:5] offset:5136
.LBB177_528:                            ;   in Loop: Header=BB177_523 Depth=1
	s_or_b64 exec, exec, s[42:43]
	s_waitcnt lgkmcnt(0)
	v_readfirstlane_b32 s6, v9
	v_readfirstlane_b32 s7, v8
	v_mov_b32_e32 v8, s7
	v_mov_b32_e32 v9, s6
	v_mad_u64_u32 v[8:9], s[6:7], s51, v14, v[8:9]
.LBB177_529:                            ;   in Loop: Header=BB177_523 Depth=1
	s_or_b64 exec, exec, s[36:37]
	s_waitcnt lgkmcnt(0)
	ds_bpermute_b32 v8, v43, v8
	ds_bpermute_b32 v9, v43, v9
	s_mov_b64 s[6:7], -1
	s_mov_b64 s[42:43], -1
	s_and_saveexec_b64 s[36:37], s[38:39]
	s_cbranch_execz .LBB177_533
; %bb.530:                              ;   in Loop: Header=BB177_523 Depth=1
	v_and_b32_e32 v14, s4, v42
	v_and_b32_e32 v4, s5, v41
	v_bcnt_u32_b32 v14, v14, 0
	v_bcnt_u32_b32 v4, v4, v14
	s_waitcnt lgkmcnt(0)
	v_add_co_u32_e64 v14, s[4:5], v8, v4
	v_addc_co_u32_e64 v15, s[4:5], 0, v9, s[4:5]
	v_cmp_gt_u64_e64 s[4:5], s[30:31], v[14:15]
	s_mov_b64 s[38:39], 0
	s_and_saveexec_b64 s[42:43], s[4:5]
; %bb.531:                              ;   in Loop: Header=BB177_523 Depth=1
	v_mul_lo_u32 v4, v15, s18
	v_mul_lo_u32 v21, v14, s19
	v_mad_u64_u32 v[19:20], s[4:5], v14, s18, 0
	v_mul_lo_u32 v22, v15, s20
	v_mul_lo_u32 v23, v14, s21
	v_mad_u64_u32 v[14:15], s[4:5], v14, s20, 0
	v_add3_u32 v20, v20, v21, v4
	v_lshlrev_b64 v[19:20], 1, v[19:20]
	v_add3_u32 v15, v15, v23, v22
	v_mov_b32_e32 v4, s1
	v_add_co_u32_e64 v19, s[4:5], s0, v19
	v_lshlrev_b64 v[14:15], 3, v[14:15]
	v_addc_co_u32_e64 v20, s[4:5], v4, v20, s[4:5]
	v_mov_b32_e32 v4, s49
	v_add_co_u32_e64 v14, s[4:5], s48, v14
	s_mov_b64 s[38:39], exec
	v_addc_co_u32_e64 v15, s[4:5], v4, v15, s[4:5]
	global_store_short v[19:20], v16, off
	global_store_dwordx2 v[14:15], v[10:11], off
; %bb.532:                              ;   in Loop: Header=BB177_523 Depth=1
	s_or_b64 exec, exec, s[42:43]
	s_orn2_b64 s[42:43], s[38:39], exec
.LBB177_533:                            ;   in Loop: Header=BB177_523 Depth=1
	s_or_b64 exec, exec, s[36:37]
	s_mov_b64 s[38:39], -1
	s_and_saveexec_b64 s[36:37], s[42:43]
	s_cbranch_execz .LBB177_522
; %bb.534:                              ;   in Loop: Header=BB177_523 Depth=1
	v_mov_b32_e32 v4, s41
	v_add_co_u32_e64 v2, s[4:5], s40, v2
	v_addc_co_u32_e64 v3, s[4:5], v3, v4, s[4:5]
	v_cmp_le_u64_e64 s[4:5], s[16:17], v[6:7]
	s_xor_b64 s[38:39], exec, -1
	s_orn2_b64 s[6:7], s[4:5], exec
	s_branch .LBB177_522
.LBB177_535:
	s_or_b64 exec, exec, s[24:25]
	s_mov_b64 s[4:5], exec
	s_orn2_b64 s[24:25], s[34:35], exec
	s_or_b64 exec, exec, s[22:23]
	s_and_saveexec_b64 s[6:7], s[24:25]
	s_cbranch_execz .LBB177_512
.LBB177_536:
	v_mov_b32_e32 v4, 0
	s_waitcnt vmcnt(0) lgkmcnt(0)
	s_barrier
	s_mov_b64 s[2:3], exec
	v_readlane_b32 s22, v56, 22
	v_readlane_b32 s23, v56, 23
	s_and_b64 s[22:23], s[2:3], s[22:23]
	s_mov_b64 exec, s[22:23]
	s_cbranch_execz .LBB177_538
; %bb.537:
	global_load_ushort v4, v[12:13], off
.LBB177_538:
	s_or_b64 exec, exec, s[2:3]
	s_mov_b64 s[2:3], 0
	s_and_saveexec_b64 s[22:23], vcc
	s_cbranch_execz .LBB177_558
; %bb.539:
	v_add_co_u32_e32 v2, vcc, s33, v0
	v_addc_co_u32_e64 v3, s[2:3], 0, 0, vcc
	v_mul_lo_u32 v5, s27, v2
	v_mul_lo_u32 v6, s26, v3
	v_mad_u64_u32 v[2:3], s[2:3], s26, v2, 0
	s_add_u32 s2, s52, s44
	s_addc_u32 s3, s53, s45
	v_add3_u32 v3, v3, v6, v5
	v_readlane_b32 s24, v56, 47
	v_lshlrev_b64 v[2:3], 1, v[2:3]
	v_readlane_b32 s25, v56, 48
	s_add_u32 s2, s2, s24
	s_addc_u32 s3, s3, s25
	v_mov_b32_e32 v5, s3
	v_add_co_u32_e32 v2, vcc, s2, v2
	v_addc_co_u32_e32 v3, vcc, v5, v3, vcc
	s_mov_b64 s[24:25], 0
	v_mov_b32_e32 v5, 0
                                        ; implicit-def: $sgpr26_sgpr27
                                        ; implicit-def: $vgpr8_vgpr9
	s_branch .LBB177_542
.LBB177_540:                            ;   in Loop: Header=BB177_542 Depth=1
	s_or_b64 exec, exec, s[36:37]
	s_orn2_b64 s[38:39], s[42:43], exec
	s_orn2_b64 s[36:37], s[34:35], exec
.LBB177_541:                            ;   in Loop: Header=BB177_542 Depth=1
	s_or_b64 exec, exec, s[2:3]
	s_xor_b64 s[2:3], s[38:39], -1
	s_and_b64 s[34:35], exec, s[36:37]
	s_or_b64 s[24:25], s[34:35], s[24:25]
	s_andn2_b64 s[26:27], s[26:27], exec
	s_and_b64 s[2:3], s[2:3], exec
	v_mov_b32_e32 v0, v6
	s_or_b64 s[26:27], s[26:27], s[2:3]
	v_mov_b32_e32 v1, v7
	v_mov_b32_e32 v4, v12
	s_andn2_b64 exec, exec, s[24:25]
	s_cbranch_execz .LBB177_556
.LBB177_542:                            ; =>This Inner Loop Header: Depth=1
	v_add_co_u32_e32 v6, vcc, s33, v0
	v_addc_co_u32_e32 v7, vcc, 0, v1, vcc
	v_cmp_gt_u64_e32 vcc, s[28:29], v[6:7]
	v_mov_b32_e32 v12, 0
	s_and_saveexec_b64 s[2:3], vcc
	s_cbranch_execz .LBB177_544
; %bb.543:                              ;   in Loop: Header=BB177_542 Depth=1
	global_load_ushort v12, v[2:3], off
.LBB177_544:                            ;   in Loop: Header=BB177_542 Depth=1
	s_or_b64 exec, exec, s[2:3]
	v_cmp_gt_u64_e32 vcc, s[28:29], v[0:1]
	s_waitcnt vmcnt(0)
	v_cmp_eq_u16_e64 s[2:3], v4, v54
	s_and_b64 s[34:35], vcc, s[2:3]
	v_cndmask_b32_e64 v4, 0, 1, s[34:35]
	v_cmp_ne_u32_e32 vcc, 0, v4
	s_cmp_lg_u64 vcc, 0
	v_readlane_b32 s36, v56, 16
	s_cselect_b64 s[2:3], -1, 0
	v_readlane_b32 s37, v56, 17
	s_and_b64 s[2:3], s[36:37], s[2:3]
	s_and_saveexec_b64 s[36:37], s[2:3]
	s_cbranch_execz .LBB177_548
; %bb.545:                              ;   in Loop: Header=BB177_542 Depth=1
	s_mov_b64 s[42:43], exec
	v_mbcnt_lo_u32_b32 v4, s42, 0
	v_mbcnt_hi_u32_b32 v10, s43, v4
	s_bcnt1_i32_b64 s44, vcc
	v_cmp_eq_u32_e64 s[2:3], 0, v10
                                        ; implicit-def: $vgpr8_vgpr9
	s_and_saveexec_b64 s[38:39], s[2:3]
; %bb.546:                              ;   in Loop: Header=BB177_542 Depth=1
	s_bcnt1_i32_b64 s2, s[42:43]
	s_mul_i32 s2, s44, s2
	v_mov_b32_e32 v4, s2
	ds_add_rtn_u64 v[8:9], v5, v[4:5] offset:5136
; %bb.547:                              ;   in Loop: Header=BB177_542 Depth=1
	s_or_b64 exec, exec, s[38:39]
	s_waitcnt lgkmcnt(0)
	v_readfirstlane_b32 s2, v9
	v_readfirstlane_b32 s3, v8
	v_mov_b32_e32 v8, s3
	v_mov_b32_e32 v9, s2
	v_mad_u64_u32 v[8:9], s[2:3], s44, v10, v[8:9]
.LBB177_548:                            ;   in Loop: Header=BB177_542 Depth=1
	s_or_b64 exec, exec, s[36:37]
	ds_bpermute_b32 v8, v43, v8
	ds_bpermute_b32 v9, v43, v9
	s_cmp_eq_u64 vcc, 0
	s_cselect_b64 s[38:39], -1, 0
	s_mov_b64 s[36:37], -1
	s_waitcnt lgkmcnt(0)
	v_cmp_gt_u64_e64 s[2:3], s[30:31], v[8:9]
	s_or_b64 s[42:43], s[38:39], s[2:3]
	s_mov_b64 s[38:39], -1
	s_and_saveexec_b64 s[2:3], s[42:43]
	s_cbranch_execz .LBB177_541
; %bb.549:                              ;   in Loop: Header=BB177_542 Depth=1
	v_and_b32_e32 v10, vcc_lo, v42
	v_and_b32_e32 v4, vcc_hi, v41
	v_bcnt_u32_b32 v10, v10, 0
	v_bcnt_u32_b32 v4, v4, v10
	v_mov_b32_e32 v11, s31
	v_sub_co_u32_e32 v10, vcc, s30, v8
	v_subb_co_u32_e32 v11, vcc, v11, v9, vcc
	v_cmp_gt_u64_e32 vcc, v[10:11], v[4:5]
	s_mov_b64 s[42:43], -1
	s_and_b64 s[44:45], s[34:35], vcc
	s_mov_b64 s[34:35], -1
	s_and_saveexec_b64 s[36:37], s[44:45]
	s_cbranch_execz .LBB177_553
; %bb.550:                              ;   in Loop: Header=BB177_542 Depth=1
	v_add_co_u32_e32 v10, vcc, v8, v4
	v_addc_co_u32_e32 v11, vcc, 0, v9, vcc
	v_cmp_gt_u64_e32 vcc, s[30:31], v[10:11]
	s_mov_b64 s[38:39], 0
	s_and_saveexec_b64 s[42:43], vcc
; %bb.551:                              ;   in Loop: Header=BB177_542 Depth=1
	v_mul_lo_u32 v4, v11, s18
	v_mul_lo_u32 v15, v10, s19
	v_mad_u64_u32 v[13:14], s[44:45], v10, s18, 0
	v_mul_lo_u32 v16, v11, s20
	v_mul_lo_u32 v17, v10, s21
	v_mad_u64_u32 v[10:11], s[44:45], v10, s20, 0
	v_add3_u32 v14, v14, v15, v4
	v_lshlrev_b64 v[13:14], 1, v[13:14]
	v_add3_u32 v11, v11, v17, v16
	v_mov_b32_e32 v4, s1
	v_add_co_u32_e32 v13, vcc, s0, v13
	v_lshlrev_b64 v[10:11], 3, v[10:11]
	v_addc_co_u32_e32 v14, vcc, v4, v14, vcc
	v_mov_b32_e32 v4, s49
	v_add_co_u32_e32 v10, vcc, s48, v10
	s_mov_b64 s[38:39], exec
	v_addc_co_u32_e32 v11, vcc, v4, v11, vcc
	global_store_short v[13:14], v54, off
	global_store_dwordx2 v[10:11], v[0:1], off
; %bb.552:                              ;   in Loop: Header=BB177_542 Depth=1
	s_or_b64 exec, exec, s[42:43]
	s_xor_b64 s[42:43], exec, -1
	s_orn2_b64 s[38:39], s[38:39], exec
.LBB177_553:                            ;   in Loop: Header=BB177_542 Depth=1
	s_or_b64 exec, exec, s[36:37]
	s_and_saveexec_b64 s[36:37], s[38:39]
	s_cbranch_execz .LBB177_540
; %bb.554:                              ;   in Loop: Header=BB177_542 Depth=1
	v_mov_b32_e32 v0, s41
	v_add_co_u32_e32 v2, vcc, s40, v2
	v_addc_co_u32_e32 v3, vcc, v3, v0, vcc
	v_cmp_le_u64_e32 vcc, s[16:17], v[6:7]
	s_or_b64 s[42:43], s[42:43], exec
	s_orn2_b64 s[34:35], vcc, exec
	s_branch .LBB177_540
.LBB177_555:
	s_or_b64 s[6:7], s[6:7], exec
	s_trap 2
	s_branch .LBB177_519
.LBB177_556:
	s_or_b64 exec, exec, s[24:25]
	s_mov_b64 s[0:1], 0
	s_and_saveexec_b64 s[2:3], s[26:27]
	s_xor_b64 s[2:3], exec, s[2:3]
	s_cbranch_execnz .LBB177_562
.LBB177_557:
	s_or_b64 exec, exec, s[2:3]
	s_and_b64 s[2:3], s[0:1], exec
.LBB177_558:
	s_or_b64 exec, exec, s[22:23]
	s_and_b64 s[2:3], s[2:3], exec
	s_andn2_b64 s[4:5], s[4:5], exec
	s_or_b64 exec, exec, s[6:7]
	s_and_saveexec_b64 s[0:1], s[4:5]
	s_xor_b64 s[0:1], exec, s[0:1]
	s_cbranch_execz .LBB177_513
.LBB177_559:
	s_trap 2
	s_or_b64 s[2:3], s[2:3], exec
	s_branch .LBB177_513
.LBB177_560:
	s_or_b64 s[6:7], s[6:7], exec
	s_trap 2
	s_branch .LBB177_517
.LBB177_561:
	s_trap 2
	s_or_b64 s[6:7], s[6:7], exec
	s_branch .LBB177_515
.LBB177_562:
	s_mov_b64 s[0:1], exec
	s_trap 2
	s_branch .LBB177_557
	.section	.rodata,"a",@progbits
	.p2align	6, 0x0
	.amdhsa_kernel _ZN2at6native6sbtopk10gatherTopKIsmLin1ELb0EEEvNS_4cuda6detail10TensorInfoIKT_T0_EES8_S8_bS8_S8_NS5_IS6_S8_EES8_NS5_IlS8_EES8_PS6_
		.amdhsa_group_segment_fixed_size 5152
		.amdhsa_private_segment_fixed_size 0
		.amdhsa_kernarg_size 1568
		.amdhsa_user_sgpr_count 6
		.amdhsa_user_sgpr_private_segment_buffer 1
		.amdhsa_user_sgpr_dispatch_ptr 0
		.amdhsa_user_sgpr_queue_ptr 0
		.amdhsa_user_sgpr_kernarg_segment_ptr 1
		.amdhsa_user_sgpr_dispatch_id 0
		.amdhsa_user_sgpr_flat_scratch_init 0
		.amdhsa_user_sgpr_private_segment_size 0
		.amdhsa_uses_dynamic_stack 0
		.amdhsa_system_sgpr_private_segment_wavefront_offset 0
		.amdhsa_system_sgpr_workgroup_id_x 1
		.amdhsa_system_sgpr_workgroup_id_y 1
		.amdhsa_system_sgpr_workgroup_id_z 1
		.amdhsa_system_sgpr_workgroup_info 0
		.amdhsa_system_vgpr_workitem_id 0
		.amdhsa_next_free_vgpr 57
		.amdhsa_next_free_sgpr 96
		.amdhsa_reserve_vcc 1
		.amdhsa_reserve_flat_scratch 0
		.amdhsa_float_round_mode_32 0
		.amdhsa_float_round_mode_16_64 0
		.amdhsa_float_denorm_mode_32 3
		.amdhsa_float_denorm_mode_16_64 3
		.amdhsa_dx10_clamp 1
		.amdhsa_ieee_mode 1
		.amdhsa_fp16_overflow 0
		.amdhsa_exception_fp_ieee_invalid_op 0
		.amdhsa_exception_fp_denorm_src 0
		.amdhsa_exception_fp_ieee_div_zero 0
		.amdhsa_exception_fp_ieee_overflow 0
		.amdhsa_exception_fp_ieee_underflow 0
		.amdhsa_exception_fp_ieee_inexact 0
		.amdhsa_exception_int_div_zero 0
	.end_amdhsa_kernel
	.section	.text._ZN2at6native6sbtopk10gatherTopKIsmLin1ELb0EEEvNS_4cuda6detail10TensorInfoIKT_T0_EES8_S8_bS8_S8_NS5_IS6_S8_EES8_NS5_IlS8_EES8_PS6_,"axG",@progbits,_ZN2at6native6sbtopk10gatherTopKIsmLin1ELb0EEEvNS_4cuda6detail10TensorInfoIKT_T0_EES8_S8_bS8_S8_NS5_IS6_S8_EES8_NS5_IlS8_EES8_PS6_,comdat
.Lfunc_end177:
	.size	_ZN2at6native6sbtopk10gatherTopKIsmLin1ELb0EEEvNS_4cuda6detail10TensorInfoIKT_T0_EES8_S8_bS8_S8_NS5_IS6_S8_EES8_NS5_IlS8_EES8_PS6_, .Lfunc_end177-_ZN2at6native6sbtopk10gatherTopKIsmLin1ELb0EEEvNS_4cuda6detail10TensorInfoIKT_T0_EES8_S8_bS8_S8_NS5_IS6_S8_EES8_NS5_IlS8_EES8_PS6_
                                        ; -- End function
	.set _ZN2at6native6sbtopk10gatherTopKIsmLin1ELb0EEEvNS_4cuda6detail10TensorInfoIKT_T0_EES8_S8_bS8_S8_NS5_IS6_S8_EES8_NS5_IlS8_EES8_PS6_.num_vgpr, 57
	.set _ZN2at6native6sbtopk10gatherTopKIsmLin1ELb0EEEvNS_4cuda6detail10TensorInfoIKT_T0_EES8_S8_bS8_S8_NS5_IS6_S8_EES8_NS5_IlS8_EES8_PS6_.num_agpr, 0
	.set _ZN2at6native6sbtopk10gatherTopKIsmLin1ELb0EEEvNS_4cuda6detail10TensorInfoIKT_T0_EES8_S8_bS8_S8_NS5_IS6_S8_EES8_NS5_IlS8_EES8_PS6_.numbered_sgpr, 96
	.set _ZN2at6native6sbtopk10gatherTopKIsmLin1ELb0EEEvNS_4cuda6detail10TensorInfoIKT_T0_EES8_S8_bS8_S8_NS5_IS6_S8_EES8_NS5_IlS8_EES8_PS6_.num_named_barrier, 0
	.set _ZN2at6native6sbtopk10gatherTopKIsmLin1ELb0EEEvNS_4cuda6detail10TensorInfoIKT_T0_EES8_S8_bS8_S8_NS5_IS6_S8_EES8_NS5_IlS8_EES8_PS6_.private_seg_size, 0
	.set _ZN2at6native6sbtopk10gatherTopKIsmLin1ELb0EEEvNS_4cuda6detail10TensorInfoIKT_T0_EES8_S8_bS8_S8_NS5_IS6_S8_EES8_NS5_IlS8_EES8_PS6_.uses_vcc, 1
	.set _ZN2at6native6sbtopk10gatherTopKIsmLin1ELb0EEEvNS_4cuda6detail10TensorInfoIKT_T0_EES8_S8_bS8_S8_NS5_IS6_S8_EES8_NS5_IlS8_EES8_PS6_.uses_flat_scratch, 0
	.set _ZN2at6native6sbtopk10gatherTopKIsmLin1ELb0EEEvNS_4cuda6detail10TensorInfoIKT_T0_EES8_S8_bS8_S8_NS5_IS6_S8_EES8_NS5_IlS8_EES8_PS6_.has_dyn_sized_stack, 0
	.set _ZN2at6native6sbtopk10gatherTopKIsmLin1ELb0EEEvNS_4cuda6detail10TensorInfoIKT_T0_EES8_S8_bS8_S8_NS5_IS6_S8_EES8_NS5_IlS8_EES8_PS6_.has_recursion, 0
	.set _ZN2at6native6sbtopk10gatherTopKIsmLin1ELb0EEEvNS_4cuda6detail10TensorInfoIKT_T0_EES8_S8_bS8_S8_NS5_IS6_S8_EES8_NS5_IlS8_EES8_PS6_.has_indirect_call, 0
	.section	.AMDGPU.csdata,"",@progbits
; Kernel info:
; codeLenInByte = 29220
; TotalNumSgprs: 100
; NumVgprs: 57
; ScratchSize: 0
; MemoryBound: 0
; FloatMode: 240
; IeeeMode: 1
; LDSByteSize: 5152 bytes/workgroup (compile time only)
; SGPRBlocks: 12
; VGPRBlocks: 14
; NumSGPRsForWavesPerEU: 100
; NumVGPRsForWavesPerEU: 57
; Occupancy: 4
; WaveLimiterHint : 1
; COMPUTE_PGM_RSRC2:SCRATCH_EN: 0
; COMPUTE_PGM_RSRC2:USER_SGPR: 6
; COMPUTE_PGM_RSRC2:TRAP_HANDLER: 0
; COMPUTE_PGM_RSRC2:TGID_X_EN: 1
; COMPUTE_PGM_RSRC2:TGID_Y_EN: 1
; COMPUTE_PGM_RSRC2:TGID_Z_EN: 1
; COMPUTE_PGM_RSRC2:TIDIG_COMP_CNT: 0
	.section	.text._ZN2at6native6mbtopk23computeBlockDigitCountsIdmmLi1EEEvNS_4cuda6detail10TensorInfoIKT_T0_EEjPjjS8_iijT1_PSB_Ps,"axG",@progbits,_ZN2at6native6mbtopk23computeBlockDigitCountsIdmmLi1EEEvNS_4cuda6detail10TensorInfoIKT_T0_EEjPjjS8_iijT1_PSB_Ps,comdat
	.protected	_ZN2at6native6mbtopk23computeBlockDigitCountsIdmmLi1EEEvNS_4cuda6detail10TensorInfoIKT_T0_EEjPjjS8_iijT1_PSB_Ps ; -- Begin function _ZN2at6native6mbtopk23computeBlockDigitCountsIdmmLi1EEEvNS_4cuda6detail10TensorInfoIKT_T0_EEjPjjS8_iijT1_PSB_Ps
	.globl	_ZN2at6native6mbtopk23computeBlockDigitCountsIdmmLi1EEEvNS_4cuda6detail10TensorInfoIKT_T0_EEjPjjS8_iijT1_PSB_Ps
	.p2align	8
	.type	_ZN2at6native6mbtopk23computeBlockDigitCountsIdmmLi1EEEvNS_4cuda6detail10TensorInfoIKT_T0_EEjPjjS8_iijT1_PSB_Ps,@function
_ZN2at6native6mbtopk23computeBlockDigitCountsIdmmLi1EEEvNS_4cuda6detail10TensorInfoIKT_T0_EEjPjjS8_iijT1_PSB_Ps: ; @_ZN2at6native6mbtopk23computeBlockDigitCountsIdmmLi1EEEvNS_4cuda6detail10TensorInfoIKT_T0_EEjPjjS8_iijT1_PSB_Ps
; %bb.0:
	s_load_dwordx4 s[0:3], s[4:5], 0x1c0
	s_load_dwordx2 s[10:11], s[4:5], 0x1e8
	s_waitcnt lgkmcnt(0)
	s_load_dword s3, s[4:5], 0x1b0
	s_mov_b32 s13, 0
	v_cvt_f32_u32_e32 v1, s2
	s_mul_i32 s8, s11, s8
	s_add_i32 s7, s8, s7
	s_mul_i32 s16, s7, s10
	v_rcp_iflag_f32_e32 v1, v1
	s_sub_i32 s9, 0, s2
	s_add_i32 s16, s16, s6
	v_mul_f32_e32 v1, 0x4f7ffffe, v1
	v_cvt_u32_f32_e32 v1, v1
	v_readfirstlane_b32 s6, v1
	s_mul_i32 s9, s9, s6
	s_mul_hi_u32 s7, s6, s9
	s_add_i32 s6, s6, s7
	s_mul_hi_u32 s6, s16, s6
	s_mul_i32 s7, s6, s2
	s_sub_i32 s7, s16, s7
	s_add_i32 s8, s6, 1
	s_sub_i32 s9, s7, s2
	s_cmp_ge_u32 s7, s2
	s_cselect_b32 s6, s8, s6
	s_cselect_b32 s7, s9, s7
	s_add_i32 s8, s6, 1
	s_cmp_ge_u32 s7, s2
	s_cselect_b32 s12, s8, s6
	s_waitcnt lgkmcnt(0)
	s_cmp_ge_u32 s12, s3
	s_cbranch_scc1 .LBB178_21
; %bb.1:
	s_load_dwordx4 s[8:11], s[4:5], 0x1d0
	s_load_dwordx2 s[6:7], s[4:5], 0x1e0
	s_lshl_b64 s[14:15], s[12:13], 3
	s_movk_i32 s3, 0x100
	v_cmp_gt_u32_e32 vcc, s3, v0
	s_waitcnt lgkmcnt(0)
	s_add_u32 s14, s10, s14
	s_addc_u32 s15, s11, s15
	v_lshlrev_b32_e32 v3, 2, v0
	s_and_saveexec_b64 s[10:11], vcc
; %bb.2:
	v_mov_b32_e32 v1, 0
	ds_write_b32 v3, v1
; %bb.3:
	s_or_b64 exec, exec, s[10:11]
	s_load_dword s13, s[4:5], 0x1a0
	s_mul_i32 s3, s12, s2
	s_sub_i32 s3, s16, s3
	s_add_i32 s17, s3, 1
	s_mul_i32 s3, s1, s3
	s_lshl_b32 s18, s3, 8
	s_waitcnt lgkmcnt(0)
	s_sub_i32 s3, s13, s18
	s_add_u32 s10, s3, 0xff
	s_addc_u32 s11, 0, 0
	s_lshr_b64 s[10:11], s[10:11], 8
	s_cmp_lt_u32 s17, s2
	s_cselect_b32 s17, s1, s10
	s_cmp_lt_i32 s17, 1
	s_mov_b32 s1, 0
	s_barrier
	s_cbranch_scc1 .LBB178_19
; %bb.4:
	s_load_dwordx2 s[20:21], s[4:5], 0xd0
	s_load_dwordx2 s[10:11], s[4:5], 0x1b8
	;; [unrolled: 1-line block ×4, first 2 shown]
	v_add_u32_e32 v4, s18, v0
	s_waitcnt lgkmcnt(0)
	s_mul_i32 s4, s21, s12
	s_mul_hi_u32 s5, s20, s12
	s_add_i32 s5, s5, s4
	s_mul_i32 s4, s20, s12
	s_lshl_b64 s[4:5], s[4:5], 3
	s_add_u32 s14, s22, s4
	s_addc_u32 s15, s23, s5
	s_and_b32 s12, s0, 0xff
	s_cmp_eq_u32 s17, 1
	s_cbranch_scc1 .LBB178_14
; %bb.5:
	s_and_b32 s18, s17, 0x7ffffffe
	s_mov_b32 s19, 0
	v_mov_b32_e32 v5, 1
	v_mov_b32_e32 v6, 2
	;; [unrolled: 1-line block ×3, first 2 shown]
	s_branch .LBB178_7
.LBB178_6:                              ;   in Loop: Header=BB178_7 Depth=1
	s_or_b64 exec, exec, s[4:5]
	s_add_i32 s19, s19, 2
	s_cmp_eq_u32 s18, s19
	v_add_u32_e32 v7, 0x200, v7
	s_cbranch_scc1 .LBB178_13
.LBB178_7:                              ; =>This Inner Loop Header: Depth=1
	v_cmp_gt_u32_e64 s[0:1], s13, v7
	s_and_saveexec_b64 s[4:5], s[0:1]
	s_cbranch_execz .LBB178_10
; %bb.8:                                ;   in Loop: Header=BB178_7 Depth=1
	v_mad_u64_u32 v[1:2], s[0:1], s10, v7, 0
	v_mad_u64_u32 v[8:9], s[0:1], s11, v7, v[2:3]
	v_mov_b32_e32 v9, s15
	v_mov_b32_e32 v2, v8
	v_lshlrev_b64 v[1:2], 3, v[1:2]
	v_add_co_u32_e64 v1, s[0:1], s14, v1
	v_addc_co_u32_e64 v2, s[0:1], v9, v2, s[0:1]
	global_load_dwordx2 v[1:2], v[1:2], off
	s_waitcnt vmcnt(0)
	v_cmp_o_f64_e64 s[0:1], v[1:2], v[1:2]
	v_ashrrev_i32_e32 v8, 31, v2
	v_or_b32_e32 v9, 0x80000000, v8
	v_xor_b32_e32 v9, v9, v2
	v_xor_b32_e32 v1, v8, v1
	v_cndmask_b32_e64 v2, -1, v9, s[0:1]
	v_cndmask_b32_e64 v1, -1, v1, s[0:1]
	v_xor_b32_e32 v8, s3, v2
	v_xor_b32_e32 v10, s2, v1
	v_and_b32_e32 v9, s9, v8
	v_and_b32_e32 v8, s8, v10
	v_cmp_eq_u64_e64 s[0:1], 0, v[8:9]
	s_and_b64 exec, exec, s[0:1]
; %bb.9:                                ;   in Loop: Header=BB178_7 Depth=1
	v_lshrrev_b64 v[1:2], s12, v[1:2]
	v_lshlrev_b32_sdwa v1, v6, v1 dst_sel:DWORD dst_unused:UNUSED_PAD src0_sel:DWORD src1_sel:BYTE_0
	ds_add_u32 v1, v5
.LBB178_10:                             ;   in Loop: Header=BB178_7 Depth=1
	s_or_b64 exec, exec, s[4:5]
	v_add_u32_e32 v1, 0x100, v7
	v_cmp_gt_u32_e64 s[0:1], s13, v1
	s_and_saveexec_b64 s[4:5], s[0:1]
	s_cbranch_execz .LBB178_6
; %bb.11:                               ;   in Loop: Header=BB178_7 Depth=1
	v_mad_u64_u32 v[8:9], s[0:1], s10, v1, 0
	v_mov_b32_e32 v10, s15
	v_mov_b32_e32 v2, v9
	v_mad_u64_u32 v[1:2], s[0:1], s11, v1, v[2:3]
	v_mov_b32_e32 v9, v1
	v_lshlrev_b64 v[1:2], 3, v[8:9]
	v_add_co_u32_e64 v1, s[0:1], s14, v1
	v_addc_co_u32_e64 v2, s[0:1], v10, v2, s[0:1]
	global_load_dwordx2 v[1:2], v[1:2], off
	s_waitcnt vmcnt(0)
	v_cmp_o_f64_e64 s[0:1], v[1:2], v[1:2]
	v_ashrrev_i32_e32 v8, 31, v2
	v_or_b32_e32 v9, 0x80000000, v8
	v_xor_b32_e32 v9, v9, v2
	v_xor_b32_e32 v1, v8, v1
	v_cndmask_b32_e64 v2, -1, v9, s[0:1]
	v_cndmask_b32_e64 v1, -1, v1, s[0:1]
	v_xor_b32_e32 v8, s3, v2
	v_xor_b32_e32 v10, s2, v1
	v_and_b32_e32 v9, s9, v8
	v_and_b32_e32 v8, s8, v10
	v_cmp_eq_u64_e64 s[0:1], 0, v[8:9]
	s_and_b64 exec, exec, s[0:1]
	s_cbranch_execz .LBB178_6
; %bb.12:                               ;   in Loop: Header=BB178_7 Depth=1
	v_lshrrev_b64 v[1:2], s12, v[1:2]
	v_lshlrev_b32_sdwa v1, v6, v1 dst_sel:DWORD dst_unused:UNUSED_PAD src0_sel:DWORD src1_sel:BYTE_0
	ds_add_u32 v1, v5
	s_branch .LBB178_6
.LBB178_13:
	s_lshl_b32 s1, s18, 8
.LBB178_14:
	s_bitcmp0_b32 s17, 0
	s_cbranch_scc1 .LBB178_19
; %bb.15:
	v_add_u32_e32 v1, s1, v4
	v_cmp_gt_u32_e64 s[0:1], s13, v1
	s_and_saveexec_b64 s[4:5], s[0:1]
	s_cbranch_execz .LBB178_18
; %bb.16:
	v_mad_u64_u32 v[4:5], s[0:1], s10, v1, 0
	v_mov_b32_e32 v6, s15
	v_mov_b32_e32 v2, v5
	v_mad_u64_u32 v[1:2], s[0:1], s11, v1, v[2:3]
	v_mov_b32_e32 v5, v1
	v_lshlrev_b64 v[1:2], 3, v[4:5]
	v_add_co_u32_e64 v1, s[0:1], s14, v1
	v_addc_co_u32_e64 v2, s[0:1], v6, v2, s[0:1]
	global_load_dwordx2 v[1:2], v[1:2], off
	s_waitcnt vmcnt(0)
	v_cmp_o_f64_e64 s[0:1], v[1:2], v[1:2]
	v_ashrrev_i32_e32 v4, 31, v2
	v_or_b32_e32 v5, 0x80000000, v4
	v_xor_b32_e32 v5, v5, v2
	v_xor_b32_e32 v1, v4, v1
	v_cndmask_b32_e64 v2, -1, v5, s[0:1]
	v_cndmask_b32_e64 v1, -1, v1, s[0:1]
	v_xor_b32_e32 v4, s3, v2
	v_xor_b32_e32 v6, s2, v1
	v_and_b32_e32 v5, s9, v4
	v_and_b32_e32 v4, s8, v6
	v_cmp_eq_u64_e64 s[0:1], 0, v[4:5]
	s_and_b64 exec, exec, s[0:1]
	s_cbranch_execz .LBB178_18
; %bb.17:
	v_lshrrev_b64 v[1:2], s12, v[1:2]
	v_mov_b32_e32 v2, 2
	v_lshlrev_b32_sdwa v1, v2, v1 dst_sel:DWORD dst_unused:UNUSED_PAD src0_sel:DWORD src1_sel:BYTE_0
	v_mov_b32_e32 v2, 1
	ds_add_u32 v1, v2
.LBB178_18:
	s_or_b64 exec, exec, s[4:5]
.LBB178_19:
	s_waitcnt lgkmcnt(0)
	s_barrier
	s_and_saveexec_b64 s[0:1], vcc
	s_cbranch_execz .LBB178_21
; %bb.20:
	v_lshl_or_b32 v0, s16, 8, v0
	v_mov_b32_e32 v1, 0
	ds_read_b32 v3, v3
	v_lshlrev_b64 v[0:1], 1, v[0:1]
	v_mov_b32_e32 v2, s7
	v_add_co_u32_e32 v0, vcc, s6, v0
	v_addc_co_u32_e32 v1, vcc, v2, v1, vcc
	s_waitcnt lgkmcnt(0)
	global_store_short v[0:1], v3, off
.LBB178_21:
	s_endpgm
	.section	.rodata,"a",@progbits
	.p2align	6, 0x0
	.amdhsa_kernel _ZN2at6native6mbtopk23computeBlockDigitCountsIdmmLi1EEEvNS_4cuda6detail10TensorInfoIKT_T0_EEjPjjS8_iijT1_PSB_Ps
		.amdhsa_group_segment_fixed_size 1024
		.amdhsa_private_segment_fixed_size 0
		.amdhsa_kernarg_size 744
		.amdhsa_user_sgpr_count 6
		.amdhsa_user_sgpr_private_segment_buffer 1
		.amdhsa_user_sgpr_dispatch_ptr 0
		.amdhsa_user_sgpr_queue_ptr 0
		.amdhsa_user_sgpr_kernarg_segment_ptr 1
		.amdhsa_user_sgpr_dispatch_id 0
		.amdhsa_user_sgpr_flat_scratch_init 0
		.amdhsa_user_sgpr_private_segment_size 0
		.amdhsa_uses_dynamic_stack 0
		.amdhsa_system_sgpr_private_segment_wavefront_offset 0
		.amdhsa_system_sgpr_workgroup_id_x 1
		.amdhsa_system_sgpr_workgroup_id_y 1
		.amdhsa_system_sgpr_workgroup_id_z 1
		.amdhsa_system_sgpr_workgroup_info 0
		.amdhsa_system_vgpr_workitem_id 0
		.amdhsa_next_free_vgpr 11
		.amdhsa_next_free_sgpr 24
		.amdhsa_reserve_vcc 1
		.amdhsa_reserve_flat_scratch 0
		.amdhsa_float_round_mode_32 0
		.amdhsa_float_round_mode_16_64 0
		.amdhsa_float_denorm_mode_32 3
		.amdhsa_float_denorm_mode_16_64 3
		.amdhsa_dx10_clamp 1
		.amdhsa_ieee_mode 1
		.amdhsa_fp16_overflow 0
		.amdhsa_exception_fp_ieee_invalid_op 0
		.amdhsa_exception_fp_denorm_src 0
		.amdhsa_exception_fp_ieee_div_zero 0
		.amdhsa_exception_fp_ieee_overflow 0
		.amdhsa_exception_fp_ieee_underflow 0
		.amdhsa_exception_fp_ieee_inexact 0
		.amdhsa_exception_int_div_zero 0
	.end_amdhsa_kernel
	.section	.text._ZN2at6native6mbtopk23computeBlockDigitCountsIdmmLi1EEEvNS_4cuda6detail10TensorInfoIKT_T0_EEjPjjS8_iijT1_PSB_Ps,"axG",@progbits,_ZN2at6native6mbtopk23computeBlockDigitCountsIdmmLi1EEEvNS_4cuda6detail10TensorInfoIKT_T0_EEjPjjS8_iijT1_PSB_Ps,comdat
.Lfunc_end178:
	.size	_ZN2at6native6mbtopk23computeBlockDigitCountsIdmmLi1EEEvNS_4cuda6detail10TensorInfoIKT_T0_EEjPjjS8_iijT1_PSB_Ps, .Lfunc_end178-_ZN2at6native6mbtopk23computeBlockDigitCountsIdmmLi1EEEvNS_4cuda6detail10TensorInfoIKT_T0_EEjPjjS8_iijT1_PSB_Ps
                                        ; -- End function
	.set _ZN2at6native6mbtopk23computeBlockDigitCountsIdmmLi1EEEvNS_4cuda6detail10TensorInfoIKT_T0_EEjPjjS8_iijT1_PSB_Ps.num_vgpr, 11
	.set _ZN2at6native6mbtopk23computeBlockDigitCountsIdmmLi1EEEvNS_4cuda6detail10TensorInfoIKT_T0_EEjPjjS8_iijT1_PSB_Ps.num_agpr, 0
	.set _ZN2at6native6mbtopk23computeBlockDigitCountsIdmmLi1EEEvNS_4cuda6detail10TensorInfoIKT_T0_EEjPjjS8_iijT1_PSB_Ps.numbered_sgpr, 24
	.set _ZN2at6native6mbtopk23computeBlockDigitCountsIdmmLi1EEEvNS_4cuda6detail10TensorInfoIKT_T0_EEjPjjS8_iijT1_PSB_Ps.num_named_barrier, 0
	.set _ZN2at6native6mbtopk23computeBlockDigitCountsIdmmLi1EEEvNS_4cuda6detail10TensorInfoIKT_T0_EEjPjjS8_iijT1_PSB_Ps.private_seg_size, 0
	.set _ZN2at6native6mbtopk23computeBlockDigitCountsIdmmLi1EEEvNS_4cuda6detail10TensorInfoIKT_T0_EEjPjjS8_iijT1_PSB_Ps.uses_vcc, 1
	.set _ZN2at6native6mbtopk23computeBlockDigitCountsIdmmLi1EEEvNS_4cuda6detail10TensorInfoIKT_T0_EEjPjjS8_iijT1_PSB_Ps.uses_flat_scratch, 0
	.set _ZN2at6native6mbtopk23computeBlockDigitCountsIdmmLi1EEEvNS_4cuda6detail10TensorInfoIKT_T0_EEjPjjS8_iijT1_PSB_Ps.has_dyn_sized_stack, 0
	.set _ZN2at6native6mbtopk23computeBlockDigitCountsIdmmLi1EEEvNS_4cuda6detail10TensorInfoIKT_T0_EEjPjjS8_iijT1_PSB_Ps.has_recursion, 0
	.set _ZN2at6native6mbtopk23computeBlockDigitCountsIdmmLi1EEEvNS_4cuda6detail10TensorInfoIKT_T0_EEjPjjS8_iijT1_PSB_Ps.has_indirect_call, 0
	.section	.AMDGPU.csdata,"",@progbits
; Kernel info:
; codeLenInByte = 1068
; TotalNumSgprs: 28
; NumVgprs: 11
; ScratchSize: 0
; MemoryBound: 0
; FloatMode: 240
; IeeeMode: 1
; LDSByteSize: 1024 bytes/workgroup (compile time only)
; SGPRBlocks: 3
; VGPRBlocks: 2
; NumSGPRsForWavesPerEU: 28
; NumVGPRsForWavesPerEU: 11
; Occupancy: 10
; WaveLimiterHint : 1
; COMPUTE_PGM_RSRC2:SCRATCH_EN: 0
; COMPUTE_PGM_RSRC2:USER_SGPR: 6
; COMPUTE_PGM_RSRC2:TRAP_HANDLER: 0
; COMPUTE_PGM_RSRC2:TGID_X_EN: 1
; COMPUTE_PGM_RSRC2:TGID_Y_EN: 1
; COMPUTE_PGM_RSRC2:TGID_Z_EN: 1
; COMPUTE_PGM_RSRC2:TIDIG_COMP_CNT: 0
	.section	.text._ZN2at6native6mbtopk10gatherTopKIdmLi1EEEvNS_4cuda6detail10TensorInfoIKT_T0_EES8_S8_bjS8_NS5_IS6_S8_EES8_NS5_IlS8_EES8_jjPS6_PjSD_j,"axG",@progbits,_ZN2at6native6mbtopk10gatherTopKIdmLi1EEEvNS_4cuda6detail10TensorInfoIKT_T0_EES8_S8_bjS8_NS5_IS6_S8_EES8_NS5_IlS8_EES8_jjPS6_PjSD_j,comdat
	.protected	_ZN2at6native6mbtopk10gatherTopKIdmLi1EEEvNS_4cuda6detail10TensorInfoIKT_T0_EES8_S8_bjS8_NS5_IS6_S8_EES8_NS5_IlS8_EES8_jjPS6_PjSD_j ; -- Begin function _ZN2at6native6mbtopk10gatherTopKIdmLi1EEEvNS_4cuda6detail10TensorInfoIKT_T0_EES8_S8_bjS8_NS5_IS6_S8_EES8_NS5_IlS8_EES8_jjPS6_PjSD_j
	.globl	_ZN2at6native6mbtopk10gatherTopKIdmLi1EEEvNS_4cuda6detail10TensorInfoIKT_T0_EES8_S8_bjS8_NS5_IS6_S8_EES8_NS5_IlS8_EES8_jjPS6_PjSD_j
	.p2align	8
	.type	_ZN2at6native6mbtopk10gatherTopKIdmLi1EEEvNS_4cuda6detail10TensorInfoIKT_T0_EES8_S8_bjS8_NS5_IS6_S8_EES8_NS5_IlS8_EES8_jjPS6_PjSD_j,@function
_ZN2at6native6mbtopk10gatherTopKIdmLi1EEEvNS_4cuda6detail10TensorInfoIKT_T0_EES8_S8_bjS8_NS5_IS6_S8_EES8_NS5_IlS8_EES8_jjPS6_PjSD_j: ; @_ZN2at6native6mbtopk10gatherTopKIdmLi1EEEvNS_4cuda6detail10TensorInfoIKT_T0_EES8_S8_bjS8_NS5_IS6_S8_EES8_NS5_IlS8_EES8_jjPS6_PjSD_j
; %bb.0:
	s_load_dwordx2 s[0:1], s[4:5], 0x538
	s_load_dword s2, s[4:5], 0x530
	s_waitcnt lgkmcnt(0)
	s_mul_i32 s1, s1, s8
	s_add_i32 s1, s1, s7
	s_mul_i32 s0, s1, s0
	s_add_i32 s0, s0, s6
	s_cmp_ge_u32 s0, s2
	s_cbranch_scc1 .LBB179_42
; %bb.1:
	s_load_dwordx2 s[20:21], s[4:5], 0x510
	s_load_dwordx4 s[8:11], s[4:5], 0x1a0
	s_mov_b32 s7, 0
	s_waitcnt lgkmcnt(0)
	v_cvt_f32_u32_e32 v1, s21
	s_sub_i32 s2, 0, s21
	s_lshl_b32 s1, s20, 8
	v_rcp_iflag_f32_e32 v1, v1
	v_mul_f32_e32 v1, 0x4f7ffffe, v1
	v_cvt_u32_f32_e32 v1, v1
	v_readfirstlane_b32 s3, v1
	s_mul_i32 s2, s2, s3
	s_mul_hi_u32 s2, s3, s2
	s_add_i32 s3, s3, s2
	s_mul_hi_u32 s2, s0, s3
	s_mul_i32 s3, s2, s21
	s_sub_i32 s3, s0, s3
	s_add_i32 s6, s2, 1
	s_sub_i32 s12, s3, s21
	s_cmp_ge_u32 s3, s21
	s_cselect_b32 s2, s6, s2
	s_cselect_b32 s3, s12, s3
	s_add_i32 s6, s2, 1
	s_cmp_ge_u32 s3, s21
	s_cselect_b32 s6, s6, s2
	s_mul_i32 s30, s6, s21
	s_sub_i32 s42, s0, s30
	s_add_i32 s0, s42, 1
	s_cmp_lt_u32 s0, s21
	s_mul_i32 s33, s42, s1
	s_cbranch_scc1 .LBB179_3
; %bb.2:
	s_sub_u32 s0, s8, s33
	s_subb_u32 s1, s9, 0
	s_add_u32 s0, s0, 0xff
	s_addc_u32 s1, s1, 0
	s_ashr_i32 s2, s1, 31
	s_lshr_b32 s2, s2, 24
	s_add_u32 s0, s0, s2
	s_addc_u32 s1, s1, 0
	s_lshr_b64 s[0:1], s[0:1], 8
	s_mov_b32 s20, s0
.LBB179_3:
	s_load_dwordx4 s[12:15], s[4:5], 0x518
	s_load_dwordx2 s[24:25], s[4:5], 0x0
	s_load_dwordx2 s[34:35], s[4:5], 0xd0
	;; [unrolled: 1-line block ×4, first 2 shown]
	s_lshl_b64 s[0:1], s[6:7], 3
	s_waitcnt lgkmcnt(0)
	s_add_u32 s0, s12, s0
	s_addc_u32 s1, s13, s1
	s_load_dwordx2 s[22:23], s[0:1], 0x0
	v_cmp_ne_u32_e64 s[0:1], 0, v0
	v_cmp_eq_u32_e64 s[2:3], 0, v0
	s_and_saveexec_b64 s[12:13], s[2:3]
	s_cbranch_execz .LBB179_19
; %bb.4:
	s_load_dwordx2 s[36:37], s[4:5], 0x528
	s_mov_b32 s31, 0
	s_lshl_b64 s[38:39], s[30:31], 2
	s_add_u32 s16, s14, s38
	s_addc_u32 s17, s15, s39
	s_waitcnt lgkmcnt(0)
	s_add_u32 s18, s36, s38
	s_addc_u32 s19, s37, s39
	s_mov_b32 s30, 0
	s_cmp_lt_u32 s21, 4
	s_cbranch_scc1 .LBB179_16
; %bb.5:
	s_mov_b32 s43, 0
.LBB179_6:                              ; =>This Inner Loop Header: Depth=1
	s_add_u32 s40, s14, s38
	s_addc_u32 s41, s15, s39
	s_load_dwordx4 s[16:19], s[40:41], 0x0
	s_add_u32 s40, s36, s38
	s_addc_u32 s41, s37, s39
	s_cmp_ge_u32 s43, s42
	s_cbranch_scc0 .LBB179_13
; %bb.7:                                ;   in Loop: Header=BB179_6 Depth=1
	s_add_i32 s44, s43, 1
	s_cmp_ge_u32 s44, s42
	s_cbranch_scc0 .LBB179_14
.LBB179_8:                              ;   in Loop: Header=BB179_6 Depth=1
	s_add_i32 s44, s44, 1
	s_cmp_ge_u32 s44, s42
	s_cbranch_scc0 .LBB179_15
.LBB179_9:                              ;   in Loop: Header=BB179_6 Depth=1
	s_add_i32 s44, s44, 1
	s_cmp_ge_u32 s44, s42
	s_cbranch_scc1 .LBB179_11
.LBB179_10:                             ;   in Loop: Header=BB179_6 Depth=1
	s_load_dword s40, s[40:41], 0xc
	s_waitcnt lgkmcnt(0)
	s_add_i32 s31, s31, s19
	s_add_i32 s7, s40, s7
.LBB179_11:                             ;   in Loop: Header=BB179_6 Depth=1
	s_waitcnt lgkmcnt(0)
	s_add_i32 s16, s16, s30
	s_add_i32 s16, s16, s17
	;; [unrolled: 1-line block ×4, first 2 shown]
	s_add_u32 s14, s14, 16
	s_addc_u32 s15, s15, 0
	s_add_u32 s36, s36, 16
	s_addc_u32 s37, s37, 0
	s_add_i32 s41, s44, 4
	s_add_u32 s18, s36, s38
	s_addc_u32 s19, s37, s39
	s_add_u32 s16, s14, s38
	s_addc_u32 s17, s15, s39
	s_add_i32 s40, s44, 1
	s_cmp_ge_u32 s41, s21
	s_cbranch_scc1 .LBB179_17
; %bb.12:                               ;   in Loop: Header=BB179_6 Depth=1
	s_mov_b32 s43, s40
	s_branch .LBB179_6
.LBB179_13:                             ;   in Loop: Header=BB179_6 Depth=1
	s_load_dword s44, s[40:41], 0x0
	s_waitcnt lgkmcnt(0)
	s_add_i32 s31, s16, s31
	s_add_i32 s7, s44, s7
	;; [unrolled: 1-line block ×3, first 2 shown]
	s_cmp_ge_u32 s44, s42
	s_cbranch_scc1 .LBB179_8
.LBB179_14:                             ;   in Loop: Header=BB179_6 Depth=1
	s_load_dword s45, s[40:41], 0x4
	s_waitcnt lgkmcnt(0)
	s_add_i32 s31, s31, s17
	s_add_i32 s7, s45, s7
	;; [unrolled: 1-line block ×3, first 2 shown]
	s_cmp_ge_u32 s44, s42
	s_cbranch_scc1 .LBB179_9
.LBB179_15:                             ;   in Loop: Header=BB179_6 Depth=1
	s_load_dword s45, s[40:41], 0x8
	s_waitcnt lgkmcnt(0)
	s_add_i32 s31, s31, s18
	s_add_i32 s7, s45, s7
	s_add_i32 s44, s44, 1
	s_cmp_ge_u32 s44, s42
	s_cbranch_scc0 .LBB179_10
	s_branch .LBB179_11
.LBB179_16:
	s_mov_b32 s14, 0
	s_cmp_ge_u32 s14, s21
	s_cbranch_scc0 .LBB179_40
	s_branch .LBB179_18
.LBB179_17:
	s_add_i32 s14, s43, 4
	s_cmp_ge_u32 s14, s21
	s_cbranch_scc0 .LBB179_40
.LBB179_18:
	v_mov_b32_e32 v1, s7
	v_mov_b32_e32 v2, s30
	;; [unrolled: 1-line block ×4, first 2 shown]
	ds_write_b96 v4, v[1:3] offset:1056
.LBB179_19:
	s_or_b64 exec, exec, s[12:13]
	s_load_dwordx4 s[12:15], s[4:5], 0x1b8
	s_load_dwordx4 s[16:19], s[4:5], 0x360
	s_cmp_eq_u32 s20, 0
	s_waitcnt lgkmcnt(0)
	s_barrier
	s_cbranch_scc1 .LBB179_42
; %bb.20:
	s_mul_i32 s7, s35, s6
	s_mul_hi_u32 s21, s34, s6
	s_add_i32 s31, s21, s7
	s_mul_i32 s7, s29, s6
	s_mul_hi_u32 s21, s28, s6
	s_mul_i32 s30, s34, s6
	s_add_i32 s29, s21, s7
	s_mul_i32 s7, s27, s6
	s_mul_hi_u32 s21, s26, s6
	s_mul_i32 s28, s28, s6
	s_add_i32 s7, s21, s7
	s_mul_i32 s6, s26, s6
	s_lshl_b64 s[26:27], s[30:31], 3
	s_add_u32 s21, s24, s26
	v_cmp_o_f64_e64 s[30:31], s[22:23], s[22:23]
	s_addc_u32 s24, s25, s27
	s_lshl_b64 s[26:27], s[28:29], 3
	s_add_u32 s25, s14, s26
	v_mov_b32_e32 v5, 0
	s_addc_u32 s26, s15, s27
	s_lshl_b64 s[6:7], s[6:7], 3
	ds_read_b96 v[1:3], v5 offset:1056
	s_add_u32 s27, s18, s6
	s_addc_u32 s28, s19, s7
	s_ashr_i32 s6, s23, 31
	s_or_b32 s7, s6, 0x80000000
	s_xor_b64 s[6:7], s[6:7], s[22:23]
	s_and_b64 s[14:15], s[30:31], exec
	s_waitcnt lgkmcnt(0)
	v_add_u32_e32 v1, v1, v2
	v_lshrrev_b32_e32 v2, 3, v0
	s_cselect_b32 s15, s7, -1
	s_load_dword s7, s[4:5], 0x1b0
	s_load_dwordx2 s[18:19], s[4:5], 0x508
	v_and_b32_e32 v2, 28, v2
	v_lshl_add_u32 v10, v0, 2, v2
	v_lshrrev_b32_e32 v2, 1, v0
	v_and_b32_e32 v11, 0x7c, v2
	v_add_u32_e32 v2, -1, v0
	v_lshrrev_b32_e32 v4, 3, v2
	v_and_b32_e32 v4, 0x1ffffffc, v4
	s_cselect_b32 s14, s6, -1
	s_waitcnt lgkmcnt(0)
	s_bitcmp1_b32 s7, 0
	v_cmp_gt_u32_e64 s[6:7], 64, v0
	v_lshlrev_b32_e32 v12, 4, v0
	v_lshl_add_u32 v13, v2, 2, v4
	v_add_u32_e32 v4, s33, v0
	v_mbcnt_lo_u32_b32 v0, -1, 0
	s_cselect_b64 s[4:5], -1, 0
	v_mbcnt_hi_u32_b32 v0, -1, v0
                                        ; implicit-def: $vgpr6_vgpr7
	s_branch .LBB179_23
.LBB179_21:                             ;   in Loop: Header=BB179_23 Depth=1
	s_or_b64 exec, exec, s[22:23]
	v_add_u32_e32 v1, v2, v1
.LBB179_22:                             ;   in Loop: Header=BB179_23 Depth=1
	s_add_i32 s20, s20, -1
	v_add_u32_e32 v3, v14, v3
	s_cmp_lg_u32 s20, 0
	v_add_u32_e32 v4, 0x100, v4
	s_cbranch_scc0 .LBB179_42
.LBB179_23:                             ; =>This Inner Loop Header: Depth=1
	v_cmp_gt_u64_e32 vcc, s[8:9], v[4:5]
	v_mov_b32_e32 v2, v5
	v_mov_b32_e32 v8, v5
	s_and_saveexec_b64 s[22:23], vcc
	s_cbranch_execz .LBB179_25
; %bb.24:                               ;   in Loop: Header=BB179_23 Depth=1
	v_mad_u64_u32 v[6:7], s[30:31], s12, v4, 0
	v_mov_b32_e32 v2, v7
	v_mad_u64_u32 v[7:8], s[30:31], s13, v4, v[2:3]
	v_mov_b32_e32 v2, s24
	v_lshlrev_b64 v[6:7], 3, v[6:7]
	v_add_co_u32_e32 v6, vcc, s21, v6
	v_addc_co_u32_e32 v7, vcc, v2, v7, vcc
	global_load_dwordx2 v[6:7], v[6:7], off
	s_waitcnt vmcnt(0)
	v_cmp_o_f64_e32 vcc, v[6:7], v[6:7]
	v_ashrrev_i32_e32 v2, 31, v7
	v_or_b32_e32 v8, 0x80000000, v2
	v_xor_b32_e32 v8, v8, v7
	v_xor_b32_e32 v2, v2, v6
	v_cndmask_b32_e32 v9, -1, v8, vcc
	v_cndmask_b32_e32 v8, -1, v2, vcc
	v_cmp_lt_u64_e32 vcc, s[14:15], v[8:9]
	v_cndmask_b32_e64 v2, 0, 1, vcc
	v_cmp_gt_u64_e32 vcc, s[14:15], v[8:9]
	v_cndmask_b32_e64 v14, 0, 1, vcc
	v_cmp_eq_u64_e32 vcc, s[14:15], v[8:9]
	v_cndmask_b32_e64 v2, v14, v2, s[4:5]
	v_and_b32_e32 v2, 1, v2
	v_cndmask_b32_e64 v8, 0, 1, vcc
.LBB179_25:                             ;   in Loop: Header=BB179_23 Depth=1
	s_or_b64 exec, exec, s[22:23]
	ds_write_b32 v10, v2
	s_waitcnt vmcnt(0) lgkmcnt(0)
	s_barrier
	s_and_saveexec_b64 s[22:23], s[6:7]
	s_cbranch_execz .LBB179_27
; %bb.26:                               ;   in Loop: Header=BB179_23 Depth=1
	v_add_u32_e32 v9, v11, v12
	ds_read2_b32 v[14:15], v9 offset1:1
	ds_read2_b32 v[16:17], v9 offset0:2 offset1:3
	v_and_b32_e32 v18, 15, v0
	v_cmp_ne_u32_e32 vcc, 0, v18
	s_waitcnt lgkmcnt(1)
	v_add_u32_e32 v15, v15, v14
	s_waitcnt lgkmcnt(0)
	v_add3_u32 v15, v15, v16, v17
	v_bfe_i32 v17, v0, 4, 1
	; wave barrier
	s_nop 0
	v_mov_b32_dpp v16, v15 row_shr:1 row_mask:0xf bank_mask:0xf
	v_cndmask_b32_e32 v16, 0, v16, vcc
	v_add_u32_e32 v15, v16, v15
	v_cmp_lt_u32_e32 vcc, 1, v18
	s_nop 0
	v_mov_b32_dpp v16, v15 row_shr:2 row_mask:0xf bank_mask:0xf
	v_cndmask_b32_e32 v16, 0, v16, vcc
	v_add_u32_e32 v15, v15, v16
	v_cmp_lt_u32_e32 vcc, 3, v18
	s_nop 0
	v_mov_b32_dpp v16, v15 row_shr:4 row_mask:0xf bank_mask:0xf
	v_cndmask_b32_e32 v16, 0, v16, vcc
	v_add_u32_e32 v15, v15, v16
	v_cmp_lt_u32_e32 vcc, 7, v18
	s_nop 0
	v_mov_b32_dpp v16, v15 row_shr:8 row_mask:0xf bank_mask:0xf
	v_cndmask_b32_e32 v16, 0, v16, vcc
	v_add_u32_e32 v15, v15, v16
	v_cmp_lt_u32_e32 vcc, 31, v0
	s_nop 0
	v_mov_b32_dpp v16, v15 row_bcast:15 row_mask:0xf bank_mask:0xf
	v_and_b32_e32 v16, v17, v16
	v_add_u32_e32 v15, v15, v16
	v_and_b32_e32 v17, 64, v0
	s_nop 0
	v_mov_b32_dpp v16, v15 row_bcast:31 row_mask:0xf bank_mask:0xf
	v_cndmask_b32_e32 v16, 0, v16, vcc
	v_add_u32_e32 v15, v15, v16
	v_add_u32_e32 v16, -1, v0
	v_cmp_lt_i32_e32 vcc, v16, v17
	v_cndmask_b32_e32 v16, v16, v0, vcc
	v_lshlrev_b32_e32 v16, 2, v16
	ds_bpermute_b32 v15, v16, v15
	s_waitcnt lgkmcnt(0)
	v_add_u32_e32 v14, v15, v14
	v_cndmask_b32_e64 v16, v14, v2, s[2:3]
	ds_write_b32 v9, v16
	; wave barrier
	ds_read2_b32 v[14:15], v9 offset0:1 offset1:2
	ds_read_b32 v17, v9 offset:12
	s_waitcnt lgkmcnt(1)
	v_add_u32_e32 v14, v14, v16
	v_add_u32_e32 v15, v15, v14
	ds_write2_b32 v9, v14, v15 offset0:1 offset1:2
	s_waitcnt lgkmcnt(1)
	v_add_u32_e32 v14, v17, v15
	ds_write_b32 v9, v14 offset:12
.LBB179_27:                             ;   in Loop: Header=BB179_23 Depth=1
	s_or_b64 exec, exec, s[22:23]
	v_mov_b32_e32 v9, 0
	s_waitcnt lgkmcnt(0)
	s_barrier
	s_and_saveexec_b64 s[22:23], s[0:1]
; %bb.28:                               ;   in Loop: Header=BB179_23 Depth=1
	ds_read_b32 v9, v13
; %bb.29:                               ;   in Loop: Header=BB179_23 Depth=1
	s_or_b64 exec, exec, s[22:23]
	ds_read_b32 v14, v5 offset:1048
	v_cmp_ne_u32_e32 vcc, 0, v2
	s_waitcnt lgkmcnt(0)
	s_barrier
	s_and_saveexec_b64 s[22:23], vcc
	s_cbranch_execz .LBB179_31
; %bb.30:                               ;   in Loop: Header=BB179_23 Depth=1
	v_add_u32_e32 v9, v9, v3
	v_mad_u64_u32 v[15:16], s[30:31], s16, v9, 0
	v_mad_u64_u32 v[17:18], s[30:31], s18, v9, 0
	v_mov_b32_e32 v2, v16
	v_mad_u64_u32 v[19:20], s[30:31], s17, v9, v[2:3]
	v_mov_b32_e32 v2, v18
	v_mov_b32_e32 v20, s26
	;; [unrolled: 1-line block ×3, first 2 shown]
	v_lshlrev_b64 v[15:16], 3, v[15:16]
	v_mad_u64_u32 v[18:19], s[30:31], s19, v9, v[2:3]
	v_add_co_u32_e32 v15, vcc, s25, v15
	v_addc_co_u32_e32 v16, vcc, v20, v16, vcc
	global_store_dwordx2 v[15:16], v[6:7], off
	v_lshlrev_b64 v[15:16], 3, v[17:18]
	v_mov_b32_e32 v2, s28
	v_add_co_u32_e32 v15, vcc, s27, v15
	v_addc_co_u32_e32 v16, vcc, v2, v16, vcc
	global_store_dwordx2 v[15:16], v[4:5], off
.LBB179_31:                             ;   in Loop: Header=BB179_23 Depth=1
	s_or_b64 exec, exec, s[22:23]
	v_mov_b32_e32 v2, v5
	v_cmp_le_u64_e32 vcc, s[10:11], v[1:2]
	s_cbranch_vccnz .LBB179_22
; %bb.32:                               ;   in Loop: Header=BB179_23 Depth=1
	ds_write_b32 v10, v8
	s_waitcnt vmcnt(0) lgkmcnt(0)
	s_barrier
	s_and_saveexec_b64 s[22:23], s[6:7]
	s_cbranch_execz .LBB179_34
; %bb.33:                               ;   in Loop: Header=BB179_23 Depth=1
	v_add_u32_e32 v2, v11, v12
	ds_read2_b32 v[15:16], v2 offset1:1
	ds_read2_b32 v[17:18], v2 offset0:2 offset1:3
	v_and_b32_e32 v9, 15, v0
	v_cmp_ne_u32_e32 vcc, 0, v9
	s_waitcnt lgkmcnt(1)
	v_add_u32_e32 v16, v16, v15
	s_waitcnt lgkmcnt(0)
	v_add3_u32 v16, v16, v17, v18
	; wave barrier
	s_nop 1
	v_mov_b32_dpp v17, v16 row_shr:1 row_mask:0xf bank_mask:0xf
	v_cndmask_b32_e32 v17, 0, v17, vcc
	v_add_u32_e32 v16, v17, v16
	v_cmp_lt_u32_e32 vcc, 1, v9
	s_nop 0
	v_mov_b32_dpp v17, v16 row_shr:2 row_mask:0xf bank_mask:0xf
	v_cndmask_b32_e32 v17, 0, v17, vcc
	v_add_u32_e32 v16, v16, v17
	v_cmp_lt_u32_e32 vcc, 3, v9
	s_nop 0
	v_mov_b32_dpp v17, v16 row_shr:4 row_mask:0xf bank_mask:0xf
	v_cndmask_b32_e32 v17, 0, v17, vcc
	v_add_u32_e32 v16, v16, v17
	v_cmp_lt_u32_e32 vcc, 7, v9
	s_nop 0
	v_mov_b32_dpp v17, v16 row_shr:8 row_mask:0xf bank_mask:0xf
	v_cndmask_b32_e32 v9, 0, v17, vcc
	v_add_u32_e32 v9, v16, v9
	v_bfe_i32 v17, v0, 4, 1
	v_cmp_lt_u32_e32 vcc, 31, v0
	v_mov_b32_dpp v16, v9 row_bcast:15 row_mask:0xf bank_mask:0xf
	v_and_b32_e32 v16, v17, v16
	v_add_u32_e32 v9, v9, v16
	v_and_b32_e32 v17, 64, v0
	s_nop 0
	v_mov_b32_dpp v16, v9 row_bcast:31 row_mask:0xf bank_mask:0xf
	v_cndmask_b32_e32 v16, 0, v16, vcc
	v_add_u32_e32 v9, v9, v16
	v_add_u32_e32 v16, -1, v0
	v_cmp_lt_i32_e32 vcc, v16, v17
	v_cndmask_b32_e32 v16, v16, v0, vcc
	v_lshlrev_b32_e32 v16, 2, v16
	ds_bpermute_b32 v9, v16, v9
	s_waitcnt lgkmcnt(0)
	v_add_u32_e32 v9, v9, v15
	v_cndmask_b32_e64 v9, v9, v8, s[2:3]
	ds_write_b32 v2, v9
	; wave barrier
	ds_read2_b32 v[15:16], v2 offset0:1 offset1:2
	ds_read_b32 v17, v2 offset:12
	s_waitcnt lgkmcnt(1)
	v_add_u32_e32 v9, v15, v9
	v_add_u32_e32 v15, v16, v9
	ds_write2_b32 v2, v9, v15 offset0:1 offset1:2
	s_waitcnt lgkmcnt(1)
	v_add_u32_e32 v9, v17, v15
	ds_write_b32 v2, v9 offset:12
.LBB179_34:                             ;   in Loop: Header=BB179_23 Depth=1
	s_or_b64 exec, exec, s[22:23]
	v_mov_b32_e32 v9, 0
	s_waitcnt lgkmcnt(0)
	s_barrier
	s_and_saveexec_b64 s[22:23], s[0:1]
; %bb.35:                               ;   in Loop: Header=BB179_23 Depth=1
	ds_read_b32 v9, v13
; %bb.36:                               ;   in Loop: Header=BB179_23 Depth=1
	s_or_b64 exec, exec, s[22:23]
	ds_read_b32 v2, v5 offset:1048
	v_cmp_ne_u32_e32 vcc, 0, v8
	s_waitcnt lgkmcnt(0)
	s_barrier
	s_and_saveexec_b64 s[22:23], vcc
	s_cbranch_execz .LBB179_21
; %bb.37:                               ;   in Loop: Header=BB179_23 Depth=1
	v_add_u32_e32 v8, v9, v1
	v_mov_b32_e32 v9, v5
	v_cmp_gt_u64_e32 vcc, s[10:11], v[8:9]
	s_and_b64 exec, exec, vcc
	s_cbranch_execz .LBB179_21
; %bb.38:                               ;   in Loop: Header=BB179_23 Depth=1
	v_mad_u64_u32 v[15:16], s[30:31], s16, v8, 0
	v_mad_u64_u32 v[17:18], s[30:31], s18, v8, 0
	v_mov_b32_e32 v9, v16
	v_mad_u64_u32 v[19:20], s[30:31], s17, v8, v[9:10]
	v_mov_b32_e32 v9, v18
	;; [unrolled: 2-line block ×3, first 2 shown]
	v_lshlrev_b64 v[15:16], 3, v[15:16]
	v_mov_b32_e32 v18, v8
	v_mov_b32_e32 v20, s26
	v_add_co_u32_e32 v15, vcc, s25, v15
	v_lshlrev_b64 v[8:9], 3, v[17:18]
	v_addc_co_u32_e32 v16, vcc, v20, v16, vcc
	global_store_dwordx2 v[15:16], v[6:7], off
	v_mov_b32_e32 v15, s28
	v_add_co_u32_e32 v8, vcc, s27, v8
	v_addc_co_u32_e32 v9, vcc, v15, v9, vcc
	global_store_dwordx2 v[8:9], v[4:5], off
	s_branch .LBB179_21
.LBB179_39:                             ;   in Loop: Header=BB179_40 Depth=1
	s_add_u32 s16, s16, 4
	s_addc_u32 s17, s17, 0
	s_waitcnt lgkmcnt(0)
	s_add_i32 s30, s15, s30
	s_add_u32 s18, s18, 4
	s_addc_u32 s19, s19, 0
	s_add_i32 s14, s14, 1
	s_cmp_lt_u32 s14, s21
	s_cbranch_scc0 .LBB179_18
.LBB179_40:                             ; =>This Inner Loop Header: Depth=1
	s_load_dword s15, s[16:17], 0x0
	s_cmp_ge_u32 s14, s42
	s_cbranch_scc1 .LBB179_39
; %bb.41:                               ;   in Loop: Header=BB179_40 Depth=1
	s_load_dword s36, s[18:19], 0x0
	s_waitcnt lgkmcnt(0)
	s_add_i32 s31, s15, s31
	s_add_i32 s7, s36, s7
	s_branch .LBB179_39
.LBB179_42:
	s_endpgm
	.section	.rodata,"a",@progbits
	.p2align	6, 0x0
	.amdhsa_kernel _ZN2at6native6mbtopk10gatherTopKIdmLi1EEEvNS_4cuda6detail10TensorInfoIKT_T0_EES8_S8_bjS8_NS5_IS6_S8_EES8_NS5_IlS8_EES8_jjPS6_PjSD_j
		.amdhsa_group_segment_fixed_size 1068
		.amdhsa_private_segment_fixed_size 0
		.amdhsa_kernarg_size 1592
		.amdhsa_user_sgpr_count 6
		.amdhsa_user_sgpr_private_segment_buffer 1
		.amdhsa_user_sgpr_dispatch_ptr 0
		.amdhsa_user_sgpr_queue_ptr 0
		.amdhsa_user_sgpr_kernarg_segment_ptr 1
		.amdhsa_user_sgpr_dispatch_id 0
		.amdhsa_user_sgpr_flat_scratch_init 0
		.amdhsa_user_sgpr_private_segment_size 0
		.amdhsa_uses_dynamic_stack 0
		.amdhsa_system_sgpr_private_segment_wavefront_offset 0
		.amdhsa_system_sgpr_workgroup_id_x 1
		.amdhsa_system_sgpr_workgroup_id_y 1
		.amdhsa_system_sgpr_workgroup_id_z 1
		.amdhsa_system_sgpr_workgroup_info 0
		.amdhsa_system_vgpr_workitem_id 0
		.amdhsa_next_free_vgpr 21
		.amdhsa_next_free_sgpr 46
		.amdhsa_reserve_vcc 1
		.amdhsa_reserve_flat_scratch 0
		.amdhsa_float_round_mode_32 0
		.amdhsa_float_round_mode_16_64 0
		.amdhsa_float_denorm_mode_32 3
		.amdhsa_float_denorm_mode_16_64 3
		.amdhsa_dx10_clamp 1
		.amdhsa_ieee_mode 1
		.amdhsa_fp16_overflow 0
		.amdhsa_exception_fp_ieee_invalid_op 0
		.amdhsa_exception_fp_denorm_src 0
		.amdhsa_exception_fp_ieee_div_zero 0
		.amdhsa_exception_fp_ieee_overflow 0
		.amdhsa_exception_fp_ieee_underflow 0
		.amdhsa_exception_fp_ieee_inexact 0
		.amdhsa_exception_int_div_zero 0
	.end_amdhsa_kernel
	.section	.text._ZN2at6native6mbtopk10gatherTopKIdmLi1EEEvNS_4cuda6detail10TensorInfoIKT_T0_EES8_S8_bjS8_NS5_IS6_S8_EES8_NS5_IlS8_EES8_jjPS6_PjSD_j,"axG",@progbits,_ZN2at6native6mbtopk10gatherTopKIdmLi1EEEvNS_4cuda6detail10TensorInfoIKT_T0_EES8_S8_bjS8_NS5_IS6_S8_EES8_NS5_IlS8_EES8_jjPS6_PjSD_j,comdat
.Lfunc_end179:
	.size	_ZN2at6native6mbtopk10gatherTopKIdmLi1EEEvNS_4cuda6detail10TensorInfoIKT_T0_EES8_S8_bjS8_NS5_IS6_S8_EES8_NS5_IlS8_EES8_jjPS6_PjSD_j, .Lfunc_end179-_ZN2at6native6mbtopk10gatherTopKIdmLi1EEEvNS_4cuda6detail10TensorInfoIKT_T0_EES8_S8_bjS8_NS5_IS6_S8_EES8_NS5_IlS8_EES8_jjPS6_PjSD_j
                                        ; -- End function
	.set _ZN2at6native6mbtopk10gatherTopKIdmLi1EEEvNS_4cuda6detail10TensorInfoIKT_T0_EES8_S8_bjS8_NS5_IS6_S8_EES8_NS5_IlS8_EES8_jjPS6_PjSD_j.num_vgpr, 21
	.set _ZN2at6native6mbtopk10gatherTopKIdmLi1EEEvNS_4cuda6detail10TensorInfoIKT_T0_EES8_S8_bjS8_NS5_IS6_S8_EES8_NS5_IlS8_EES8_jjPS6_PjSD_j.num_agpr, 0
	.set _ZN2at6native6mbtopk10gatherTopKIdmLi1EEEvNS_4cuda6detail10TensorInfoIKT_T0_EES8_S8_bjS8_NS5_IS6_S8_EES8_NS5_IlS8_EES8_jjPS6_PjSD_j.numbered_sgpr, 46
	.set _ZN2at6native6mbtopk10gatherTopKIdmLi1EEEvNS_4cuda6detail10TensorInfoIKT_T0_EES8_S8_bjS8_NS5_IS6_S8_EES8_NS5_IlS8_EES8_jjPS6_PjSD_j.num_named_barrier, 0
	.set _ZN2at6native6mbtopk10gatherTopKIdmLi1EEEvNS_4cuda6detail10TensorInfoIKT_T0_EES8_S8_bjS8_NS5_IS6_S8_EES8_NS5_IlS8_EES8_jjPS6_PjSD_j.private_seg_size, 0
	.set _ZN2at6native6mbtopk10gatherTopKIdmLi1EEEvNS_4cuda6detail10TensorInfoIKT_T0_EES8_S8_bjS8_NS5_IS6_S8_EES8_NS5_IlS8_EES8_jjPS6_PjSD_j.uses_vcc, 1
	.set _ZN2at6native6mbtopk10gatherTopKIdmLi1EEEvNS_4cuda6detail10TensorInfoIKT_T0_EES8_S8_bjS8_NS5_IS6_S8_EES8_NS5_IlS8_EES8_jjPS6_PjSD_j.uses_flat_scratch, 0
	.set _ZN2at6native6mbtopk10gatherTopKIdmLi1EEEvNS_4cuda6detail10TensorInfoIKT_T0_EES8_S8_bjS8_NS5_IS6_S8_EES8_NS5_IlS8_EES8_jjPS6_PjSD_j.has_dyn_sized_stack, 0
	.set _ZN2at6native6mbtopk10gatherTopKIdmLi1EEEvNS_4cuda6detail10TensorInfoIKT_T0_EES8_S8_bjS8_NS5_IS6_S8_EES8_NS5_IlS8_EES8_jjPS6_PjSD_j.has_recursion, 0
	.set _ZN2at6native6mbtopk10gatherTopKIdmLi1EEEvNS_4cuda6detail10TensorInfoIKT_T0_EES8_S8_bjS8_NS5_IS6_S8_EES8_NS5_IlS8_EES8_jjPS6_PjSD_j.has_indirect_call, 0
	.section	.AMDGPU.csdata,"",@progbits
; Kernel info:
; codeLenInByte = 2244
; TotalNumSgprs: 50
; NumVgprs: 21
; ScratchSize: 0
; MemoryBound: 0
; FloatMode: 240
; IeeeMode: 1
; LDSByteSize: 1068 bytes/workgroup (compile time only)
; SGPRBlocks: 6
; VGPRBlocks: 5
; NumSGPRsForWavesPerEU: 50
; NumVGPRsForWavesPerEU: 21
; Occupancy: 10
; WaveLimiterHint : 1
; COMPUTE_PGM_RSRC2:SCRATCH_EN: 0
; COMPUTE_PGM_RSRC2:USER_SGPR: 6
; COMPUTE_PGM_RSRC2:TRAP_HANDLER: 0
; COMPUTE_PGM_RSRC2:TGID_X_EN: 1
; COMPUTE_PGM_RSRC2:TGID_Y_EN: 1
; COMPUTE_PGM_RSRC2:TGID_Z_EN: 1
; COMPUTE_PGM_RSRC2:TIDIG_COMP_CNT: 0
	.section	.text._ZN2at6native6sbtopk10gatherTopKIdmLi1ELb0EEEvNS_4cuda6detail10TensorInfoIKT_T0_EES8_S8_bS8_S8_NS5_IS6_S8_EES8_NS5_IlS8_EES8_PS6_,"axG",@progbits,_ZN2at6native6sbtopk10gatherTopKIdmLi1ELb0EEEvNS_4cuda6detail10TensorInfoIKT_T0_EES8_S8_bS8_S8_NS5_IS6_S8_EES8_NS5_IlS8_EES8_PS6_,comdat
	.protected	_ZN2at6native6sbtopk10gatherTopKIdmLi1ELb0EEEvNS_4cuda6detail10TensorInfoIKT_T0_EES8_S8_bS8_S8_NS5_IS6_S8_EES8_NS5_IlS8_EES8_PS6_ ; -- Begin function _ZN2at6native6sbtopk10gatherTopKIdmLi1ELb0EEEvNS_4cuda6detail10TensorInfoIKT_T0_EES8_S8_bS8_S8_NS5_IS6_S8_EES8_NS5_IlS8_EES8_PS6_
	.globl	_ZN2at6native6sbtopk10gatherTopKIdmLi1ELb0EEEvNS_4cuda6detail10TensorInfoIKT_T0_EES8_S8_bS8_S8_NS5_IS6_S8_EES8_NS5_IlS8_EES8_PS6_
	.p2align	8
	.type	_ZN2at6native6sbtopk10gatherTopKIdmLi1ELb0EEEvNS_4cuda6detail10TensorInfoIKT_T0_EES8_S8_bS8_S8_NS5_IS6_S8_EES8_NS5_IlS8_EES8_PS6_,@function
_ZN2at6native6sbtopk10gatherTopKIdmLi1ELb0EEEvNS_4cuda6detail10TensorInfoIKT_T0_EES8_S8_bS8_S8_NS5_IS6_S8_EES8_NS5_IlS8_EES8_PS6_: ; @_ZN2at6native6sbtopk10gatherTopKIdmLi1ELb0EEEvNS_4cuda6detail10TensorInfoIKT_T0_EES8_S8_bS8_S8_NS5_IS6_S8_EES8_NS5_IlS8_EES8_PS6_
; %bb.0:
	s_load_dwordx2 s[12:13], s[4:5], 0x520
	s_load_dwordx4 s[20:23], s[4:5], 0x1b8
	s_add_u32 s2, s4, 0x520
	s_addc_u32 s3, s5, 0
	s_mov_b32 s17, 0
	s_waitcnt lgkmcnt(0)
	s_mul_i32 s0, s13, s8
	s_add_i32 s0, s0, s7
	s_mul_i32 s0, s0, s12
	s_add_i32 s16, s0, s6
	v_mov_b32_e32 v1, s16
	v_mov_b32_e32 v2, s17
	v_cmp_le_u64_e32 vcc, s[20:21], v[1:2]
	s_cbranch_vccnz .LBB180_486
; %bb.1:
	s_load_dwordx2 s[0:1], s[4:5], 0x440
                                        ; implicit-def: $vgpr56 : SGPR spill to VGPR lane
	v_cmp_eq_u32_e64 s[8:9], 0, v0
	s_waitcnt lgkmcnt(0)
	v_writelane_b32 v56, s0, 0
	v_writelane_b32 v56, s1, 1
	s_load_dwordx2 s[0:1], s[4:5], 0x370
	s_waitcnt lgkmcnt(0)
	v_writelane_b32 v56, s0, 2
	v_writelane_b32 v56, s1, 3
	s_load_dwordx2 s[0:1], s[4:5], 0x298
	s_waitcnt lgkmcnt(0)
	v_writelane_b32 v56, s0, 4
	v_writelane_b32 v56, s1, 5
	s_load_dwordx4 s[24:27], s[4:5], 0x1a0
	s_load_dwordx2 s[0:1], s[4:5], 0x1c8
	s_waitcnt lgkmcnt(0)
	v_writelane_b32 v56, s0, 6
	v_writelane_b32 v56, s1, 7
	s_load_dwordx2 s[0:1], s[4:5], 0xd0
	s_load_dwordx2 s[10:11], s[4:5], 0x0
	s_mov_b64 s[14:15], exec
	v_writelane_b32 v56, s8, 8
	v_writelane_b32 v56, s9, 9
	s_and_b64 s[8:9], s[14:15], s[8:9]
	s_mov_b64 exec, s[8:9]
	s_cbranch_execz .LBB180_3
; %bb.2:
	v_mov_b32_e32 v1, 0
	v_mov_b32_e32 v3, s24
	;; [unrolled: 1-line block ×4, first 2 shown]
	ds_write_b32 v1, v1 offset:5144
	ds_write_b128 v1, v[1:4] offset:5120
.LBB180_3:
	s_or_b64 exec, exec, s[14:15]
	v_writelane_b32 v56, s4, 10
	s_waitcnt lgkmcnt(0)
	s_mul_i32 s1, s1, s16
	s_mul_hi_u32 s7, s0, s16
	v_writelane_b32 v56, s5, 11
	s_load_dword s4, s[4:5], 0x1b0
	s_add_i32 s1, s7, s1
	s_mov_b32 s8, s16
	s_mul_i32 s0, s0, s16
	v_writelane_b32 v56, s8, 12
	s_lshl_b64 s[0:1], s[0:1], 3
	v_writelane_b32 v56, s9, 13
	s_add_u32 s46, s10, s0
	v_writelane_b32 v56, s0, 14
	s_addc_u32 s47, s11, s1
	s_waitcnt lgkmcnt(0)
	s_bitcmp1_b32 s4, 0
	v_mbcnt_lo_u32_b32 v1, -1, 0
	v_writelane_b32 v56, s1, 15
	s_cselect_b64 s[0:1], -1, 0
	v_mbcnt_hi_u32_b32 v43, -1, v1
	v_writelane_b32 v56, s0, 16
	v_cmp_gt_u32_e32 vcc, 64, v0
	v_cmp_gt_i32_e64 s[10:11], 4, v43
	v_mad_u64_u32 v[2:3], s[4:5], s22, v0, 0
	v_writelane_b32 v56, s1, 17
	v_mov_b32_e32 v4, 0x180
	s_and_b64 s[4:5], vcc, s[10:11]
	v_mov_b32_e32 v5, 0
	v_writelane_b32 v56, s4, 18
	v_writelane_b32 v56, s5, 19
	v_cmp_gt_u64_e64 s[4:5], s[24:25], v[4:5]
	v_mov_b32_e32 v1, v3
	v_writelane_b32 v56, s4, 20
	v_mov_b32_e32 v19, 0
	v_writelane_b32 v56, s5, 21
	v_mad_u64_u32 v[3:4], s[4:5], s23, v0, v[1:2]
	v_mov_b32_e32 v1, v19
	v_cmp_gt_u64_e64 s[4:5], s[24:25], v[0:1]
	v_writelane_b32 v56, s4, 22
	v_writelane_b32 v56, s5, 23
	v_cmp_gt_u32_e64 s[4:5], 2, v0
	v_writelane_b32 v56, s4, 24
	s_barrier
	v_writelane_b32 v56, s5, 25
	s_load_dword s4, s[2:3], 0xc
	s_xor_b64 s[52:53], s[0:1], -1
	v_lshlrev_b64 v[4:5], 3, v[2:3]
	v_mov_b32_e32 v6, s47
	v_add_co_u32_e32 v16, vcc, s46, v4
	s_waitcnt lgkmcnt(0)
	s_and_b32 s33, s4, 0xffff
	s_bfe_u32 s7, s4, 0xa0006
	s_cmp_gt_u32 s33, 63
	s_cselect_b64 s[4:5], -1, 0
	v_writelane_b32 v56, s4, 26
	v_addc_co_u32_e32 v17, vcc, v6, v5, vcc
	v_lshlrev_b64 v[4:5], v43, -1
	v_writelane_b32 v56, s5, 27
	s_add_u32 s4, s33, -1
	s_addc_u32 s8, 0, -1
	v_lshlrev_b32_e32 v46, 5, v0
	v_not_b32_e32 v41, v5
	v_writelane_b32 v56, s4, 28
	s_add_u32 s4, s4, s24
	v_or_b32_e32 v5, 24, v46
	v_lshlrev_b32_e32 v6, 2, v43
	v_writelane_b32 v56, s4, 29
	v_mad_u64_u32 v[22:23], s[4:5], s22, v5, 0
	v_and_b32_e32 v40, 0x100, v6
	v_or_b32_e32 v6, 16, v46
	v_mad_u64_u32 v[24:25], s[4:5], s22, v6, 0
	v_not_b32_e32 v42, v4
	v_mov_b32_e32 v4, v23
	v_mad_u64_u32 v[4:5], s[4:5], s23, v5, v[4:5]
	v_mov_b32_e32 v5, v25
	v_mad_u64_u32 v[5:6], s[4:5], s23, v6, v[5:6]
	v_or_b32_e32 v6, 8, v46
	v_mad_u64_u32 v[25:26], s[4:5], s22, v6, 0
	v_writelane_b32 v56, s8, 30
	s_addc_u32 s5, s8, s25
	v_writelane_b32 v56, s4, 31
	v_mov_b32_e32 v23, v4
	v_mov_b32_e32 v4, v26
	v_writelane_b32 v56, s5, 32
	v_mov_b32_e32 v47, v5
	v_mad_u64_u32 v[4:5], s[4:5], s23, v6, v[4:5]
	s_cmp_lt_u32 s6, s12
	s_cselect_b32 s4, 12, 18
	s_add_u32 s2, s2, s4
	s_addc_u32 s3, s3, 0
	v_writelane_b32 v56, s2, 33
	v_writelane_b32 v56, s3, 34
	s_add_i32 s2, s7, -1
	s_bfe_u32 s3, s33, 0x30006
	s_and_b32 s2, s2, 0xffff
	s_cmp_gt_u32 s2, 6
	s_cselect_b64 s[4:5], -1, 0
	v_writelane_b32 v56, s4, 35
	s_and_b32 s59, s7, 0x3f8
	v_writelane_b32 v56, s5, 36
	s_cmp_lg_u32 s3, 0
	v_writelane_b32 v56, s3, 37
	s_cselect_b64 s[2:3], -1, 0
	v_writelane_b32 v56, s2, 38
	v_writelane_b32 v56, s3, 39
	s_lshl_b64 s[2:3], s[22:23], 3
	v_writelane_b32 v56, s2, 40
	v_lshrrev_b32_e32 v5, 1, v0
	v_writelane_b32 v56, s3, 41
	s_mul_i32 s2, s23, s33
	s_mul_hi_u32 s3, s22, s33
	v_lshlrev_b32_e32 v44, 3, v0
	v_and_b32_e32 v5, 0x1e0, v5
	v_lshlrev_b64 v[28:29], 5, v[2:3]
	v_mov_b32_e32 v2, 0xc00
	s_add_i32 s3, s3, s2
	s_mul_i32 s2, s22, s33
	v_mov_b32_e32 v33, s27
	v_mov_b32_e32 v26, 0
	;; [unrolled: 1-line block ×4, first 2 shown]
	s_mov_b32 s51, 0
	v_cmp_eq_u32_e64 s[0:1], 0, v43
	v_lshlrev_b32_e32 v20, 2, v0
	v_mov_b32_e32 v21, v19
	v_add_u32_e32 v45, 0xc00, v44
	v_or_b32_e32 v48, 0xc00, v5
	s_lshl_b64 s[66:67], s[22:23], 5
	v_mov_b32_e32 v49, v4
	v_lshl_or_b32 v50, v43, 3, v2
	s_lshl_b32 s58, s33, 3
	s_lshl_b64 s[28:29], s[2:3], 3
	s_mov_b32 s56, 62
	s_mov_b64 s[68:69], 0
	v_mov_b32_e32 v32, s26
	v_mov_b32_e32 v27, 0
	;; [unrolled: 1-line block ×4, first 2 shown]
	s_mov_b32 s57, 0
	v_mov_b32_e32 v7, 0
	v_mov_b32_e32 v3, 0x3ff00000
	v_writelane_b32 v56, s52, 42
                                        ; implicit-def: $sgpr70_sgpr71
                                        ; implicit-def: $sgpr72_sgpr73
                                        ; implicit-def: $sgpr76_sgpr77
                                        ; implicit-def: $sgpr78_sgpr79
                                        ; implicit-def: $sgpr74_sgpr75
                                        ; implicit-def: $sgpr80_sgpr81
                                        ; implicit-def: $sgpr82_sgpr83
                                        ; implicit-def: $sgpr84_sgpr85
                                        ; implicit-def: $sgpr86_sgpr87
                                        ; implicit-def: $sgpr88_sgpr89
	v_writelane_b32 v56, s53, 43
	s_branch .LBB180_6
.LBB180_4:                              ;   in Loop: Header=BB180_6 Depth=1
	s_or_b64 exec, exec, s[8:9]
	s_andn2_b64 s[8:9], s[88:89], exec
	s_and_b64 s[6:7], s[6:7], exec
	v_mov_b32_e32 v32, v34
	s_or_b64 s[88:89], s[8:9], s[6:7]
	s_andn2_b64 s[86:87], s[86:87], exec
	s_andn2_b64 s[84:85], s[84:85], exec
	;; [unrolled: 1-line block ×4, first 2 shown]
	s_orn2_b64 s[4:5], s[4:5], exec
	v_mov_b32_e32 v33, v35
.LBB180_5:                              ;   in Loop: Header=BB180_6 Depth=1
	s_or_b64 exec, exec, s[2:3]
	s_and_b64 s[2:3], exec, s[4:5]
	s_or_b64 s[68:69], s[2:3], s[68:69]
	s_andn2_b64 s[2:3], s[74:75], exec
	s_and_b64 s[4:5], s[88:89], exec
	s_or_b64 s[74:75], s[2:3], s[4:5]
	s_andn2_b64 s[2:3], s[78:79], exec
	s_and_b64 s[4:5], s[86:87], exec
	;; [unrolled: 3-line block ×5, first 2 shown]
	s_or_b64 s[70:71], s[2:3], s[4:5]
	s_andn2_b64 exec, exec, s[68:69]
	s_cbranch_execz .LBB180_482
.LBB180_6:                              ; =>This Loop Header: Depth=1
                                        ;     Child Loop BB180_12 Depth 2
                                        ;     Child Loop BB180_25 Depth 2
	;; [unrolled: 1-line block ×24, first 2 shown]
	ds_read_b128 v[8:11], v19 offset:5120
	s_waitcnt lgkmcnt(0)
	v_readfirstlane_b32 s39, v9
	v_readfirstlane_b32 s38, v8
	s_cmp_lg_u64 s[38:39], 0
	s_cbranch_scc1 .LBB180_33
; %bb.7:                                ;   in Loop: Header=BB180_6 Depth=1
	v_readlane_b32 s2, v56, 20
	v_readlane_b32 s3, v56, 21
	s_and_b64 vcc, exec, s[2:3]
	s_cbranch_vccz .LBB180_20
; %bb.8:                                ;   in Loop: Header=BB180_6 Depth=1
	s_mov_b64 s[2:3], 0x181
	v_cmp_gt_u64_e32 vcc, s[2:3], v[10:11]
	s_mov_b64 s[2:3], 0
	s_mov_b64 s[4:5], 0
	s_cbranch_vccz .LBB180_21
; %bb.9:                                ;   in Loop: Header=BB180_6 Depth=1
	s_mov_b64 s[8:9], exec
	v_readlane_b32 s4, v56, 22
	v_readlane_b32 s5, v56, 23
	s_and_b64 s[4:5], s[8:9], s[4:5]
	s_mov_b64 exec, s[4:5]
	s_cbranch_execz .LBB180_89
; %bb.10:                               ;   in Loop: Header=BB180_6 Depth=1
	v_readlane_b32 s4, v56, 33
	v_readlane_b32 s5, v56, 34
	s_nop 4
	global_load_ushort v2, v19, s[4:5]
	global_load_dwordx2 v[8:9], v[16:17], off
	v_mov_b32_e32 v4, s46
	v_mov_b32_e32 v5, s47
	v_readlane_b32 s12, v56, 40
	v_readlane_b32 s13, v56, 41
	s_waitcnt vmcnt(1)
	v_readfirstlane_b32 s4, v2
	s_and_b32 s10, 0xffff, s4
	v_add_u32_e32 v10, s10, v0
	v_mad_u64_u32 v[4:5], s[4:5], s12, v10, v[4:5]
	s_mul_i32 s11, s13, s10
	s_mov_b64 s[4:5], 0
	v_mad_u64_u32 v[10:11], s[6:7], s13, v10, v[5:6]
	s_mul_hi_u32 s6, s12, s10
	s_mul_i32 s18, s12, s10
	v_mov_b32_e32 v5, v10
	v_mov_b32_e32 v11, v1
	s_add_i32 s19, s6, s11
	v_mov_b32_e32 v10, v0
	s_branch .LBB180_12
.LBB180_11:                             ;   in Loop: Header=BB180_12 Depth=2
	s_or_b64 exec, exec, s[6:7]
	v_mov_b32_e32 v8, s19
	v_add_co_u32_e32 v4, vcc, s18, v4
	v_addc_co_u32_e32 v5, vcc, v5, v8, vcc
	v_mov_b32_e32 v8, v12
	v_mov_b32_e32 v9, v13
	s_andn2_b64 exec, exec, s[4:5]
	s_cbranch_execz .LBB180_89
.LBB180_12:                             ;   Parent Loop BB180_6 Depth=1
                                        ; =>  This Inner Loop Header: Depth=2
	v_add_co_u32_sdwa v10, vcc, v10, v2 dst_sel:DWORD dst_unused:UNUSED_PAD src0_sel:DWORD src1_sel:WORD_0
	v_addc_co_u32_e32 v11, vcc, 0, v11, vcc
	v_cmp_gt_u64_e64 s[6:7], s[24:25], v[10:11]
	v_cmp_le_u64_e32 vcc, s[24:25], v[10:11]
	v_mov_b32_e32 v12, 0
	v_mov_b32_e32 v13, 0
	s_and_saveexec_b64 s[10:11], s[6:7]
	s_cbranch_execz .LBB180_14
; %bb.13:                               ;   in Loop: Header=BB180_12 Depth=2
	global_load_dwordx2 v[12:13], v[4:5], off
.LBB180_14:                             ;   in Loop: Header=BB180_12 Depth=2
	s_or_b64 exec, exec, s[10:11]
	s_waitcnt vmcnt(0)
	v_cmp_o_f64_e64 s[6:7], v[8:9], v[8:9]
	s_waitcnt lgkmcnt(0)
	v_ashrrev_i32_e32 v14, 31, v9
	v_or_b32_e32 v15, 0x80000000, v14
	v_xor_b32_e32 v15, v15, v9
	v_xor_b32_e32 v14, v14, v8
	v_cndmask_b32_e64 v15, -1, v15, s[6:7]
	v_cndmask_b32_e64 v14, -1, v14, s[6:7]
	v_and_b32_e32 v15, v15, v31
	v_and_b32_e32 v14, v14, v30
	v_cmp_eq_u64_e64 s[14:15], v[14:15], v[26:27]
	v_mov_b32_e32 v14, 0
	s_cmp_lg_u64 s[14:15], 0
	s_cselect_b64 s[6:7], -1, 0
	s_and_b64 s[6:7], s[0:1], s[6:7]
	s_and_saveexec_b64 s[10:11], s[6:7]
	s_cbranch_execz .LBB180_18
; %bb.15:                               ;   in Loop: Header=BB180_12 Depth=2
	s_mov_b64 s[16:17], exec
	v_mbcnt_lo_u32_b32 v14, s16, 0
	v_mbcnt_hi_u32_b32 v14, s17, v14
	s_bcnt1_i32_b64 s20, s[14:15]
	v_cmp_eq_u32_e64 s[6:7], 0, v14
                                        ; implicit-def: $vgpr15
	s_and_saveexec_b64 s[12:13], s[6:7]
; %bb.16:                               ;   in Loop: Header=BB180_12 Depth=2
	s_bcnt1_i32_b64 s6, s[16:17]
	s_mul_i32 s6, s20, s6
	v_mov_b32_e32 v15, s6
	ds_add_rtn_u32 v15, v19, v15 offset:5144
; %bb.17:                               ;   in Loop: Header=BB180_12 Depth=2
	s_or_b64 exec, exec, s[12:13]
	s_waitcnt lgkmcnt(0)
	v_readfirstlane_b32 s6, v15
	v_mov_b32_e32 v15, s6
	v_mad_u32_u24 v14, s20, v14, v15
.LBB180_18:                             ;   in Loop: Header=BB180_12 Depth=2
	s_or_b64 exec, exec, s[10:11]
	ds_bpermute_b32 v14, v40, v14
	s_and_b64 s[6:7], exec, vcc
	s_or_b64 s[4:5], s[6:7], s[4:5]
	s_and_saveexec_b64 s[6:7], s[14:15]
	s_cbranch_execz .LBB180_11
; %bb.19:                               ;   in Loop: Header=BB180_12 Depth=2
	v_and_b32_e32 v18, s14, v42
	v_and_b32_e32 v15, s15, v41
	v_bcnt_u32_b32 v18, v18, 0
	v_bcnt_u32_b32 v15, v15, v18
	v_lshlrev_b32_e32 v15, 3, v15
	s_waitcnt lgkmcnt(0)
	v_lshl_add_u32 v14, v14, 3, v15
	ds_write_b64 v14, v[8:9]
	s_branch .LBB180_11
.LBB180_20:                             ;   in Loop: Header=BB180_6 Depth=1
	s_mov_b64 s[2:3], -1
	s_mov_b64 s[4:5], 0
.LBB180_21:                             ;   in Loop: Header=BB180_6 Depth=1
	s_and_b64 vcc, exec, s[2:3]
	s_cbranch_vccz .LBB180_31
.LBB180_22:                             ;   in Loop: Header=BB180_6 Depth=1
	s_mov_b64 s[2:3], exec
	v_readlane_b32 s4, v56, 22
	v_readlane_b32 s5, v56, 23
	s_and_b64 s[4:5], s[2:3], s[4:5]
	s_mov_b64 exec, s[4:5]
	s_cbranch_execz .LBB180_28
; %bb.23:                               ;   in Loop: Header=BB180_6 Depth=1
	v_readlane_b32 s4, v56, 33
	v_readlane_b32 s5, v56, 34
	s_nop 4
	global_load_ushort v2, v19, s[4:5]
	global_load_dwordx2 v[4:5], v[16:17], off
	s_waitcnt vmcnt(1)
	v_add_u32_sdwa v18, v2, v0 dst_sel:DWORD dst_unused:UNUSED_PAD src0_sel:WORD_0 src1_sel:DWORD
	v_cmp_gt_u64_e32 vcc, s[24:25], v[18:19]
	v_readfirstlane_b32 s6, v2
	v_mov_b32_e32 v2, v0
	s_and_saveexec_b64 s[4:5], vcc
	s_cbranch_execz .LBB180_27
; %bb.24:                               ;   in Loop: Header=BB180_6 Depth=1
	v_mov_b32_e32 v8, s46
	v_mov_b32_e32 v9, s47
	v_readlane_b32 s10, v56, 40
	v_mad_u64_u32 v[8:9], s[8:9], s10, v18, v[8:9]
	v_readlane_b32 s11, v56, 41
	s_and_b32 s8, s6, 0xffff
	v_mov_b32_e32 v2, v9
	v_mad_u64_u32 v[9:10], s[6:7], s11, v18, v[2:3]
	s_mul_i32 s6, s11, s8
	s_mul_hi_u32 s7, s10, s8
	v_mov_b32_e32 v12, v18
	v_mov_b32_e32 v15, v1
	s_add_i32 s9, s7, s6
	s_mul_i32 s10, s10, s8
	s_mov_b64 s[6:7], 0
	v_mov_b32_e32 v13, v19
	v_mov_b32_e32 v14, v0
.LBB180_25:                             ;   Parent Loop BB180_6 Depth=1
                                        ; =>  This Inner Loop Header: Depth=2
	global_load_dwordx2 v[10:11], v[8:9], off
	v_mov_b32_e32 v35, v13
	v_mov_b32_e32 v34, v12
	;; [unrolled: 1-line block ×3, first 2 shown]
	v_add_co_u32_e32 v8, vcc, s10, v8
	v_addc_co_u32_e32 v9, vcc, v9, v12, vcc
	v_add_co_u32_e32 v12, vcc, s8, v34
	v_addc_co_u32_e32 v13, vcc, 0, v35, vcc
	v_lshlrev_b32_e32 v2, 3, v14
	v_cmp_le_u64_e32 vcc, s[24:25], v[12:13]
	s_waitcnt vmcnt(1)
	ds_write_b64 v2, v[4:5]
	v_mov_b32_e32 v14, v34
	s_or_b64 s[6:7], vcc, s[6:7]
	v_mov_b32_e32 v15, v35
	s_waitcnt vmcnt(0)
	v_mov_b32_e32 v4, v10
	v_mov_b32_e32 v5, v11
	s_andn2_b64 exec, exec, s[6:7]
	s_cbranch_execnz .LBB180_25
; %bb.26:                               ;   in Loop: Header=BB180_6 Depth=1
	s_or_b64 exec, exec, s[6:7]
	v_mov_b32_e32 v4, v10
	v_subrev_u32_e32 v2, s8, v12
	v_mov_b32_e32 v5, v11
.LBB180_27:                             ;   in Loop: Header=BB180_6 Depth=1
	s_or_b64 exec, exec, s[4:5]
	v_lshlrev_b32_e32 v2, 3, v2
	s_waitcnt vmcnt(0)
	ds_write_b64 v2, v[4:5]
.LBB180_28:                             ;   in Loop: Header=BB180_6 Depth=1
	s_or_b64 exec, exec, s[2:3]
	s_waitcnt lgkmcnt(0)
	s_barrier
	s_mov_b64 s[2:3], exec
	v_readlane_b32 s4, v56, 8
	v_readlane_b32 s5, v56, 9
	s_and_b64 s[4:5], s[2:3], s[4:5]
	s_mov_b64 exec, s[4:5]
; %bb.29:                               ;   in Loop: Header=BB180_6 Depth=1
	v_mov_b32_e32 v4, s24
	v_mov_b32_e32 v5, s25
	ds_write_b64 v19, v[4:5] offset:5120
; %bb.30:                               ;   in Loop: Header=BB180_6 Depth=1
	s_or_b64 exec, exec, s[2:3]
	s_mov_b64 s[4:5], -1
	s_waitcnt lgkmcnt(0)
	s_barrier
.LBB180_31:                             ;   in Loop: Header=BB180_6 Depth=1
	s_mov_b64 s[38:39], 0
	s_and_b64 vcc, exec, s[4:5]
	s_cbranch_vccz .LBB180_33
; %bb.32:                               ;   in Loop: Header=BB180_6 Depth=1
	ds_read_b64 v[4:5], v19 offset:5120
	s_waitcnt lgkmcnt(0)
	v_readfirstlane_b32 s38, v4
.LBB180_33:                             ;   in Loop: Header=BB180_6 Depth=1
	s_cmp_lt_i32 s38, 1
	s_mov_b64 s[2:3], -1
                                        ; implicit-def: $vgpr8_vgpr9
                                        ; implicit-def: $vgpr12_vgpr13
	s_cbranch_scc1 .LBB180_43
; %bb.34:                               ;   in Loop: Header=BB180_6 Depth=1
	s_and_b64 vcc, exec, s[2:3]
	s_cbranch_vccnz .LBB180_57
.LBB180_35:                             ;   in Loop: Header=BB180_6 Depth=1
	s_lshl_b32 s4, s57, 6
	s_and_saveexec_b64 s[2:3], s[0:1]
	s_cbranch_execz .LBB180_37
.LBB180_36:                             ;   in Loop: Header=BB180_6 Depth=1
	v_lshl_add_u32 v2, s4, 3, v48
	ds_write_b128 v2, v[8:11]
	ds_write_b128 v2, v[12:15] offset:16
.LBB180_37:                             ;   in Loop: Header=BB180_6 Depth=1
	s_or_b64 exec, exec, s[2:3]
	s_waitcnt lgkmcnt(0)
	s_barrier
	s_mov_b64 s[2:3], exec
	v_readlane_b32 s6, v56, 18
	v_readlane_b32 s7, v56, 19
	s_and_b64 s[6:7], s[2:3], s[6:7]
	s_mov_b64 exec, s[6:7]
	s_cbranch_execz .LBB180_72
; %bb.38:                               ;   in Loop: Header=BB180_6 Depth=1
	v_readlane_b32 s6, v56, 26
	v_mov_b32_e32 v4, 0
	v_readlane_b32 s7, v56, 27
	v_mov_b32_e32 v5, 0
	s_andn2_b64 vcc, exec, s[6:7]
	s_cbranch_vccnz .LBB180_71
; %bb.39:                               ;   in Loop: Header=BB180_6 Depth=1
	v_readlane_b32 s6, v56, 35
	v_readlane_b32 s7, v56, 36
	s_andn2_b64 vcc, exec, s[6:7]
	s_cbranch_vccnz .LBB180_67
; %bb.40:                               ;   in Loop: Header=BB180_6 Depth=1
	v_mov_b32_e32 v4, 0
	v_lshl_add_u32 v2, s57, 9, v50
	v_mov_b32_e32 v5, 0
	s_mov_b32 s5, 0
.LBB180_41:                             ;   Parent Loop BB180_6 Depth=1
                                        ; =>  This Inner Loop Header: Depth=2
	ds_read2_b64 v[8:11], v2 offset1:4
	ds_read2_b64 v[12:15], v2 offset0:8 offset1:12
	ds_read2_b64 v[34:37], v2 offset0:16 offset1:20
	;; [unrolled: 1-line block ×3, first 2 shown]
	s_add_i32 s5, s5, 8
	s_waitcnt lgkmcnt(3)
	v_add_co_u32_e32 v4, vcc, v8, v4
	v_addc_co_u32_e32 v5, vcc, v9, v5, vcc
	v_add_co_u32_e32 v4, vcc, v10, v4
	v_addc_co_u32_e32 v5, vcc, v11, v5, vcc
	s_waitcnt lgkmcnt(2)
	v_add_co_u32_e32 v4, vcc, v12, v4
	v_addc_co_u32_e32 v5, vcc, v13, v5, vcc
	v_add_co_u32_e32 v4, vcc, v14, v4
	v_addc_co_u32_e32 v5, vcc, v15, v5, vcc
	;; [unrolled: 5-line block ×3, first 2 shown]
	s_waitcnt lgkmcnt(0)
	v_add_co_u32_e32 v4, vcc, v52, v4
	v_addc_co_u32_e32 v5, vcc, v53, v5, vcc
	v_add_co_u32_e32 v4, vcc, v54, v4
	v_add_u32_e32 v2, 0x100, v2
	s_cmp_eq_u32 s59, s5
	v_addc_co_u32_e32 v5, vcc, v55, v5, vcc
	s_cbranch_scc0 .LBB180_41
; %bb.42:                               ;   in Loop: Header=BB180_6 Depth=1
	s_mov_b32 s5, s59
	s_branch .LBB180_68
.LBB180_43:                             ;   in Loop: Header=BB180_6 Depth=1
	v_readlane_b32 s2, v56, 33
	v_readlane_b32 s3, v56, 34
	s_nop 4
	global_load_ushort v2, v19, s[2:3]
	s_mov_b32 s2, s51
	s_waitcnt vmcnt(0)
	v_readfirstlane_b32 s3, v2
	s_and_b32 s10, s3, 0xffff
	s_lshl_b32 s8, s10, 2
	s_mov_b32 s3, s25
	s_cmp_lg_u64 s[2:3], 0
	s_cbranch_scc0 .LBB180_66
; %bb.44:                               ;   in Loop: Header=BB180_6 Depth=1
	v_cvt_f32_u32_e32 v2, s8
	s_sub_u32 s4, 0, s8
	s_subb_u32 s5, 0, 0
	v_mac_f32_e32 v2, 0, v51
	v_rcp_f32_e32 v2, v2
	v_mul_f32_e32 v2, 0x5f7ffffc, v2
	v_mul_f32_e32 v4, 0x2f800000, v2
	v_trunc_f32_e32 v4, v4
	v_mac_f32_e32 v2, 0xcf800000, v4
	v_cvt_u32_f32_e32 v4, v4
	v_cvt_u32_f32_e32 v2, v2
	v_readfirstlane_b32 s6, v4
	v_readfirstlane_b32 s2, v2
	s_mul_i32 s3, s4, s6
	s_mul_hi_u32 s9, s4, s2
	s_mul_i32 s7, s5, s2
	s_add_i32 s3, s9, s3
	s_mul_i32 s11, s4, s2
	s_add_i32 s3, s3, s7
	s_mul_hi_u32 s9, s2, s11
	s_mul_i32 s12, s2, s3
	s_mul_hi_u32 s7, s2, s3
	s_add_u32 s9, s9, s12
	s_addc_u32 s7, 0, s7
	s_mul_hi_u32 s13, s6, s11
	s_mul_i32 s11, s6, s11
	s_add_u32 s9, s9, s11
	s_mul_hi_u32 s12, s6, s3
	s_addc_u32 s7, s7, s13
	s_addc_u32 s9, s12, 0
	s_mul_i32 s3, s6, s3
	s_add_u32 s3, s7, s3
	s_addc_u32 s7, 0, s9
	s_add_u32 s9, s2, s3
	s_cselect_b64 s[2:3], -1, 0
	s_cmp_lg_u64 s[2:3], 0
	s_addc_u32 s6, s6, s7
	s_mul_i32 s2, s4, s6
	s_mul_hi_u32 s3, s4, s9
	s_add_i32 s2, s3, s2
	s_mul_i32 s5, s5, s9
	s_add_i32 s2, s2, s5
	s_mul_i32 s4, s4, s9
	s_mul_hi_u32 s5, s6, s4
	s_mul_i32 s7, s6, s4
	s_mul_i32 s12, s9, s2
	s_mul_hi_u32 s4, s9, s4
	s_mul_hi_u32 s11, s9, s2
	s_add_u32 s4, s4, s12
	s_addc_u32 s11, 0, s11
	s_add_u32 s4, s4, s7
	s_mul_hi_u32 s3, s6, s2
	s_addc_u32 s4, s11, s5
	s_addc_u32 s3, s3, 0
	s_mul_i32 s2, s6, s2
	s_add_u32 s2, s4, s2
	s_addc_u32 s4, 0, s3
	s_add_u32 s5, s9, s2
	s_cselect_b64 s[2:3], -1, 0
	s_cmp_lg_u64 s[2:3], 0
	s_addc_u32 s2, s6, s4
	s_mul_i32 s4, s24, s2
	s_mul_hi_u32 s6, s24, s5
	s_mul_hi_u32 s3, s24, s2
	s_add_u32 s4, s6, s4
	s_addc_u32 s3, 0, s3
	s_mul_hi_u32 s7, s25, s5
	s_mul_i32 s5, s25, s5
	s_add_u32 s4, s4, s5
	s_mul_hi_u32 s6, s25, s2
	s_addc_u32 s3, s3, s7
	s_addc_u32 s4, s6, 0
	s_mul_i32 s2, s25, s2
	s_add_u32 s2, s3, s2
	s_addc_u32 s3, 0, s4
	s_mul_i32 s3, s8, s3
	s_mul_hi_u32 s4, s8, s2
	s_add_i32 s4, s4, s3
	s_mul_i32 s2, s8, s2
	s_sub_u32 s5, s24, s2
	s_cselect_b64 s[2:3], -1, 0
	s_cmp_lg_u64 s[2:3], 0
	s_subb_u32 s4, s25, s4
	s_sub_u32 s6, s5, s8
	s_cselect_b64 s[2:3], -1, 0
	s_cmp_lg_u64 s[2:3], 0
	s_subb_u32 s7, s4, 0
	;; [unrolled: 4-line block ×3, first 2 shown]
	s_cmp_ge_u32 s6, s8
	s_cselect_b32 s3, -1, 0
	s_cmp_eq_u32 s7, 0
	s_cselect_b32 s3, s3, -1
	s_cmp_lg_u32 s3, 0
	s_cselect_b32 s2, s2, s7
	s_cselect_b32 s6, s9, s6
	s_cmp_ge_u32 s5, s8
	s_cselect_b32 s3, -1, 0
	s_cmp_eq_u32 s4, 0
	s_cselect_b32 s3, s3, -1
	s_cmp_lg_u32 s3, 0
	s_cselect_b32 s3, s2, s4
	s_cselect_b32 s2, s6, s5
	s_cbranch_execnz .LBB180_46
.LBB180_45:                             ;   in Loop: Header=BB180_6 Depth=1
	v_cvt_f32_u32_e32 v2, s8
	s_sub_i32 s2, 0, s8
	v_rcp_iflag_f32_e32 v2, v2
	v_mul_f32_e32 v2, 0x4f7ffffe, v2
	v_cvt_u32_f32_e32 v2, v2
	v_readfirstlane_b32 s3, v2
	s_mul_i32 s2, s2, s3
	s_mul_hi_u32 s2, s3, s2
	s_add_i32 s3, s3, s2
	s_mul_hi_u32 s2, s24, s3
	s_mul_i32 s2, s2, s8
	s_sub_i32 s2, s24, s2
	s_sub_i32 s3, s2, s8
	s_cmp_ge_u32 s2, s8
	s_cselect_b32 s2, s3, s2
	s_sub_i32 s3, s2, s8
	s_cmp_ge_u32 s2, s8
	s_cselect_b32 s50, s3, s2
	s_mov_b64 s[2:3], s[50:51]
.LBB180_46:                             ;   in Loop: Header=BB180_6 Depth=1
	s_sub_u32 s2, s24, s2
	s_subb_u32 s3, s25, s3
	v_cmp_gt_u64_e32 vcc, s[2:3], v[20:21]
	v_mov_b32_e32 v8, 0
	v_mov_b32_e32 v10, 0
	;; [unrolled: 1-line block ×8, first 2 shown]
	s_and_saveexec_b64 s[20:21], vcc
	s_cbranch_execz .LBB180_50
; %bb.47:                               ;   in Loop: Header=BB180_6 Depth=1
	s_mul_i32 s4, s67, s10
	s_mul_hi_u32 s5, s66, s10
	v_mov_b32_e32 v4, v20
	s_add_i32 s4, s5, s4
	s_mov_b64 s[30:31], 0
	s_mov_b64 s[34:35], s[46:47]
	;; [unrolled: 1-line block ×6, first 2 shown]
	v_mov_b32_e32 v5, v21
.LBB180_48:                             ;   Parent Loop BB180_6 Depth=1
                                        ; =>  This Inner Loop Header: Depth=2
	v_add_co_u32_e32 v8, vcc, s34, v28
	v_mov_b32_e32 v2, s35
	v_addc_co_u32_e32 v9, vcc, v2, v29, vcc
	global_load_dwordx2 v[8:9], v[8:9], off
	v_add_co_u32_e32 v10, vcc, s34, v25
	v_addc_co_u32_e32 v11, vcc, v2, v49, vcc
	global_load_dwordx2 v[10:11], v[10:11], off
	v_add_co_u32_e32 v12, vcc, s34, v24
	;; [unrolled: 3-line block ×3, first 2 shown]
	v_addc_co_u32_e32 v15, vcc, v2, v23, vcc
	global_load_dwordx2 v[14:15], v[14:15], off
	s_waitcnt vmcnt(3)
	v_cmp_o_f64_e32 vcc, v[8:9], v[8:9]
	v_ashrrev_i32_e32 v2, 31, v9
	v_or_b32_e32 v18, 0x80000000, v2
	v_xor_b32_e32 v9, v18, v9
	v_xor_b32_e32 v2, v2, v8
	v_cndmask_b32_e32 v9, -1, v9, vcc
	v_cndmask_b32_e32 v8, -1, v2, vcc
	s_waitcnt vmcnt(2)
	v_cmp_o_f64_e32 vcc, v[10:11], v[10:11]
	v_ashrrev_i32_e32 v2, 31, v11
	v_or_b32_e32 v18, 0x80000000, v2
	v_xor_b32_e32 v11, v18, v11
	v_xor_b32_e32 v2, v2, v10
	v_cndmask_b32_e32 v35, -1, v11, vcc
	v_cndmask_b32_e32 v34, -1, v2, vcc
	;; [unrolled: 8-line block ×3, first 2 shown]
	s_waitcnt vmcnt(0)
	v_cmp_o_f64_e32 vcc, v[14:15], v[14:15]
	v_ashrrev_i32_e32 v2, 31, v15
	v_or_b32_e32 v10, 0x80000000, v2
	v_xor_b32_e32 v10, v10, v15
	v_xor_b32_e32 v2, v2, v14
	v_and_b32_e32 v15, v9, v31
	v_and_b32_e32 v14, v8, v30
	v_lshrrev_b64 v[8:9], s56, v[8:9]
	v_cndmask_b32_e32 v11, -1, v10, vcc
	v_and_b32_e32 v18, 3, v8
	v_lshrrev_b64 v[8:9], s56, v[34:35]
	v_cndmask_b32_e32 v10, -1, v2, vcc
	v_cmp_eq_u64_e32 vcc, v[14:15], v[26:27]
	v_and_b32_e32 v15, v35, v31
	v_and_b32_e32 v14, v34, v30
	v_cmp_eq_u64_e64 s[6:7], 0, v[18:19]
	v_cmp_eq_u64_e64 s[14:15], v[14:15], v[26:27]
	v_and_b32_e32 v15, v13, v31
	v_and_b32_e32 v14, v12, v30
	v_and_b32_e32 v8, 3, v8
	v_mov_b32_e32 v9, v19
	v_lshrrev_b64 v[12:13], s56, v[12:13]
	s_and_b64 s[12:13], vcc, s[6:7]
	v_cmp_eq_u64_e64 s[6:7], 0, v[8:9]
	v_cmp_eq_u64_e64 s[16:17], v[14:15], v[26:27]
	v_and_b32_e32 v15, v11, v31
	v_and_b32_e32 v14, v10, v30
	;; [unrolled: 1-line block ×3, first 2 shown]
	v_mov_b32_e32 v13, v19
	v_lshrrev_b64 v[10:11], s56, v[10:11]
	s_and_b64 s[36:37], s[14:15], s[6:7]
	v_cmp_eq_u64_e64 s[6:7], 0, v[12:13]
	v_and_b32_e32 v10, 3, v10
	v_mov_b32_e32 v11, v19
	v_cmp_eq_u64_e64 s[18:19], v[14:15], v[26:27]
	s_and_b64 s[48:49], s[16:17], s[6:7]
	v_cmp_eq_u64_e64 s[6:7], 0, v[10:11]
	v_cndmask_b32_e64 v2, 0, 1, s[12:13]
	s_and_b64 s[52:53], s[18:19], s[6:7]
	v_cmp_ne_u32_e64 s[6:7], 0, v2
	v_cndmask_b32_e64 v2, 0, 1, s[36:37]
	s_bcnt1_i32_b64 s5, s[6:7]
	v_cmp_ne_u32_e64 s[6:7], 0, v2
	v_cndmask_b32_e64 v2, 0, 1, s[48:49]
	s_bcnt1_i32_b64 s9, s[6:7]
	;; [unrolled: 3-line block ×3, first 2 shown]
	v_cmp_ne_u32_e64 s[6:7], 0, v2
	s_bcnt1_i32_b64 s6, s[6:7]
	s_add_u32 s5, s5, s60
	s_addc_u32 s7, 0, s61
	s_add_u32 s5, s5, s9
	s_addc_u32 s7, s7, 0
	;; [unrolled: 2-line block ×4, first 2 shown]
	v_cmp_eq_u64_e64 s[6:7], 1, v[18:19]
	s_and_b64 s[12:13], vcc, s[6:7]
	v_cmp_eq_u64_e64 s[6:7], 1, v[8:9]
	v_cndmask_b32_e64 v2, 0, 1, s[12:13]
	s_and_b64 s[36:37], s[14:15], s[6:7]
	v_cmp_eq_u64_e64 s[6:7], 1, v[12:13]
	s_and_b64 s[48:49], s[16:17], s[6:7]
	v_cmp_eq_u64_e64 s[6:7], 1, v[10:11]
	s_and_b64 s[52:53], s[18:19], s[6:7]
	v_cmp_ne_u32_e64 s[6:7], 0, v2
	v_cndmask_b32_e64 v2, 0, 1, s[36:37]
	s_bcnt1_i32_b64 s5, s[6:7]
	v_cmp_ne_u32_e64 s[6:7], 0, v2
	v_cndmask_b32_e64 v2, 0, 1, s[48:49]
	s_bcnt1_i32_b64 s9, s[6:7]
	;; [unrolled: 3-line block ×3, first 2 shown]
	v_cmp_ne_u32_e64 s[6:7], 0, v2
	s_bcnt1_i32_b64 s6, s[6:7]
	s_add_u32 s5, s5, s44
	s_addc_u32 s7, 0, s45
	s_add_u32 s5, s5, s9
	s_addc_u32 s7, s7, 0
	;; [unrolled: 2-line block ×4, first 2 shown]
	v_cmp_eq_u64_e64 s[6:7], 2, v[18:19]
	s_and_b64 s[12:13], vcc, s[6:7]
	v_cmp_eq_u64_e64 s[6:7], 2, v[8:9]
	v_cndmask_b32_e64 v2, 0, 1, s[12:13]
	s_and_b64 s[36:37], s[14:15], s[6:7]
	v_cmp_eq_u64_e64 s[6:7], 2, v[12:13]
	s_and_b64 s[48:49], s[16:17], s[6:7]
	v_cmp_eq_u64_e64 s[6:7], 2, v[10:11]
	s_and_b64 s[52:53], s[18:19], s[6:7]
	v_cmp_ne_u32_e64 s[6:7], 0, v2
	v_cndmask_b32_e64 v2, 0, 1, s[36:37]
	s_bcnt1_i32_b64 s5, s[6:7]
	v_cmp_ne_u32_e64 s[6:7], 0, v2
	v_cndmask_b32_e64 v2, 0, 1, s[48:49]
	s_bcnt1_i32_b64 s9, s[6:7]
	;; [unrolled: 3-line block ×3, first 2 shown]
	v_cmp_ne_u32_e64 s[6:7], 0, v2
	s_bcnt1_i32_b64 s6, s[6:7]
	s_add_u32 s5, s5, s42
	s_addc_u32 s7, 0, s43
	s_add_u32 s5, s5, s9
	s_addc_u32 s7, s7, 0
	s_add_u32 s5, s5, s11
	s_addc_u32 s7, s7, 0
	s_add_u32 s42, s5, s6
	s_addc_u32 s43, s7, 0
	v_cmp_eq_u64_e64 s[6:7], 3, v[18:19]
	s_and_b64 s[6:7], vcc, s[6:7]
	v_cmp_eq_u64_e32 vcc, 3, v[8:9]
	v_cndmask_b32_e64 v2, 0, 1, s[6:7]
	s_and_b64 s[12:13], s[14:15], vcc
	v_cmp_eq_u64_e32 vcc, 3, v[12:13]
	v_mov_b32_e32 v8, s60
	s_and_b64 s[14:15], s[16:17], vcc
	v_cmp_eq_u64_e32 vcc, 3, v[10:11]
	v_mov_b32_e32 v10, s44
	s_and_b64 s[16:17], s[18:19], vcc
	v_cmp_ne_u32_e32 vcc, 0, v2
	v_cndmask_b32_e64 v2, 0, 1, s[12:13]
	s_bcnt1_i32_b64 s5, vcc
	v_cmp_ne_u32_e32 vcc, 0, v2
	v_cndmask_b32_e64 v2, 0, 1, s[14:15]
	s_bcnt1_i32_b64 s6, vcc
	;; [unrolled: 3-line block ×3, first 2 shown]
	v_cmp_ne_u32_e32 vcc, 0, v2
	s_bcnt1_i32_b64 s9, vcc
	s_add_u32 s5, s5, s40
	s_addc_u32 s11, 0, s41
	s_add_u32 s5, s5, s6
	s_addc_u32 s6, s11, 0
	s_add_u32 s5, s5, s7
	s_addc_u32 s6, s6, 0
	s_add_u32 s40, s5, s9
	v_add_co_u32_e32 v4, vcc, s8, v4
	s_addc_u32 s41, s6, 0
	v_addc_co_u32_e32 v5, vcc, 0, v5, vcc
	s_mul_i32 s5, s66, s10
	s_add_u32 s34, s34, s5
	v_cmp_le_u64_e32 vcc, s[2:3], v[4:5]
	s_addc_u32 s35, s35, s4
	v_mov_b32_e32 v12, s42
	v_mov_b32_e32 v14, s40
	s_or_b64 s[30:31], vcc, s[30:31]
	v_mov_b32_e32 v9, s61
	v_mov_b32_e32 v11, s45
	;; [unrolled: 1-line block ×4, first 2 shown]
	s_andn2_b64 exec, exec, s[30:31]
	s_cbranch_execnz .LBB180_48
; %bb.49:                               ;   in Loop: Header=BB180_6 Depth=1
	s_or_b64 exec, exec, s[30:31]
	v_readlane_b32 s52, v56, 42
	v_readlane_b32 s53, v56, 43
.LBB180_50:                             ;   in Loop: Header=BB180_6 Depth=1
	s_or_b64 exec, exec, s[20:21]
	v_mov_b32_e32 v2, s3
	v_add_co_u32_e32 v4, vcc, s2, v0
	v_addc_co_u32_e32 v5, vcc, 0, v2, vcc
	v_cmp_gt_u64_e32 vcc, s[24:25], v[4:5]
	s_and_saveexec_b64 s[2:3], vcc
	s_cbranch_execz .LBB180_56
; %bb.51:                               ;   in Loop: Header=BB180_6 Depth=1
	v_mul_lo_u32 v2, v5, s22
	v_mul_lo_u32 v18, v4, s23
	v_mad_u64_u32 v[34:35], s[4:5], v4, s22, 0
	s_mov_b64 s[4:5], 0
	v_add3_u32 v35, v35, v18, v2
	v_lshlrev_b64 v[34:35], 3, v[34:35]
	v_mov_b32_e32 v2, s47
	v_add_co_u32_e32 v34, vcc, s46, v34
	v_addc_co_u32_e32 v35, vcc, v2, v35, vcc
	global_load_dwordx2 v[36:37], v[34:35], off
	s_branch .LBB180_53
.LBB180_52:                             ;   in Loop: Header=BB180_53 Depth=2
	s_or_b64 exec, exec, s[8:9]
	s_waitcnt vmcnt(0)
	v_cmp_o_f64_e64 s[6:7], v[36:37], v[36:37]
	v_ashrrev_i32_e32 v2, 31, v37
	v_or_b32_e32 v18, 0x80000000, v2
	v_xor_b32_e32 v18, v18, v37
	v_xor_b32_e32 v2, v2, v36
	s_and_b64 s[8:9], exec, vcc
	s_or_b64 s[4:5], s[8:9], s[4:5]
	v_cndmask_b32_e64 v37, -1, v18, s[6:7]
	v_cndmask_b32_e64 v36, -1, v2, s[6:7]
	v_and_b32_e32 v39, v37, v31
	v_and_b32_e32 v38, v36, v30
	v_lshrrev_b64 v[36:37], s56, v[36:37]
	v_cmp_eq_u64_e32 vcc, v[38:39], v[26:27]
	v_and_b32_e32 v18, 3, v36
	v_cmp_eq_u64_e64 s[6:7], 0, v[18:19]
	v_mov_b32_e32 v37, v35
	s_and_b64 s[6:7], vcc, s[6:7]
	v_cndmask_b32_e64 v2, 0, 1, s[6:7]
	v_cmp_ne_u32_e64 s[6:7], 0, v2
	s_bcnt1_i32_b64 s8, s[6:7]
	v_cmp_eq_u64_e64 s[6:7], 1, v[18:19]
	v_add_co_u32_e64 v8, s[14:15], s8, v8
	s_and_b64 s[6:7], vcc, s[6:7]
	v_cndmask_b32_e64 v2, 0, 1, s[6:7]
	v_cmp_ne_u32_e64 s[6:7], 0, v2
	s_bcnt1_i32_b64 s8, s[6:7]
	v_cmp_eq_u64_e64 s[6:7], 2, v[18:19]
	v_addc_co_u32_e64 v9, s[14:15], 0, v9, s[14:15]
	s_and_b64 s[6:7], vcc, s[6:7]
	v_cndmask_b32_e64 v2, 0, 1, s[6:7]
	v_cmp_ne_u32_e64 s[6:7], 0, v2
	v_add_co_u32_e64 v10, s[14:15], s8, v10
	s_bcnt1_i32_b64 s8, s[6:7]
	v_cmp_eq_u64_e64 s[6:7], 3, v[18:19]
	v_addc_co_u32_e64 v11, s[14:15], 0, v11, s[14:15]
	s_and_b64 s[6:7], vcc, s[6:7]
	v_cndmask_b32_e64 v2, 0, 1, s[6:7]
	v_cmp_ne_u32_e32 vcc, 0, v2
	s_bcnt1_i32_b64 s6, vcc
	v_add_co_u32_e64 v12, s[14:15], s8, v12
	v_add_co_u32_e32 v14, vcc, s6, v14
	v_addc_co_u32_e64 v13, s[14:15], 0, v13, s[14:15]
	v_addc_co_u32_e32 v15, vcc, 0, v15, vcc
	v_mov_b32_e32 v36, v34
	s_andn2_b64 exec, exec, s[4:5]
	s_cbranch_execz .LBB180_55
.LBB180_53:                             ;   Parent Loop BB180_6 Depth=1
                                        ; =>  This Inner Loop Header: Depth=2
	v_add_co_u32_e32 v4, vcc, s10, v4
	v_addc_co_u32_e32 v5, vcc, 0, v5, vcc
	v_cmp_gt_u64_e64 s[6:7], s[24:25], v[4:5]
	v_cmp_le_u64_e32 vcc, s[24:25], v[4:5]
	v_mov_b32_e32 v34, 0
	v_mov_b32_e32 v35, 0
	s_and_saveexec_b64 s[8:9], s[6:7]
	s_cbranch_execz .LBB180_52
; %bb.54:                               ;   in Loop: Header=BB180_53 Depth=2
	v_mul_lo_u32 v2, v5, s22
	v_mul_lo_u32 v18, v4, s23
	v_mad_u64_u32 v[34:35], s[6:7], v4, s22, 0
	v_add3_u32 v35, v35, v18, v2
	v_lshlrev_b64 v[34:35], 3, v[34:35]
	v_mov_b32_e32 v2, s47
	v_add_co_u32_e64 v34, s[6:7], s46, v34
	v_addc_co_u32_e64 v35, s[6:7], v2, v35, s[6:7]
	global_load_dwordx2 v[34:35], v[34:35], off
	s_branch .LBB180_52
.LBB180_55:                             ;   in Loop: Header=BB180_6 Depth=1
	s_or_b64 exec, exec, s[4:5]
.LBB180_56:                             ;   in Loop: Header=BB180_6 Depth=1
	s_or_b64 exec, exec, s[2:3]
	s_branch .LBB180_35
.LBB180_57:                             ;   in Loop: Header=BB180_6 Depth=1
	v_readlane_b32 s2, v56, 33
	v_readlane_b32 s3, v56, 34
	v_mov_b32_e32 v8, 0
	v_mov_b32_e32 v10, 0
	;; [unrolled: 1-line block ×5, first 2 shown]
	global_load_ushort v2, v19, s[2:3]
	v_mov_b32_e32 v11, 0
	v_mov_b32_e32 v13, 0
	;; [unrolled: 1-line block ×3, first 2 shown]
	s_waitcnt vmcnt(0)
	v_readfirstlane_b32 s2, v2
	s_and_b32 s4, 0xffff, s2
	s_lshl_b32 s5, s4, 2
	v_cvt_f32_u32_e32 v4, s5
	s_sub_i32 s2, 0, s5
	v_rcp_iflag_f32_e32 v4, v4
	v_mul_f32_e32 v4, 0x4f7ffffe, v4
	v_cvt_u32_f32_e32 v4, v4
	v_readfirstlane_b32 s3, v4
	s_mul_i32 s2, s2, s3
	s_mul_hi_u32 s2, s3, s2
	s_add_i32 s3, s3, s2
	s_mul_hi_u32 s2, s38, s3
	s_mul_i32 s3, s2, s5
	s_sub_i32 s3, s38, s3
	s_add_i32 s6, s2, 1
	s_sub_i32 s7, s3, s5
	s_cmp_ge_u32 s3, s5
	s_cselect_b32 s2, s6, s2
	s_cselect_b32 s3, s7, s3
	s_add_i32 s6, s2, 1
	s_cmp_ge_u32 s3, s5
	s_cselect_b32 s2, s6, s2
	s_mul_hi_u32 s3, s4, s2
	s_mul_i32 s2, s4, s2
	s_lshl_b64 s[20:21], s[2:3], 2
	v_cmp_gt_u64_e32 vcc, s[20:21], v[20:21]
	s_and_saveexec_b64 s[30:31], vcc
	s_cbranch_execz .LBB180_61
; %bb.58:                               ;   in Loop: Header=BB180_6 Depth=1
	v_mov_b32_e32 v4, v20
	s_lshl_b32 s3, s4, 5
	s_mov_b64 s[34:35], 0
	v_mov_b32_e32 v34, v46
	s_mov_b64 s[40:41], 0
	s_mov_b64 s[42:43], 0
	;; [unrolled: 1-line block ×4, first 2 shown]
	v_mov_b32_e32 v5, v21
.LBB180_59:                             ;   Parent Loop BB180_6 Depth=1
                                        ; =>  This Inner Loop Header: Depth=2
	ds_read_b128 v[8:11], v34
	ds_read_b128 v[12:15], v34 offset:16
	v_add_u32_e32 v34, s3, v34
	s_waitcnt lgkmcnt(1)
	v_cmp_o_f64_e32 vcc, v[8:9], v[8:9]
	v_ashrrev_i32_e32 v18, 31, v9
	v_or_b32_e32 v35, 0x80000000, v18
	v_xor_b32_e32 v9, v35, v9
	v_xor_b32_e32 v8, v18, v8
	v_ashrrev_i32_e32 v18, 31, v11
	v_or_b32_e32 v35, 0x80000000, v18
	v_cndmask_b32_e32 v9, -1, v9, vcc
	v_cndmask_b32_e32 v8, -1, v8, vcc
	v_cmp_o_f64_e32 vcc, v[10:11], v[10:11]
	v_xor_b32_e32 v11, v35, v11
	v_xor_b32_e32 v10, v18, v10
	v_cndmask_b32_e32 v36, -1, v11, vcc
	v_cndmask_b32_e32 v35, -1, v10, vcc
	s_waitcnt lgkmcnt(0)
	v_cmp_o_f64_e32 vcc, v[12:13], v[12:13]
	v_ashrrev_i32_e32 v10, 31, v13
	v_or_b32_e32 v11, 0x80000000, v10
	v_xor_b32_e32 v11, v11, v13
	v_xor_b32_e32 v10, v10, v12
	v_cndmask_b32_e32 v13, -1, v11, vcc
	v_cndmask_b32_e32 v12, -1, v10, vcc
	v_cmp_o_f64_e32 vcc, v[14:15], v[14:15]
	v_ashrrev_i32_e32 v10, 31, v15
	v_or_b32_e32 v11, 0x80000000, v10
	v_xor_b32_e32 v11, v11, v15
	v_xor_b32_e32 v10, v10, v14
	v_and_b32_e32 v15, v9, v31
	v_and_b32_e32 v14, v8, v30
	v_lshrrev_b64 v[8:9], s56, v[8:9]
	v_cndmask_b32_e32 v11, -1, v11, vcc
	v_and_b32_e32 v18, 3, v8
	v_lshrrev_b64 v[8:9], s56, v[35:36]
	v_cndmask_b32_e32 v10, -1, v10, vcc
	v_cmp_eq_u64_e32 vcc, v[14:15], v[26:27]
	v_and_b32_e32 v15, v36, v31
	v_and_b32_e32 v14, v35, v30
	v_cmp_eq_u64_e64 s[6:7], 0, v[18:19]
	v_cmp_eq_u64_e64 s[14:15], v[14:15], v[26:27]
	v_and_b32_e32 v15, v13, v31
	v_and_b32_e32 v14, v12, v30
	;; [unrolled: 1-line block ×3, first 2 shown]
	v_mov_b32_e32 v9, v19
	v_lshrrev_b64 v[12:13], s56, v[12:13]
	s_and_b64 s[8:9], vcc, s[6:7]
	v_cmp_eq_u64_e64 s[6:7], 0, v[8:9]
	v_cmp_eq_u64_e64 s[16:17], v[14:15], v[26:27]
	v_and_b32_e32 v15, v11, v31
	v_and_b32_e32 v14, v10, v30
	;; [unrolled: 1-line block ×3, first 2 shown]
	v_mov_b32_e32 v13, v19
	v_lshrrev_b64 v[10:11], s56, v[10:11]
	s_and_b64 s[10:11], s[14:15], s[6:7]
	v_cmp_eq_u64_e64 s[6:7], 0, v[12:13]
	v_and_b32_e32 v10, 3, v10
	v_mov_b32_e32 v11, v19
	v_cmp_eq_u64_e64 s[18:19], v[14:15], v[26:27]
	s_and_b64 s[12:13], s[16:17], s[6:7]
	v_cmp_eq_u64_e64 s[6:7], 0, v[10:11]
	v_cndmask_b32_e64 v14, 0, 1, s[8:9]
	s_and_b64 s[36:37], s[18:19], s[6:7]
	v_cmp_ne_u32_e64 s[6:7], 0, v14
	v_cndmask_b32_e64 v14, 0, 1, s[10:11]
	s_bcnt1_i32_b64 s8, s[6:7]
	v_cmp_ne_u32_e64 s[6:7], 0, v14
	v_cndmask_b32_e64 v14, 0, 1, s[12:13]
	s_bcnt1_i32_b64 s9, s[6:7]
	;; [unrolled: 3-line block ×3, first 2 shown]
	v_cmp_ne_u32_e64 s[6:7], 0, v14
	s_bcnt1_i32_b64 s6, s[6:7]
	s_add_u32 s7, s8, s60
	s_addc_u32 s8, 0, s61
	s_add_u32 s7, s7, s9
	s_addc_u32 s8, s8, 0
	;; [unrolled: 2-line block ×3, first 2 shown]
	s_add_u32 s60, s7, s6
	v_cmp_eq_u64_e64 s[6:7], 1, v[18:19]
	s_addc_u32 s61, s8, 0
	s_and_b64 s[8:9], vcc, s[6:7]
	v_cmp_eq_u64_e64 s[6:7], 1, v[8:9]
	v_cndmask_b32_e64 v14, 0, 1, s[8:9]
	s_and_b64 s[10:11], s[14:15], s[6:7]
	v_cmp_eq_u64_e64 s[6:7], 1, v[12:13]
	s_and_b64 s[12:13], s[16:17], s[6:7]
	v_cmp_eq_u64_e64 s[6:7], 1, v[10:11]
	s_and_b64 s[36:37], s[18:19], s[6:7]
	v_cmp_ne_u32_e64 s[6:7], 0, v14
	v_cndmask_b32_e64 v14, 0, 1, s[10:11]
	s_bcnt1_i32_b64 s8, s[6:7]
	v_cmp_ne_u32_e64 s[6:7], 0, v14
	v_cndmask_b32_e64 v14, 0, 1, s[12:13]
	s_bcnt1_i32_b64 s9, s[6:7]
	;; [unrolled: 3-line block ×3, first 2 shown]
	v_cmp_ne_u32_e64 s[6:7], 0, v14
	s_bcnt1_i32_b64 s6, s[6:7]
	s_add_u32 s7, s8, s44
	s_addc_u32 s8, 0, s45
	s_add_u32 s7, s7, s9
	s_addc_u32 s8, s8, 0
	;; [unrolled: 2-line block ×3, first 2 shown]
	s_add_u32 s44, s7, s6
	v_cmp_eq_u64_e64 s[6:7], 2, v[18:19]
	s_addc_u32 s45, s8, 0
	s_and_b64 s[8:9], vcc, s[6:7]
	v_cmp_eq_u64_e64 s[6:7], 2, v[8:9]
	v_cndmask_b32_e64 v14, 0, 1, s[8:9]
	s_and_b64 s[10:11], s[14:15], s[6:7]
	v_cmp_eq_u64_e64 s[6:7], 2, v[12:13]
	s_and_b64 s[12:13], s[16:17], s[6:7]
	v_cmp_eq_u64_e64 s[6:7], 2, v[10:11]
	s_and_b64 s[36:37], s[18:19], s[6:7]
	v_cmp_ne_u32_e64 s[6:7], 0, v14
	v_cndmask_b32_e64 v14, 0, 1, s[10:11]
	s_bcnt1_i32_b64 s8, s[6:7]
	v_cmp_ne_u32_e64 s[6:7], 0, v14
	v_cndmask_b32_e64 v14, 0, 1, s[12:13]
	s_bcnt1_i32_b64 s9, s[6:7]
	;; [unrolled: 3-line block ×3, first 2 shown]
	v_cmp_ne_u32_e64 s[6:7], 0, v14
	s_bcnt1_i32_b64 s6, s[6:7]
	s_add_u32 s7, s8, s42
	s_addc_u32 s8, 0, s43
	s_add_u32 s7, s7, s9
	s_addc_u32 s8, s8, 0
	;; [unrolled: 2-line block ×3, first 2 shown]
	s_add_u32 s42, s7, s6
	v_cmp_eq_u64_e64 s[6:7], 3, v[18:19]
	s_addc_u32 s43, s8, 0
	s_and_b64 s[6:7], vcc, s[6:7]
	v_cmp_eq_u64_e32 vcc, 3, v[8:9]
	v_cndmask_b32_e64 v8, 0, 1, s[6:7]
	s_and_b64 s[8:9], s[14:15], vcc
	v_cmp_eq_u64_e32 vcc, 3, v[12:13]
	v_mov_b32_e32 v12, s42
	s_and_b64 s[10:11], s[16:17], vcc
	v_cmp_eq_u64_e32 vcc, 3, v[10:11]
	v_mov_b32_e32 v10, s44
	s_and_b64 s[12:13], s[18:19], vcc
	v_cmp_ne_u32_e32 vcc, 0, v8
	v_cndmask_b32_e64 v8, 0, 1, s[8:9]
	s_bcnt1_i32_b64 s6, vcc
	v_cmp_ne_u32_e32 vcc, 0, v8
	v_cndmask_b32_e64 v8, 0, 1, s[10:11]
	s_bcnt1_i32_b64 s7, vcc
	;; [unrolled: 3-line block ×3, first 2 shown]
	v_cmp_ne_u32_e32 vcc, 0, v8
	s_bcnt1_i32_b64 s9, vcc
	s_add_u32 s6, s6, s40
	s_addc_u32 s10, 0, s41
	s_add_u32 s6, s6, s7
	s_addc_u32 s7, s10, 0
	s_add_u32 s6, s6, s8
	v_add_co_u32_e32 v4, vcc, s5, v4
	s_addc_u32 s7, s7, 0
	v_addc_co_u32_e32 v5, vcc, 0, v5, vcc
	s_add_u32 s40, s6, s9
	v_cmp_le_u64_e32 vcc, s[20:21], v[4:5]
	s_addc_u32 s41, s7, 0
	v_mov_b32_e32 v8, s60
	v_mov_b32_e32 v14, s40
	s_or_b64 s[34:35], vcc, s[34:35]
	v_mov_b32_e32 v9, s61
	v_mov_b32_e32 v11, s45
	;; [unrolled: 1-line block ×4, first 2 shown]
	s_andn2_b64 exec, exec, s[34:35]
	s_cbranch_execnz .LBB180_59
; %bb.60:                               ;   in Loop: Header=BB180_6 Depth=1
	s_or_b64 exec, exec, s[34:35]
.LBB180_61:                             ;   in Loop: Header=BB180_6 Depth=1
	s_or_b64 exec, exec, s[30:31]
	v_mov_b32_e32 v5, s21
	v_add_co_u32_e32 v4, vcc, s20, v0
	s_and_b32 s50, s38, 0x7fffffff
	v_addc_co_u32_e32 v5, vcc, 0, v5, vcc
	v_cmp_gt_u64_e32 vcc, s[50:51], v[4:5]
	s_and_saveexec_b64 s[8:9], vcc
	s_cbranch_execz .LBB180_65
; %bb.62:                               ;   in Loop: Header=BB180_6 Depth=1
	v_lshl_add_u32 v34, s2, 5, v44
	s_lshl_b32 s4, s4, 3
	s_mov_b64 s[2:3], 0
.LBB180_63:                             ;   Parent Loop BB180_6 Depth=1
                                        ; =>  This Inner Loop Header: Depth=2
	ds_read_b64 v[35:36], v34
	v_add_u32_e32 v34, s4, v34
	s_waitcnt lgkmcnt(0)
	v_cmp_o_f64_e32 vcc, v[35:36], v[35:36]
	v_ashrrev_i32_e32 v18, 31, v36
	v_or_b32_e32 v37, 0x80000000, v18
	v_xor_b32_e32 v36, v37, v36
	v_xor_b32_e32 v18, v18, v35
	v_cndmask_b32_e32 v36, -1, v36, vcc
	v_cndmask_b32_e32 v35, -1, v18, vcc
	v_and_b32_e32 v38, v36, v31
	v_and_b32_e32 v37, v35, v30
	v_lshrrev_b64 v[35:36], s56, v[35:36]
	v_cmp_eq_u64_e32 vcc, v[37:38], v[26:27]
	v_and_b32_e32 v18, 3, v35
	v_cmp_eq_u64_e64 s[6:7], 0, v[18:19]
	s_and_b64 s[6:7], vcc, s[6:7]
	v_cndmask_b32_e64 v35, 0, 1, s[6:7]
	v_cmp_ne_u32_e64 s[6:7], 0, v35
	s_bcnt1_i32_b64 s5, s[6:7]
	v_add_co_u32_e64 v8, s[6:7], s5, v8
	v_addc_co_u32_e64 v9, s[6:7], 0, v9, s[6:7]
	v_cmp_eq_u64_e64 s[6:7], 1, v[18:19]
	s_and_b64 s[6:7], vcc, s[6:7]
	v_cndmask_b32_e64 v35, 0, 1, s[6:7]
	v_cmp_ne_u32_e64 s[6:7], 0, v35
	s_bcnt1_i32_b64 s5, s[6:7]
	v_add_co_u32_e64 v10, s[6:7], s5, v10
	v_addc_co_u32_e64 v11, s[6:7], 0, v11, s[6:7]
	v_cmp_eq_u64_e64 s[6:7], 2, v[18:19]
	s_and_b64 s[6:7], vcc, s[6:7]
	v_cndmask_b32_e64 v35, 0, 1, s[6:7]
	v_cmp_ne_u32_e64 s[6:7], 0, v35
	s_bcnt1_i32_b64 s5, s[6:7]
	v_add_co_u32_e64 v12, s[6:7], s5, v12
	v_addc_co_u32_e64 v13, s[6:7], 0, v13, s[6:7]
	v_cmp_eq_u64_e64 s[6:7], 3, v[18:19]
	s_and_b64 s[6:7], vcc, s[6:7]
	v_cndmask_b32_e64 v18, 0, 1, s[6:7]
	v_cmp_ne_u32_e32 vcc, 0, v18
	s_bcnt1_i32_b64 s5, vcc
	v_add_co_u32_e32 v14, vcc, s5, v14
	v_addc_co_u32_e32 v15, vcc, 0, v15, vcc
	v_add_co_u32_sdwa v4, vcc, v4, v2 dst_sel:DWORD dst_unused:UNUSED_PAD src0_sel:DWORD src1_sel:WORD_0
	v_addc_co_u32_e32 v5, vcc, 0, v5, vcc
	v_cmp_le_u64_e32 vcc, s[50:51], v[4:5]
	s_or_b64 s[2:3], vcc, s[2:3]
	s_andn2_b64 exec, exec, s[2:3]
	s_cbranch_execnz .LBB180_63
; %bb.64:                               ;   in Loop: Header=BB180_6 Depth=1
	s_or_b64 exec, exec, s[2:3]
.LBB180_65:                             ;   in Loop: Header=BB180_6 Depth=1
	s_or_b64 exec, exec, s[8:9]
	s_lshl_b32 s4, s57, 6
	s_and_saveexec_b64 s[2:3], s[0:1]
	s_cbranch_execnz .LBB180_36
	s_branch .LBB180_37
.LBB180_66:                             ;   in Loop: Header=BB180_6 Depth=1
                                        ; implicit-def: $sgpr2_sgpr3
	s_branch .LBB180_45
.LBB180_67:                             ;   in Loop: Header=BB180_6 Depth=1
	v_mov_b32_e32 v4, 0
	v_mov_b32_e32 v5, 0
	s_mov_b32 s5, 0
.LBB180_68:                             ;   in Loop: Header=BB180_6 Depth=1
	v_readlane_b32 s6, v56, 38
	v_readlane_b32 s7, v56, 39
	s_andn2_b64 vcc, exec, s[6:7]
	s_cbranch_vccnz .LBB180_71
; %bb.69:                               ;   in Loop: Header=BB180_6 Depth=1
	s_lshl_b32 s6, s57, 9
	s_lshl_b32 s5, s5, 5
	s_add_i32 s6, s6, s5
	v_add_u32_e32 v2, s6, v50
	v_readlane_b32 s5, v56, 37
.LBB180_70:                             ;   Parent Loop BB180_6 Depth=1
                                        ; =>  This Inner Loop Header: Depth=2
	ds_read_b64 v[8:9], v2
	s_add_i32 s5, s5, -1
	v_add_u32_e32 v2, 32, v2
	s_cmp_lg_u32 s5, 0
	s_waitcnt lgkmcnt(0)
	v_add_co_u32_e32 v4, vcc, v8, v4
	v_addc_co_u32_e32 v5, vcc, v9, v5, vcc
	s_cbranch_scc1 .LBB180_70
.LBB180_71:                             ;   in Loop: Header=BB180_6 Depth=1
	v_add_lshl_u32 v2, s4, v43, 3
	ds_write_b64 v2, v[4:5] offset:3072
.LBB180_72:                             ;   in Loop: Header=BB180_6 Depth=1
	s_or_b64 exec, exec, s[2:3]
	s_lshl_b32 s2, s4, 3
	v_mov_b32_e32 v2, s2
	s_waitcnt lgkmcnt(0)
	s_barrier
	ds_read_b128 v[8:11], v2 offset:3072
	ds_read_b128 v[12:15], v2 offset:3088
	s_lshl_b64 s[18:19], 3, s56
	v_cmp_eq_u64_e64 s[14:15], 1, v[32:33]
	s_not_b64 s[90:91], s[18:19]
	s_waitcnt lgkmcnt(1)
	v_readfirstlane_b32 s17, v9
	v_readfirstlane_b32 s16, v8
	;; [unrolled: 1-line block ×4, first 2 shown]
	s_waitcnt lgkmcnt(0)
	v_readfirstlane_b32 s39, v13
	v_readfirstlane_b32 s38, v12
	;; [unrolled: 1-line block ×4, first 2 shown]
	s_mov_b64 s[34:35], -1
	s_mov_b64 s[92:93], 0
	s_andn2_b64 vcc, exec, s[52:53]
	s_mov_b64 s[44:45], 0
	s_mov_b64 s[42:43], 0
                                        ; implicit-def: $sgpr2_sgpr3
                                        ; implicit-def: $sgpr30_sgpr31
                                        ; implicit-def: $vgpr34_vgpr35
                                        ; implicit-def: $vgpr52
                                        ; implicit-def: $vgpr12_vgpr13
                                        ; implicit-def: $vgpr14_vgpr15
                                        ; implicit-def: $vgpr10_vgpr11
	s_cbranch_vccnz .LBB180_277
; %bb.73:                               ;   in Loop: Header=BB180_6 Depth=1
	s_cmp_eq_u64 s[16:17], 1
	s_cselect_b64 s[2:3], -1, 0
	v_mov_b32_e32 v12, v26
	v_mov_b32_e32 v14, v30
	;; [unrolled: 1-line block ×3, first 2 shown]
	s_and_b64 s[6:7], s[2:3], s[14:15]
	s_mov_b64 s[4:5], -1
	v_mov_b32_e32 v13, v27
	v_mov_b32_e32 v15, v31
	;; [unrolled: 1-line block ×3, first 2 shown]
                                        ; implicit-def: $sgpr30_sgpr31
                                        ; implicit-def: $sgpr2_sgpr3
	s_and_saveexec_b64 s[8:9], s[6:7]
	s_cbranch_execz .LBB180_110
; %bb.74:                               ;   in Loop: Header=BB180_6 Depth=1
	ds_read_b64 v[4:5], v19 offset:5120
	s_waitcnt lgkmcnt(0)
	s_barrier
	v_readfirstlane_b32 s12, v4
	v_readfirstlane_b32 s13, v5
	s_mov_b64 s[2:3], exec
	v_readlane_b32 s4, v56, 24
	v_readlane_b32 s5, v56, 25
	s_and_b64 s[4:5], s[2:3], s[4:5]
	s_mov_b64 exec, s[4:5]
; %bb.75:                               ;   in Loop: Header=BB180_6 Depth=1
	v_mov_b32_e32 v18, v19
	ds_write_b64 v45, v[18:19]
; %bb.76:                               ;   in Loop: Header=BB180_6 Depth=1
	s_or_b64 exec, exec, s[2:3]
	v_and_b32_e32 v13, s91, v27
	v_and_b32_e32 v12, s90, v26
	v_or_b32_e32 v15, s19, v31
	v_or_b32_e32 v14, s18, v30
	s_mov_b64 s[2:3], -1
	s_mov_b64 s[30:31], 0
	s_cmp_eq_u64 s[12:13], 0
	s_mov_b64 s[10:11], 0
	s_mov_b64 s[4:5], -1
	s_waitcnt lgkmcnt(0)
	s_barrier
                                        ; implicit-def: $vgpr10_vgpr11
	s_cbranch_scc1 .LBB180_94
; %bb.77:                               ;   in Loop: Header=BB180_6 Depth=1
	v_readlane_b32 s4, v56, 28
	s_add_u32 s34, s12, s4
	v_readlane_b32 s4, v56, 30
	s_addc_u32 s11, s13, s4
	s_mov_b32 s10, s51
	s_cmp_lg_u64 s[10:11], 0
	s_cbranch_scc0 .LBB180_137
; %bb.78:                               ;   in Loop: Header=BB180_6 Depth=1
	v_cvt_f32_u32_e32 v2, s33
	s_sub_u32 s10, 0, s33
	s_subb_u32 s20, 0, 0
	v_mac_f32_e32 v2, 0, v51
	v_rcp_f32_e32 v2, v2
	v_mul_f32_e32 v2, 0x5f7ffffc, v2
	v_mul_f32_e32 v4, 0x2f800000, v2
	v_trunc_f32_e32 v4, v4
	v_mac_f32_e32 v2, 0xcf800000, v4
	v_cvt_u32_f32_e32 v4, v4
	v_cvt_u32_f32_e32 v2, v2
	v_readfirstlane_b32 s21, v4
	v_readfirstlane_b32 s4, v2
	s_mul_i32 s5, s10, s21
	s_mul_hi_u32 s36, s10, s4
	s_mul_i32 s35, s20, s4
	s_add_i32 s5, s36, s5
	s_mul_i32 s37, s10, s4
	s_add_i32 s5, s5, s35
	s_mul_hi_u32 s36, s4, s37
	s_mul_i32 s42, s4, s5
	s_mul_hi_u32 s35, s4, s5
	s_add_u32 s36, s36, s42
	s_addc_u32 s35, 0, s35
	s_mul_hi_u32 s43, s21, s37
	s_mul_i32 s37, s21, s37
	s_add_u32 s36, s36, s37
	s_mul_hi_u32 s42, s21, s5
	s_addc_u32 s35, s35, s43
	s_addc_u32 s36, s42, 0
	s_mul_i32 s5, s21, s5
	s_add_u32 s5, s35, s5
	s_addc_u32 s35, 0, s36
	s_add_u32 s36, s4, s5
	s_cselect_b64 s[4:5], -1, 0
	s_cmp_lg_u64 s[4:5], 0
	s_addc_u32 s21, s21, s35
	s_mul_i32 s4, s10, s21
	s_mul_hi_u32 s5, s10, s36
	s_add_i32 s4, s5, s4
	s_mul_i32 s20, s20, s36
	s_add_i32 s4, s4, s20
	s_mul_i32 s10, s10, s36
	s_mul_hi_u32 s20, s21, s10
	s_mul_i32 s35, s21, s10
	s_mul_i32 s42, s36, s4
	s_mul_hi_u32 s10, s36, s10
	s_mul_hi_u32 s37, s36, s4
	s_add_u32 s10, s10, s42
	s_addc_u32 s37, 0, s37
	s_add_u32 s10, s10, s35
	s_mul_hi_u32 s5, s21, s4
	s_addc_u32 s10, s37, s20
	s_addc_u32 s5, s5, 0
	s_mul_i32 s4, s21, s4
	s_add_u32 s4, s10, s4
	s_addc_u32 s10, 0, s5
	s_add_u32 s20, s36, s4
	s_cselect_b64 s[4:5], -1, 0
	s_cmp_lg_u64 s[4:5], 0
	s_addc_u32 s4, s21, s10
	s_mul_i32 s10, s34, s4
	s_mul_hi_u32 s21, s34, s20
	s_mul_hi_u32 s5, s34, s4
	s_add_u32 s10, s21, s10
	s_addc_u32 s5, 0, s5
	s_mul_hi_u32 s35, s11, s20
	s_mul_i32 s20, s11, s20
	s_add_u32 s10, s10, s20
	s_mul_hi_u32 s21, s11, s4
	s_addc_u32 s5, s5, s35
	s_addc_u32 s10, s21, 0
	s_mul_i32 s4, s11, s4
	s_add_u32 s4, s5, s4
	s_addc_u32 s5, 0, s10
	s_mul_i32 s5, s33, s5
	s_mul_hi_u32 s10, s33, s4
	s_add_i32 s10, s10, s5
	s_mul_i32 s4, s33, s4
	s_sub_u32 s20, s34, s4
	s_cselect_b64 s[4:5], -1, 0
	s_cmp_lg_u64 s[4:5], 0
	s_subb_u32 s10, s11, s10
	s_sub_u32 s21, s20, s33
	s_cselect_b64 s[4:5], -1, 0
	s_cmp_lg_u64 s[4:5], 0
	s_subb_u32 s35, s10, 0
	;; [unrolled: 4-line block ×3, first 2 shown]
	s_cmp_ge_u32 s21, s33
	s_cselect_b32 s5, -1, 0
	s_cmp_eq_u32 s35, 0
	s_cselect_b32 s5, s5, -1
	s_cmp_lg_u32 s5, 0
	s_cselect_b32 s4, s4, s35
	s_cselect_b32 s21, s36, s21
	s_cmp_ge_u32 s20, s33
	s_cselect_b32 s5, -1, 0
	s_cmp_eq_u32 s10, 0
	s_cselect_b32 s5, s5, -1
	s_cmp_lg_u32 s5, 0
	s_cselect_b32 s5, s4, s10
	s_cselect_b32 s4, s21, s20
	s_cbranch_execnz .LBB180_80
.LBB180_79:                             ;   in Loop: Header=BB180_6 Depth=1
	v_cvt_f32_u32_e32 v2, s33
	s_sub_i32 s4, 0, s33
	v_rcp_iflag_f32_e32 v2, v2
	v_mul_f32_e32 v2, 0x4f7ffffe, v2
	v_cvt_u32_f32_e32 v2, v2
	v_readfirstlane_b32 s5, v2
	s_mul_i32 s4, s4, s5
	s_mul_hi_u32 s4, s5, s4
	s_add_i32 s5, s5, s4
	s_mul_hi_u32 s4, s34, s5
	s_mul_i32 s4, s4, s33
	s_sub_i32 s4, s34, s4
	s_sub_i32 s5, s4, s33
	s_cmp_ge_u32 s4, s33
	s_cselect_b32 s4, s5, s4
	s_sub_i32 s5, s4, s33
	s_cmp_ge_u32 s4, s33
	s_cselect_b32 s50, s5, s4
	s_mov_b64 s[4:5], s[50:51]
.LBB180_80:                             ;   in Loop: Header=BB180_6 Depth=1
	s_sub_u32 s34, s34, s4
	s_subb_u32 s35, s11, s5
	v_cmp_gt_u64_e32 vcc, s[34:35], v[0:1]
	s_mov_b64 s[4:5], 0
	s_mov_b64 s[10:11], 0
                                        ; implicit-def: $vgpr10_vgpr11
	s_and_saveexec_b64 s[20:21], vcc
	s_cbranch_execz .LBB180_93
; %bb.81:                               ;   in Loop: Header=BB180_6 Depth=1
	v_mov_b32_e32 v35, v1
	v_mov_b32_e32 v18, v44
	;; [unrolled: 1-line block ×3, first 2 shown]
                                        ; implicit-def: $sgpr36_sgpr37
	s_branch .LBB180_85
.LBB180_82:                             ;   in Loop: Header=BB180_85 Depth=2
	s_or_b64 exec, exec, s[42:43]
	s_waitcnt lgkmcnt(0)
	s_barrier
	ds_read_b128 v[8:11], v19 offset:3072
	s_waitcnt lgkmcnt(0)
	s_barrier
	v_cmp_neq_f64_e32 vcc, 0, v[8:9]
	s_cbranch_vccnz .LBB180_88
; %bb.83:                               ;   in Loop: Header=BB180_85 Depth=2
	v_add_co_u32_e32 v34, vcc, s33, v34
	v_addc_co_u32_e32 v35, vcc, 0, v35, vcc
	v_cmp_le_u64_e32 vcc, s[34:35], v[34:35]
	v_add_u32_e32 v18, s58, v18
	s_mov_b64 s[42:43], 0
	s_orn2_b64 s[44:45], vcc, exec
.LBB180_84:                             ;   in Loop: Header=BB180_85 Depth=2
	s_and_b64 s[44:45], exec, s[44:45]
	s_or_b64 s[10:11], s[44:45], s[10:11]
	s_andn2_b64 s[36:37], s[36:37], exec
	s_and_b64 s[42:43], s[42:43], exec
	s_or_b64 s[36:37], s[36:37], s[42:43]
	s_andn2_b64 exec, exec, s[10:11]
	s_cbranch_execz .LBB180_92
.LBB180_85:                             ;   Parent Loop BB180_6 Depth=1
                                        ; =>  This Inner Loop Header: Depth=2
	v_cmp_gt_u64_e32 vcc, s[12:13], v[34:35]
	s_and_saveexec_b64 s[42:43], vcc
	s_cbranch_execz .LBB180_82
; %bb.86:                               ;   in Loop: Header=BB180_85 Depth=2
	ds_read_b64 v[4:5], v18
	s_waitcnt lgkmcnt(0)
	v_cmp_o_f64_e32 vcc, v[4:5], v[4:5]
	v_ashrrev_i32_e32 v2, 31, v5
	v_or_b32_e32 v8, 0x80000000, v2
	v_xor_b32_e32 v8, v8, v5
	v_xor_b32_e32 v2, v2, v4
	v_cndmask_b32_e32 v8, -1, v8, vcc
	v_cndmask_b32_e32 v2, -1, v2, vcc
	v_and_b32_e32 v9, v8, v15
	v_and_b32_e32 v8, v2, v14
	v_cmp_eq_u64_e32 vcc, v[8:9], v[12:13]
	s_and_b64 exec, exec, vcc
	s_cbranch_execz .LBB180_82
; %bb.87:                               ;   in Loop: Header=BB180_85 Depth=2
	v_mov_b32_e32 v2, v19
	ds_write_b128 v19, v[2:5] offset:3072
	s_branch .LBB180_82
.LBB180_88:                             ;   in Loop: Header=BB180_85 Depth=2
	s_mov_b64 s[44:45], -1
                                        ; implicit-def: $vgpr34_vgpr35
                                        ; implicit-def: $vgpr18
	s_mov_b64 s[42:43], -1
	s_branch .LBB180_84
.LBB180_89:                             ;   in Loop: Header=BB180_6 Depth=1
	s_or_b64 exec, exec, s[8:9]
	s_waitcnt lgkmcnt(0)
	s_barrier
	s_mov_b64 s[4:5], exec
	v_readlane_b32 s6, v56, 8
	v_readlane_b32 s7, v56, 9
	s_and_b64 s[6:7], s[4:5], s[6:7]
	s_mov_b64 exec, s[6:7]
	s_cbranch_execz .LBB180_91
; %bb.90:                               ;   in Loop: Header=BB180_6 Depth=1
	ds_read_b32 v4, v19 offset:5144
	s_waitcnt lgkmcnt(0)
	v_ashrrev_i32_e32 v5, 31, v4
	ds_write_b64 v19, v[4:5] offset:5120
.LBB180_91:                             ;   in Loop: Header=BB180_6 Depth=1
	s_or_b64 exec, exec, s[4:5]
	s_waitcnt lgkmcnt(0)
	s_barrier
	s_mov_b64 s[4:5], -1
	s_and_b64 vcc, exec, s[2:3]
	s_cbranch_vccnz .LBB180_22
	s_branch .LBB180_31
.LBB180_92:                             ;   in Loop: Header=BB180_6 Depth=1
	s_or_b64 exec, exec, s[10:11]
	s_and_b64 s[10:11], s[36:37], exec
.LBB180_93:                             ;   in Loop: Header=BB180_6 Depth=1
	s_or_b64 exec, exec, s[20:21]
.LBB180_94:                             ;   in Loop: Header=BB180_6 Depth=1
	s_and_b64 vcc, exec, s[4:5]
	s_cbranch_vccz .LBB180_109
; %bb.95:                               ;   in Loop: Header=BB180_6 Depth=1
	v_readlane_b32 s34, v56, 31
	v_readlane_b32 s35, v56, 32
	s_mov_b32 s34, s51
	s_cmp_lg_u64 s[34:35], 0
	v_writelane_b32 v56, s34, 31
	v_writelane_b32 v56, s35, 32
	s_cbranch_scc0 .LBB180_138
; %bb.96:                               ;   in Loop: Header=BB180_6 Depth=1
	v_cvt_f32_u32_e32 v2, s33
	s_sub_u32 s4, 0, s33
	s_subb_u32 s5, 0, 0
	v_mac_f32_e32 v2, 0, v51
	v_rcp_f32_e32 v2, v2
	v_mul_f32_e32 v2, 0x5f7ffffc, v2
	v_mul_f32_e32 v4, 0x2f800000, v2
	v_trunc_f32_e32 v4, v4
	v_mac_f32_e32 v2, 0xcf800000, v4
	v_cvt_u32_f32_e32 v4, v4
	v_cvt_u32_f32_e32 v2, v2
	v_readfirstlane_b32 s12, v4
	v_readfirstlane_b32 s2, v2
	s_mul_i32 s3, s4, s12
	s_mul_hi_u32 s20, s4, s2
	s_mul_i32 s13, s5, s2
	s_add_i32 s3, s20, s3
	s_mul_i32 s21, s4, s2
	s_add_i32 s3, s3, s13
	s_mul_hi_u32 s20, s2, s21
	s_mul_i32 s30, s2, s3
	s_mul_hi_u32 s13, s2, s3
	s_add_u32 s20, s20, s30
	s_addc_u32 s13, 0, s13
	s_mul_hi_u32 s31, s12, s21
	s_mul_i32 s21, s12, s21
	s_add_u32 s20, s20, s21
	s_mul_hi_u32 s30, s12, s3
	s_addc_u32 s13, s13, s31
	s_addc_u32 s20, s30, 0
	s_mul_i32 s3, s12, s3
	s_add_u32 s3, s13, s3
	s_addc_u32 s13, 0, s20
	s_add_u32 s20, s2, s3
	s_cselect_b64 s[2:3], -1, 0
	s_cmp_lg_u64 s[2:3], 0
	s_addc_u32 s12, s12, s13
	s_mul_i32 s2, s4, s12
	s_mul_hi_u32 s3, s4, s20
	s_add_i32 s2, s3, s2
	s_mul_i32 s5, s5, s20
	s_add_i32 s2, s2, s5
	s_mul_i32 s4, s4, s20
	s_mul_hi_u32 s5, s12, s4
	s_mul_i32 s13, s12, s4
	s_mul_i32 s30, s20, s2
	s_mul_hi_u32 s4, s20, s4
	s_mul_hi_u32 s21, s20, s2
	s_add_u32 s4, s4, s30
	s_addc_u32 s21, 0, s21
	s_add_u32 s4, s4, s13
	s_mul_hi_u32 s3, s12, s2
	s_addc_u32 s4, s21, s5
	s_addc_u32 s3, s3, 0
	s_mul_i32 s2, s12, s2
	s_add_u32 s2, s4, s2
	s_addc_u32 s4, 0, s3
	s_add_u32 s5, s20, s2
	s_cselect_b64 s[2:3], -1, 0
	s_cmp_lg_u64 s[2:3], 0
	s_addc_u32 s2, s12, s4
	v_readlane_b32 s20, v56, 29
	s_mul_i32 s4, s20, s2
	s_mul_hi_u32 s12, s20, s5
	s_mul_hi_u32 s3, s20, s2
	s_add_u32 s4, s12, s4
	s_addc_u32 s3, 0, s3
	s_mul_hi_u32 s13, s35, s5
	s_mul_i32 s5, s35, s5
	s_add_u32 s4, s4, s5
	s_mul_hi_u32 s12, s35, s2
	s_addc_u32 s3, s3, s13
	s_addc_u32 s4, s12, 0
	s_mul_i32 s2, s35, s2
	s_add_u32 s2, s3, s2
	s_addc_u32 s3, 0, s4
	s_mul_i32 s3, s33, s3
	s_mul_hi_u32 s4, s33, s2
	s_add_i32 s4, s4, s3
	s_mul_i32 s2, s33, s2
	s_sub_u32 s5, s20, s2
	s_cselect_b64 s[2:3], -1, 0
	s_cmp_lg_u64 s[2:3], 0
	s_subb_u32 s4, s35, s4
	s_sub_u32 s12, s5, s33
	s_cselect_b64 s[2:3], -1, 0
	s_cmp_lg_u64 s[2:3], 0
	s_subb_u32 s13, s4, 0
	;; [unrolled: 4-line block ×3, first 2 shown]
	s_cmp_ge_u32 s12, s33
	s_cselect_b32 s3, -1, 0
	s_cmp_eq_u32 s13, 0
	s_cselect_b32 s3, s3, -1
	s_cmp_lg_u32 s3, 0
	s_cselect_b32 s2, s2, s13
	s_cselect_b32 s12, s20, s12
	s_cmp_ge_u32 s5, s33
	s_cselect_b32 s3, -1, 0
	s_cmp_eq_u32 s4, 0
	s_cselect_b32 s3, s3, -1
	s_cmp_lg_u32 s3, 0
	s_cselect_b32 s3, s2, s4
	s_cselect_b32 s2, s12, s5
	s_cbranch_execnz .LBB180_98
.LBB180_97:                             ;   in Loop: Header=BB180_6 Depth=1
	v_cvt_f32_u32_e32 v2, s33
	s_sub_i32 s2, 0, s33
	v_readlane_b32 s4, v56, 29
	v_rcp_iflag_f32_e32 v2, v2
	v_mul_f32_e32 v2, 0x4f7ffffe, v2
	v_cvt_u32_f32_e32 v2, v2
	v_readfirstlane_b32 s3, v2
	s_mul_i32 s2, s2, s3
	s_mul_hi_u32 s2, s3, s2
	s_add_i32 s3, s3, s2
	s_mul_hi_u32 s2, s4, s3
	s_mul_i32 s2, s2, s33
	s_sub_i32 s2, s4, s2
	s_sub_i32 s3, s2, s33
	s_cmp_ge_u32 s2, s33
	s_cselect_b32 s2, s3, s2
	s_sub_i32 s3, s2, s33
	s_cmp_ge_u32 s2, s33
	s_cselect_b32 s50, s3, s2
	s_mov_b64 s[2:3], s[50:51]
.LBB180_98:                             ;   in Loop: Header=BB180_6 Depth=1
	v_readlane_b32 s4, v56, 29
	v_readlane_b32 s12, v56, 31
	s_sub_u32 s4, s4, s2
	v_readlane_b32 s13, v56, 32
	s_subb_u32 s5, s13, s3
	v_cmp_gt_u64_e32 vcc, s[4:5], v[0:1]
                                        ; implicit-def: $vgpr10_vgpr11
	s_and_saveexec_b64 s[2:3], vcc
	s_cbranch_execz .LBB180_108
; %bb.99:                               ;   in Loop: Header=BB180_6 Depth=1
	v_mov_b32_e32 v35, v17
	v_mov_b32_e32 v37, v1
	s_mov_b64 s[20:21], 0
	v_mov_b32_e32 v34, v16
	v_mov_b32_e32 v36, v0
                                        ; implicit-def: $sgpr12_sgpr13
	s_branch .LBB180_103
.LBB180_100:                            ;   in Loop: Header=BB180_103 Depth=2
	s_or_b64 exec, exec, s[30:31]
	s_waitcnt lgkmcnt(0)
	s_barrier
	ds_read_b128 v[8:11], v19 offset:3072
	s_waitcnt lgkmcnt(0)
	s_barrier
	v_cmp_neq_f64_e32 vcc, 0, v[8:9]
	s_cbranch_vccnz .LBB180_106
; %bb.101:                              ;   in Loop: Header=BB180_103 Depth=2
	v_add_co_u32_e32 v36, vcc, s33, v36
	v_addc_co_u32_e32 v37, vcc, 0, v37, vcc
	v_mov_b32_e32 v2, s29
	v_add_co_u32_e32 v34, vcc, s28, v34
	v_addc_co_u32_e32 v35, vcc, v35, v2, vcc
	v_cmp_le_u64_e32 vcc, s[4:5], v[36:37]
	s_mov_b64 s[30:31], 0
	s_orn2_b64 s[34:35], vcc, exec
.LBB180_102:                            ;   in Loop: Header=BB180_103 Depth=2
	s_and_b64 s[34:35], exec, s[34:35]
	s_or_b64 s[20:21], s[34:35], s[20:21]
	s_andn2_b64 s[12:13], s[12:13], exec
	s_and_b64 s[30:31], s[30:31], exec
	s_or_b64 s[12:13], s[12:13], s[30:31]
	s_andn2_b64 exec, exec, s[20:21]
	s_cbranch_execz .LBB180_107
.LBB180_103:                            ;   Parent Loop BB180_6 Depth=1
                                        ; =>  This Inner Loop Header: Depth=2
	v_cmp_gt_u64_e32 vcc, s[24:25], v[36:37]
	s_and_saveexec_b64 s[30:31], vcc
	s_cbranch_execz .LBB180_100
; %bb.104:                              ;   in Loop: Header=BB180_103 Depth=2
	global_load_dwordx2 v[4:5], v[34:35], off
	s_waitcnt vmcnt(0)
	v_cmp_o_f64_e32 vcc, v[4:5], v[4:5]
	v_ashrrev_i32_e32 v2, 31, v5
	v_or_b32_e32 v8, 0x80000000, v2
	v_xor_b32_e32 v8, v8, v5
	v_xor_b32_e32 v2, v2, v4
	v_cndmask_b32_e32 v8, -1, v8, vcc
	v_cndmask_b32_e32 v2, -1, v2, vcc
	v_and_b32_e32 v9, v8, v15
	v_and_b32_e32 v8, v2, v14
	v_cmp_eq_u64_e32 vcc, v[8:9], v[12:13]
	s_and_b64 exec, exec, vcc
	s_cbranch_execz .LBB180_100
; %bb.105:                              ;   in Loop: Header=BB180_103 Depth=2
	v_mov_b32_e32 v2, v19
	ds_write_b128 v19, v[2:5] offset:3072
	s_branch .LBB180_100
.LBB180_106:                            ;   in Loop: Header=BB180_103 Depth=2
	s_mov_b64 s[34:35], -1
                                        ; implicit-def: $vgpr36_vgpr37
                                        ; implicit-def: $vgpr34_vgpr35
	s_mov_b64 s[30:31], -1
	s_branch .LBB180_102
.LBB180_107:                            ;   in Loop: Header=BB180_6 Depth=1
	s_or_b64 exec, exec, s[20:21]
	s_andn2_b64 s[4:5], s[10:11], exec
	s_and_b64 s[10:11], s[12:13], exec
	s_or_b64 s[10:11], s[4:5], s[10:11]
.LBB180_108:                            ;   in Loop: Header=BB180_6 Depth=1
	s_or_b64 exec, exec, s[2:3]
	s_mov_b64 s[2:3], 0
	s_mov_b64 s[30:31], -1
.LBB180_109:                            ;   in Loop: Header=BB180_6 Depth=1
	s_orn2_b64 s[4:5], s[10:11], exec
.LBB180_110:                            ;   in Loop: Header=BB180_6 Depth=1
	s_or_b64 exec, exec, s[8:9]
	s_mov_b64 s[34:35], 0
	s_mov_b64 s[44:45], 0
	;; [unrolled: 1-line block ×3, first 2 shown]
                                        ; implicit-def: $vgpr34_vgpr35
                                        ; implicit-def: $vgpr52
	s_and_saveexec_b64 s[60:61], s[4:5]
	s_cbranch_execz .LBB180_276
; %bb.111:                              ;   in Loop: Header=BB180_6 Depth=1
	v_mov_b32_e32 v34, 1
	s_xor_b64 s[8:9], s[6:7], -1
	v_mov_b32_e32 v52, 1
	v_mov_b32_e32 v35, 0
	s_mov_b64 s[6:7], 0
	s_and_saveexec_b64 s[4:5], s[8:9]
	s_cbranch_execz .LBB180_120
; %bb.112:                              ;   in Loop: Header=BB180_6 Depth=1
	v_cmp_ge_u64_e32 vcc, s[16:17], v[32:33]
	s_and_saveexec_b64 s[6:7], vcc
	s_xor_b64 s[6:7], exec, s[6:7]
	s_cbranch_execz .LBB180_117
; %bb.113:                              ;   in Loop: Header=BB180_6 Depth=1
	ds_read_b64 v[4:5], v19 offset:5120
	v_and_b32_e32 v13, s91, v13
	v_and_b32_e32 v12, s90, v12
	v_or_b32_e32 v15, s19, v15
	v_or_b32_e32 v14, s18, v14
	s_waitcnt lgkmcnt(0)
	v_cmp_ne_u64_e32 vcc, 0, v[4:5]
	s_cbranch_vccnz .LBB180_117
; %bb.114:                              ;   in Loop: Header=BB180_6 Depth=1
	s_mov_b64 s[8:9], exec
	v_readlane_b32 s10, v56, 8
	v_readlane_b32 s11, v56, 9
	s_and_b64 s[10:11], s[8:9], s[10:11]
	s_mov_b64 exec, s[10:11]
; %bb.115:                              ;   in Loop: Header=BB180_6 Depth=1
	v_mov_b32_e32 v4, s16
	v_mov_b32_e32 v5, s17
	ds_write_b64 v19, v[4:5] offset:5128
; %bb.116:                              ;   in Loop: Header=BB180_6 Depth=1
	s_or_b64 exec, exec, s[8:9]
	s_waitcnt lgkmcnt(0)
	s_barrier
.LBB180_117:                            ;   in Loop: Header=BB180_6 Depth=1
	s_or_saveexec_b64 s[6:7], s[6:7]
	v_mov_b32_e32 v35, v33
	s_mov_b64 s[8:9], 0
	v_mov_b32_e32 v52, 8
	v_mov_b32_e32 v34, v32
	s_xor_b64 exec, exec, s[6:7]
; %bb.118:                              ;   in Loop: Header=BB180_6 Depth=1
	v_subrev_co_u32_e32 v34, vcc, s16, v32
	v_mov_b32_e32 v2, s17
	v_subb_co_u32_e32 v35, vcc, v33, v2, vcc
	v_mov_b32_e32 v52, 0
	s_mov_b64 s[8:9], exec
; %bb.119:                              ;   in Loop: Header=BB180_6 Depth=1
	s_or_b64 exec, exec, s[6:7]
	s_and_b64 s[6:7], s[8:9], exec
.LBB180_120:                            ;   in Loop: Header=BB180_6 Depth=1
	s_or_b64 exec, exec, s[4:5]
	s_mov_b64 s[4:5], -1
                                        ; implicit-def: $sgpr42_sgpr43
                                        ; implicit-def: $sgpr44_sgpr45
	s_and_saveexec_b64 s[8:9], s[6:7]
	s_xor_b64 s[6:7], exec, s[8:9]
	s_cbranch_execz .LBB180_273
; %bb.121:                              ;   in Loop: Header=BB180_6 Depth=1
	s_cmp_eq_u64 s[94:95], 1
	v_cmp_eq_u64_e32 vcc, 1, v[34:35]
	s_cselect_b64 s[4:5], -1, 0
	s_and_b64 s[8:9], s[4:5], vcc
	s_mov_b64 s[4:5], -1
                                        ; implicit-def: $sgpr44_sgpr45
                                        ; implicit-def: $sgpr42_sgpr43
	s_and_saveexec_b64 s[10:11], s[8:9]
	s_cbranch_execz .LBB180_157
; %bb.122:                              ;   in Loop: Header=BB180_6 Depth=1
	ds_read_b64 v[4:5], v19 offset:5120
	s_waitcnt lgkmcnt(0)
	s_barrier
	v_readfirstlane_b32 s36, v4
	v_readfirstlane_b32 s37, v5
	s_mov_b64 s[4:5], exec
	v_readlane_b32 s12, v56, 24
	v_readlane_b32 s13, v56, 25
	s_and_b64 s[12:13], s[4:5], s[12:13]
	s_mov_b64 exec, s[12:13]
; %bb.123:                              ;   in Loop: Header=BB180_6 Depth=1
	v_mov_b32_e32 v18, v19
	ds_write_b64 v45, v[18:19]
; %bb.124:                              ;   in Loop: Header=BB180_6 Depth=1
	s_or_b64 exec, exec, s[4:5]
	s_lshl_b64 s[4:5], 1, s56
	v_and_b32_e32 v2, s91, v13
	v_and_b32_e32 v4, s90, v12
	v_or_b32_e32 v13, s5, v2
	v_or_b32_e32 v12, s4, v4
	;; [unrolled: 1-line block ×4, first 2 shown]
	s_mov_b64 s[42:43], -1
	s_mov_b64 s[44:45], 0
	s_cmp_eq_u64 s[36:37], 0
	s_mov_b64 s[20:21], 0
	s_mov_b64 s[12:13], -1
	s_waitcnt lgkmcnt(0)
	s_barrier
                                        ; implicit-def: $vgpr10_vgpr11
	s_cbranch_scc1 .LBB180_141
; %bb.125:                              ;   in Loop: Header=BB180_6 Depth=1
	v_readlane_b32 s4, v56, 28
	s_add_u32 s48, s36, s4
	v_readlane_b32 s4, v56, 30
	s_addc_u32 s13, s37, s4
	s_mov_b32 s12, s51
	s_cmp_lg_u64 s[12:13], 0
	s_cbranch_scc0 .LBB180_184
; %bb.126:                              ;   in Loop: Header=BB180_6 Depth=1
	v_cvt_f32_u32_e32 v2, s33
	s_sub_u32 s12, 0, s33
	s_subb_u32 s20, 0, 0
	v_mac_f32_e32 v2, 0, v51
	v_rcp_f32_e32 v2, v2
	v_mul_f32_e32 v2, 0x5f7ffffc, v2
	v_mul_f32_e32 v4, 0x2f800000, v2
	v_trunc_f32_e32 v4, v4
	v_mac_f32_e32 v2, 0xcf800000, v4
	v_cvt_u32_f32_e32 v4, v4
	v_cvt_u32_f32_e32 v2, v2
	v_readfirstlane_b32 s21, v4
	v_readfirstlane_b32 s4, v2
	s_mul_i32 s5, s12, s21
	s_mul_hi_u32 s50, s12, s4
	s_mul_i32 s49, s20, s4
	s_add_i32 s5, s50, s5
	s_mul_i32 s52, s12, s4
	s_add_i32 s5, s5, s49
	s_mul_hi_u32 s50, s4, s52
	s_mul_i32 s53, s4, s5
	s_mul_hi_u32 s49, s4, s5
	s_add_u32 s50, s50, s53
	s_addc_u32 s49, 0, s49
	s_mul_hi_u32 s54, s21, s52
	s_mul_i32 s52, s21, s52
	s_add_u32 s50, s50, s52
	s_mul_hi_u32 s53, s21, s5
	s_addc_u32 s49, s49, s54
	s_addc_u32 s50, s53, 0
	s_mul_i32 s5, s21, s5
	s_add_u32 s5, s49, s5
	s_addc_u32 s49, 0, s50
	s_add_u32 s50, s4, s5
	s_cselect_b64 s[4:5], -1, 0
	s_cmp_lg_u64 s[4:5], 0
	s_addc_u32 s21, s21, s49
	s_mul_i32 s4, s12, s21
	s_mul_hi_u32 s5, s12, s50
	s_add_i32 s4, s5, s4
	s_mul_i32 s20, s20, s50
	s_add_i32 s4, s4, s20
	s_mul_i32 s12, s12, s50
	s_mul_hi_u32 s20, s21, s12
	s_mul_i32 s49, s21, s12
	s_mul_i32 s53, s50, s4
	s_mul_hi_u32 s12, s50, s12
	s_mul_hi_u32 s52, s50, s4
	s_add_u32 s12, s12, s53
	s_addc_u32 s52, 0, s52
	s_add_u32 s12, s12, s49
	s_mul_hi_u32 s5, s21, s4
	s_addc_u32 s12, s52, s20
	s_addc_u32 s5, s5, 0
	s_mul_i32 s4, s21, s4
	s_add_u32 s4, s12, s4
	s_addc_u32 s12, 0, s5
	s_add_u32 s20, s50, s4
	s_cselect_b64 s[4:5], -1, 0
	s_cmp_lg_u64 s[4:5], 0
	s_addc_u32 s4, s21, s12
	s_mul_i32 s12, s48, s4
	s_mul_hi_u32 s21, s48, s20
	s_mul_hi_u32 s5, s48, s4
	s_add_u32 s12, s21, s12
	s_addc_u32 s5, 0, s5
	s_mul_hi_u32 s49, s13, s20
	s_mul_i32 s20, s13, s20
	s_add_u32 s12, s12, s20
	s_mul_hi_u32 s21, s13, s4
	s_addc_u32 s5, s5, s49
	s_addc_u32 s12, s21, 0
	s_mul_i32 s4, s13, s4
	s_add_u32 s4, s5, s4
	s_addc_u32 s5, 0, s12
	s_mul_i32 s5, s33, s5
	s_mul_hi_u32 s12, s33, s4
	s_add_i32 s12, s12, s5
	s_mul_i32 s4, s33, s4
	s_sub_u32 s20, s48, s4
	s_cselect_b64 s[4:5], -1, 0
	s_cmp_lg_u64 s[4:5], 0
	s_subb_u32 s12, s13, s12
	s_sub_u32 s21, s20, s33
	s_cselect_b64 s[4:5], -1, 0
	s_cmp_lg_u64 s[4:5], 0
	s_subb_u32 s49, s12, 0
	;; [unrolled: 4-line block ×3, first 2 shown]
	s_cmp_ge_u32 s21, s33
	s_cselect_b32 s5, -1, 0
	s_cmp_eq_u32 s49, 0
	s_cselect_b32 s5, s5, -1
	s_cmp_lg_u32 s5, 0
	s_cselect_b32 s4, s4, s49
	s_cselect_b32 s21, s50, s21
	s_cmp_ge_u32 s20, s33
	s_cselect_b32 s5, -1, 0
	s_cmp_eq_u32 s12, 0
	s_cselect_b32 s5, s5, -1
	s_cmp_lg_u32 s5, 0
	s_cselect_b32 s5, s4, s12
	s_cselect_b32 s4, s21, s20
	s_cbranch_execnz .LBB180_128
.LBB180_127:                            ;   in Loop: Header=BB180_6 Depth=1
	v_cvt_f32_u32_e32 v2, s33
	s_sub_i32 s4, 0, s33
	v_rcp_iflag_f32_e32 v2, v2
	v_mul_f32_e32 v2, 0x4f7ffffe, v2
	v_cvt_u32_f32_e32 v2, v2
	v_readfirstlane_b32 s5, v2
	s_mul_i32 s4, s4, s5
	s_mul_hi_u32 s4, s5, s4
	s_add_i32 s5, s5, s4
	s_mul_hi_u32 s4, s48, s5
	s_mul_i32 s4, s4, s33
	s_sub_i32 s4, s48, s4
	s_sub_i32 s5, s4, s33
	s_cmp_ge_u32 s4, s33
	s_cselect_b32 s4, s5, s4
	s_sub_i32 s5, s4, s33
	s_cmp_ge_u32 s4, s33
	s_cselect_b32 s50, s5, s4
	s_mov_b64 s[4:5], s[50:51]
.LBB180_128:                            ;   in Loop: Header=BB180_6 Depth=1
	s_sub_u32 s54, s48, s4
	s_subb_u32 s55, s13, s5
	v_cmp_gt_u64_e32 vcc, s[54:55], v[0:1]
	s_mov_b64 s[12:13], 0
	s_mov_b64 s[20:21], 0
                                        ; implicit-def: $vgpr10_vgpr11
	s_and_saveexec_b64 s[4:5], vcc
	s_cbranch_execz .LBB180_140
; %bb.129:                              ;   in Loop: Header=BB180_6 Depth=1
	v_mov_b32_e32 v37, v1
	v_mov_b32_e32 v18, v44
	;; [unrolled: 1-line block ×3, first 2 shown]
                                        ; implicit-def: $sgpr62_sgpr63
	s_branch .LBB180_133
.LBB180_130:                            ;   in Loop: Header=BB180_133 Depth=2
	s_or_b64 exec, exec, s[48:49]
	s_waitcnt lgkmcnt(0)
	s_barrier
	ds_read_b128 v[8:11], v19 offset:3072
	s_waitcnt lgkmcnt(0)
	s_barrier
	v_cmp_neq_f64_e32 vcc, 0, v[8:9]
	s_cbranch_vccnz .LBB180_136
; %bb.131:                              ;   in Loop: Header=BB180_133 Depth=2
	v_add_co_u32_e32 v36, vcc, s33, v36
	v_addc_co_u32_e32 v37, vcc, 0, v37, vcc
	v_cmp_le_u64_e32 vcc, s[54:55], v[36:37]
	v_add_u32_e32 v18, s58, v18
	s_mov_b64 s[48:49], 0
	s_orn2_b64 s[52:53], vcc, exec
.LBB180_132:                            ;   in Loop: Header=BB180_133 Depth=2
	s_and_b64 s[52:53], exec, s[52:53]
	s_or_b64 s[20:21], s[52:53], s[20:21]
	s_andn2_b64 s[52:53], s[62:63], exec
	s_and_b64 s[48:49], s[48:49], exec
	s_or_b64 s[62:63], s[52:53], s[48:49]
	s_andn2_b64 exec, exec, s[20:21]
	s_cbranch_execz .LBB180_139
.LBB180_133:                            ;   Parent Loop BB180_6 Depth=1
                                        ; =>  This Inner Loop Header: Depth=2
	v_cmp_gt_u64_e32 vcc, s[36:37], v[36:37]
	s_and_saveexec_b64 s[48:49], vcc
	s_cbranch_execz .LBB180_130
; %bb.134:                              ;   in Loop: Header=BB180_133 Depth=2
	ds_read_b64 v[4:5], v18
	s_waitcnt lgkmcnt(0)
	v_cmp_o_f64_e32 vcc, v[4:5], v[4:5]
	v_ashrrev_i32_e32 v2, 31, v5
	v_or_b32_e32 v8, 0x80000000, v2
	v_xor_b32_e32 v8, v8, v5
	v_xor_b32_e32 v2, v2, v4
	v_cndmask_b32_e32 v8, -1, v8, vcc
	v_cndmask_b32_e32 v2, -1, v2, vcc
	v_and_b32_e32 v9, v8, v15
	v_and_b32_e32 v8, v2, v14
	v_cmp_eq_u64_e32 vcc, v[8:9], v[12:13]
	s_and_b64 exec, exec, vcc
	s_cbranch_execz .LBB180_130
; %bb.135:                              ;   in Loop: Header=BB180_133 Depth=2
	v_mov_b32_e32 v2, v19
	ds_write_b128 v19, v[2:5] offset:3072
	s_branch .LBB180_130
.LBB180_136:                            ;   in Loop: Header=BB180_133 Depth=2
	s_mov_b64 s[52:53], -1
                                        ; implicit-def: $vgpr36_vgpr37
                                        ; implicit-def: $vgpr18
	s_mov_b64 s[48:49], -1
	s_branch .LBB180_132
.LBB180_137:                            ;   in Loop: Header=BB180_6 Depth=1
                                        ; implicit-def: $sgpr4_sgpr5
	s_branch .LBB180_79
.LBB180_138:                            ;   in Loop: Header=BB180_6 Depth=1
                                        ; implicit-def: $sgpr2_sgpr3
	s_branch .LBB180_97
.LBB180_139:                            ;   in Loop: Header=BB180_6 Depth=1
	s_or_b64 exec, exec, s[20:21]
	s_and_b64 s[20:21], s[62:63], exec
.LBB180_140:                            ;   in Loop: Header=BB180_6 Depth=1
	s_or_b64 exec, exec, s[4:5]
	v_readlane_b32 s52, v56, 42
	v_readlane_b32 s53, v56, 43
.LBB180_141:                            ;   in Loop: Header=BB180_6 Depth=1
	s_and_b64 vcc, exec, s[12:13]
	s_cbranch_vccz .LBB180_156
; %bb.142:                              ;   in Loop: Header=BB180_6 Depth=1
	v_readlane_b32 s48, v56, 31
	v_readlane_b32 s49, v56, 32
	s_mov_b32 s48, s51
	s_cmp_lg_u64 s[48:49], 0
	v_writelane_b32 v56, s48, 31
	v_writelane_b32 v56, s49, 32
	s_cbranch_scc0 .LBB180_185
; %bb.143:                              ;   in Loop: Header=BB180_6 Depth=1
	v_cvt_f32_u32_e32 v2, s33
	s_sub_u32 s12, 0, s33
	s_subb_u32 s13, 0, 0
	v_mac_f32_e32 v2, 0, v51
	v_rcp_f32_e32 v2, v2
	v_mul_f32_e32 v2, 0x5f7ffffc, v2
	v_mul_f32_e32 v4, 0x2f800000, v2
	v_trunc_f32_e32 v4, v4
	v_mac_f32_e32 v2, 0xcf800000, v4
	v_cvt_u32_f32_e32 v4, v4
	v_cvt_u32_f32_e32 v2, v2
	v_readfirstlane_b32 s36, v4
	v_readfirstlane_b32 s4, v2
	s_mul_i32 s5, s12, s36
	s_mul_hi_u32 s42, s12, s4
	s_mul_i32 s37, s13, s4
	s_add_i32 s5, s42, s5
	s_mul_i32 s43, s12, s4
	s_add_i32 s5, s5, s37
	s_mul_hi_u32 s42, s4, s43
	s_mul_i32 s44, s4, s5
	s_mul_hi_u32 s37, s4, s5
	s_add_u32 s42, s42, s44
	s_addc_u32 s37, 0, s37
	s_mul_hi_u32 s45, s36, s43
	s_mul_i32 s43, s36, s43
	s_add_u32 s42, s42, s43
	s_mul_hi_u32 s44, s36, s5
	s_addc_u32 s37, s37, s45
	s_addc_u32 s42, s44, 0
	s_mul_i32 s5, s36, s5
	s_add_u32 s5, s37, s5
	s_addc_u32 s37, 0, s42
	s_add_u32 s42, s4, s5
	s_cselect_b64 s[4:5], -1, 0
	s_cmp_lg_u64 s[4:5], 0
	s_addc_u32 s36, s36, s37
	s_mul_i32 s4, s12, s36
	s_mul_hi_u32 s5, s12, s42
	s_add_i32 s4, s5, s4
	s_mul_i32 s13, s13, s42
	s_add_i32 s4, s4, s13
	s_mul_i32 s12, s12, s42
	s_mul_hi_u32 s13, s36, s12
	s_mul_i32 s37, s36, s12
	s_mul_i32 s44, s42, s4
	s_mul_hi_u32 s12, s42, s12
	s_mul_hi_u32 s43, s42, s4
	s_add_u32 s12, s12, s44
	s_addc_u32 s43, 0, s43
	s_add_u32 s12, s12, s37
	s_mul_hi_u32 s5, s36, s4
	s_addc_u32 s12, s43, s13
	s_addc_u32 s5, s5, 0
	s_mul_i32 s4, s36, s4
	s_add_u32 s4, s12, s4
	s_addc_u32 s12, 0, s5
	s_add_u32 s13, s42, s4
	s_cselect_b64 s[4:5], -1, 0
	s_cmp_lg_u64 s[4:5], 0
	s_addc_u32 s4, s36, s12
	v_readlane_b32 s42, v56, 29
	s_mul_i32 s12, s42, s4
	s_mul_hi_u32 s36, s42, s13
	s_mul_hi_u32 s5, s42, s4
	s_add_u32 s12, s36, s12
	s_addc_u32 s5, 0, s5
	s_mul_hi_u32 s37, s49, s13
	s_mul_i32 s13, s49, s13
	s_add_u32 s12, s12, s13
	s_mul_hi_u32 s36, s49, s4
	s_addc_u32 s5, s5, s37
	s_addc_u32 s12, s36, 0
	s_mul_i32 s4, s49, s4
	s_add_u32 s4, s5, s4
	s_addc_u32 s5, 0, s12
	s_mul_i32 s5, s33, s5
	s_mul_hi_u32 s12, s33, s4
	s_add_i32 s12, s12, s5
	s_mul_i32 s4, s33, s4
	s_sub_u32 s13, s42, s4
	s_cselect_b64 s[4:5], -1, 0
	s_cmp_lg_u64 s[4:5], 0
	s_subb_u32 s12, s49, s12
	s_sub_u32 s36, s13, s33
	s_cselect_b64 s[4:5], -1, 0
	s_cmp_lg_u64 s[4:5], 0
	s_subb_u32 s37, s12, 0
	s_sub_u32 s42, s36, s33
	s_cselect_b64 s[4:5], -1, 0
	s_cmp_lg_u64 s[4:5], 0
	s_subb_u32 s4, s37, 0
	s_cmp_ge_u32 s36, s33
	s_cselect_b32 s5, -1, 0
	s_cmp_eq_u32 s37, 0
	s_cselect_b32 s5, s5, -1
	s_cmp_lg_u32 s5, 0
	s_cselect_b32 s4, s4, s37
	s_cselect_b32 s36, s42, s36
	s_cmp_ge_u32 s13, s33
	s_cselect_b32 s5, -1, 0
	s_cmp_eq_u32 s12, 0
	s_cselect_b32 s5, s5, -1
	s_cmp_lg_u32 s5, 0
	s_cselect_b32 s5, s4, s12
	s_cselect_b32 s4, s36, s13
	s_cbranch_execnz .LBB180_145
.LBB180_144:                            ;   in Loop: Header=BB180_6 Depth=1
	v_cvt_f32_u32_e32 v2, s33
	s_sub_i32 s4, 0, s33
	v_readlane_b32 s12, v56, 29
	v_rcp_iflag_f32_e32 v2, v2
	v_mul_f32_e32 v2, 0x4f7ffffe, v2
	v_cvt_u32_f32_e32 v2, v2
	v_readfirstlane_b32 s5, v2
	s_mul_i32 s4, s4, s5
	s_mul_hi_u32 s4, s5, s4
	s_add_i32 s5, s5, s4
	s_mul_hi_u32 s4, s12, s5
	s_mul_i32 s4, s4, s33
	s_sub_i32 s4, s12, s4
	s_sub_i32 s5, s4, s33
	s_cmp_ge_u32 s4, s33
	s_cselect_b32 s4, s5, s4
	s_sub_i32 s5, s4, s33
	s_cmp_ge_u32 s4, s33
	s_cselect_b32 s50, s5, s4
	s_mov_b64 s[4:5], s[50:51]
.LBB180_145:                            ;   in Loop: Header=BB180_6 Depth=1
	v_readlane_b32 s12, v56, 29
	v_readlane_b32 s36, v56, 31
	s_sub_u32 s12, s12, s4
	v_readlane_b32 s37, v56, 32
	s_subb_u32 s13, s37, s5
	v_cmp_gt_u64_e32 vcc, s[12:13], v[0:1]
                                        ; implicit-def: $vgpr10_vgpr11
	s_and_saveexec_b64 s[4:5], vcc
	s_cbranch_execz .LBB180_155
; %bb.146:                              ;   in Loop: Header=BB180_6 Depth=1
	v_mov_b32_e32 v37, v17
	v_mov_b32_e32 v39, v1
	s_mov_b64 s[36:37], 0
	v_mov_b32_e32 v36, v16
	v_mov_b32_e32 v38, v0
                                        ; implicit-def: $sgpr42_sgpr43
	s_branch .LBB180_150
.LBB180_147:                            ;   in Loop: Header=BB180_150 Depth=2
	s_or_b64 exec, exec, s[44:45]
	s_waitcnt lgkmcnt(0)
	s_barrier
	ds_read_b128 v[8:11], v19 offset:3072
	s_waitcnt lgkmcnt(0)
	s_barrier
	v_cmp_eq_f64_e32 vcc, 0, v[8:9]
	s_cbranch_vccz .LBB180_153
; %bb.148:                              ;   in Loop: Header=BB180_150 Depth=2
	v_add_co_u32_e32 v38, vcc, s33, v38
	v_addc_co_u32_e32 v39, vcc, 0, v39, vcc
	v_mov_b32_e32 v2, s29
	v_add_co_u32_e32 v36, vcc, s28, v36
	v_addc_co_u32_e32 v37, vcc, v37, v2, vcc
	v_cmp_le_u64_e32 vcc, s[12:13], v[38:39]
	s_mov_b64 s[44:45], 0
	s_orn2_b64 s[48:49], vcc, exec
.LBB180_149:                            ;   in Loop: Header=BB180_150 Depth=2
	s_and_b64 s[48:49], exec, s[48:49]
	s_or_b64 s[36:37], s[48:49], s[36:37]
	s_andn2_b64 s[42:43], s[42:43], exec
	s_and_b64 s[44:45], s[44:45], exec
	s_or_b64 s[42:43], s[42:43], s[44:45]
	s_andn2_b64 exec, exec, s[36:37]
	s_cbranch_execz .LBB180_154
.LBB180_150:                            ;   Parent Loop BB180_6 Depth=1
                                        ; =>  This Inner Loop Header: Depth=2
	v_cmp_gt_u64_e32 vcc, s[24:25], v[38:39]
	s_and_saveexec_b64 s[44:45], vcc
	s_cbranch_execz .LBB180_147
; %bb.151:                              ;   in Loop: Header=BB180_150 Depth=2
	global_load_dwordx2 v[4:5], v[36:37], off
	s_waitcnt vmcnt(0)
	v_cmp_o_f64_e32 vcc, v[4:5], v[4:5]
	v_ashrrev_i32_e32 v2, 31, v5
	v_or_b32_e32 v8, 0x80000000, v2
	v_xor_b32_e32 v8, v8, v5
	v_xor_b32_e32 v2, v2, v4
	v_cndmask_b32_e32 v8, -1, v8, vcc
	v_cndmask_b32_e32 v2, -1, v2, vcc
	v_and_b32_e32 v9, v8, v15
	v_and_b32_e32 v8, v2, v14
	v_cmp_eq_u64_e32 vcc, v[8:9], v[12:13]
	s_and_b64 exec, exec, vcc
	s_cbranch_execz .LBB180_147
; %bb.152:                              ;   in Loop: Header=BB180_150 Depth=2
	v_mov_b32_e32 v2, v19
	ds_write_b128 v19, v[2:5] offset:3072
	s_branch .LBB180_147
.LBB180_153:                            ;   in Loop: Header=BB180_150 Depth=2
	s_mov_b64 s[48:49], -1
                                        ; implicit-def: $vgpr38_vgpr39
                                        ; implicit-def: $vgpr36_vgpr37
	s_mov_b64 s[44:45], -1
	s_branch .LBB180_149
.LBB180_154:                            ;   in Loop: Header=BB180_6 Depth=1
	s_or_b64 exec, exec, s[36:37]
	s_andn2_b64 s[12:13], s[20:21], exec
	s_and_b64 s[20:21], s[42:43], exec
	s_or_b64 s[20:21], s[12:13], s[20:21]
.LBB180_155:                            ;   in Loop: Header=BB180_6 Depth=1
	s_or_b64 exec, exec, s[4:5]
	s_mov_b64 s[42:43], 0
	s_mov_b64 s[44:45], -1
.LBB180_156:                            ;   in Loop: Header=BB180_6 Depth=1
	s_orn2_b64 s[4:5], s[20:21], exec
.LBB180_157:                            ;   in Loop: Header=BB180_6 Depth=1
	s_or_b64 exec, exec, s[10:11]
	s_mov_b64 s[10:11], 0
	s_and_saveexec_b64 s[62:63], s[4:5]
	s_cbranch_execz .LBB180_272
; %bb.158:                              ;   in Loop: Header=BB180_6 Depth=1
	v_mov_b32_e32 v36, 1
	s_xor_b64 s[4:5], s[8:9], -1
	v_mov_b32_e32 v52, 1
	v_mov_b32_e32 v37, 0
	s_and_saveexec_b64 s[8:9], s[4:5]
	s_cbranch_execz .LBB180_167
; %bb.159:                              ;   in Loop: Header=BB180_6 Depth=1
	v_cmp_ge_u64_e32 vcc, s[94:95], v[34:35]
	s_and_saveexec_b64 s[4:5], vcc
	s_xor_b64 s[4:5], exec, s[4:5]
	s_cbranch_execz .LBB180_164
; %bb.160:                              ;   in Loop: Header=BB180_6 Depth=1
	s_lshl_b64 s[10:11], 1, s56
	v_and_b32_e32 v4, s90, v12
	v_or_b32_e32 v12, s10, v4
	ds_read_b64 v[4:5], v19 offset:5120
	v_and_b32_e32 v2, s91, v13
	v_or_b32_e32 v13, s11, v2
	v_or_b32_e32 v15, s19, v15
	;; [unrolled: 1-line block ×3, first 2 shown]
	s_waitcnt lgkmcnt(0)
	v_cmp_ne_u64_e32 vcc, 0, v[4:5]
	s_cbranch_vccnz .LBB180_164
; %bb.161:                              ;   in Loop: Header=BB180_6 Depth=1
	s_mov_b64 s[10:11], exec
	v_readlane_b32 s12, v56, 8
	v_readlane_b32 s13, v56, 9
	s_and_b64 s[12:13], s[10:11], s[12:13]
	s_mov_b64 exec, s[12:13]
; %bb.162:                              ;   in Loop: Header=BB180_6 Depth=1
	v_mov_b32_e32 v4, s94
	v_mov_b32_e32 v5, s95
	ds_write_b64 v19, v[4:5] offset:5128
; %bb.163:                              ;   in Loop: Header=BB180_6 Depth=1
	s_or_b64 exec, exec, s[10:11]
	s_waitcnt lgkmcnt(0)
	s_barrier
.LBB180_164:                            ;   in Loop: Header=BB180_6 Depth=1
	s_or_saveexec_b64 s[4:5], s[4:5]
	s_mov_b64 s[10:11], 0
	v_mov_b32_e32 v52, 8
	s_xor_b64 exec, exec, s[4:5]
; %bb.165:                              ;   in Loop: Header=BB180_6 Depth=1
	v_subrev_co_u32_e32 v34, vcc, s94, v34
	v_mov_b32_e32 v2, s95
	v_subb_co_u32_e32 v35, vcc, v35, v2, vcc
	v_mov_b32_e32 v52, 0
	s_mov_b64 s[10:11], exec
; %bb.166:                              ;   in Loop: Header=BB180_6 Depth=1
	s_or_b64 exec, exec, s[4:5]
	v_mov_b32_e32 v37, v35
	s_and_b64 s[10:11], s[10:11], exec
	v_mov_b32_e32 v36, v34
.LBB180_167:                            ;   in Loop: Header=BB180_6 Depth=1
	s_or_b64 exec, exec, s[8:9]
	s_mov_b64 s[4:5], -1
                                        ; implicit-def: $sgpr12_sgpr13
                                        ; implicit-def: $sgpr36_sgpr37
	s_and_saveexec_b64 s[20:21], s[10:11]
	s_cbranch_execz .LBB180_271
; %bb.168:                              ;   in Loop: Header=BB180_6 Depth=1
	s_cmp_eq_u64 s[38:39], 1
	v_cmp_eq_u64_e32 vcc, 1, v[36:37]
	s_cselect_b64 s[4:5], -1, 0
	s_and_b64 s[64:65], s[4:5], vcc
	s_mov_b64 s[4:5], -1
                                        ; implicit-def: $sgpr36_sgpr37
                                        ; implicit-def: $sgpr12_sgpr13
	s_and_saveexec_b64 s[10:11], s[64:65]
	s_cbranch_execz .LBB180_205
; %bb.169:                              ;   in Loop: Header=BB180_6 Depth=1
	ds_read_b64 v[4:5], v19 offset:5120
	s_waitcnt lgkmcnt(0)
	s_barrier
	v_readfirstlane_b32 s12, v4
	v_readfirstlane_b32 s13, v5
	s_mov_b64 s[4:5], exec
	v_readlane_b32 s8, v56, 24
	v_readlane_b32 s9, v56, 25
	s_and_b64 s[8:9], s[4:5], s[8:9]
	s_mov_b64 exec, s[8:9]
; %bb.170:                              ;   in Loop: Header=BB180_6 Depth=1
	v_mov_b32_e32 v18, v19
	ds_write_b64 v45, v[18:19]
; %bb.171:                              ;   in Loop: Header=BB180_6 Depth=1
	s_or_b64 exec, exec, s[4:5]
	s_lshl_b64 s[4:5], 2, s56
	v_and_b32_e32 v2, s91, v13
	v_and_b32_e32 v4, s90, v12
	v_or_b32_e32 v13, s5, v2
	v_or_b32_e32 v12, s4, v4
	;; [unrolled: 1-line block ×4, first 2 shown]
	s_cmp_eq_u64 s[12:13], 0
	s_mov_b64 s[54:55], 0
	s_mov_b64 s[4:5], -1
	s_waitcnt lgkmcnt(0)
	s_barrier
                                        ; implicit-def: $vgpr10_vgpr11
	s_cbranch_scc1 .LBB180_188
; %bb.172:                              ;   in Loop: Header=BB180_6 Depth=1
	v_readlane_b32 s4, v56, 28
	s_add_u32 s36, s12, s4
	v_readlane_b32 s4, v56, 30
	s_addc_u32 s55, s13, s4
	s_mov_b32 s54, s51
	s_cmp_lg_u64 s[54:55], 0
	s_cbranch_scc0 .LBB180_222
; %bb.173:                              ;   in Loop: Header=BB180_6 Depth=1
	v_cvt_f32_u32_e32 v2, s33
	s_sub_u32 s8, 0, s33
	s_subb_u32 s9, 0, 0
	v_mac_f32_e32 v2, 0, v51
	v_rcp_f32_e32 v2, v2
	v_mul_f32_e32 v2, 0x5f7ffffc, v2
	v_mul_f32_e32 v4, 0x2f800000, v2
	v_trunc_f32_e32 v4, v4
	v_mac_f32_e32 v2, 0xcf800000, v4
	v_cvt_u32_f32_e32 v4, v4
	v_cvt_u32_f32_e32 v2, v2
	v_readfirstlane_b32 s37, v4
	v_readfirstlane_b32 s4, v2
	s_mul_i32 s5, s8, s37
	s_mul_hi_u32 s49, s8, s4
	s_mul_i32 s48, s9, s4
	s_add_i32 s5, s49, s5
	s_mul_i32 s50, s8, s4
	s_add_i32 s5, s5, s48
	s_mul_hi_u32 s49, s4, s50
	s_mul_i32 s52, s4, s5
	s_mul_hi_u32 s48, s4, s5
	s_add_u32 s49, s49, s52
	s_addc_u32 s48, 0, s48
	s_mul_hi_u32 s53, s37, s50
	s_mul_i32 s50, s37, s50
	s_add_u32 s49, s49, s50
	s_mul_hi_u32 s52, s37, s5
	s_addc_u32 s48, s48, s53
	s_addc_u32 s49, s52, 0
	s_mul_i32 s5, s37, s5
	s_add_u32 s5, s48, s5
	s_addc_u32 s48, 0, s49
	s_add_u32 s49, s4, s5
	s_cselect_b64 s[4:5], -1, 0
	s_cmp_lg_u64 s[4:5], 0
	s_addc_u32 s37, s37, s48
	s_mul_i32 s4, s8, s37
	s_mul_hi_u32 s5, s8, s49
	s_add_i32 s4, s5, s4
	s_mul_i32 s9, s9, s49
	s_add_i32 s4, s4, s9
	s_mul_i32 s8, s8, s49
	s_mul_hi_u32 s9, s37, s8
	s_mul_i32 s48, s37, s8
	s_mul_i32 s52, s49, s4
	s_mul_hi_u32 s8, s49, s8
	s_mul_hi_u32 s50, s49, s4
	s_add_u32 s8, s8, s52
	s_addc_u32 s50, 0, s50
	s_add_u32 s8, s8, s48
	s_mul_hi_u32 s5, s37, s4
	s_addc_u32 s8, s50, s9
	s_addc_u32 s5, s5, 0
	s_mul_i32 s4, s37, s4
	s_add_u32 s4, s8, s4
	s_addc_u32 s8, 0, s5
	s_add_u32 s9, s49, s4
	s_cselect_b64 s[4:5], -1, 0
	s_cmp_lg_u64 s[4:5], 0
	s_addc_u32 s4, s37, s8
	s_mul_i32 s8, s36, s4
	s_mul_hi_u32 s37, s36, s9
	s_mul_hi_u32 s5, s36, s4
	s_add_u32 s8, s37, s8
	s_addc_u32 s5, 0, s5
	s_mul_hi_u32 s48, s55, s9
	s_mul_i32 s9, s55, s9
	s_add_u32 s8, s8, s9
	s_mul_hi_u32 s37, s55, s4
	s_addc_u32 s5, s5, s48
	s_addc_u32 s8, s37, 0
	s_mul_i32 s4, s55, s4
	s_add_u32 s4, s5, s4
	s_addc_u32 s5, 0, s8
	s_mul_i32 s5, s33, s5
	s_mul_hi_u32 s8, s33, s4
	s_add_i32 s8, s8, s5
	s_mul_i32 s4, s33, s4
	s_sub_u32 s9, s36, s4
	s_cselect_b64 s[4:5], -1, 0
	s_cmp_lg_u64 s[4:5], 0
	s_subb_u32 s8, s55, s8
	s_sub_u32 s37, s9, s33
	s_cselect_b64 s[4:5], -1, 0
	s_cmp_lg_u64 s[4:5], 0
	s_subb_u32 s48, s8, 0
	;; [unrolled: 4-line block ×3, first 2 shown]
	s_cmp_ge_u32 s37, s33
	s_cselect_b32 s5, -1, 0
	s_cmp_eq_u32 s48, 0
	s_cselect_b32 s5, s5, -1
	s_cmp_lg_u32 s5, 0
	s_cselect_b32 s4, s4, s48
	s_cselect_b32 s37, s49, s37
	s_cmp_ge_u32 s9, s33
	s_cselect_b32 s5, -1, 0
	s_cmp_eq_u32 s8, 0
	s_cselect_b32 s5, s5, -1
	s_cmp_lg_u32 s5, 0
	s_cselect_b32 s5, s4, s8
	s_cselect_b32 s4, s37, s9
	s_cbranch_execnz .LBB180_175
.LBB180_174:                            ;   in Loop: Header=BB180_6 Depth=1
	v_cvt_f32_u32_e32 v2, s33
	s_sub_i32 s4, 0, s33
	v_rcp_iflag_f32_e32 v2, v2
	v_mul_f32_e32 v2, 0x4f7ffffe, v2
	v_cvt_u32_f32_e32 v2, v2
	v_readfirstlane_b32 s5, v2
	s_mul_i32 s4, s4, s5
	s_mul_hi_u32 s4, s5, s4
	s_add_i32 s5, s5, s4
	s_mul_hi_u32 s4, s36, s5
	s_mul_i32 s4, s4, s33
	s_sub_i32 s4, s36, s4
	s_sub_i32 s5, s4, s33
	s_cmp_ge_u32 s4, s33
	s_cselect_b32 s4, s5, s4
	s_sub_i32 s5, s4, s33
	s_cmp_ge_u32 s4, s33
	s_cselect_b32 s50, s5, s4
	s_mov_b64 s[4:5], s[50:51]
.LBB180_175:                            ;   in Loop: Header=BB180_6 Depth=1
	s_sub_u32 s8, s36, s4
	s_subb_u32 s9, s55, s5
	v_cmp_gt_u64_e32 vcc, s[8:9], v[0:1]
	s_mov_b64 s[4:5], 0
	s_mov_b64 s[54:55], 0
                                        ; implicit-def: $vgpr10_vgpr11
	s_and_saveexec_b64 s[36:37], vcc
	s_cbranch_execz .LBB180_187
; %bb.176:                              ;   in Loop: Header=BB180_6 Depth=1
	v_mov_b32_e32 v35, v1
	v_mov_b32_e32 v18, v44
	;; [unrolled: 1-line block ×3, first 2 shown]
                                        ; implicit-def: $sgpr48_sgpr49
	s_branch .LBB180_180
.LBB180_177:                            ;   in Loop: Header=BB180_180 Depth=2
	s_or_b64 exec, exec, s[52:53]
	s_waitcnt lgkmcnt(0)
	s_barrier
	ds_read_b128 v[8:11], v19 offset:3072
	s_waitcnt lgkmcnt(0)
	s_barrier
	v_cmp_neq_f64_e32 vcc, 0, v[8:9]
	s_cbranch_vccnz .LBB180_183
; %bb.178:                              ;   in Loop: Header=BB180_180 Depth=2
	v_add_co_u32_e32 v34, vcc, s33, v34
	v_addc_co_u32_e32 v35, vcc, 0, v35, vcc
	v_cmp_le_u64_e32 vcc, s[8:9], v[34:35]
	v_add_u32_e32 v18, s58, v18
	s_mov_b64 s[52:53], 0
	s_orn2_b64 vcc, vcc, exec
.LBB180_179:                            ;   in Loop: Header=BB180_180 Depth=2
	s_and_b64 vcc, exec, vcc
	s_or_b64 s[54:55], vcc, s[54:55]
	s_andn2_b64 s[48:49], s[48:49], exec
	s_and_b64 s[52:53], s[52:53], exec
	s_or_b64 s[48:49], s[48:49], s[52:53]
	s_andn2_b64 exec, exec, s[54:55]
	s_cbranch_execz .LBB180_186
.LBB180_180:                            ;   Parent Loop BB180_6 Depth=1
                                        ; =>  This Inner Loop Header: Depth=2
	v_cmp_gt_u64_e32 vcc, s[12:13], v[34:35]
	s_and_saveexec_b64 s[52:53], vcc
	s_cbranch_execz .LBB180_177
; %bb.181:                              ;   in Loop: Header=BB180_180 Depth=2
	ds_read_b64 v[4:5], v18
	s_waitcnt lgkmcnt(0)
	v_cmp_o_f64_e32 vcc, v[4:5], v[4:5]
	v_ashrrev_i32_e32 v2, 31, v5
	v_or_b32_e32 v8, 0x80000000, v2
	v_xor_b32_e32 v8, v8, v5
	v_xor_b32_e32 v2, v2, v4
	v_cndmask_b32_e32 v8, -1, v8, vcc
	v_cndmask_b32_e32 v2, -1, v2, vcc
	v_and_b32_e32 v9, v8, v15
	v_and_b32_e32 v8, v2, v14
	v_cmp_eq_u64_e32 vcc, v[8:9], v[12:13]
	s_and_b64 exec, exec, vcc
	s_cbranch_execz .LBB180_177
; %bb.182:                              ;   in Loop: Header=BB180_180 Depth=2
	v_mov_b32_e32 v2, v19
	ds_write_b128 v19, v[2:5] offset:3072
	s_branch .LBB180_177
.LBB180_183:                            ;   in Loop: Header=BB180_180 Depth=2
	s_mov_b64 vcc, -1
                                        ; implicit-def: $vgpr34_vgpr35
                                        ; implicit-def: $vgpr18
	s_mov_b64 s[52:53], -1
	s_branch .LBB180_179
.LBB180_184:                            ;   in Loop: Header=BB180_6 Depth=1
                                        ; implicit-def: $sgpr4_sgpr5
	s_branch .LBB180_127
.LBB180_185:                            ;   in Loop: Header=BB180_6 Depth=1
                                        ; implicit-def: $sgpr4_sgpr5
	s_branch .LBB180_144
.LBB180_186:                            ;   in Loop: Header=BB180_6 Depth=1
	s_or_b64 exec, exec, s[54:55]
	s_and_b64 s[54:55], s[48:49], exec
.LBB180_187:                            ;   in Loop: Header=BB180_6 Depth=1
	s_or_b64 exec, exec, s[36:37]
	v_readlane_b32 s52, v56, 42
	v_readlane_b32 s53, v56, 43
.LBB180_188:                            ;   in Loop: Header=BB180_6 Depth=1
	s_and_b64 vcc, exec, s[4:5]
	s_cbranch_vccz .LBB180_201
; %bb.189:                              ;   in Loop: Header=BB180_6 Depth=1
	v_readlane_b32 vcc_lo, v56, 31
	v_readlane_b32 vcc_hi, v56, 32
	s_mov_b32 vcc_lo, s51
	s_cmp_lg_u64 vcc, 0
	v_writelane_b32 v56, vcc_lo, 31
	v_writelane_b32 v56, vcc_hi, 32
	s_cbranch_scc0 .LBB180_223
; %bb.190:                              ;   in Loop: Header=BB180_6 Depth=1
	v_cvt_f32_u32_e32 v2, s33
	s_sub_u32 s8, 0, s33
	s_subb_u32 s9, 0, 0
	v_mac_f32_e32 v2, 0, v51
	v_rcp_f32_e32 v2, v2
	v_mul_f32_e32 v2, 0x5f7ffffc, v2
	v_mul_f32_e32 v4, 0x2f800000, v2
	v_trunc_f32_e32 v4, v4
	v_mac_f32_e32 v2, 0xcf800000, v4
	v_cvt_u32_f32_e32 v4, v4
	v_cvt_u32_f32_e32 v2, v2
	v_readfirstlane_b32 s12, v4
	v_readfirstlane_b32 s4, v2
	s_mul_i32 s5, s8, s12
	s_mul_hi_u32 s36, s8, s4
	s_mul_i32 s13, s9, s4
	s_add_i32 s5, s36, s5
	s_mul_i32 s37, s8, s4
	s_add_i32 s5, s5, s13
	s_mul_hi_u32 s36, s4, s37
	s_mul_i32 s48, s4, s5
	s_mul_hi_u32 s13, s4, s5
	s_add_u32 s36, s36, s48
	s_addc_u32 s13, 0, s13
	s_mul_hi_u32 s49, s12, s37
	s_mul_i32 s37, s12, s37
	s_add_u32 s36, s36, s37
	s_mul_hi_u32 s48, s12, s5
	s_addc_u32 s13, s13, s49
	s_addc_u32 s36, s48, 0
	s_mul_i32 s5, s12, s5
	s_add_u32 s5, s13, s5
	s_addc_u32 s13, 0, s36
	s_add_u32 s36, s4, s5
	s_cselect_b64 s[4:5], -1, 0
	s_cmp_lg_u64 s[4:5], 0
	s_addc_u32 s12, s12, s13
	s_mul_i32 s4, s8, s12
	s_mul_hi_u32 s5, s8, s36
	s_add_i32 s4, s5, s4
	s_mul_i32 s9, s9, s36
	s_add_i32 s4, s4, s9
	s_mul_i32 s8, s8, s36
	s_mul_hi_u32 s9, s12, s8
	s_mul_i32 s13, s12, s8
	s_mul_i32 s48, s36, s4
	s_mul_hi_u32 s8, s36, s8
	s_mul_hi_u32 s37, s36, s4
	s_add_u32 s8, s8, s48
	s_addc_u32 s37, 0, s37
	s_add_u32 s8, s8, s13
	s_mul_hi_u32 s5, s12, s4
	s_addc_u32 s8, s37, s9
	s_addc_u32 s5, s5, 0
	s_mul_i32 s4, s12, s4
	s_add_u32 s4, s8, s4
	s_addc_u32 s8, 0, s5
	s_add_u32 s9, s36, s4
	s_cselect_b64 s[4:5], -1, 0
	s_cmp_lg_u64 s[4:5], 0
	s_addc_u32 s4, s12, s8
	v_readlane_b32 s36, v56, 29
	s_mul_i32 s8, s36, s4
	s_mul_hi_u32 s12, s36, s9
	s_mul_hi_u32 s5, s36, s4
	s_add_u32 s8, s12, s8
	s_addc_u32 s5, 0, s5
	s_mul_hi_u32 s13, vcc_hi, s9
	s_mul_i32 s9, vcc_hi, s9
	s_add_u32 s8, s8, s9
	s_mul_hi_u32 s12, vcc_hi, s4
	s_addc_u32 s5, s5, s13
	s_addc_u32 s8, s12, 0
	s_mul_i32 s4, vcc_hi, s4
	s_add_u32 s4, s5, s4
	s_addc_u32 s5, 0, s8
	s_mul_i32 s5, s33, s5
	s_mul_hi_u32 s8, s33, s4
	s_add_i32 s8, s8, s5
	s_mul_i32 s4, s33, s4
	s_sub_u32 s9, s36, s4
	s_cselect_b64 s[4:5], -1, 0
	s_cmp_lg_u64 s[4:5], 0
	s_subb_u32 s8, vcc_hi, s8
	s_sub_u32 s12, s9, s33
	s_cselect_b64 s[4:5], -1, 0
	s_cmp_lg_u64 s[4:5], 0
	s_subb_u32 s13, s8, 0
	s_sub_u32 s36, s12, s33
	s_cselect_b64 s[4:5], -1, 0
	s_cmp_lg_u64 s[4:5], 0
	s_subb_u32 s4, s13, 0
	s_cmp_ge_u32 s12, s33
	s_cselect_b32 s5, -1, 0
	s_cmp_eq_u32 s13, 0
	s_cselect_b32 s5, s5, -1
	s_cmp_lg_u32 s5, 0
	s_cselect_b32 s4, s4, s13
	s_cselect_b32 s12, s36, s12
	s_cmp_ge_u32 s9, s33
	s_cselect_b32 s5, -1, 0
	s_cmp_eq_u32 s8, 0
	s_cselect_b32 s5, s5, -1
	s_cmp_lg_u32 s5, 0
	s_cselect_b32 s5, s4, s8
	s_cselect_b32 s4, s12, s9
	s_cbranch_execnz .LBB180_192
.LBB180_191:                            ;   in Loop: Header=BB180_6 Depth=1
	v_cvt_f32_u32_e32 v2, s33
	s_sub_i32 s4, 0, s33
	v_readlane_b32 s8, v56, 29
	v_rcp_iflag_f32_e32 v2, v2
	v_mul_f32_e32 v2, 0x4f7ffffe, v2
	v_cvt_u32_f32_e32 v2, v2
	v_readfirstlane_b32 s5, v2
	s_mul_i32 s4, s4, s5
	s_mul_hi_u32 s4, s5, s4
	s_add_i32 s5, s5, s4
	s_mul_hi_u32 s4, s8, s5
	s_mul_i32 s4, s4, s33
	s_sub_i32 s4, s8, s4
	s_sub_i32 s5, s4, s33
	s_cmp_ge_u32 s4, s33
	s_cselect_b32 s4, s5, s4
	s_sub_i32 s5, s4, s33
	s_cmp_ge_u32 s4, s33
	s_cselect_b32 s50, s5, s4
	s_mov_b64 s[4:5], s[50:51]
.LBB180_192:                            ;   in Loop: Header=BB180_6 Depth=1
	v_readlane_b32 s8, v56, 29
	v_readlane_b32 s12, v56, 31
	s_sub_u32 s8, s8, s4
	v_readlane_b32 s13, v56, 32
	s_subb_u32 s9, s13, s5
	v_cmp_gt_u64_e32 vcc, s[8:9], v[0:1]
                                        ; implicit-def: $vgpr10_vgpr11
	s_and_saveexec_b64 s[4:5], vcc
	s_cbranch_execz .LBB180_203
; %bb.193:                              ;   in Loop: Header=BB180_6 Depth=1
	v_mov_b32_e32 v35, v17
	v_mov_b32_e32 v39, v1
	s_mov_b64 s[12:13], 0
	v_mov_b32_e32 v34, v16
	v_mov_b32_e32 v38, v0
                                        ; implicit-def: $sgpr36_sgpr37
	s_branch .LBB180_197
.LBB180_194:                            ;   in Loop: Header=BB180_197 Depth=2
	s_or_b64 exec, exec, s[48:49]
	s_waitcnt lgkmcnt(0)
	s_barrier
	ds_read_b128 v[8:11], v19 offset:3072
	s_waitcnt lgkmcnt(0)
	s_barrier
	v_cmp_eq_f64_e32 vcc, 0, v[8:9]
	s_cbranch_vccz .LBB180_200
; %bb.195:                              ;   in Loop: Header=BB180_197 Depth=2
	v_add_co_u32_e32 v38, vcc, s33, v38
	v_addc_co_u32_e32 v39, vcc, 0, v39, vcc
	v_mov_b32_e32 v2, s29
	v_add_co_u32_e32 v34, vcc, s28, v34
	v_addc_co_u32_e32 v35, vcc, v35, v2, vcc
	v_cmp_le_u64_e32 vcc, s[8:9], v[38:39]
	s_mov_b64 s[48:49], 0
	s_orn2_b64 s[52:53], vcc, exec
.LBB180_196:                            ;   in Loop: Header=BB180_197 Depth=2
	s_and_b64 s[52:53], exec, s[52:53]
	s_or_b64 s[12:13], s[52:53], s[12:13]
	s_andn2_b64 s[36:37], s[36:37], exec
	s_and_b64 s[48:49], s[48:49], exec
	s_or_b64 s[36:37], s[36:37], s[48:49]
	s_andn2_b64 exec, exec, s[12:13]
	s_cbranch_execz .LBB180_202
.LBB180_197:                            ;   Parent Loop BB180_6 Depth=1
                                        ; =>  This Inner Loop Header: Depth=2
	v_cmp_gt_u64_e32 vcc, s[24:25], v[38:39]
	s_and_saveexec_b64 s[48:49], vcc
	s_cbranch_execz .LBB180_194
; %bb.198:                              ;   in Loop: Header=BB180_197 Depth=2
	global_load_dwordx2 v[4:5], v[34:35], off
	s_waitcnt vmcnt(0)
	v_cmp_o_f64_e32 vcc, v[4:5], v[4:5]
	v_ashrrev_i32_e32 v2, 31, v5
	v_or_b32_e32 v8, 0x80000000, v2
	v_xor_b32_e32 v8, v8, v5
	v_xor_b32_e32 v2, v2, v4
	v_cndmask_b32_e32 v8, -1, v8, vcc
	v_cndmask_b32_e32 v2, -1, v2, vcc
	v_and_b32_e32 v9, v8, v15
	v_and_b32_e32 v8, v2, v14
	v_cmp_eq_u64_e32 vcc, v[8:9], v[12:13]
	s_and_b64 exec, exec, vcc
	s_cbranch_execz .LBB180_194
; %bb.199:                              ;   in Loop: Header=BB180_197 Depth=2
	v_mov_b32_e32 v2, v19
	ds_write_b128 v19, v[2:5] offset:3072
	s_branch .LBB180_194
.LBB180_200:                            ;   in Loop: Header=BB180_197 Depth=2
	s_mov_b64 s[52:53], -1
                                        ; implicit-def: $vgpr38_vgpr39
                                        ; implicit-def: $vgpr34_vgpr35
	s_mov_b64 s[48:49], -1
	s_branch .LBB180_196
.LBB180_201:                            ;   in Loop: Header=BB180_6 Depth=1
	s_mov_b64 s[12:13], -1
	s_mov_b64 s[36:37], 0
	s_branch .LBB180_204
.LBB180_202:                            ;   in Loop: Header=BB180_6 Depth=1
	s_or_b64 exec, exec, s[12:13]
	s_andn2_b64 s[8:9], s[54:55], exec
	s_and_b64 s[12:13], s[36:37], exec
	v_readlane_b32 s52, v56, 42
	s_or_b64 s[54:55], s[8:9], s[12:13]
	v_readlane_b32 s53, v56, 43
.LBB180_203:                            ;   in Loop: Header=BB180_6 Depth=1
	s_or_b64 exec, exec, s[4:5]
	s_mov_b64 s[12:13], 0
	s_mov_b64 s[36:37], -1
.LBB180_204:                            ;   in Loop: Header=BB180_6 Depth=1
	s_orn2_b64 s[4:5], s[54:55], exec
.LBB180_205:                            ;   in Loop: Header=BB180_6 Depth=1
	s_or_b64 exec, exec, s[10:11]
	s_mov_b64 s[8:9], 0
	s_and_saveexec_b64 s[10:11], s[4:5]
	s_cbranch_execz .LBB180_270
; %bb.206:                              ;   in Loop: Header=BB180_6 Depth=1
	v_mov_b32_e32 v34, 1
	v_writelane_b32 v56, s12, 46
	s_xor_b64 s[4:5], s[64:65], -1
	v_mov_b32_e32 v52, 1
	v_mov_b32_e32 v35, 0
	v_writelane_b32 v56, s13, 47
	s_and_saveexec_b64 s[12:13], s[4:5]
	s_cbranch_execz .LBB180_215
; %bb.207:                              ;   in Loop: Header=BB180_6 Depth=1
	v_cmp_ge_u64_e32 vcc, s[38:39], v[36:37]
	s_mov_b64 s[48:49], s[36:37]
	s_and_saveexec_b64 s[4:5], vcc
	s_xor_b64 s[4:5], exec, s[4:5]
	s_cbranch_execz .LBB180_212
; %bb.208:                              ;   in Loop: Header=BB180_6 Depth=1
	s_lshl_b64 s[8:9], 2, s56
	v_and_b32_e32 v4, s90, v12
	v_or_b32_e32 v12, s8, v4
	ds_read_b64 v[4:5], v19 offset:5120
	v_and_b32_e32 v2, s91, v13
	v_or_b32_e32 v13, s9, v2
	v_or_b32_e32 v15, s19, v15
	;; [unrolled: 1-line block ×3, first 2 shown]
	s_waitcnt lgkmcnt(0)
	v_cmp_ne_u64_e32 vcc, 0, v[4:5]
	s_cbranch_vccnz .LBB180_212
; %bb.209:                              ;   in Loop: Header=BB180_6 Depth=1
	s_mov_b64 s[8:9], exec
	v_readlane_b32 s36, v56, 8
	v_readlane_b32 s37, v56, 9
	s_and_b64 s[36:37], s[8:9], s[36:37]
	s_mov_b64 exec, s[36:37]
; %bb.210:                              ;   in Loop: Header=BB180_6 Depth=1
	v_mov_b32_e32 v4, s38
	v_mov_b32_e32 v5, s39
	ds_write_b64 v19, v[4:5] offset:5128
; %bb.211:                              ;   in Loop: Header=BB180_6 Depth=1
	s_or_b64 exec, exec, s[8:9]
	s_waitcnt lgkmcnt(0)
	s_barrier
.LBB180_212:                            ;   in Loop: Header=BB180_6 Depth=1
	s_or_saveexec_b64 s[4:5], s[4:5]
	s_mov_b64 s[8:9], 0
	v_mov_b32_e32 v52, 8
	s_xor_b64 exec, exec, s[4:5]
; %bb.213:                              ;   in Loop: Header=BB180_6 Depth=1
	v_subrev_co_u32_e32 v36, vcc, s38, v36
	v_mov_b32_e32 v2, s39
	v_subb_co_u32_e32 v37, vcc, v37, v2, vcc
	v_mov_b32_e32 v52, 0
	s_mov_b64 s[8:9], exec
; %bb.214:                              ;   in Loop: Header=BB180_6 Depth=1
	s_or_b64 exec, exec, s[4:5]
	v_mov_b32_e32 v34, v36
	s_and_b64 s[8:9], s[8:9], exec
	v_mov_b32_e32 v35, v37
	s_mov_b64 s[36:37], s[48:49]
.LBB180_215:                            ;   in Loop: Header=BB180_6 Depth=1
	s_or_b64 exec, exec, s[12:13]
	s_mov_b64 s[4:5], -1
                                        ; implicit-def: $sgpr48_sgpr49
                                        ; implicit-def: $sgpr54_sgpr55
	s_and_saveexec_b64 s[64:65], s[8:9]
	s_cbranch_execz .LBB180_269
; %bb.216:                              ;   in Loop: Header=BB180_6 Depth=1
	s_cmp_eq_u64 s[40:41], 1
	v_cmp_eq_u64_e32 vcc, 1, v[34:35]
	v_writelane_b32 v56, s36, 44
	s_cselect_b64 s[4:5], -1, 0
	s_mov_b64 s[8:9], -1
	v_writelane_b32 v56, s37, 45
	s_and_b64 s[4:5], s[4:5], vcc
                                        ; implicit-def: $sgpr48_sgpr49
                                        ; implicit-def: $sgpr54_sgpr55
	s_mov_b64 s[12:13], exec
	v_writelane_b32 v56, s4, 48
	v_writelane_b32 v56, s5, 49
	;; [unrolled: 1-line block ×3, first 2 shown]
	s_and_b64 s[4:5], s[12:13], s[4:5]
	v_writelane_b32 v56, s13, 51
	s_mov_b64 exec, s[4:5]
	s_cbranch_execz .LBB180_257
; %bb.217:                              ;   in Loop: Header=BB180_6 Depth=1
	ds_read_b64 v[4:5], v19 offset:5120
	s_waitcnt lgkmcnt(0)
	s_barrier
	v_readfirstlane_b32 s12, v4
	v_readfirstlane_b32 s13, v5
	s_mov_b64 s[4:5], exec
	v_readlane_b32 s8, v56, 24
	v_readlane_b32 s9, v56, 25
	s_and_b64 s[8:9], s[4:5], s[8:9]
	s_mov_b64 exec, s[8:9]
; %bb.218:                              ;   in Loop: Header=BB180_6 Depth=1
	v_mov_b32_e32 v18, v19
	ds_write_b64 v45, v[18:19]
; %bb.219:                              ;   in Loop: Header=BB180_6 Depth=1
	s_or_b64 exec, exec, s[4:5]
	s_mov_b64 s[4:5], -1
	v_writelane_b32 v56, s4, 52
	v_or_b32_e32 v13, s19, v13
	v_or_b32_e32 v12, s18, v12
	;; [unrolled: 1-line block ×4, first 2 shown]
	v_writelane_b32 v56, s5, 53
	s_cmp_eq_u64 s[12:13], 0
	s_mov_b64 s[54:55], 0
	s_mov_b64 s[4:5], -1
	s_waitcnt lgkmcnt(0)
	s_barrier
                                        ; implicit-def: $vgpr10_vgpr11
	s_cbranch_scc1 .LBB180_238
; %bb.220:                              ;   in Loop: Header=BB180_6 Depth=1
	v_readlane_b32 s4, v56, 28
	s_add_u32 s36, s12, s4
	v_readlane_b32 s4, v56, 30
	s_addc_u32 s55, s13, s4
	s_mov_b32 s54, s51
	s_cmp_lg_u64 s[54:55], 0
	s_cbranch_scc0 .LBB180_224
; %bb.221:                              ;   in Loop: Header=BB180_6 Depth=1
	v_cvt_f32_u32_e32 v2, s33
	s_sub_u32 s8, 0, s33
	s_subb_u32 s9, 0, 0
	v_mac_f32_e32 v2, 0, v51
	v_rcp_f32_e32 v2, v2
	v_mul_f32_e32 v2, 0x5f7ffffc, v2
	v_mul_f32_e32 v4, 0x2f800000, v2
	v_trunc_f32_e32 v4, v4
	v_mac_f32_e32 v2, 0xcf800000, v4
	v_cvt_u32_f32_e32 v4, v4
	v_cvt_u32_f32_e32 v2, v2
	v_readfirstlane_b32 s37, v4
	v_readfirstlane_b32 s4, v2
	s_mul_i32 s5, s8, s37
	s_mul_hi_u32 s49, s8, s4
	s_mul_i32 s48, s9, s4
	s_add_i32 s5, s49, s5
	s_mul_i32 s50, s8, s4
	s_add_i32 s5, s5, s48
	s_mul_hi_u32 s49, s4, s50
	s_mul_i32 s52, s4, s5
	s_mul_hi_u32 s48, s4, s5
	s_add_u32 s49, s49, s52
	s_addc_u32 s48, 0, s48
	s_mul_hi_u32 s53, s37, s50
	s_mul_i32 s50, s37, s50
	s_add_u32 s49, s49, s50
	s_mul_hi_u32 s52, s37, s5
	s_addc_u32 s48, s48, s53
	s_addc_u32 s49, s52, 0
	s_mul_i32 s5, s37, s5
	s_add_u32 s5, s48, s5
	s_addc_u32 s48, 0, s49
	s_add_u32 s49, s4, s5
	s_cselect_b64 s[4:5], -1, 0
	s_cmp_lg_u64 s[4:5], 0
	s_addc_u32 s37, s37, s48
	s_mul_i32 s4, s8, s37
	s_mul_hi_u32 s5, s8, s49
	s_add_i32 s4, s5, s4
	s_mul_i32 s9, s9, s49
	s_add_i32 s4, s4, s9
	s_mul_i32 s8, s8, s49
	s_mul_hi_u32 s9, s37, s8
	s_mul_i32 s48, s37, s8
	s_mul_i32 s52, s49, s4
	s_mul_hi_u32 s8, s49, s8
	s_mul_hi_u32 s50, s49, s4
	s_add_u32 s8, s8, s52
	s_addc_u32 s50, 0, s50
	s_add_u32 s8, s8, s48
	s_mul_hi_u32 s5, s37, s4
	s_addc_u32 s8, s50, s9
	s_addc_u32 s5, s5, 0
	s_mul_i32 s4, s37, s4
	s_add_u32 s4, s8, s4
	s_addc_u32 s8, 0, s5
	s_add_u32 s9, s49, s4
	s_cselect_b64 s[4:5], -1, 0
	s_cmp_lg_u64 s[4:5], 0
	s_addc_u32 s4, s37, s8
	s_mul_i32 s8, s36, s4
	s_mul_hi_u32 s37, s36, s9
	s_mul_hi_u32 s5, s36, s4
	s_add_u32 s8, s37, s8
	s_addc_u32 s5, 0, s5
	s_mul_hi_u32 s48, s55, s9
	s_mul_i32 s9, s55, s9
	s_add_u32 s8, s8, s9
	s_mul_hi_u32 s37, s55, s4
	s_addc_u32 s5, s5, s48
	s_addc_u32 s8, s37, 0
	s_mul_i32 s4, s55, s4
	s_add_u32 s4, s5, s4
	s_addc_u32 s5, 0, s8
	s_mul_i32 s5, s33, s5
	s_mul_hi_u32 s8, s33, s4
	s_add_i32 s8, s8, s5
	s_mul_i32 s4, s33, s4
	s_sub_u32 s9, s36, s4
	s_cselect_b64 s[4:5], -1, 0
	s_cmp_lg_u64 s[4:5], 0
	s_subb_u32 s8, s55, s8
	s_sub_u32 s37, s9, s33
	s_cselect_b64 s[4:5], -1, 0
	s_cmp_lg_u64 s[4:5], 0
	s_subb_u32 s48, s8, 0
	;; [unrolled: 4-line block ×3, first 2 shown]
	s_cmp_ge_u32 s37, s33
	s_cselect_b32 s5, -1, 0
	s_cmp_eq_u32 s48, 0
	s_cselect_b32 s5, s5, -1
	s_cmp_lg_u32 s5, 0
	s_cselect_b32 s4, s4, s48
	s_cselect_b32 s37, s49, s37
	s_cmp_ge_u32 s9, s33
	s_cselect_b32 s5, -1, 0
	s_cmp_eq_u32 s8, 0
	s_cselect_b32 s5, s5, -1
	s_cmp_lg_u32 s5, 0
	s_cselect_b32 s5, s4, s8
	s_cselect_b32 s4, s37, s9
	s_mov_b64 s[8:9], 0
	s_branch .LBB180_225
.LBB180_222:                            ;   in Loop: Header=BB180_6 Depth=1
                                        ; implicit-def: $sgpr4_sgpr5
	s_branch .LBB180_174
.LBB180_223:                            ;   in Loop: Header=BB180_6 Depth=1
                                        ; implicit-def: $sgpr4_sgpr5
	s_branch .LBB180_191
.LBB180_224:                            ;   in Loop: Header=BB180_6 Depth=1
	s_mov_b64 s[8:9], -1
                                        ; implicit-def: $sgpr4_sgpr5
.LBB180_225:                            ;   in Loop: Header=BB180_6 Depth=1
	s_andn2_b64 vcc, exec, s[8:9]
	s_cbranch_vccnz .LBB180_227
; %bb.226:                              ;   in Loop: Header=BB180_6 Depth=1
	v_cvt_f32_u32_e32 v2, s33
	s_sub_i32 s4, 0, s33
	v_rcp_iflag_f32_e32 v2, v2
	v_mul_f32_e32 v2, 0x4f7ffffe, v2
	v_cvt_u32_f32_e32 v2, v2
	v_readfirstlane_b32 s5, v2
	s_mul_i32 s4, s4, s5
	s_mul_hi_u32 s4, s5, s4
	s_add_i32 s5, s5, s4
	s_mul_hi_u32 s4, s36, s5
	s_mul_i32 s4, s4, s33
	s_sub_i32 s4, s36, s4
	s_sub_i32 s5, s4, s33
	s_cmp_ge_u32 s4, s33
	s_cselect_b32 s4, s5, s4
	s_sub_i32 s5, s4, s33
	s_cmp_ge_u32 s4, s33
	s_cselect_b32 s50, s5, s4
	s_mov_b64 s[4:5], s[50:51]
.LBB180_227:                            ;   in Loop: Header=BB180_6 Depth=1
	s_sub_u32 s8, s36, s4
	s_subb_u32 s9, s55, s5
	v_cmp_gt_u64_e32 vcc, s[8:9], v[0:1]
	s_mov_b64 s[4:5], 0
	s_mov_b64 s[54:55], 0
                                        ; implicit-def: $vgpr10_vgpr11
	s_and_saveexec_b64 s[36:37], vcc
	s_cbranch_execz .LBB180_237
; %bb.228:                              ;   in Loop: Header=BB180_6 Depth=1
	v_mov_b32_e32 v37, v1
	v_mov_b32_e32 v18, v44
	;; [unrolled: 1-line block ×3, first 2 shown]
                                        ; implicit-def: $sgpr48_sgpr49
	s_branch .LBB180_232
.LBB180_229:                            ;   in Loop: Header=BB180_232 Depth=2
	s_or_b64 exec, exec, s[52:53]
	s_waitcnt lgkmcnt(0)
	s_barrier
	ds_read_b128 v[8:11], v19 offset:3072
	s_waitcnt lgkmcnt(0)
	s_barrier
	v_cmp_neq_f64_e32 vcc, 0, v[8:9]
	s_cbranch_vccnz .LBB180_235
; %bb.230:                              ;   in Loop: Header=BB180_232 Depth=2
	v_add_co_u32_e32 v36, vcc, s33, v36
	v_addc_co_u32_e32 v37, vcc, 0, v37, vcc
	v_cmp_le_u64_e32 vcc, s[8:9], v[36:37]
	v_add_u32_e32 v18, s58, v18
	s_mov_b64 s[52:53], 0
	s_orn2_b64 vcc, vcc, exec
.LBB180_231:                            ;   in Loop: Header=BB180_232 Depth=2
	s_and_b64 vcc, exec, vcc
	s_or_b64 s[54:55], vcc, s[54:55]
	s_andn2_b64 s[48:49], s[48:49], exec
	s_and_b64 s[52:53], s[52:53], exec
	s_or_b64 s[48:49], s[48:49], s[52:53]
	s_andn2_b64 exec, exec, s[54:55]
	s_cbranch_execz .LBB180_236
.LBB180_232:                            ;   Parent Loop BB180_6 Depth=1
                                        ; =>  This Inner Loop Header: Depth=2
	v_cmp_gt_u64_e32 vcc, s[12:13], v[36:37]
	s_and_saveexec_b64 s[52:53], vcc
	s_cbranch_execz .LBB180_229
; %bb.233:                              ;   in Loop: Header=BB180_232 Depth=2
	ds_read_b64 v[4:5], v18
	s_waitcnt lgkmcnt(0)
	v_cmp_o_f64_e32 vcc, v[4:5], v[4:5]
	v_ashrrev_i32_e32 v2, 31, v5
	v_or_b32_e32 v8, 0x80000000, v2
	v_xor_b32_e32 v8, v8, v5
	v_xor_b32_e32 v2, v2, v4
	v_cndmask_b32_e32 v8, -1, v8, vcc
	v_cndmask_b32_e32 v2, -1, v2, vcc
	v_and_b32_e32 v9, v8, v15
	v_and_b32_e32 v8, v2, v14
	v_cmp_eq_u64_e32 vcc, v[8:9], v[12:13]
	s_and_b64 exec, exec, vcc
	s_cbranch_execz .LBB180_229
; %bb.234:                              ;   in Loop: Header=BB180_232 Depth=2
	v_mov_b32_e32 v2, v19
	ds_write_b128 v19, v[2:5] offset:3072
	s_branch .LBB180_229
.LBB180_235:                            ;   in Loop: Header=BB180_232 Depth=2
	s_mov_b64 vcc, -1
                                        ; implicit-def: $vgpr36_vgpr37
                                        ; implicit-def: $vgpr18
	s_mov_b64 s[52:53], -1
	s_branch .LBB180_231
.LBB180_236:                            ;   in Loop: Header=BB180_6 Depth=1
	s_or_b64 exec, exec, s[54:55]
	s_and_b64 s[54:55], s[48:49], exec
.LBB180_237:                            ;   in Loop: Header=BB180_6 Depth=1
	s_or_b64 exec, exec, s[36:37]
	v_readlane_b32 s52, v56, 42
	v_readlane_b32 s53, v56, 43
.LBB180_238:                            ;   in Loop: Header=BB180_6 Depth=1
	s_and_b64 vcc, exec, s[4:5]
	s_cbranch_vccz .LBB180_241
; %bb.239:                              ;   in Loop: Header=BB180_6 Depth=1
	v_readlane_b32 vcc_lo, v56, 31
	v_readlane_b32 vcc_hi, v56, 32
	s_mov_b32 vcc_lo, s51
	s_cmp_lg_u64 vcc, 0
	v_writelane_b32 v56, vcc_lo, 31
	v_writelane_b32 v56, vcc_hi, 32
	s_cbranch_scc0 .LBB180_242
; %bb.240:                              ;   in Loop: Header=BB180_6 Depth=1
	v_cvt_f32_u32_e32 v2, s33
	s_sub_u32 s8, 0, s33
	s_subb_u32 s9, 0, 0
	v_mac_f32_e32 v2, 0, v51
	v_rcp_f32_e32 v2, v2
	v_mul_f32_e32 v2, 0x5f7ffffc, v2
	v_mul_f32_e32 v4, 0x2f800000, v2
	v_trunc_f32_e32 v4, v4
	v_mac_f32_e32 v2, 0xcf800000, v4
	v_cvt_u32_f32_e32 v4, v4
	v_cvt_u32_f32_e32 v2, v2
	v_readfirstlane_b32 s12, v4
	v_readfirstlane_b32 s4, v2
	s_mul_i32 s5, s8, s12
	s_mul_hi_u32 s36, s8, s4
	s_mul_i32 s13, s9, s4
	s_add_i32 s5, s36, s5
	s_mul_i32 s37, s8, s4
	s_add_i32 s5, s5, s13
	s_mul_hi_u32 s36, s4, s37
	s_mul_i32 s48, s4, s5
	s_mul_hi_u32 s13, s4, s5
	s_add_u32 s36, s36, s48
	s_addc_u32 s13, 0, s13
	s_mul_hi_u32 s49, s12, s37
	s_mul_i32 s37, s12, s37
	s_add_u32 s36, s36, s37
	s_mul_hi_u32 s48, s12, s5
	s_addc_u32 s13, s13, s49
	s_addc_u32 s36, s48, 0
	s_mul_i32 s5, s12, s5
	s_add_u32 s5, s13, s5
	s_addc_u32 s13, 0, s36
	s_add_u32 s36, s4, s5
	s_cselect_b64 s[4:5], -1, 0
	s_cmp_lg_u64 s[4:5], 0
	s_addc_u32 s12, s12, s13
	s_mul_i32 s4, s8, s12
	s_mul_hi_u32 s5, s8, s36
	s_add_i32 s4, s5, s4
	s_mul_i32 s9, s9, s36
	s_add_i32 s4, s4, s9
	s_mul_i32 s8, s8, s36
	s_mul_hi_u32 s9, s12, s8
	s_mul_i32 s13, s12, s8
	s_mul_i32 s48, s36, s4
	s_mul_hi_u32 s8, s36, s8
	s_mul_hi_u32 s37, s36, s4
	s_add_u32 s8, s8, s48
	s_addc_u32 s37, 0, s37
	s_add_u32 s8, s8, s13
	s_mul_hi_u32 s5, s12, s4
	s_addc_u32 s8, s37, s9
	s_addc_u32 s5, s5, 0
	s_mul_i32 s4, s12, s4
	s_add_u32 s4, s8, s4
	s_addc_u32 s8, 0, s5
	s_add_u32 s9, s36, s4
	s_cselect_b64 s[4:5], -1, 0
	s_cmp_lg_u64 s[4:5], 0
	s_addc_u32 s4, s12, s8
	v_readlane_b32 s36, v56, 29
	s_mul_i32 s8, s36, s4
	s_mul_hi_u32 s12, s36, s9
	s_mul_hi_u32 s5, s36, s4
	s_add_u32 s8, s12, s8
	s_addc_u32 s5, 0, s5
	s_mul_hi_u32 s13, vcc_hi, s9
	s_mul_i32 s9, vcc_hi, s9
	s_add_u32 s8, s8, s9
	s_mul_hi_u32 s12, vcc_hi, s4
	s_addc_u32 s5, s5, s13
	s_addc_u32 s8, s12, 0
	s_mul_i32 s4, vcc_hi, s4
	s_add_u32 s4, s5, s4
	s_addc_u32 s5, 0, s8
	s_mul_i32 s5, s33, s5
	s_mul_hi_u32 s8, s33, s4
	s_add_i32 s8, s8, s5
	s_mul_i32 s4, s33, s4
	s_sub_u32 s9, s36, s4
	s_cselect_b64 s[4:5], -1, 0
	s_cmp_lg_u64 s[4:5], 0
	s_subb_u32 s8, vcc_hi, s8
	s_sub_u32 s12, s9, s33
	s_cselect_b64 s[4:5], -1, 0
	s_cmp_lg_u64 s[4:5], 0
	s_subb_u32 s13, s8, 0
	s_sub_u32 s36, s12, s33
	s_cselect_b64 s[4:5], -1, 0
	s_cmp_lg_u64 s[4:5], 0
	s_subb_u32 s4, s13, 0
	s_cmp_ge_u32 s12, s33
	s_cselect_b32 s5, -1, 0
	s_cmp_eq_u32 s13, 0
	s_cselect_b32 s5, s5, -1
	s_cmp_lg_u32 s5, 0
	s_cselect_b32 s4, s4, s13
	s_cselect_b32 s12, s36, s12
	s_cmp_ge_u32 s9, s33
	s_cselect_b32 s5, -1, 0
	s_cmp_eq_u32 s8, 0
	s_cselect_b32 s5, s5, -1
	s_cmp_lg_u32 s5, 0
	s_cselect_b32 s5, s4, s8
	s_cselect_b32 s4, s12, s9
	s_mov_b64 s[8:9], 0
	s_branch .LBB180_243
.LBB180_241:                            ;   in Loop: Header=BB180_6 Depth=1
	s_mov_b64 s[48:49], 0
	s_branch .LBB180_256
.LBB180_242:                            ;   in Loop: Header=BB180_6 Depth=1
	s_mov_b64 s[8:9], -1
                                        ; implicit-def: $sgpr4_sgpr5
.LBB180_243:                            ;   in Loop: Header=BB180_6 Depth=1
	s_andn2_b64 vcc, exec, s[8:9]
	s_cbranch_vccnz .LBB180_245
; %bb.244:                              ;   in Loop: Header=BB180_6 Depth=1
	v_cvt_f32_u32_e32 v2, s33
	s_sub_i32 s4, 0, s33
	v_readlane_b32 s8, v56, 29
	v_rcp_iflag_f32_e32 v2, v2
	v_mul_f32_e32 v2, 0x4f7ffffe, v2
	v_cvt_u32_f32_e32 v2, v2
	v_readfirstlane_b32 s5, v2
	s_mul_i32 s4, s4, s5
	s_mul_hi_u32 s4, s5, s4
	s_add_i32 s5, s5, s4
	s_mul_hi_u32 s4, s8, s5
	s_mul_i32 s4, s4, s33
	s_sub_i32 s4, s8, s4
	s_sub_i32 s5, s4, s33
	s_cmp_ge_u32 s4, s33
	s_cselect_b32 s4, s5, s4
	s_sub_i32 s5, s4, s33
	s_cmp_ge_u32 s4, s33
	s_cselect_b32 s50, s5, s4
	s_mov_b64 s[4:5], s[50:51]
.LBB180_245:                            ;   in Loop: Header=BB180_6 Depth=1
	v_readlane_b32 s8, v56, 29
	s_sub_u32 s12, s8, s4
	v_readlane_b32 s8, v56, 31
	v_readlane_b32 s9, v56, 32
	s_subb_u32 s13, s9, s5
	v_cmp_gt_u64_e32 vcc, s[12:13], v[0:1]
                                        ; implicit-def: $vgpr10_vgpr11
	s_and_saveexec_b64 s[4:5], vcc
	s_cbranch_execz .LBB180_255
; %bb.246:                              ;   in Loop: Header=BB180_6 Depth=1
	v_mov_b32_e32 v37, v17
	v_mov_b32_e32 v39, v1
	s_mov_b64 s[8:9], 0
	v_mov_b32_e32 v36, v16
	v_mov_b32_e32 v38, v0
                                        ; implicit-def: $sgpr36_sgpr37
	s_branch .LBB180_250
.LBB180_247:                            ;   in Loop: Header=BB180_250 Depth=2
	s_or_b64 exec, exec, s[48:49]
	s_waitcnt lgkmcnt(0)
	s_barrier
	ds_read_b128 v[8:11], v19 offset:3072
	s_waitcnt lgkmcnt(0)
	s_barrier
	v_cmp_eq_f64_e32 vcc, 0, v[8:9]
	s_cbranch_vccz .LBB180_253
; %bb.248:                              ;   in Loop: Header=BB180_250 Depth=2
	v_add_co_u32_e32 v38, vcc, s33, v38
	v_addc_co_u32_e32 v39, vcc, 0, v39, vcc
	v_mov_b32_e32 v2, s29
	v_add_co_u32_e32 v36, vcc, s28, v36
	v_addc_co_u32_e32 v37, vcc, v37, v2, vcc
	v_cmp_le_u64_e32 vcc, s[12:13], v[38:39]
	s_mov_b64 s[48:49], 0
	s_orn2_b64 s[52:53], vcc, exec
.LBB180_249:                            ;   in Loop: Header=BB180_250 Depth=2
	s_and_b64 s[52:53], exec, s[52:53]
	s_or_b64 s[8:9], s[52:53], s[8:9]
	s_andn2_b64 s[36:37], s[36:37], exec
	s_and_b64 s[48:49], s[48:49], exec
	s_or_b64 s[36:37], s[36:37], s[48:49]
	s_andn2_b64 exec, exec, s[8:9]
	s_cbranch_execz .LBB180_254
.LBB180_250:                            ;   Parent Loop BB180_6 Depth=1
                                        ; =>  This Inner Loop Header: Depth=2
	v_cmp_gt_u64_e32 vcc, s[24:25], v[38:39]
	s_and_saveexec_b64 s[48:49], vcc
	s_cbranch_execz .LBB180_247
; %bb.251:                              ;   in Loop: Header=BB180_250 Depth=2
	global_load_dwordx2 v[4:5], v[36:37], off
	s_waitcnt vmcnt(0)
	v_cmp_o_f64_e32 vcc, v[4:5], v[4:5]
	v_ashrrev_i32_e32 v2, 31, v5
	v_or_b32_e32 v8, 0x80000000, v2
	v_xor_b32_e32 v8, v8, v5
	v_xor_b32_e32 v2, v2, v4
	v_cndmask_b32_e32 v8, -1, v8, vcc
	v_cndmask_b32_e32 v2, -1, v2, vcc
	v_and_b32_e32 v9, v8, v15
	v_and_b32_e32 v8, v2, v14
	v_cmp_eq_u64_e32 vcc, v[8:9], v[12:13]
	s_and_b64 exec, exec, vcc
	s_cbranch_execz .LBB180_247
; %bb.252:                              ;   in Loop: Header=BB180_250 Depth=2
	v_mov_b32_e32 v2, v19
	ds_write_b128 v19, v[2:5] offset:3072
	s_branch .LBB180_247
.LBB180_253:                            ;   in Loop: Header=BB180_250 Depth=2
	s_mov_b64 s[52:53], -1
                                        ; implicit-def: $vgpr38_vgpr39
                                        ; implicit-def: $vgpr36_vgpr37
	s_mov_b64 s[48:49], -1
	s_branch .LBB180_249
.LBB180_254:                            ;   in Loop: Header=BB180_6 Depth=1
	s_or_b64 exec, exec, s[8:9]
	s_andn2_b64 s[8:9], s[54:55], exec
	s_and_b64 s[12:13], s[36:37], exec
	v_readlane_b32 s52, v56, 42
	s_or_b64 s[54:55], s[8:9], s[12:13]
	v_readlane_b32 s53, v56, 43
.LBB180_255:                            ;   in Loop: Header=BB180_6 Depth=1
	s_or_b64 exec, exec, s[4:5]
	s_mov_b64 s[4:5], 0
	v_writelane_b32 v56, s4, 52
	v_writelane_b32 v56, s5, 53
	s_mov_b64 s[48:49], -1
.LBB180_256:                            ;   in Loop: Header=BB180_6 Depth=1
	s_orn2_b64 s[8:9], s[54:55], exec
	v_readlane_b32 s54, v56, 52
	v_readlane_b32 s55, v56, 53
.LBB180_257:                            ;   in Loop: Header=BB180_6 Depth=1
	v_readlane_b32 s4, v56, 50
	v_readlane_b32 s5, v56, 51
	s_or_b64 exec, exec, s[4:5]
	s_mov_b64 s[12:13], 0
	s_and_saveexec_b64 s[4:5], s[8:9]
	v_readlane_b32 s36, v56, 44
	v_readlane_b32 s37, v56, 45
	s_cbranch_execz .LBB180_268
; %bb.258:                              ;   in Loop: Header=BB180_6 Depth=1
	v_readlane_b32 s8, v56, 48
	v_readlane_b32 s9, v56, 49
	v_mov_b32_e32 v4, 1
	s_xor_b64 s[12:13], s[8:9], -1
	v_mov_b32_e32 v5, 0
	v_mov_b32_e32 v52, 1
	s_and_saveexec_b64 s[8:9], s[12:13]
	s_cbranch_execz .LBB180_267
; %bb.259:                              ;   in Loop: Header=BB180_6 Depth=1
	v_cmp_ge_u64_e32 vcc, s[40:41], v[34:35]
	v_writelane_b32 v56, s48, 50
	v_writelane_b32 v56, s49, 51
	s_and_saveexec_b64 s[12:13], vcc
	s_xor_b64 s[12:13], exec, s[12:13]
	s_cbranch_execz .LBB180_264
; %bb.260:                              ;   in Loop: Header=BB180_6 Depth=1
	ds_read_b64 v[4:5], v19 offset:5120
	v_or_b32_e32 v13, s19, v13
	v_or_b32_e32 v12, s18, v12
	;; [unrolled: 1-line block ×4, first 2 shown]
	s_waitcnt lgkmcnt(0)
	v_cmp_ne_u64_e32 vcc, 0, v[4:5]
	s_cbranch_vccnz .LBB180_264
; %bb.261:                              ;   in Loop: Header=BB180_6 Depth=1
	s_mov_b64 s[36:37], exec
	v_readlane_b32 s48, v56, 8
	v_readlane_b32 s49, v56, 9
	s_and_b64 s[48:49], s[36:37], s[48:49]
	s_mov_b64 exec, s[48:49]
; %bb.262:                              ;   in Loop: Header=BB180_6 Depth=1
	v_mov_b32_e32 v4, s40
	v_mov_b32_e32 v5, s41
	ds_write_b64 v19, v[4:5] offset:5128
; %bb.263:                              ;   in Loop: Header=BB180_6 Depth=1
	s_or_b64 exec, exec, s[36:37]
	s_waitcnt lgkmcnt(0)
	s_barrier
.LBB180_264:                            ;   in Loop: Header=BB180_6 Depth=1
	s_andn2_saveexec_b64 s[12:13], s[12:13]
; %bb.265:                              ;   in Loop: Header=BB180_6 Depth=1
	v_mov_b32_e32 v2, s41
	v_subrev_co_u32_e32 v34, vcc, s40, v34
	v_subb_co_u32_e32 v35, vcc, v35, v2, vcc
; %bb.266:                              ;   in Loop: Header=BB180_6 Depth=1
	s_or_b64 exec, exec, s[12:13]
	v_mov_b32_e32 v4, v34
	v_readlane_b32 s36, v56, 44
	v_readlane_b32 s48, v56, 50
	v_mov_b32_e32 v52, 8
	v_mov_b32_e32 v5, v35
	v_readlane_b32 s37, v56, 45
	v_readlane_b32 s49, v56, 51
.LBB180_267:                            ;   in Loop: Header=BB180_6 Depth=1
	s_or_b64 exec, exec, s[8:9]
	v_mov_b32_e32 v35, v5
	s_mov_b64 s[12:13], exec
	v_mov_b32_e32 v34, v4
.LBB180_268:                            ;   in Loop: Header=BB180_6 Depth=1
	s_or_b64 exec, exec, s[4:5]
	s_orn2_b64 s[4:5], s[12:13], exec
.LBB180_269:                            ;   in Loop: Header=BB180_6 Depth=1
	s_or_b64 exec, exec, s[64:65]
	s_andn2_b64 s[8:9], s[36:37], exec
	s_and_b64 s[12:13], s[48:49], exec
	s_or_b64 s[36:37], s[8:9], s[12:13]
	v_readlane_b32 s8, v56, 46
	v_readlane_b32 s9, v56, 47
	s_andn2_b64 s[8:9], s[8:9], exec
	s_and_b64 s[12:13], s[54:55], exec
	v_mov_b32_e32 v37, v35
	s_or_b64 s[12:13], s[8:9], s[12:13]
	s_and_b64 s[8:9], s[4:5], exec
	v_mov_b32_e32 v36, v34
.LBB180_270:                            ;   in Loop: Header=BB180_6 Depth=1
	s_or_b64 exec, exec, s[10:11]
	s_orn2_b64 s[4:5], s[8:9], exec
.LBB180_271:                            ;   in Loop: Header=BB180_6 Depth=1
	s_or_b64 exec, exec, s[20:21]
	s_andn2_b64 s[8:9], s[44:45], exec
	s_and_b64 s[10:11], s[36:37], exec
	s_or_b64 s[44:45], s[8:9], s[10:11]
	s_andn2_b64 s[8:9], s[42:43], exec
	s_and_b64 s[10:11], s[12:13], exec
	v_mov_b32_e32 v34, v36
	s_or_b64 s[42:43], s[8:9], s[10:11]
	s_and_b64 s[10:11], s[4:5], exec
	v_mov_b32_e32 v35, v37
.LBB180_272:                            ;   in Loop: Header=BB180_6 Depth=1
	s_or_b64 exec, exec, s[62:63]
	s_orn2_b64 s[4:5], s[10:11], exec
.LBB180_273:                            ;   in Loop: Header=BB180_6 Depth=1
	s_or_b64 exec, exec, s[6:7]
	s_mov_b64 s[6:7], 0
	s_mov_b64 s[8:9], 0
	s_and_saveexec_b64 s[10:11], s[4:5]
	s_xor_b64 s[4:5], exec, s[10:11]
; %bb.274:                              ;   in Loop: Header=BB180_6 Depth=1
	v_cmp_eq_u32_e32 vcc, 8, v52
	v_cmp_ne_u32_e64 s[6:7], 8, v52
	s_and_b64 s[8:9], s[6:7], exec
	s_and_b64 s[6:7], vcc, exec
; %bb.275:                              ;   in Loop: Header=BB180_6 Depth=1
	s_or_b64 exec, exec, s[4:5]
	s_andn2_b64 s[4:5], s[30:31], exec
	s_and_b64 s[10:11], s[44:45], exec
	s_or_b64 s[30:31], s[4:5], s[10:11]
	s_andn2_b64 s[2:3], s[2:3], exec
	s_and_b64 s[4:5], s[42:43], exec
	s_or_b64 s[2:3], s[2:3], s[4:5]
	s_and_b64 s[42:43], s[8:9], exec
	s_and_b64 s[44:45], s[6:7], exec
.LBB180_276:                            ;   in Loop: Header=BB180_6 Depth=1
	s_or_b64 exec, exec, s[60:61]
.LBB180_277:                            ;   in Loop: Header=BB180_6 Depth=1
	s_and_b64 vcc, exec, s[34:35]
	s_cbranch_vccz .LBB180_294
; %bb.278:                              ;   in Loop: Header=BB180_6 Depth=1
	s_cmp_eq_u64 s[40:41], 1
	s_cselect_b64 s[2:3], -1, 0
	s_and_b64 s[6:7], s[2:3], s[14:15]
	s_mov_b64 s[4:5], -1
                                        ; implicit-def: $sgpr14_sgpr15
                                        ; implicit-def: $sgpr92_sgpr93
	s_and_saveexec_b64 s[2:3], s[6:7]
	s_cbranch_execz .LBB180_313
; %bb.279:                              ;   in Loop: Header=BB180_6 Depth=1
	ds_read_b64 v[4:5], v19 offset:5120
	s_waitcnt lgkmcnt(0)
	s_barrier
	v_readfirstlane_b32 s10, v4
	v_readfirstlane_b32 s11, v5
	s_mov_b64 s[4:5], exec
	v_readlane_b32 s8, v56, 24
	v_readlane_b32 s9, v56, 25
	s_and_b64 s[8:9], s[4:5], s[8:9]
	s_mov_b64 exec, s[8:9]
; %bb.280:                              ;   in Loop: Header=BB180_6 Depth=1
	v_mov_b32_e32 v18, v19
	ds_write_b64 v45, v[18:19]
; %bb.281:                              ;   in Loop: Header=BB180_6 Depth=1
	s_or_b64 exec, exec, s[4:5]
	v_or_b32_e32 v27, s19, v27
	v_or_b32_e32 v26, s18, v26
	;; [unrolled: 1-line block ×4, first 2 shown]
	s_mov_b64 s[92:93], -1
	s_mov_b64 s[14:15], 0
	s_cmp_eq_u64 s[10:11], 0
	s_mov_b64 s[8:9], 0
	s_mov_b64 s[12:13], -1
	s_waitcnt lgkmcnt(0)
	s_barrier
                                        ; implicit-def: $vgpr6_vgpr7
	s_cbranch_scc1 .LBB180_297
; %bb.282:                              ;   in Loop: Header=BB180_6 Depth=1
	v_readlane_b32 s4, v56, 28
	s_add_u32 s20, s10, s4
	v_readlane_b32 s4, v56, 30
	s_addc_u32 s9, s11, s4
	s_mov_b32 s8, s51
	s_cmp_lg_u64 s[8:9], 0
	s_cbranch_scc0 .LBB180_340
; %bb.283:                              ;   in Loop: Header=BB180_6 Depth=1
	v_cvt_f32_u32_e32 v2, s33
	s_sub_u32 s8, 0, s33
	s_subb_u32 s12, 0, 0
	v_mac_f32_e32 v2, 0, v51
	v_rcp_f32_e32 v2, v2
	v_mul_f32_e32 v2, 0x5f7ffffc, v2
	v_mul_f32_e32 v4, 0x2f800000, v2
	v_trunc_f32_e32 v4, v4
	v_mac_f32_e32 v2, 0xcf800000, v4
	v_cvt_u32_f32_e32 v4, v4
	v_cvt_u32_f32_e32 v2, v2
	v_readfirstlane_b32 s13, v4
	v_readfirstlane_b32 s4, v2
	s_mul_i32 s5, s8, s13
	s_mul_hi_u32 s30, s8, s4
	s_mul_i32 s21, s12, s4
	s_add_i32 s5, s30, s5
	s_mul_i32 s31, s8, s4
	s_add_i32 s5, s5, s21
	s_mul_hi_u32 s30, s4, s31
	s_mul_i32 s34, s4, s5
	s_mul_hi_u32 s21, s4, s5
	s_add_u32 s30, s30, s34
	s_addc_u32 s21, 0, s21
	s_mul_hi_u32 s35, s13, s31
	s_mul_i32 s31, s13, s31
	s_add_u32 s30, s30, s31
	s_mul_hi_u32 s34, s13, s5
	s_addc_u32 s21, s21, s35
	s_addc_u32 s30, s34, 0
	s_mul_i32 s5, s13, s5
	s_add_u32 s5, s21, s5
	s_addc_u32 s21, 0, s30
	s_add_u32 s30, s4, s5
	s_cselect_b64 s[4:5], -1, 0
	s_cmp_lg_u64 s[4:5], 0
	s_addc_u32 s13, s13, s21
	s_mul_i32 s4, s8, s13
	s_mul_hi_u32 s5, s8, s30
	s_add_i32 s4, s5, s4
	s_mul_i32 s12, s12, s30
	s_add_i32 s4, s4, s12
	s_mul_i32 s8, s8, s30
	s_mul_hi_u32 s12, s13, s8
	s_mul_i32 s21, s13, s8
	s_mul_i32 s34, s30, s4
	s_mul_hi_u32 s8, s30, s8
	s_mul_hi_u32 s31, s30, s4
	s_add_u32 s8, s8, s34
	s_addc_u32 s31, 0, s31
	s_add_u32 s8, s8, s21
	s_mul_hi_u32 s5, s13, s4
	s_addc_u32 s8, s31, s12
	s_addc_u32 s5, s5, 0
	s_mul_i32 s4, s13, s4
	s_add_u32 s4, s8, s4
	s_addc_u32 s8, 0, s5
	s_add_u32 s12, s30, s4
	s_cselect_b64 s[4:5], -1, 0
	s_cmp_lg_u64 s[4:5], 0
	s_addc_u32 s4, s13, s8
	s_mul_i32 s8, s20, s4
	s_mul_hi_u32 s13, s20, s12
	s_mul_hi_u32 s5, s20, s4
	s_add_u32 s8, s13, s8
	s_addc_u32 s5, 0, s5
	s_mul_hi_u32 s21, s9, s12
	s_mul_i32 s12, s9, s12
	s_add_u32 s8, s8, s12
	s_mul_hi_u32 s13, s9, s4
	s_addc_u32 s5, s5, s21
	s_addc_u32 s8, s13, 0
	s_mul_i32 s4, s9, s4
	s_add_u32 s4, s5, s4
	s_addc_u32 s5, 0, s8
	s_mul_i32 s5, s33, s5
	s_mul_hi_u32 s8, s33, s4
	s_add_i32 s8, s8, s5
	s_mul_i32 s4, s33, s4
	s_sub_u32 s12, s20, s4
	s_cselect_b64 s[4:5], -1, 0
	s_cmp_lg_u64 s[4:5], 0
	s_subb_u32 s8, s9, s8
	s_sub_u32 s13, s12, s33
	s_cselect_b64 s[4:5], -1, 0
	s_cmp_lg_u64 s[4:5], 0
	s_subb_u32 s21, s8, 0
	;; [unrolled: 4-line block ×3, first 2 shown]
	s_cmp_ge_u32 s13, s33
	s_cselect_b32 s5, -1, 0
	s_cmp_eq_u32 s21, 0
	s_cselect_b32 s5, s5, -1
	s_cmp_lg_u32 s5, 0
	s_cselect_b32 s4, s4, s21
	s_cselect_b32 s13, s30, s13
	s_cmp_ge_u32 s12, s33
	s_cselect_b32 s5, -1, 0
	s_cmp_eq_u32 s8, 0
	s_cselect_b32 s5, s5, -1
	s_cmp_lg_u32 s5, 0
	s_cselect_b32 s5, s4, s8
	s_cselect_b32 s4, s13, s12
	s_cbranch_execnz .LBB180_285
.LBB180_284:                            ;   in Loop: Header=BB180_6 Depth=1
	v_cvt_f32_u32_e32 v2, s33
	s_sub_i32 s4, 0, s33
	v_rcp_iflag_f32_e32 v2, v2
	v_mul_f32_e32 v2, 0x4f7ffffe, v2
	v_cvt_u32_f32_e32 v2, v2
	v_readfirstlane_b32 s5, v2
	s_mul_i32 s4, s4, s5
	s_mul_hi_u32 s4, s5, s4
	s_add_i32 s5, s5, s4
	s_mul_hi_u32 s4, s20, s5
	s_mul_i32 s4, s4, s33
	s_sub_i32 s4, s20, s4
	s_sub_i32 s5, s4, s33
	s_cmp_ge_u32 s4, s33
	s_cselect_b32 s4, s5, s4
	s_sub_i32 s5, s4, s33
	s_cmp_ge_u32 s4, s33
	s_cselect_b32 s50, s5, s4
	s_mov_b64 s[4:5], s[50:51]
.LBB180_285:                            ;   in Loop: Header=BB180_6 Depth=1
	s_sub_u32 s20, s20, s4
	s_subb_u32 s21, s9, s5
	v_cmp_gt_u64_e32 vcc, s[20:21], v[0:1]
	s_mov_b64 s[12:13], 0
	s_mov_b64 s[8:9], 0
                                        ; implicit-def: $vgpr6_vgpr7
	s_and_saveexec_b64 s[4:5], vcc
	s_cbranch_execz .LBB180_296
; %bb.286:                              ;   in Loop: Header=BB180_6 Depth=1
	v_mov_b32_e32 v9, v1
	v_mov_b32_e32 v10, v44
	v_mov_b32_e32 v8, v0
                                        ; implicit-def: $sgpr30_sgpr31
	s_branch .LBB180_290
.LBB180_287:                            ;   in Loop: Header=BB180_290 Depth=2
	s_or_b64 exec, exec, s[34:35]
	s_waitcnt lgkmcnt(0)
	s_barrier
	ds_read_b128 v[4:7], v19 offset:3072
	s_waitcnt lgkmcnt(0)
	s_barrier
	v_cmp_neq_f64_e32 vcc, 0, v[4:5]
	s_cbranch_vccnz .LBB180_293
; %bb.288:                              ;   in Loop: Header=BB180_290 Depth=2
	v_add_co_u32_e32 v8, vcc, s33, v8
	v_addc_co_u32_e32 v9, vcc, 0, v9, vcc
	v_cmp_le_u64_e32 vcc, s[20:21], v[8:9]
	v_add_u32_e32 v10, s58, v10
	s_mov_b64 s[34:35], 0
	s_orn2_b64 s[36:37], vcc, exec
.LBB180_289:                            ;   in Loop: Header=BB180_290 Depth=2
	s_and_b64 s[36:37], exec, s[36:37]
	s_or_b64 s[8:9], s[36:37], s[8:9]
	s_andn2_b64 s[30:31], s[30:31], exec
	s_and_b64 s[34:35], s[34:35], exec
	s_or_b64 s[30:31], s[30:31], s[34:35]
	s_andn2_b64 exec, exec, s[8:9]
	s_cbranch_execz .LBB180_295
.LBB180_290:                            ;   Parent Loop BB180_6 Depth=1
                                        ; =>  This Inner Loop Header: Depth=2
	v_cmp_gt_u64_e32 vcc, s[10:11], v[8:9]
	s_and_saveexec_b64 s[34:35], vcc
	s_cbranch_execz .LBB180_287
; %bb.291:                              ;   in Loop: Header=BB180_290 Depth=2
	ds_read_b64 v[4:5], v10
	s_waitcnt lgkmcnt(0)
	v_cmp_o_f64_e32 vcc, v[4:5], v[4:5]
	v_ashrrev_i32_e32 v2, 31, v5
	v_or_b32_e32 v6, 0x80000000, v2
	v_xor_b32_e32 v6, v6, v5
	v_xor_b32_e32 v2, v2, v4
	v_cndmask_b32_e32 v6, -1, v6, vcc
	v_cndmask_b32_e32 v2, -1, v2, vcc
	v_and_b32_e32 v7, v6, v31
	v_and_b32_e32 v6, v2, v30
	v_cmp_eq_u64_e32 vcc, v[6:7], v[26:27]
	s_and_b64 exec, exec, vcc
	s_cbranch_execz .LBB180_287
; %bb.292:                              ;   in Loop: Header=BB180_290 Depth=2
	v_mov_b32_e32 v2, v19
	ds_write_b128 v19, v[2:5] offset:3072
	s_branch .LBB180_287
.LBB180_293:                            ;   in Loop: Header=BB180_290 Depth=2
	s_mov_b64 s[36:37], -1
                                        ; implicit-def: $vgpr8_vgpr9
                                        ; implicit-def: $vgpr10
	s_mov_b64 s[34:35], -1
	s_branch .LBB180_289
.LBB180_294:                            ;   in Loop: Header=BB180_6 Depth=1
	v_mov_b32_e32 v27, v13
	v_mov_b32_e32 v31, v15
	v_mov_b32_e32 v6, v10
	s_mov_b64 s[14:15], 0
	v_mov_b32_e32 v26, v12
	v_mov_b32_e32 v30, v14
	;; [unrolled: 1-line block ×3, first 2 shown]
	s_and_saveexec_b64 s[4:5], s[44:45]
	s_cbranch_execnz .LBB180_478
	s_branch .LBB180_479
.LBB180_295:                            ;   in Loop: Header=BB180_6 Depth=1
	s_or_b64 exec, exec, s[8:9]
	s_and_b64 s[8:9], s[30:31], exec
.LBB180_296:                            ;   in Loop: Header=BB180_6 Depth=1
	s_or_b64 exec, exec, s[4:5]
.LBB180_297:                            ;   in Loop: Header=BB180_6 Depth=1
	s_and_b64 vcc, exec, s[12:13]
	s_cbranch_vccz .LBB180_312
; %bb.298:                              ;   in Loop: Header=BB180_6 Depth=1
	v_readlane_b32 s30, v56, 31
	v_readlane_b32 s31, v56, 32
	s_mov_b32 s30, s51
	s_cmp_lg_u64 s[30:31], 0
	v_writelane_b32 v56, s30, 31
	v_writelane_b32 v56, s31, 32
	s_cbranch_scc0 .LBB180_341
; %bb.299:                              ;   in Loop: Header=BB180_6 Depth=1
	v_cvt_f32_u32_e32 v2, s33
	s_sub_u32 s10, 0, s33
	s_subb_u32 s11, 0, 0
	v_mac_f32_e32 v2, 0, v51
	v_rcp_f32_e32 v2, v2
	v_mul_f32_e32 v2, 0x5f7ffffc, v2
	v_mul_f32_e32 v4, 0x2f800000, v2
	v_trunc_f32_e32 v4, v4
	v_mac_f32_e32 v2, 0xcf800000, v4
	v_cvt_u32_f32_e32 v4, v4
	v_cvt_u32_f32_e32 v2, v2
	v_readfirstlane_b32 s12, v4
	v_readfirstlane_b32 s4, v2
	s_mul_i32 s5, s10, s12
	s_mul_hi_u32 s14, s10, s4
	s_mul_i32 s13, s11, s4
	s_add_i32 s5, s14, s5
	s_mul_i32 s15, s10, s4
	s_add_i32 s5, s5, s13
	s_mul_hi_u32 s14, s4, s15
	s_mul_i32 s20, s4, s5
	s_mul_hi_u32 s13, s4, s5
	s_add_u32 s14, s14, s20
	s_addc_u32 s13, 0, s13
	s_mul_hi_u32 s21, s12, s15
	s_mul_i32 s15, s12, s15
	s_add_u32 s14, s14, s15
	s_mul_hi_u32 s20, s12, s5
	s_addc_u32 s13, s13, s21
	s_addc_u32 s14, s20, 0
	s_mul_i32 s5, s12, s5
	s_add_u32 s5, s13, s5
	s_addc_u32 s13, 0, s14
	s_add_u32 s14, s4, s5
	s_cselect_b64 s[4:5], -1, 0
	s_cmp_lg_u64 s[4:5], 0
	s_addc_u32 s12, s12, s13
	s_mul_i32 s4, s10, s12
	s_mul_hi_u32 s5, s10, s14
	s_add_i32 s4, s5, s4
	s_mul_i32 s11, s11, s14
	s_add_i32 s4, s4, s11
	s_mul_i32 s10, s10, s14
	s_mul_hi_u32 s11, s12, s10
	s_mul_i32 s13, s12, s10
	s_mul_i32 s20, s14, s4
	s_mul_hi_u32 s10, s14, s10
	s_mul_hi_u32 s15, s14, s4
	s_add_u32 s10, s10, s20
	s_addc_u32 s15, 0, s15
	s_add_u32 s10, s10, s13
	s_mul_hi_u32 s5, s12, s4
	s_addc_u32 s10, s15, s11
	s_addc_u32 s5, s5, 0
	s_mul_i32 s4, s12, s4
	s_add_u32 s4, s10, s4
	s_addc_u32 s10, 0, s5
	s_add_u32 s11, s14, s4
	s_cselect_b64 s[4:5], -1, 0
	s_cmp_lg_u64 s[4:5], 0
	s_addc_u32 s4, s12, s10
	v_readlane_b32 s14, v56, 29
	s_mul_i32 s10, s14, s4
	s_mul_hi_u32 s12, s14, s11
	s_mul_hi_u32 s5, s14, s4
	s_add_u32 s10, s12, s10
	s_addc_u32 s5, 0, s5
	s_mul_hi_u32 s13, s31, s11
	s_mul_i32 s11, s31, s11
	s_add_u32 s10, s10, s11
	s_mul_hi_u32 s12, s31, s4
	s_addc_u32 s5, s5, s13
	s_addc_u32 s10, s12, 0
	s_mul_i32 s4, s31, s4
	s_add_u32 s4, s5, s4
	s_addc_u32 s5, 0, s10
	s_mul_i32 s5, s33, s5
	s_mul_hi_u32 s10, s33, s4
	s_add_i32 s10, s10, s5
	s_mul_i32 s4, s33, s4
	s_sub_u32 s11, s14, s4
	s_cselect_b64 s[4:5], -1, 0
	s_cmp_lg_u64 s[4:5], 0
	s_subb_u32 s10, s31, s10
	s_sub_u32 s12, s11, s33
	s_cselect_b64 s[4:5], -1, 0
	s_cmp_lg_u64 s[4:5], 0
	s_subb_u32 s13, s10, 0
	;; [unrolled: 4-line block ×3, first 2 shown]
	s_cmp_ge_u32 s12, s33
	s_cselect_b32 s5, -1, 0
	s_cmp_eq_u32 s13, 0
	s_cselect_b32 s5, s5, -1
	s_cmp_lg_u32 s5, 0
	s_cselect_b32 s4, s4, s13
	s_cselect_b32 s12, s14, s12
	s_cmp_ge_u32 s11, s33
	s_cselect_b32 s5, -1, 0
	s_cmp_eq_u32 s10, 0
	s_cselect_b32 s5, s5, -1
	s_cmp_lg_u32 s5, 0
	s_cselect_b32 s5, s4, s10
	s_cselect_b32 s4, s12, s11
	s_cbranch_execnz .LBB180_301
.LBB180_300:                            ;   in Loop: Header=BB180_6 Depth=1
	v_cvt_f32_u32_e32 v2, s33
	s_sub_i32 s4, 0, s33
	v_readlane_b32 s10, v56, 29
	v_rcp_iflag_f32_e32 v2, v2
	v_mul_f32_e32 v2, 0x4f7ffffe, v2
	v_cvt_u32_f32_e32 v2, v2
	v_readfirstlane_b32 s5, v2
	s_mul_i32 s4, s4, s5
	s_mul_hi_u32 s4, s5, s4
	s_add_i32 s5, s5, s4
	s_mul_hi_u32 s4, s10, s5
	s_mul_i32 s4, s4, s33
	s_sub_i32 s4, s10, s4
	s_sub_i32 s5, s4, s33
	s_cmp_ge_u32 s4, s33
	s_cselect_b32 s4, s5, s4
	s_sub_i32 s5, s4, s33
	s_cmp_ge_u32 s4, s33
	s_cselect_b32 s50, s5, s4
	s_mov_b64 s[4:5], s[50:51]
.LBB180_301:                            ;   in Loop: Header=BB180_6 Depth=1
	v_readlane_b32 s10, v56, 29
	v_readlane_b32 s12, v56, 31
	s_sub_u32 s10, s10, s4
	v_readlane_b32 s13, v56, 32
	s_subb_u32 s11, s13, s5
	v_cmp_gt_u64_e32 vcc, s[10:11], v[0:1]
                                        ; implicit-def: $vgpr6_vgpr7
	s_and_saveexec_b64 s[4:5], vcc
	s_cbranch_execz .LBB180_311
; %bb.302:                              ;   in Loop: Header=BB180_6 Depth=1
	v_mov_b32_e32 v8, v16
	v_mov_b32_e32 v11, v1
	s_mov_b64 s[14:15], 0
	v_mov_b32_e32 v9, v17
	v_mov_b32_e32 v10, v0
                                        ; implicit-def: $sgpr12_sgpr13
	s_branch .LBB180_306
.LBB180_303:                            ;   in Loop: Header=BB180_306 Depth=2
	s_or_b64 exec, exec, s[20:21]
	s_waitcnt lgkmcnt(0)
	s_barrier
	ds_read_b128 v[4:7], v19 offset:3072
	s_waitcnt lgkmcnt(0)
	s_barrier
	v_cmp_neq_f64_e32 vcc, 0, v[4:5]
	s_cbranch_vccnz .LBB180_309
; %bb.304:                              ;   in Loop: Header=BB180_306 Depth=2
	v_add_co_u32_e32 v10, vcc, s33, v10
	v_addc_co_u32_e32 v11, vcc, 0, v11, vcc
	v_mov_b32_e32 v2, s29
	v_add_co_u32_e32 v8, vcc, s28, v8
	v_addc_co_u32_e32 v9, vcc, v9, v2, vcc
	v_cmp_le_u64_e32 vcc, s[10:11], v[10:11]
	s_mov_b64 s[20:21], 0
	s_orn2_b64 s[30:31], vcc, exec
.LBB180_305:                            ;   in Loop: Header=BB180_306 Depth=2
	s_and_b64 s[30:31], exec, s[30:31]
	s_or_b64 s[14:15], s[30:31], s[14:15]
	s_andn2_b64 s[12:13], s[12:13], exec
	s_and_b64 s[20:21], s[20:21], exec
	s_or_b64 s[12:13], s[12:13], s[20:21]
	s_andn2_b64 exec, exec, s[14:15]
	s_cbranch_execz .LBB180_310
.LBB180_306:                            ;   Parent Loop BB180_6 Depth=1
                                        ; =>  This Inner Loop Header: Depth=2
	v_cmp_gt_u64_e32 vcc, s[24:25], v[10:11]
	s_and_saveexec_b64 s[20:21], vcc
	s_cbranch_execz .LBB180_303
; %bb.307:                              ;   in Loop: Header=BB180_306 Depth=2
	global_load_dwordx2 v[4:5], v[8:9], off
	s_waitcnt vmcnt(0)
	v_cmp_o_f64_e32 vcc, v[4:5], v[4:5]
	v_ashrrev_i32_e32 v2, 31, v5
	v_or_b32_e32 v6, 0x80000000, v2
	v_xor_b32_e32 v6, v6, v5
	v_xor_b32_e32 v2, v2, v4
	v_cndmask_b32_e32 v6, -1, v6, vcc
	v_cndmask_b32_e32 v2, -1, v2, vcc
	v_and_b32_e32 v7, v6, v31
	v_and_b32_e32 v6, v2, v30
	v_cmp_eq_u64_e32 vcc, v[6:7], v[26:27]
	s_and_b64 exec, exec, vcc
	s_cbranch_execz .LBB180_303
; %bb.308:                              ;   in Loop: Header=BB180_306 Depth=2
	v_mov_b32_e32 v2, v19
	ds_write_b128 v19, v[2:5] offset:3072
	s_branch .LBB180_303
.LBB180_309:                            ;   in Loop: Header=BB180_306 Depth=2
	s_mov_b64 s[30:31], -1
                                        ; implicit-def: $vgpr10_vgpr11
                                        ; implicit-def: $vgpr8_vgpr9
	s_mov_b64 s[20:21], -1
	s_branch .LBB180_305
.LBB180_310:                            ;   in Loop: Header=BB180_6 Depth=1
	s_or_b64 exec, exec, s[14:15]
	s_andn2_b64 s[8:9], s[8:9], exec
	s_and_b64 s[10:11], s[12:13], exec
	s_or_b64 s[8:9], s[8:9], s[10:11]
.LBB180_311:                            ;   in Loop: Header=BB180_6 Depth=1
	s_or_b64 exec, exec, s[4:5]
	s_mov_b64 s[92:93], 0
	s_mov_b64 s[14:15], -1
.LBB180_312:                            ;   in Loop: Header=BB180_6 Depth=1
	s_orn2_b64 s[4:5], s[8:9], exec
.LBB180_313:                            ;   in Loop: Header=BB180_6 Depth=1
	s_or_b64 exec, exec, s[2:3]
                                        ; implicit-def: $vgpr34_vgpr35
                                        ; implicit-def: $vgpr52
	s_and_saveexec_b64 s[2:3], s[4:5]
	s_cbranch_execz .LBB180_477
; %bb.314:                              ;   in Loop: Header=BB180_6 Depth=1
	v_mov_b32_e32 v34, 1
	s_xor_b64 s[8:9], s[6:7], -1
	v_mov_b32_e32 v52, 1
	v_mov_b32_e32 v35, 0
	s_mov_b64 s[6:7], 0
	s_and_saveexec_b64 s[4:5], s[8:9]
	s_cbranch_execz .LBB180_323
; %bb.315:                              ;   in Loop: Header=BB180_6 Depth=1
	v_cmp_ge_u64_e32 vcc, s[40:41], v[32:33]
	s_and_saveexec_b64 s[6:7], vcc
	s_xor_b64 s[6:7], exec, s[6:7]
	s_cbranch_execz .LBB180_320
; %bb.316:                              ;   in Loop: Header=BB180_6 Depth=1
	ds_read_b64 v[4:5], v19 offset:5120
	v_or_b32_e32 v27, s19, v27
	v_or_b32_e32 v26, s18, v26
	;; [unrolled: 1-line block ×4, first 2 shown]
	s_waitcnt lgkmcnt(0)
	v_cmp_ne_u64_e32 vcc, 0, v[4:5]
	s_cbranch_vccnz .LBB180_320
; %bb.317:                              ;   in Loop: Header=BB180_6 Depth=1
	s_mov_b64 s[8:9], exec
	v_readlane_b32 s10, v56, 8
	v_readlane_b32 s11, v56, 9
	s_and_b64 s[10:11], s[8:9], s[10:11]
	s_mov_b64 exec, s[10:11]
; %bb.318:                              ;   in Loop: Header=BB180_6 Depth=1
	v_mov_b32_e32 v4, s40
	v_mov_b32_e32 v5, s41
	ds_write_b64 v19, v[4:5] offset:5128
; %bb.319:                              ;   in Loop: Header=BB180_6 Depth=1
	s_or_b64 exec, exec, s[8:9]
	s_waitcnt lgkmcnt(0)
	s_barrier
.LBB180_320:                            ;   in Loop: Header=BB180_6 Depth=1
	s_or_saveexec_b64 s[6:7], s[6:7]
	s_mov_b64 s[8:9], 0
	v_mov_b32_e32 v52, 5
	s_xor_b64 exec, exec, s[6:7]
; %bb.321:                              ;   in Loop: Header=BB180_6 Depth=1
	v_subrev_co_u32_e32 v32, vcc, s40, v32
	v_mov_b32_e32 v2, s41
	v_subb_co_u32_e32 v33, vcc, v33, v2, vcc
	v_mov_b32_e32 v52, 0
	s_mov_b64 s[8:9], exec
; %bb.322:                              ;   in Loop: Header=BB180_6 Depth=1
	s_or_b64 exec, exec, s[6:7]
	v_mov_b32_e32 v35, v33
	s_and_b64 s[6:7], s[8:9], exec
	v_mov_b32_e32 v34, v32
.LBB180_323:                            ;   in Loop: Header=BB180_6 Depth=1
	s_or_b64 exec, exec, s[4:5]
	s_mov_b64 s[4:5], -1
                                        ; implicit-def: $sgpr30_sgpr31
                                        ; implicit-def: $sgpr34_sgpr35
	s_and_saveexec_b64 s[8:9], s[6:7]
	s_xor_b64 s[6:7], exec, s[8:9]
	s_cbranch_execz .LBB180_474
; %bb.324:                              ;   in Loop: Header=BB180_6 Depth=1
	s_cmp_eq_u64 s[38:39], 1
	v_cmp_eq_u64_e32 vcc, 1, v[34:35]
	s_cselect_b64 s[4:5], -1, 0
	s_and_b64 s[8:9], s[4:5], vcc
	s_mov_b64 s[4:5], -1
                                        ; implicit-def: $sgpr34_sgpr35
                                        ; implicit-def: $sgpr30_sgpr31
	s_and_saveexec_b64 s[10:11], s[8:9]
	s_cbranch_execz .LBB180_360
; %bb.325:                              ;   in Loop: Header=BB180_6 Depth=1
	ds_read_b64 v[4:5], v19 offset:5120
	s_waitcnt lgkmcnt(0)
	s_barrier
	v_readfirstlane_b32 s36, v4
	v_readfirstlane_b32 s37, v5
	s_mov_b64 s[4:5], exec
	v_readlane_b32 s12, v56, 24
	v_readlane_b32 s13, v56, 25
	s_and_b64 s[12:13], s[4:5], s[12:13]
	s_mov_b64 exec, s[12:13]
; %bb.326:                              ;   in Loop: Header=BB180_6 Depth=1
	v_mov_b32_e32 v18, v19
	ds_write_b64 v45, v[18:19]
; %bb.327:                              ;   in Loop: Header=BB180_6 Depth=1
	s_or_b64 exec, exec, s[4:5]
	s_lshl_b64 s[4:5], 2, s56
	v_and_b32_e32 v2, s91, v27
	v_and_b32_e32 v4, s90, v26
	v_or_b32_e32 v27, s5, v2
	v_or_b32_e32 v26, s4, v4
	;; [unrolled: 1-line block ×4, first 2 shown]
	s_mov_b64 s[30:31], -1
	s_mov_b64 s[34:35], 0
	s_cmp_eq_u64 s[36:37], 0
	s_mov_b64 s[20:21], 0
	s_mov_b64 s[12:13], -1
	s_waitcnt lgkmcnt(0)
	s_barrier
                                        ; implicit-def: $vgpr6_vgpr7
	s_cbranch_scc1 .LBB180_344
; %bb.328:                              ;   in Loop: Header=BB180_6 Depth=1
	v_readlane_b32 s4, v56, 28
	s_add_u32 s40, s36, s4
	v_readlane_b32 s4, v56, 30
	s_addc_u32 s13, s37, s4
	s_mov_b32 s12, s51
	s_cmp_lg_u64 s[12:13], 0
	s_cbranch_scc0 .LBB180_387
; %bb.329:                              ;   in Loop: Header=BB180_6 Depth=1
	v_cvt_f32_u32_e32 v2, s33
	s_sub_u32 s12, 0, s33
	s_subb_u32 s20, 0, 0
	v_mac_f32_e32 v2, 0, v51
	v_rcp_f32_e32 v2, v2
	v_mul_f32_e32 v2, 0x5f7ffffc, v2
	v_mul_f32_e32 v4, 0x2f800000, v2
	v_trunc_f32_e32 v4, v4
	v_mac_f32_e32 v2, 0xcf800000, v4
	v_cvt_u32_f32_e32 v4, v4
	v_cvt_u32_f32_e32 v2, v2
	v_readfirstlane_b32 s21, v4
	v_readfirstlane_b32 s4, v2
	s_mul_i32 s5, s12, s21
	s_mul_hi_u32 s48, s12, s4
	s_mul_i32 s41, s20, s4
	s_add_i32 s5, s48, s5
	s_mul_i32 s49, s12, s4
	s_add_i32 s5, s5, s41
	s_mul_hi_u32 s48, s4, s49
	s_mul_i32 s50, s4, s5
	s_mul_hi_u32 s41, s4, s5
	s_add_u32 s48, s48, s50
	s_addc_u32 s41, 0, s41
	s_mul_hi_u32 s52, s21, s49
	s_mul_i32 s49, s21, s49
	s_add_u32 s48, s48, s49
	s_mul_hi_u32 s50, s21, s5
	s_addc_u32 s41, s41, s52
	s_addc_u32 s48, s50, 0
	s_mul_i32 s5, s21, s5
	s_add_u32 s5, s41, s5
	s_addc_u32 s41, 0, s48
	s_add_u32 s48, s4, s5
	s_cselect_b64 s[4:5], -1, 0
	s_cmp_lg_u64 s[4:5], 0
	s_addc_u32 s21, s21, s41
	s_mul_i32 s4, s12, s21
	s_mul_hi_u32 s5, s12, s48
	s_add_i32 s4, s5, s4
	s_mul_i32 s20, s20, s48
	s_add_i32 s4, s4, s20
	s_mul_i32 s12, s12, s48
	s_mul_hi_u32 s20, s21, s12
	s_mul_i32 s41, s21, s12
	s_mul_i32 s50, s48, s4
	s_mul_hi_u32 s12, s48, s12
	s_mul_hi_u32 s49, s48, s4
	s_add_u32 s12, s12, s50
	s_addc_u32 s49, 0, s49
	s_add_u32 s12, s12, s41
	s_mul_hi_u32 s5, s21, s4
	s_addc_u32 s12, s49, s20
	s_addc_u32 s5, s5, 0
	s_mul_i32 s4, s21, s4
	s_add_u32 s4, s12, s4
	s_addc_u32 s12, 0, s5
	s_add_u32 s20, s48, s4
	s_cselect_b64 s[4:5], -1, 0
	s_cmp_lg_u64 s[4:5], 0
	s_addc_u32 s4, s21, s12
	s_mul_i32 s12, s40, s4
	s_mul_hi_u32 s21, s40, s20
	s_mul_hi_u32 s5, s40, s4
	s_add_u32 s12, s21, s12
	s_addc_u32 s5, 0, s5
	s_mul_hi_u32 s41, s13, s20
	s_mul_i32 s20, s13, s20
	s_add_u32 s12, s12, s20
	s_mul_hi_u32 s21, s13, s4
	s_addc_u32 s5, s5, s41
	s_addc_u32 s12, s21, 0
	s_mul_i32 s4, s13, s4
	s_add_u32 s4, s5, s4
	s_addc_u32 s5, 0, s12
	s_mul_i32 s5, s33, s5
	s_mul_hi_u32 s12, s33, s4
	s_add_i32 s12, s12, s5
	s_mul_i32 s4, s33, s4
	s_sub_u32 s20, s40, s4
	s_cselect_b64 s[4:5], -1, 0
	s_cmp_lg_u64 s[4:5], 0
	s_subb_u32 s12, s13, s12
	s_sub_u32 s21, s20, s33
	s_cselect_b64 s[4:5], -1, 0
	s_cmp_lg_u64 s[4:5], 0
	s_subb_u32 s41, s12, 0
	;; [unrolled: 4-line block ×3, first 2 shown]
	s_cmp_ge_u32 s21, s33
	s_cselect_b32 s5, -1, 0
	s_cmp_eq_u32 s41, 0
	s_cselect_b32 s5, s5, -1
	s_cmp_lg_u32 s5, 0
	s_cselect_b32 s4, s4, s41
	s_cselect_b32 s21, s48, s21
	s_cmp_ge_u32 s20, s33
	s_cselect_b32 s5, -1, 0
	s_cmp_eq_u32 s12, 0
	s_cselect_b32 s5, s5, -1
	s_cmp_lg_u32 s5, 0
	s_cselect_b32 s5, s4, s12
	s_cselect_b32 s4, s21, s20
	s_cbranch_execnz .LBB180_331
.LBB180_330:                            ;   in Loop: Header=BB180_6 Depth=1
	v_cvt_f32_u32_e32 v2, s33
	s_sub_i32 s4, 0, s33
	v_rcp_iflag_f32_e32 v2, v2
	v_mul_f32_e32 v2, 0x4f7ffffe, v2
	v_cvt_u32_f32_e32 v2, v2
	v_readfirstlane_b32 s5, v2
	s_mul_i32 s4, s4, s5
	s_mul_hi_u32 s4, s5, s4
	s_add_i32 s5, s5, s4
	s_mul_hi_u32 s4, s40, s5
	s_mul_i32 s4, s4, s33
	s_sub_i32 s4, s40, s4
	s_sub_i32 s5, s4, s33
	s_cmp_ge_u32 s4, s33
	s_cselect_b32 s4, s5, s4
	s_sub_i32 s5, s4, s33
	s_cmp_ge_u32 s4, s33
	s_cselect_b32 s50, s5, s4
	s_mov_b64 s[4:5], s[50:51]
.LBB180_331:                            ;   in Loop: Header=BB180_6 Depth=1
	s_sub_u32 s40, s40, s4
	s_subb_u32 s41, s13, s5
	v_cmp_gt_u64_e32 vcc, s[40:41], v[0:1]
	s_mov_b64 s[12:13], 0
	s_mov_b64 s[20:21], 0
                                        ; implicit-def: $vgpr6_vgpr7
	s_and_saveexec_b64 s[4:5], vcc
	s_cbranch_execz .LBB180_343
; %bb.332:                              ;   in Loop: Header=BB180_6 Depth=1
	v_mov_b32_e32 v9, v1
	v_mov_b32_e32 v10, v44
	;; [unrolled: 1-line block ×3, first 2 shown]
                                        ; implicit-def: $sgpr54_sgpr55
	s_branch .LBB180_336
.LBB180_333:                            ;   in Loop: Header=BB180_336 Depth=2
	s_or_b64 exec, exec, s[48:49]
	s_waitcnt lgkmcnt(0)
	s_barrier
	ds_read_b128 v[4:7], v19 offset:3072
	s_waitcnt lgkmcnt(0)
	s_barrier
	v_cmp_neq_f64_e32 vcc, 0, v[4:5]
	s_cbranch_vccnz .LBB180_339
; %bb.334:                              ;   in Loop: Header=BB180_336 Depth=2
	v_add_co_u32_e32 v8, vcc, s33, v8
	v_addc_co_u32_e32 v9, vcc, 0, v9, vcc
	v_cmp_le_u64_e32 vcc, s[40:41], v[8:9]
	v_add_u32_e32 v10, s58, v10
	s_mov_b64 s[48:49], 0
	s_orn2_b64 s[52:53], vcc, exec
.LBB180_335:                            ;   in Loop: Header=BB180_336 Depth=2
	s_and_b64 s[52:53], exec, s[52:53]
	s_or_b64 s[20:21], s[52:53], s[20:21]
	s_andn2_b64 s[52:53], s[54:55], exec
	s_and_b64 s[48:49], s[48:49], exec
	s_or_b64 s[54:55], s[52:53], s[48:49]
	s_andn2_b64 exec, exec, s[20:21]
	s_cbranch_execz .LBB180_342
.LBB180_336:                            ;   Parent Loop BB180_6 Depth=1
                                        ; =>  This Inner Loop Header: Depth=2
	v_cmp_gt_u64_e32 vcc, s[36:37], v[8:9]
	s_and_saveexec_b64 s[48:49], vcc
	s_cbranch_execz .LBB180_333
; %bb.337:                              ;   in Loop: Header=BB180_336 Depth=2
	ds_read_b64 v[4:5], v10
	s_waitcnt lgkmcnt(0)
	v_cmp_o_f64_e32 vcc, v[4:5], v[4:5]
	v_ashrrev_i32_e32 v2, 31, v5
	v_or_b32_e32 v6, 0x80000000, v2
	v_xor_b32_e32 v6, v6, v5
	v_xor_b32_e32 v2, v2, v4
	v_cndmask_b32_e32 v6, -1, v6, vcc
	v_cndmask_b32_e32 v2, -1, v2, vcc
	v_and_b32_e32 v7, v6, v31
	v_and_b32_e32 v6, v2, v30
	v_cmp_eq_u64_e32 vcc, v[6:7], v[26:27]
	s_and_b64 exec, exec, vcc
	s_cbranch_execz .LBB180_333
; %bb.338:                              ;   in Loop: Header=BB180_336 Depth=2
	v_mov_b32_e32 v2, v19
	ds_write_b128 v19, v[2:5] offset:3072
	s_branch .LBB180_333
.LBB180_339:                            ;   in Loop: Header=BB180_336 Depth=2
	s_mov_b64 s[52:53], -1
                                        ; implicit-def: $vgpr8_vgpr9
                                        ; implicit-def: $vgpr10
	s_mov_b64 s[48:49], -1
	s_branch .LBB180_335
.LBB180_340:                            ;   in Loop: Header=BB180_6 Depth=1
                                        ; implicit-def: $sgpr4_sgpr5
	s_andn2_b64 vcc, exec, s[12:13]
	s_cbranch_vccz .LBB180_284
	s_branch .LBB180_285
.LBB180_341:                            ;   in Loop: Header=BB180_6 Depth=1
                                        ; implicit-def: $sgpr4_sgpr5
	s_branch .LBB180_300
.LBB180_342:                            ;   in Loop: Header=BB180_6 Depth=1
	s_or_b64 exec, exec, s[20:21]
	s_and_b64 s[20:21], s[54:55], exec
.LBB180_343:                            ;   in Loop: Header=BB180_6 Depth=1
	s_or_b64 exec, exec, s[4:5]
	v_readlane_b32 s52, v56, 42
	v_readlane_b32 s53, v56, 43
.LBB180_344:                            ;   in Loop: Header=BB180_6 Depth=1
	s_and_b64 vcc, exec, s[12:13]
	s_cbranch_vccz .LBB180_359
; %bb.345:                              ;   in Loop: Header=BB180_6 Depth=1
	v_readlane_b32 s40, v56, 31
	v_readlane_b32 s41, v56, 32
	s_mov_b32 s40, s51
	s_cmp_lg_u64 s[40:41], 0
	v_writelane_b32 v56, s40, 31
	v_writelane_b32 v56, s41, 32
	s_cbranch_scc0 .LBB180_388
; %bb.346:                              ;   in Loop: Header=BB180_6 Depth=1
	v_cvt_f32_u32_e32 v2, s33
	s_sub_u32 s12, 0, s33
	s_subb_u32 s13, 0, 0
	v_mac_f32_e32 v2, 0, v51
	v_rcp_f32_e32 v2, v2
	v_mul_f32_e32 v2, 0x5f7ffffc, v2
	v_mul_f32_e32 v4, 0x2f800000, v2
	v_trunc_f32_e32 v4, v4
	v_mac_f32_e32 v2, 0xcf800000, v4
	v_cvt_u32_f32_e32 v4, v4
	v_cvt_u32_f32_e32 v2, v2
	v_readfirstlane_b32 s30, v4
	v_readfirstlane_b32 s4, v2
	s_mul_i32 s5, s12, s30
	s_mul_hi_u32 s34, s12, s4
	s_mul_i32 s31, s13, s4
	s_add_i32 s5, s34, s5
	s_mul_i32 s35, s12, s4
	s_add_i32 s5, s5, s31
	s_mul_hi_u32 s34, s4, s35
	s_mul_i32 s36, s4, s5
	s_mul_hi_u32 s31, s4, s5
	s_add_u32 s34, s34, s36
	s_addc_u32 s31, 0, s31
	s_mul_hi_u32 s37, s30, s35
	s_mul_i32 s35, s30, s35
	s_add_u32 s34, s34, s35
	s_mul_hi_u32 s36, s30, s5
	s_addc_u32 s31, s31, s37
	s_addc_u32 s34, s36, 0
	s_mul_i32 s5, s30, s5
	s_add_u32 s5, s31, s5
	s_addc_u32 s31, 0, s34
	s_add_u32 s34, s4, s5
	s_cselect_b64 s[4:5], -1, 0
	s_cmp_lg_u64 s[4:5], 0
	s_addc_u32 s30, s30, s31
	s_mul_i32 s4, s12, s30
	s_mul_hi_u32 s5, s12, s34
	s_add_i32 s4, s5, s4
	s_mul_i32 s13, s13, s34
	s_add_i32 s4, s4, s13
	s_mul_i32 s12, s12, s34
	s_mul_hi_u32 s13, s30, s12
	s_mul_i32 s31, s30, s12
	s_mul_i32 s36, s34, s4
	s_mul_hi_u32 s12, s34, s12
	s_mul_hi_u32 s35, s34, s4
	s_add_u32 s12, s12, s36
	s_addc_u32 s35, 0, s35
	s_add_u32 s12, s12, s31
	s_mul_hi_u32 s5, s30, s4
	s_addc_u32 s12, s35, s13
	s_addc_u32 s5, s5, 0
	s_mul_i32 s4, s30, s4
	s_add_u32 s4, s12, s4
	s_addc_u32 s12, 0, s5
	s_add_u32 s13, s34, s4
	s_cselect_b64 s[4:5], -1, 0
	s_cmp_lg_u64 s[4:5], 0
	s_addc_u32 s4, s30, s12
	v_readlane_b32 s34, v56, 29
	s_mul_i32 s12, s34, s4
	s_mul_hi_u32 s30, s34, s13
	s_mul_hi_u32 s5, s34, s4
	s_add_u32 s12, s30, s12
	s_addc_u32 s5, 0, s5
	s_mul_hi_u32 s31, s41, s13
	s_mul_i32 s13, s41, s13
	s_add_u32 s12, s12, s13
	s_mul_hi_u32 s30, s41, s4
	s_addc_u32 s5, s5, s31
	s_addc_u32 s12, s30, 0
	s_mul_i32 s4, s41, s4
	s_add_u32 s4, s5, s4
	s_addc_u32 s5, 0, s12
	s_mul_i32 s5, s33, s5
	s_mul_hi_u32 s12, s33, s4
	s_add_i32 s12, s12, s5
	s_mul_i32 s4, s33, s4
	s_sub_u32 s13, s34, s4
	s_cselect_b64 s[4:5], -1, 0
	s_cmp_lg_u64 s[4:5], 0
	s_subb_u32 s12, s41, s12
	s_sub_u32 s30, s13, s33
	s_cselect_b64 s[4:5], -1, 0
	s_cmp_lg_u64 s[4:5], 0
	s_subb_u32 s31, s12, 0
	;; [unrolled: 4-line block ×3, first 2 shown]
	s_cmp_ge_u32 s30, s33
	s_cselect_b32 s5, -1, 0
	s_cmp_eq_u32 s31, 0
	s_cselect_b32 s5, s5, -1
	s_cmp_lg_u32 s5, 0
	s_cselect_b32 s4, s4, s31
	s_cselect_b32 s30, s34, s30
	s_cmp_ge_u32 s13, s33
	s_cselect_b32 s5, -1, 0
	s_cmp_eq_u32 s12, 0
	s_cselect_b32 s5, s5, -1
	s_cmp_lg_u32 s5, 0
	s_cselect_b32 s5, s4, s12
	s_cselect_b32 s4, s30, s13
	s_cbranch_execnz .LBB180_348
.LBB180_347:                            ;   in Loop: Header=BB180_6 Depth=1
	v_cvt_f32_u32_e32 v2, s33
	s_sub_i32 s4, 0, s33
	v_readlane_b32 s12, v56, 29
	v_rcp_iflag_f32_e32 v2, v2
	v_mul_f32_e32 v2, 0x4f7ffffe, v2
	v_cvt_u32_f32_e32 v2, v2
	v_readfirstlane_b32 s5, v2
	s_mul_i32 s4, s4, s5
	s_mul_hi_u32 s4, s5, s4
	s_add_i32 s5, s5, s4
	s_mul_hi_u32 s4, s12, s5
	s_mul_i32 s4, s4, s33
	s_sub_i32 s4, s12, s4
	s_sub_i32 s5, s4, s33
	s_cmp_ge_u32 s4, s33
	s_cselect_b32 s4, s5, s4
	s_sub_i32 s5, s4, s33
	s_cmp_ge_u32 s4, s33
	s_cselect_b32 s50, s5, s4
	s_mov_b64 s[4:5], s[50:51]
.LBB180_348:                            ;   in Loop: Header=BB180_6 Depth=1
	v_readlane_b32 s12, v56, 29
	v_readlane_b32 s30, v56, 31
	s_sub_u32 s12, s12, s4
	v_readlane_b32 s31, v56, 32
	s_subb_u32 s13, s31, s5
	v_cmp_gt_u64_e32 vcc, s[12:13], v[0:1]
                                        ; implicit-def: $vgpr6_vgpr7
	s_and_saveexec_b64 s[4:5], vcc
	s_cbranch_execz .LBB180_358
; %bb.349:                              ;   in Loop: Header=BB180_6 Depth=1
	v_mov_b32_e32 v8, v16
	v_mov_b32_e32 v11, v1
	s_mov_b64 s[30:31], 0
	v_mov_b32_e32 v9, v17
	v_mov_b32_e32 v10, v0
                                        ; implicit-def: $sgpr34_sgpr35
	s_branch .LBB180_353
.LBB180_350:                            ;   in Loop: Header=BB180_353 Depth=2
	s_or_b64 exec, exec, s[36:37]
	s_waitcnt lgkmcnt(0)
	s_barrier
	ds_read_b128 v[4:7], v19 offset:3072
	s_waitcnt lgkmcnt(0)
	s_barrier
	v_cmp_eq_f64_e32 vcc, 0, v[4:5]
	s_cbranch_vccz .LBB180_356
; %bb.351:                              ;   in Loop: Header=BB180_353 Depth=2
	v_add_co_u32_e32 v10, vcc, s33, v10
	v_addc_co_u32_e32 v11, vcc, 0, v11, vcc
	v_mov_b32_e32 v2, s29
	v_add_co_u32_e32 v8, vcc, s28, v8
	v_addc_co_u32_e32 v9, vcc, v9, v2, vcc
	v_cmp_le_u64_e32 vcc, s[12:13], v[10:11]
	s_mov_b64 s[36:37], 0
	s_orn2_b64 s[40:41], vcc, exec
.LBB180_352:                            ;   in Loop: Header=BB180_353 Depth=2
	s_and_b64 s[40:41], exec, s[40:41]
	s_or_b64 s[30:31], s[40:41], s[30:31]
	s_andn2_b64 s[34:35], s[34:35], exec
	s_and_b64 s[36:37], s[36:37], exec
	s_or_b64 s[34:35], s[34:35], s[36:37]
	s_andn2_b64 exec, exec, s[30:31]
	s_cbranch_execz .LBB180_357
.LBB180_353:                            ;   Parent Loop BB180_6 Depth=1
                                        ; =>  This Inner Loop Header: Depth=2
	v_cmp_gt_u64_e32 vcc, s[24:25], v[10:11]
	s_and_saveexec_b64 s[36:37], vcc
	s_cbranch_execz .LBB180_350
; %bb.354:                              ;   in Loop: Header=BB180_353 Depth=2
	global_load_dwordx2 v[4:5], v[8:9], off
	s_waitcnt vmcnt(0)
	v_cmp_o_f64_e32 vcc, v[4:5], v[4:5]
	v_ashrrev_i32_e32 v2, 31, v5
	v_or_b32_e32 v6, 0x80000000, v2
	v_xor_b32_e32 v6, v6, v5
	v_xor_b32_e32 v2, v2, v4
	v_cndmask_b32_e32 v6, -1, v6, vcc
	v_cndmask_b32_e32 v2, -1, v2, vcc
	v_and_b32_e32 v7, v6, v31
	v_and_b32_e32 v6, v2, v30
	v_cmp_eq_u64_e32 vcc, v[6:7], v[26:27]
	s_and_b64 exec, exec, vcc
	s_cbranch_execz .LBB180_350
; %bb.355:                              ;   in Loop: Header=BB180_353 Depth=2
	v_mov_b32_e32 v2, v19
	ds_write_b128 v19, v[2:5] offset:3072
	s_branch .LBB180_350
.LBB180_356:                            ;   in Loop: Header=BB180_353 Depth=2
	s_mov_b64 s[40:41], -1
                                        ; implicit-def: $vgpr10_vgpr11
                                        ; implicit-def: $vgpr8_vgpr9
	s_mov_b64 s[36:37], -1
	s_branch .LBB180_352
.LBB180_357:                            ;   in Loop: Header=BB180_6 Depth=1
	s_or_b64 exec, exec, s[30:31]
	s_andn2_b64 s[12:13], s[20:21], exec
	s_and_b64 s[20:21], s[34:35], exec
	s_or_b64 s[20:21], s[12:13], s[20:21]
.LBB180_358:                            ;   in Loop: Header=BB180_6 Depth=1
	s_or_b64 exec, exec, s[4:5]
	s_mov_b64 s[30:31], 0
	s_mov_b64 s[34:35], -1
.LBB180_359:                            ;   in Loop: Header=BB180_6 Depth=1
	s_orn2_b64 s[4:5], s[20:21], exec
.LBB180_360:                            ;   in Loop: Header=BB180_6 Depth=1
	s_or_b64 exec, exec, s[10:11]
	s_mov_b64 s[10:11], 0
	s_and_saveexec_b64 s[40:41], s[4:5]
	s_cbranch_execz .LBB180_473
; %bb.361:                              ;   in Loop: Header=BB180_6 Depth=1
	v_mov_b32_e32 v8, 1
	s_xor_b64 s[4:5], s[8:9], -1
	v_mov_b32_e32 v52, 1
	v_mov_b32_e32 v9, 0
	s_and_saveexec_b64 s[8:9], s[4:5]
	s_cbranch_execz .LBB180_370
; %bb.362:                              ;   in Loop: Header=BB180_6 Depth=1
	v_cmp_ge_u64_e32 vcc, s[38:39], v[34:35]
	s_and_saveexec_b64 s[4:5], vcc
	s_xor_b64 s[4:5], exec, s[4:5]
	s_cbranch_execz .LBB180_367
; %bb.363:                              ;   in Loop: Header=BB180_6 Depth=1
	s_lshl_b64 s[10:11], 2, s56
	v_and_b32_e32 v4, s90, v26
	v_or_b32_e32 v26, s10, v4
	ds_read_b64 v[4:5], v19 offset:5120
	v_and_b32_e32 v2, s91, v27
	v_or_b32_e32 v27, s11, v2
	v_or_b32_e32 v31, s19, v31
	;; [unrolled: 1-line block ×3, first 2 shown]
	s_waitcnt lgkmcnt(0)
	v_cmp_ne_u64_e32 vcc, 0, v[4:5]
	s_cbranch_vccnz .LBB180_367
; %bb.364:                              ;   in Loop: Header=BB180_6 Depth=1
	s_mov_b64 s[10:11], exec
	v_readlane_b32 s12, v56, 8
	v_readlane_b32 s13, v56, 9
	s_and_b64 s[12:13], s[10:11], s[12:13]
	s_mov_b64 exec, s[12:13]
; %bb.365:                              ;   in Loop: Header=BB180_6 Depth=1
	v_mov_b32_e32 v4, s38
	v_mov_b32_e32 v5, s39
	ds_write_b64 v19, v[4:5] offset:5128
; %bb.366:                              ;   in Loop: Header=BB180_6 Depth=1
	s_or_b64 exec, exec, s[10:11]
	s_waitcnt lgkmcnt(0)
	s_barrier
.LBB180_367:                            ;   in Loop: Header=BB180_6 Depth=1
	s_or_saveexec_b64 s[4:5], s[4:5]
	s_mov_b64 s[10:11], 0
	v_mov_b32_e32 v52, 5
	s_xor_b64 exec, exec, s[4:5]
; %bb.368:                              ;   in Loop: Header=BB180_6 Depth=1
	v_subrev_co_u32_e32 v34, vcc, s38, v34
	v_mov_b32_e32 v2, s39
	v_subb_co_u32_e32 v35, vcc, v35, v2, vcc
	v_mov_b32_e32 v52, 0
	s_mov_b64 s[10:11], exec
; %bb.369:                              ;   in Loop: Header=BB180_6 Depth=1
	s_or_b64 exec, exec, s[4:5]
	v_mov_b32_e32 v8, v34
	s_and_b64 s[10:11], s[10:11], exec
	v_mov_b32_e32 v9, v35
.LBB180_370:                            ;   in Loop: Header=BB180_6 Depth=1
	s_or_b64 exec, exec, s[8:9]
	s_mov_b64 s[4:5], -1
                                        ; implicit-def: $sgpr20_sgpr21
                                        ; implicit-def: $sgpr36_sgpr37
	s_and_saveexec_b64 s[38:39], s[10:11]
	s_cbranch_execz .LBB180_472
; %bb.371:                              ;   in Loop: Header=BB180_6 Depth=1
	s_cmp_eq_u64 s[94:95], 1
	v_cmp_eq_u64_e32 vcc, 1, v[8:9]
	s_cselect_b64 s[4:5], -1, 0
	s_and_b64 s[10:11], s[4:5], vcc
	s_mov_b64 s[4:5], -1
                                        ; implicit-def: $sgpr36_sgpr37
                                        ; implicit-def: $sgpr20_sgpr21
	s_and_saveexec_b64 s[8:9], s[10:11]
	s_cbranch_execz .LBB180_407
; %bb.372:                              ;   in Loop: Header=BB180_6 Depth=1
	ds_read_b64 v[4:5], v19 offset:5120
	s_waitcnt lgkmcnt(0)
	s_barrier
	v_readfirstlane_b32 s54, v4
	v_readfirstlane_b32 s55, v5
	s_mov_b64 s[4:5], exec
	v_readlane_b32 s12, v56, 24
	v_readlane_b32 s13, v56, 25
	s_and_b64 s[12:13], s[4:5], s[12:13]
	s_mov_b64 exec, s[12:13]
; %bb.373:                              ;   in Loop: Header=BB180_6 Depth=1
	v_mov_b32_e32 v18, v19
	ds_write_b64 v45, v[18:19]
; %bb.374:                              ;   in Loop: Header=BB180_6 Depth=1
	s_or_b64 exec, exec, s[4:5]
	s_lshl_b64 s[4:5], 1, s56
	v_and_b32_e32 v2, s91, v27
	v_and_b32_e32 v4, s90, v26
	v_or_b32_e32 v27, s5, v2
	v_or_b32_e32 v26, s4, v4
	;; [unrolled: 1-line block ×4, first 2 shown]
	s_mov_b64 s[20:21], -1
	s_mov_b64 s[36:37], 0
	s_cmp_eq_u64 s[54:55], 0
	s_mov_b64 s[60:61], 0
	s_mov_b64 s[12:13], -1
	s_waitcnt lgkmcnt(0)
	s_barrier
                                        ; implicit-def: $vgpr6_vgpr7
	s_cbranch_scc1 .LBB180_391
; %bb.375:                              ;   in Loop: Header=BB180_6 Depth=1
	v_readlane_b32 s4, v56, 28
	s_add_u32 s52, s54, s4
	v_readlane_b32 s4, v56, 30
	s_addc_u32 s13, s55, s4
	s_mov_b32 s12, s51
	s_cmp_lg_u64 s[12:13], 0
	s_cbranch_scc0 .LBB180_424
; %bb.376:                              ;   in Loop: Header=BB180_6 Depth=1
	v_cvt_f32_u32_e32 v2, s33
	s_sub_u32 s12, 0, s33
	s_subb_u32 s48, 0, 0
	v_mac_f32_e32 v2, 0, v51
	v_rcp_f32_e32 v2, v2
	v_mul_f32_e32 v2, 0x5f7ffffc, v2
	v_mul_f32_e32 v4, 0x2f800000, v2
	v_trunc_f32_e32 v4, v4
	v_mac_f32_e32 v2, 0xcf800000, v4
	v_cvt_u32_f32_e32 v4, v4
	v_cvt_u32_f32_e32 v2, v2
	v_readfirstlane_b32 s49, v4
	v_readfirstlane_b32 s4, v2
	s_mul_i32 s5, s12, s49
	s_mul_hi_u32 s53, s12, s4
	s_mul_i32 s50, s48, s4
	s_add_i32 s5, s53, s5
	s_mul_i32 s60, s12, s4
	s_add_i32 s5, s5, s50
	s_mul_hi_u32 s53, s4, s60
	s_mul_i32 s61, s4, s5
	s_mul_hi_u32 s50, s4, s5
	s_add_u32 s53, s53, s61
	s_addc_u32 s50, 0, s50
	s_mul_hi_u32 s62, s49, s60
	s_mul_i32 s60, s49, s60
	s_add_u32 s53, s53, s60
	s_mul_hi_u32 s61, s49, s5
	s_addc_u32 s50, s50, s62
	s_addc_u32 s53, s61, 0
	s_mul_i32 s5, s49, s5
	s_add_u32 s5, s50, s5
	s_addc_u32 s50, 0, s53
	s_add_u32 s53, s4, s5
	s_cselect_b64 s[4:5], -1, 0
	s_cmp_lg_u64 s[4:5], 0
	s_addc_u32 s49, s49, s50
	s_mul_i32 s4, s12, s49
	s_mul_hi_u32 s5, s12, s53
	s_add_i32 s4, s5, s4
	s_mul_i32 s48, s48, s53
	s_add_i32 s4, s4, s48
	s_mul_i32 s12, s12, s53
	s_mul_hi_u32 s48, s49, s12
	s_mul_i32 s50, s49, s12
	s_mul_i32 s61, s53, s4
	s_mul_hi_u32 s12, s53, s12
	s_mul_hi_u32 s60, s53, s4
	s_add_u32 s12, s12, s61
	s_addc_u32 s60, 0, s60
	s_add_u32 s12, s12, s50
	s_mul_hi_u32 s5, s49, s4
	s_addc_u32 s12, s60, s48
	s_addc_u32 s5, s5, 0
	s_mul_i32 s4, s49, s4
	s_add_u32 s4, s12, s4
	s_addc_u32 s12, 0, s5
	s_add_u32 s48, s53, s4
	s_cselect_b64 s[4:5], -1, 0
	s_cmp_lg_u64 s[4:5], 0
	s_addc_u32 s4, s49, s12
	s_mul_i32 s12, s52, s4
	s_mul_hi_u32 s49, s52, s48
	s_mul_hi_u32 s5, s52, s4
	s_add_u32 s12, s49, s12
	s_addc_u32 s5, 0, s5
	s_mul_hi_u32 s50, s13, s48
	s_mul_i32 s48, s13, s48
	s_add_u32 s12, s12, s48
	s_mul_hi_u32 s49, s13, s4
	s_addc_u32 s5, s5, s50
	s_addc_u32 s12, s49, 0
	s_mul_i32 s4, s13, s4
	s_add_u32 s4, s5, s4
	s_addc_u32 s5, 0, s12
	s_mul_i32 s5, s33, s5
	s_mul_hi_u32 s12, s33, s4
	s_add_i32 s12, s12, s5
	s_mul_i32 s4, s33, s4
	s_sub_u32 s48, s52, s4
	s_cselect_b64 s[4:5], -1, 0
	s_cmp_lg_u64 s[4:5], 0
	s_subb_u32 s12, s13, s12
	s_sub_u32 s49, s48, s33
	s_cselect_b64 s[4:5], -1, 0
	s_cmp_lg_u64 s[4:5], 0
	s_subb_u32 s50, s12, 0
	;; [unrolled: 4-line block ×3, first 2 shown]
	s_cmp_ge_u32 s49, s33
	s_cselect_b32 s5, -1, 0
	s_cmp_eq_u32 s50, 0
	s_cselect_b32 s5, s5, -1
	s_cmp_lg_u32 s5, 0
	s_cselect_b32 s4, s4, s50
	s_cselect_b32 s49, s53, s49
	s_cmp_ge_u32 s48, s33
	s_cselect_b32 s5, -1, 0
	s_cmp_eq_u32 s12, 0
	s_cselect_b32 s5, s5, -1
	s_cmp_lg_u32 s5, 0
	s_cselect_b32 s5, s4, s12
	s_cselect_b32 s4, s49, s48
	s_cbranch_execnz .LBB180_378
.LBB180_377:                            ;   in Loop: Header=BB180_6 Depth=1
	v_cvt_f32_u32_e32 v2, s33
	s_sub_i32 s4, 0, s33
	v_rcp_iflag_f32_e32 v2, v2
	v_mul_f32_e32 v2, 0x4f7ffffe, v2
	v_cvt_u32_f32_e32 v2, v2
	v_readfirstlane_b32 s5, v2
	s_mul_i32 s4, s4, s5
	s_mul_hi_u32 s4, s5, s4
	s_add_i32 s5, s5, s4
	s_mul_hi_u32 s4, s52, s5
	s_mul_i32 s4, s4, s33
	s_sub_i32 s4, s52, s4
	s_sub_i32 s5, s4, s33
	s_cmp_ge_u32 s4, s33
	s_cselect_b32 s4, s5, s4
	s_sub_i32 s5, s4, s33
	s_cmp_ge_u32 s4, s33
	s_cselect_b32 s50, s5, s4
	s_mov_b64 s[4:5], s[50:51]
.LBB180_378:                            ;   in Loop: Header=BB180_6 Depth=1
	s_sub_u32 s62, s52, s4
	s_subb_u32 s63, s13, s5
	v_cmp_gt_u64_e32 vcc, s[62:63], v[0:1]
	s_mov_b64 s[12:13], 0
	s_mov_b64 s[60:61], 0
                                        ; implicit-def: $vgpr6_vgpr7
	s_and_saveexec_b64 s[4:5], vcc
	s_cbranch_execz .LBB180_390
; %bb.379:                              ;   in Loop: Header=BB180_6 Depth=1
	v_mov_b32_e32 v11, v1
	v_mov_b32_e32 v12, v44
	;; [unrolled: 1-line block ×3, first 2 shown]
                                        ; implicit-def: $sgpr64_sgpr65
	s_branch .LBB180_383
.LBB180_380:                            ;   in Loop: Header=BB180_383 Depth=2
	s_or_b64 exec, exec, s[48:49]
	s_waitcnt lgkmcnt(0)
	s_barrier
	ds_read_b128 v[4:7], v19 offset:3072
	s_waitcnt lgkmcnt(0)
	s_barrier
	v_cmp_neq_f64_e32 vcc, 0, v[4:5]
	s_cbranch_vccnz .LBB180_386
; %bb.381:                              ;   in Loop: Header=BB180_383 Depth=2
	v_add_co_u32_e32 v10, vcc, s33, v10
	v_addc_co_u32_e32 v11, vcc, 0, v11, vcc
	v_cmp_le_u64_e32 vcc, s[62:63], v[10:11]
	v_add_u32_e32 v12, s58, v12
	s_mov_b64 s[48:49], 0
	s_orn2_b64 s[52:53], vcc, exec
.LBB180_382:                            ;   in Loop: Header=BB180_383 Depth=2
	s_and_b64 s[52:53], exec, s[52:53]
	s_or_b64 s[60:61], s[52:53], s[60:61]
	s_andn2_b64 s[52:53], s[64:65], exec
	s_and_b64 s[48:49], s[48:49], exec
	s_or_b64 s[64:65], s[52:53], s[48:49]
	s_andn2_b64 exec, exec, s[60:61]
	s_cbranch_execz .LBB180_389
.LBB180_383:                            ;   Parent Loop BB180_6 Depth=1
                                        ; =>  This Inner Loop Header: Depth=2
	v_cmp_gt_u64_e32 vcc, s[54:55], v[10:11]
	s_and_saveexec_b64 s[48:49], vcc
	s_cbranch_execz .LBB180_380
; %bb.384:                              ;   in Loop: Header=BB180_383 Depth=2
	ds_read_b64 v[4:5], v12
	s_waitcnt lgkmcnt(0)
	v_cmp_o_f64_e32 vcc, v[4:5], v[4:5]
	v_ashrrev_i32_e32 v2, 31, v5
	v_or_b32_e32 v6, 0x80000000, v2
	v_xor_b32_e32 v6, v6, v5
	v_xor_b32_e32 v2, v2, v4
	v_cndmask_b32_e32 v6, -1, v6, vcc
	v_cndmask_b32_e32 v2, -1, v2, vcc
	v_and_b32_e32 v7, v6, v31
	v_and_b32_e32 v6, v2, v30
	v_cmp_eq_u64_e32 vcc, v[6:7], v[26:27]
	s_and_b64 exec, exec, vcc
	s_cbranch_execz .LBB180_380
; %bb.385:                              ;   in Loop: Header=BB180_383 Depth=2
	v_mov_b32_e32 v2, v19
	ds_write_b128 v19, v[2:5] offset:3072
	s_branch .LBB180_380
.LBB180_386:                            ;   in Loop: Header=BB180_383 Depth=2
	s_mov_b64 s[52:53], -1
                                        ; implicit-def: $vgpr10_vgpr11
                                        ; implicit-def: $vgpr12
	s_mov_b64 s[48:49], -1
	s_branch .LBB180_382
.LBB180_387:                            ;   in Loop: Header=BB180_6 Depth=1
                                        ; implicit-def: $sgpr4_sgpr5
	s_branch .LBB180_330
.LBB180_388:                            ;   in Loop: Header=BB180_6 Depth=1
                                        ; implicit-def: $sgpr4_sgpr5
	s_branch .LBB180_347
.LBB180_389:                            ;   in Loop: Header=BB180_6 Depth=1
	s_or_b64 exec, exec, s[60:61]
	s_and_b64 s[60:61], s[64:65], exec
.LBB180_390:                            ;   in Loop: Header=BB180_6 Depth=1
	s_or_b64 exec, exec, s[4:5]
	v_readlane_b32 s52, v56, 42
	v_readlane_b32 s53, v56, 43
.LBB180_391:                            ;   in Loop: Header=BB180_6 Depth=1
	s_and_b64 vcc, exec, s[12:13]
	s_cbranch_vccz .LBB180_406
; %bb.392:                              ;   in Loop: Header=BB180_6 Depth=1
	v_readlane_b32 s54, v56, 31
	v_readlane_b32 s55, v56, 32
	s_mov_b32 s54, s51
	s_cmp_lg_u64 s[54:55], 0
	v_writelane_b32 v56, s54, 31
	v_writelane_b32 v56, s55, 32
	s_cbranch_scc0 .LBB180_425
; %bb.393:                              ;   in Loop: Header=BB180_6 Depth=1
	v_cvt_f32_u32_e32 v2, s33
	s_sub_u32 s12, 0, s33
	s_subb_u32 s13, 0, 0
	v_mac_f32_e32 v2, 0, v51
	v_rcp_f32_e32 v2, v2
	v_mul_f32_e32 v2, 0x5f7ffffc, v2
	v_mul_f32_e32 v4, 0x2f800000, v2
	v_trunc_f32_e32 v4, v4
	v_mac_f32_e32 v2, 0xcf800000, v4
	v_cvt_u32_f32_e32 v4, v4
	v_cvt_u32_f32_e32 v2, v2
	v_readfirstlane_b32 s20, v4
	v_readfirstlane_b32 s4, v2
	s_mul_i32 s5, s12, s20
	s_mul_hi_u32 s36, s12, s4
	s_mul_i32 s21, s13, s4
	s_add_i32 s5, s36, s5
	s_mul_i32 s37, s12, s4
	s_add_i32 s5, s5, s21
	s_mul_hi_u32 s36, s4, s37
	s_mul_i32 s48, s4, s5
	s_mul_hi_u32 s21, s4, s5
	s_add_u32 s36, s36, s48
	s_addc_u32 s21, 0, s21
	s_mul_hi_u32 s49, s20, s37
	s_mul_i32 s37, s20, s37
	s_add_u32 s36, s36, s37
	s_mul_hi_u32 s48, s20, s5
	s_addc_u32 s21, s21, s49
	s_addc_u32 s36, s48, 0
	s_mul_i32 s5, s20, s5
	s_add_u32 s5, s21, s5
	s_addc_u32 s21, 0, s36
	s_add_u32 s36, s4, s5
	s_cselect_b64 s[4:5], -1, 0
	s_cmp_lg_u64 s[4:5], 0
	s_addc_u32 s20, s20, s21
	s_mul_i32 s4, s12, s20
	s_mul_hi_u32 s5, s12, s36
	s_add_i32 s4, s5, s4
	s_mul_i32 s13, s13, s36
	s_add_i32 s4, s4, s13
	s_mul_i32 s12, s12, s36
	s_mul_hi_u32 s13, s20, s12
	s_mul_i32 s21, s20, s12
	s_mul_i32 s48, s36, s4
	s_mul_hi_u32 s12, s36, s12
	s_mul_hi_u32 s37, s36, s4
	s_add_u32 s12, s12, s48
	s_addc_u32 s37, 0, s37
	s_add_u32 s12, s12, s21
	s_mul_hi_u32 s5, s20, s4
	s_addc_u32 s12, s37, s13
	s_addc_u32 s5, s5, 0
	s_mul_i32 s4, s20, s4
	s_add_u32 s4, s12, s4
	s_addc_u32 s12, 0, s5
	s_add_u32 s13, s36, s4
	s_cselect_b64 s[4:5], -1, 0
	s_cmp_lg_u64 s[4:5], 0
	s_addc_u32 s4, s20, s12
	v_readlane_b32 s36, v56, 29
	s_mul_i32 s12, s36, s4
	s_mul_hi_u32 s20, s36, s13
	s_mul_hi_u32 s5, s36, s4
	s_add_u32 s12, s20, s12
	s_addc_u32 s5, 0, s5
	s_mul_hi_u32 s21, s55, s13
	s_mul_i32 s13, s55, s13
	s_add_u32 s12, s12, s13
	s_mul_hi_u32 s20, s55, s4
	s_addc_u32 s5, s5, s21
	s_addc_u32 s12, s20, 0
	s_mul_i32 s4, s55, s4
	s_add_u32 s4, s5, s4
	s_addc_u32 s5, 0, s12
	s_mul_i32 s5, s33, s5
	s_mul_hi_u32 s12, s33, s4
	s_add_i32 s12, s12, s5
	s_mul_i32 s4, s33, s4
	s_sub_u32 s13, s36, s4
	s_cselect_b64 s[4:5], -1, 0
	s_cmp_lg_u64 s[4:5], 0
	s_subb_u32 s12, s55, s12
	s_sub_u32 s20, s13, s33
	s_cselect_b64 s[4:5], -1, 0
	s_cmp_lg_u64 s[4:5], 0
	s_subb_u32 s21, s12, 0
	;; [unrolled: 4-line block ×3, first 2 shown]
	s_cmp_ge_u32 s20, s33
	s_cselect_b32 s5, -1, 0
	s_cmp_eq_u32 s21, 0
	s_cselect_b32 s5, s5, -1
	s_cmp_lg_u32 s5, 0
	s_cselect_b32 s4, s4, s21
	s_cselect_b32 s20, s36, s20
	s_cmp_ge_u32 s13, s33
	s_cselect_b32 s5, -1, 0
	s_cmp_eq_u32 s12, 0
	s_cselect_b32 s5, s5, -1
	s_cmp_lg_u32 s5, 0
	s_cselect_b32 s5, s4, s12
	s_cselect_b32 s4, s20, s13
	s_cbranch_execnz .LBB180_395
.LBB180_394:                            ;   in Loop: Header=BB180_6 Depth=1
	v_cvt_f32_u32_e32 v2, s33
	s_sub_i32 s4, 0, s33
	v_readlane_b32 s12, v56, 29
	v_rcp_iflag_f32_e32 v2, v2
	v_mul_f32_e32 v2, 0x4f7ffffe, v2
	v_cvt_u32_f32_e32 v2, v2
	v_readfirstlane_b32 s5, v2
	s_mul_i32 s4, s4, s5
	s_mul_hi_u32 s4, s5, s4
	s_add_i32 s5, s5, s4
	s_mul_hi_u32 s4, s12, s5
	s_mul_i32 s4, s4, s33
	s_sub_i32 s4, s12, s4
	s_sub_i32 s5, s4, s33
	s_cmp_ge_u32 s4, s33
	s_cselect_b32 s4, s5, s4
	s_sub_i32 s5, s4, s33
	s_cmp_ge_u32 s4, s33
	s_cselect_b32 s50, s5, s4
	s_mov_b64 s[4:5], s[50:51]
.LBB180_395:                            ;   in Loop: Header=BB180_6 Depth=1
	v_readlane_b32 s12, v56, 29
	v_readlane_b32 s20, v56, 31
	s_sub_u32 s12, s12, s4
	v_readlane_b32 s21, v56, 32
	s_subb_u32 s13, s21, s5
	v_cmp_gt_u64_e32 vcc, s[12:13], v[0:1]
                                        ; implicit-def: $vgpr6_vgpr7
	s_and_saveexec_b64 s[4:5], vcc
	s_cbranch_execz .LBB180_405
; %bb.396:                              ;   in Loop: Header=BB180_6 Depth=1
	v_mov_b32_e32 v10, v16
	v_mov_b32_e32 v13, v1
	s_mov_b64 s[20:21], 0
	v_mov_b32_e32 v11, v17
	v_mov_b32_e32 v12, v0
                                        ; implicit-def: $sgpr36_sgpr37
	s_branch .LBB180_400
.LBB180_397:                            ;   in Loop: Header=BB180_400 Depth=2
	s_or_b64 exec, exec, s[48:49]
	s_waitcnt lgkmcnt(0)
	s_barrier
	ds_read_b128 v[4:7], v19 offset:3072
	s_waitcnt lgkmcnt(0)
	s_barrier
	v_cmp_eq_f64_e32 vcc, 0, v[4:5]
	s_cbranch_vccz .LBB180_403
; %bb.398:                              ;   in Loop: Header=BB180_400 Depth=2
	v_add_co_u32_e32 v12, vcc, s33, v12
	v_addc_co_u32_e32 v13, vcc, 0, v13, vcc
	v_mov_b32_e32 v2, s29
	v_add_co_u32_e32 v10, vcc, s28, v10
	v_addc_co_u32_e32 v11, vcc, v11, v2, vcc
	v_cmp_le_u64_e32 vcc, s[12:13], v[12:13]
	s_mov_b64 s[48:49], 0
	s_orn2_b64 s[52:53], vcc, exec
.LBB180_399:                            ;   in Loop: Header=BB180_400 Depth=2
	s_and_b64 s[52:53], exec, s[52:53]
	s_or_b64 s[20:21], s[52:53], s[20:21]
	s_andn2_b64 s[36:37], s[36:37], exec
	s_and_b64 s[48:49], s[48:49], exec
	s_or_b64 s[36:37], s[36:37], s[48:49]
	s_andn2_b64 exec, exec, s[20:21]
	s_cbranch_execz .LBB180_404
.LBB180_400:                            ;   Parent Loop BB180_6 Depth=1
                                        ; =>  This Inner Loop Header: Depth=2
	v_cmp_gt_u64_e32 vcc, s[24:25], v[12:13]
	s_and_saveexec_b64 s[48:49], vcc
	s_cbranch_execz .LBB180_397
; %bb.401:                              ;   in Loop: Header=BB180_400 Depth=2
	global_load_dwordx2 v[4:5], v[10:11], off
	s_waitcnt vmcnt(0)
	v_cmp_o_f64_e32 vcc, v[4:5], v[4:5]
	v_ashrrev_i32_e32 v2, 31, v5
	v_or_b32_e32 v6, 0x80000000, v2
	v_xor_b32_e32 v6, v6, v5
	v_xor_b32_e32 v2, v2, v4
	v_cndmask_b32_e32 v6, -1, v6, vcc
	v_cndmask_b32_e32 v2, -1, v2, vcc
	v_and_b32_e32 v7, v6, v31
	v_and_b32_e32 v6, v2, v30
	v_cmp_eq_u64_e32 vcc, v[6:7], v[26:27]
	s_and_b64 exec, exec, vcc
	s_cbranch_execz .LBB180_397
; %bb.402:                              ;   in Loop: Header=BB180_400 Depth=2
	v_mov_b32_e32 v2, v19
	ds_write_b128 v19, v[2:5] offset:3072
	s_branch .LBB180_397
.LBB180_403:                            ;   in Loop: Header=BB180_400 Depth=2
	s_mov_b64 s[52:53], -1
                                        ; implicit-def: $vgpr12_vgpr13
                                        ; implicit-def: $vgpr10_vgpr11
	s_mov_b64 s[48:49], -1
	s_branch .LBB180_399
.LBB180_404:                            ;   in Loop: Header=BB180_6 Depth=1
	s_or_b64 exec, exec, s[20:21]
	s_andn2_b64 s[12:13], s[60:61], exec
	s_and_b64 s[20:21], s[36:37], exec
	v_readlane_b32 s52, v56, 42
	s_or_b64 s[60:61], s[12:13], s[20:21]
	v_readlane_b32 s53, v56, 43
.LBB180_405:                            ;   in Loop: Header=BB180_6 Depth=1
	s_or_b64 exec, exec, s[4:5]
	s_mov_b64 s[20:21], 0
	s_mov_b64 s[36:37], -1
.LBB180_406:                            ;   in Loop: Header=BB180_6 Depth=1
	s_orn2_b64 s[4:5], s[60:61], exec
.LBB180_407:                            ;   in Loop: Header=BB180_6 Depth=1
	s_or_b64 exec, exec, s[8:9]
	s_mov_b64 s[12:13], 0
	s_and_saveexec_b64 s[8:9], s[4:5]
	s_cbranch_execz .LBB180_471
; %bb.408:                              ;   in Loop: Header=BB180_6 Depth=1
	v_mov_b32_e32 v10, 1
	s_xor_b64 s[4:5], s[10:11], -1
	v_mov_b32_e32 v52, 1
	v_mov_b32_e32 v11, 0
	s_and_saveexec_b64 s[10:11], s[4:5]
	s_cbranch_execz .LBB180_417
; %bb.409:                              ;   in Loop: Header=BB180_6 Depth=1
	v_cmp_ge_u64_e32 vcc, s[94:95], v[8:9]
	s_and_saveexec_b64 s[4:5], vcc
	s_xor_b64 s[4:5], exec, s[4:5]
	s_cbranch_execz .LBB180_414
; %bb.410:                              ;   in Loop: Header=BB180_6 Depth=1
	s_lshl_b64 s[12:13], 1, s56
	v_and_b32_e32 v4, s90, v26
	v_or_b32_e32 v26, s12, v4
	ds_read_b64 v[4:5], v19 offset:5120
	v_and_b32_e32 v2, s91, v27
	v_or_b32_e32 v27, s13, v2
	v_or_b32_e32 v31, s19, v31
	;; [unrolled: 1-line block ×3, first 2 shown]
	s_waitcnt lgkmcnt(0)
	v_cmp_ne_u64_e32 vcc, 0, v[4:5]
	s_cbranch_vccnz .LBB180_414
; %bb.411:                              ;   in Loop: Header=BB180_6 Depth=1
	s_mov_b64 s[12:13], exec
	v_readlane_b32 s48, v56, 8
	v_readlane_b32 s49, v56, 9
	s_and_b64 s[48:49], s[12:13], s[48:49]
	s_mov_b64 exec, s[48:49]
; %bb.412:                              ;   in Loop: Header=BB180_6 Depth=1
	v_mov_b32_e32 v4, s94
	v_mov_b32_e32 v5, s95
	ds_write_b64 v19, v[4:5] offset:5128
; %bb.413:                              ;   in Loop: Header=BB180_6 Depth=1
	s_or_b64 exec, exec, s[12:13]
	s_waitcnt lgkmcnt(0)
	s_barrier
.LBB180_414:                            ;   in Loop: Header=BB180_6 Depth=1
	s_or_saveexec_b64 s[4:5], s[4:5]
	s_mov_b64 s[12:13], 0
	v_mov_b32_e32 v52, 5
	s_xor_b64 exec, exec, s[4:5]
; %bb.415:                              ;   in Loop: Header=BB180_6 Depth=1
	v_subrev_co_u32_e32 v8, vcc, s94, v8
	v_mov_b32_e32 v2, s95
	v_subb_co_u32_e32 v9, vcc, v9, v2, vcc
	v_mov_b32_e32 v52, 0
	s_mov_b64 s[12:13], exec
; %bb.416:                              ;   in Loop: Header=BB180_6 Depth=1
	s_or_b64 exec, exec, s[4:5]
	v_mov_b32_e32 v11, v9
	s_and_b64 s[12:13], s[12:13], exec
	v_mov_b32_e32 v10, v8
.LBB180_417:                            ;   in Loop: Header=BB180_6 Depth=1
	s_or_b64 exec, exec, s[10:11]
	s_mov_b64 s[4:5], -1
                                        ; implicit-def: $sgpr94_sgpr95
                                        ; implicit-def: $sgpr62_sgpr63
	s_and_saveexec_b64 s[10:11], s[12:13]
	s_cbranch_execz .LBB180_470
; %bb.418:                              ;   in Loop: Header=BB180_6 Depth=1
	s_cmp_eq_u64 s[16:17], 1
	v_cmp_eq_u64_e32 vcc, 1, v[10:11]
	s_cselect_b64 s[4:5], -1, 0
	s_mov_b64 s[12:13], -1
	s_and_b64 s[4:5], s[4:5], vcc
                                        ; implicit-def: $sgpr94_sgpr95
                                        ; implicit-def: $sgpr62_sgpr63
	s_mov_b64 s[48:49], exec
	v_writelane_b32 v56, s4, 44
	v_writelane_b32 v56, s5, 45
	;; [unrolled: 1-line block ×3, first 2 shown]
	s_and_b64 s[4:5], s[48:49], s[4:5]
	v_writelane_b32 v56, s49, 47
	s_mov_b64 exec, s[4:5]
	s_cbranch_execz .LBB180_458
; %bb.419:                              ;   in Loop: Header=BB180_6 Depth=1
	ds_read_b64 v[4:5], v19 offset:5120
	s_waitcnt lgkmcnt(0)
	s_barrier
	v_readfirstlane_b32 s12, v4
	v_readfirstlane_b32 s13, v5
	s_mov_b64 s[4:5], exec
	v_readlane_b32 s48, v56, 24
	v_readlane_b32 s49, v56, 25
	s_and_b64 s[48:49], s[4:5], s[48:49]
	s_mov_b64 exec, s[48:49]
; %bb.420:                              ;   in Loop: Header=BB180_6 Depth=1
	v_mov_b32_e32 v18, v19
	ds_write_b64 v45, v[18:19]
; %bb.421:                              ;   in Loop: Header=BB180_6 Depth=1
	s_or_b64 exec, exec, s[4:5]
	v_and_b32_e32 v27, s91, v27
	v_and_b32_e32 v26, s90, v26
	v_or_b32_e32 v31, s19, v31
	v_or_b32_e32 v30, s18, v30
	s_mov_b64 s[62:63], -1
	s_mov_b64 s[94:95], 0
	s_cmp_eq_u64 s[12:13], 0
	s_mov_b64 s[60:61], 0
	s_mov_b64 s[54:55], -1
	s_waitcnt lgkmcnt(0)
	s_barrier
                                        ; implicit-def: $vgpr6_vgpr7
	s_cbranch_scc1 .LBB180_440
; %bb.422:                              ;   in Loop: Header=BB180_6 Depth=1
	v_readlane_b32 s4, v56, 28
	s_add_u32 s52, s12, s4
	v_readlane_b32 s4, v56, 30
	s_addc_u32 s55, s13, s4
	s_mov_b32 s54, s51
	s_cmp_lg_u64 s[54:55], 0
	s_cbranch_scc0 .LBB180_426
; %bb.423:                              ;   in Loop: Header=BB180_6 Depth=1
	v_cvt_f32_u32_e32 v2, s33
	s_sub_u32 s48, 0, s33
	s_subb_u32 s49, 0, 0
	v_mac_f32_e32 v2, 0, v51
	v_rcp_f32_e32 v2, v2
	v_mul_f32_e32 v2, 0x5f7ffffc, v2
	v_mul_f32_e32 v4, 0x2f800000, v2
	v_trunc_f32_e32 v4, v4
	v_mac_f32_e32 v2, 0xcf800000, v4
	v_cvt_u32_f32_e32 v4, v4
	v_cvt_u32_f32_e32 v2, v2
	v_readfirstlane_b32 s50, v4
	v_readfirstlane_b32 s4, v2
	s_mul_i32 s5, s48, s50
	s_mul_hi_u32 s54, s48, s4
	s_mul_i32 s53, s49, s4
	s_add_i32 s5, s54, s5
	s_mul_i32 s60, s48, s4
	s_add_i32 s5, s5, s53
	s_mul_hi_u32 s54, s4, s60
	s_mul_i32 s61, s4, s5
	s_mul_hi_u32 s53, s4, s5
	s_add_u32 s54, s54, s61
	s_addc_u32 s53, 0, s53
	s_mul_hi_u32 s62, s50, s60
	s_mul_i32 s60, s50, s60
	s_add_u32 s54, s54, s60
	s_mul_hi_u32 s61, s50, s5
	s_addc_u32 s53, s53, s62
	s_addc_u32 s54, s61, 0
	s_mul_i32 s5, s50, s5
	s_add_u32 s5, s53, s5
	s_addc_u32 s53, 0, s54
	s_add_u32 s54, s4, s5
	s_cselect_b64 s[4:5], -1, 0
	s_cmp_lg_u64 s[4:5], 0
	s_addc_u32 s50, s50, s53
	s_mul_i32 s4, s48, s50
	s_mul_hi_u32 s5, s48, s54
	s_add_i32 s4, s5, s4
	s_mul_i32 s49, s49, s54
	s_add_i32 s4, s4, s49
	s_mul_i32 s48, s48, s54
	s_mul_hi_u32 s49, s50, s48
	s_mul_i32 s53, s50, s48
	s_mul_i32 s61, s54, s4
	s_mul_hi_u32 s48, s54, s48
	s_mul_hi_u32 s60, s54, s4
	s_add_u32 s48, s48, s61
	s_addc_u32 s60, 0, s60
	s_add_u32 s48, s48, s53
	s_mul_hi_u32 s5, s50, s4
	s_addc_u32 s48, s60, s49
	s_addc_u32 s5, s5, 0
	s_mul_i32 s4, s50, s4
	s_add_u32 s4, s48, s4
	s_addc_u32 s48, 0, s5
	s_add_u32 s49, s54, s4
	s_cselect_b64 s[4:5], -1, 0
	s_cmp_lg_u64 s[4:5], 0
	s_addc_u32 s4, s50, s48
	s_mul_i32 s48, s52, s4
	s_mul_hi_u32 s50, s52, s49
	s_mul_hi_u32 s5, s52, s4
	s_add_u32 s48, s50, s48
	s_addc_u32 s5, 0, s5
	s_mul_hi_u32 s53, s55, s49
	s_mul_i32 s49, s55, s49
	s_add_u32 s48, s48, s49
	s_mul_hi_u32 s50, s55, s4
	s_addc_u32 s5, s5, s53
	s_addc_u32 s48, s50, 0
	s_mul_i32 s4, s55, s4
	s_add_u32 s4, s5, s4
	s_addc_u32 s5, 0, s48
	s_mul_i32 s5, s33, s5
	s_mul_hi_u32 s48, s33, s4
	s_add_i32 s48, s48, s5
	s_mul_i32 s4, s33, s4
	s_sub_u32 s49, s52, s4
	s_cselect_b64 s[4:5], -1, 0
	s_cmp_lg_u64 s[4:5], 0
	s_subb_u32 s48, s55, s48
	s_sub_u32 s50, s49, s33
	s_cselect_b64 s[4:5], -1, 0
	s_cmp_lg_u64 s[4:5], 0
	s_subb_u32 s53, s48, 0
	;; [unrolled: 4-line block ×3, first 2 shown]
	s_cmp_ge_u32 s50, s33
	s_cselect_b32 s5, -1, 0
	s_cmp_eq_u32 s53, 0
	s_cselect_b32 s5, s5, -1
	s_cmp_lg_u32 s5, 0
	s_cselect_b32 s4, s4, s53
	s_cselect_b32 s50, s54, s50
	s_cmp_ge_u32 s49, s33
	s_cselect_b32 s5, -1, 0
	s_cmp_eq_u32 s48, 0
	s_cselect_b32 s5, s5, -1
	s_cmp_lg_u32 s5, 0
	s_cselect_b32 s5, s4, s48
	s_cselect_b32 s4, s50, s49
	s_mov_b64 s[48:49], 0
	s_branch .LBB180_427
.LBB180_424:                            ;   in Loop: Header=BB180_6 Depth=1
                                        ; implicit-def: $sgpr4_sgpr5
	s_branch .LBB180_377
.LBB180_425:                            ;   in Loop: Header=BB180_6 Depth=1
                                        ; implicit-def: $sgpr4_sgpr5
	s_branch .LBB180_394
.LBB180_426:                            ;   in Loop: Header=BB180_6 Depth=1
	s_mov_b64 s[48:49], -1
                                        ; implicit-def: $sgpr4_sgpr5
.LBB180_427:                            ;   in Loop: Header=BB180_6 Depth=1
	s_andn2_b64 vcc, exec, s[48:49]
	s_cbranch_vccnz .LBB180_429
; %bb.428:                              ;   in Loop: Header=BB180_6 Depth=1
	v_cvt_f32_u32_e32 v2, s33
	s_sub_i32 s4, 0, s33
	v_rcp_iflag_f32_e32 v2, v2
	v_mul_f32_e32 v2, 0x4f7ffffe, v2
	v_cvt_u32_f32_e32 v2, v2
	v_readfirstlane_b32 s5, v2
	s_mul_i32 s4, s4, s5
	s_mul_hi_u32 s4, s5, s4
	s_add_i32 s5, s5, s4
	s_mul_hi_u32 s4, s52, s5
	s_mul_i32 s4, s4, s33
	s_sub_i32 s4, s52, s4
	s_sub_i32 s5, s4, s33
	s_cmp_ge_u32 s4, s33
	s_cselect_b32 s4, s5, s4
	s_sub_i32 s5, s4, s33
	s_cmp_ge_u32 s4, s33
	s_cselect_b32 s50, s5, s4
	s_mov_b64 s[4:5], s[50:51]
.LBB180_429:                            ;   in Loop: Header=BB180_6 Depth=1
	s_sub_u32 s62, s52, s4
	s_subb_u32 s63, s55, s5
	v_cmp_gt_u64_e32 vcc, s[62:63], v[0:1]
	s_mov_b64 s[54:55], 0
	s_mov_b64 s[60:61], 0
                                        ; implicit-def: $vgpr6_vgpr7
	s_and_saveexec_b64 s[4:5], vcc
	s_cbranch_execz .LBB180_439
; %bb.430:                              ;   in Loop: Header=BB180_6 Depth=1
	v_mov_b32_e32 v9, v1
	v_mov_b32_e32 v12, v44
	;; [unrolled: 1-line block ×3, first 2 shown]
                                        ; implicit-def: $sgpr64_sgpr65
	s_branch .LBB180_434
.LBB180_431:                            ;   in Loop: Header=BB180_434 Depth=2
	s_or_b64 exec, exec, s[48:49]
	s_waitcnt lgkmcnt(0)
	s_barrier
	ds_read_b128 v[4:7], v19 offset:3072
	s_waitcnt lgkmcnt(0)
	s_barrier
	v_cmp_neq_f64_e32 vcc, 0, v[4:5]
	s_cbranch_vccnz .LBB180_437
; %bb.432:                              ;   in Loop: Header=BB180_434 Depth=2
	v_add_co_u32_e32 v8, vcc, s33, v8
	v_addc_co_u32_e32 v9, vcc, 0, v9, vcc
	v_cmp_le_u64_e32 vcc, s[62:63], v[8:9]
	v_add_u32_e32 v12, s58, v12
	s_mov_b64 s[48:49], 0
	s_orn2_b64 s[52:53], vcc, exec
.LBB180_433:                            ;   in Loop: Header=BB180_434 Depth=2
	s_and_b64 s[52:53], exec, s[52:53]
	s_or_b64 s[60:61], s[52:53], s[60:61]
	s_andn2_b64 s[52:53], s[64:65], exec
	s_and_b64 s[48:49], s[48:49], exec
	s_or_b64 s[64:65], s[52:53], s[48:49]
	s_andn2_b64 exec, exec, s[60:61]
	s_cbranch_execz .LBB180_438
.LBB180_434:                            ;   Parent Loop BB180_6 Depth=1
                                        ; =>  This Inner Loop Header: Depth=2
	v_cmp_gt_u64_e32 vcc, s[12:13], v[8:9]
	s_and_saveexec_b64 s[48:49], vcc
	s_cbranch_execz .LBB180_431
; %bb.435:                              ;   in Loop: Header=BB180_434 Depth=2
	ds_read_b64 v[4:5], v12
	s_waitcnt lgkmcnt(0)
	v_cmp_o_f64_e32 vcc, v[4:5], v[4:5]
	v_ashrrev_i32_e32 v2, 31, v5
	v_or_b32_e32 v6, 0x80000000, v2
	v_xor_b32_e32 v6, v6, v5
	v_xor_b32_e32 v2, v2, v4
	v_cndmask_b32_e32 v6, -1, v6, vcc
	v_cndmask_b32_e32 v2, -1, v2, vcc
	v_and_b32_e32 v7, v6, v31
	v_and_b32_e32 v6, v2, v30
	v_cmp_eq_u64_e32 vcc, v[6:7], v[26:27]
	s_and_b64 exec, exec, vcc
	s_cbranch_execz .LBB180_431
; %bb.436:                              ;   in Loop: Header=BB180_434 Depth=2
	v_mov_b32_e32 v2, v19
	ds_write_b128 v19, v[2:5] offset:3072
	s_branch .LBB180_431
.LBB180_437:                            ;   in Loop: Header=BB180_434 Depth=2
	s_mov_b64 s[52:53], -1
                                        ; implicit-def: $vgpr8_vgpr9
                                        ; implicit-def: $vgpr12
	s_mov_b64 s[48:49], -1
	s_branch .LBB180_433
.LBB180_438:                            ;   in Loop: Header=BB180_6 Depth=1
	s_or_b64 exec, exec, s[60:61]
	s_and_b64 s[60:61], s[64:65], exec
.LBB180_439:                            ;   in Loop: Header=BB180_6 Depth=1
	s_or_b64 exec, exec, s[4:5]
	v_readlane_b32 s52, v56, 42
	v_readlane_b32 s53, v56, 43
	s_mov_b64 s[62:63], -1
.LBB180_440:                            ;   in Loop: Header=BB180_6 Depth=1
	s_and_b64 vcc, exec, s[54:55]
	s_cbranch_vccz .LBB180_457
; %bb.441:                              ;   in Loop: Header=BB180_6 Depth=1
	v_readlane_b32 s54, v56, 31
	v_readlane_b32 s55, v56, 32
	s_mov_b32 s54, s51
	s_cmp_lg_u64 s[54:55], 0
	v_writelane_b32 v56, s54, 31
	v_writelane_b32 v56, s55, 32
	s_cbranch_scc0 .LBB180_443
; %bb.442:                              ;   in Loop: Header=BB180_6 Depth=1
	v_cvt_f32_u32_e32 v2, s33
	s_sub_u32 s12, 0, s33
	s_subb_u32 s13, 0, 0
	v_mac_f32_e32 v2, 0, v51
	v_rcp_f32_e32 v2, v2
	v_mul_f32_e32 v2, 0x5f7ffffc, v2
	v_mul_f32_e32 v4, 0x2f800000, v2
	v_trunc_f32_e32 v4, v4
	v_mac_f32_e32 v2, 0xcf800000, v4
	v_cvt_u32_f32_e32 v4, v4
	v_cvt_u32_f32_e32 v2, v2
	v_readfirstlane_b32 s48, v4
	v_readfirstlane_b32 s4, v2
	s_mul_i32 s5, s12, s48
	s_mul_hi_u32 s50, s12, s4
	s_mul_i32 s49, s13, s4
	s_add_i32 s5, s50, s5
	s_mul_i32 s52, s12, s4
	s_add_i32 s5, s5, s49
	s_mul_hi_u32 s50, s4, s52
	s_mul_i32 s53, s4, s5
	s_mul_hi_u32 s49, s4, s5
	s_add_u32 s50, s50, s53
	s_addc_u32 s49, 0, s49
	s_mul_hi_u32 s54, s48, s52
	s_mul_i32 s52, s48, s52
	s_add_u32 s50, s50, s52
	s_mul_hi_u32 s53, s48, s5
	s_addc_u32 s49, s49, s54
	s_addc_u32 s50, s53, 0
	s_mul_i32 s5, s48, s5
	s_add_u32 s5, s49, s5
	s_addc_u32 s49, 0, s50
	s_add_u32 s50, s4, s5
	s_cselect_b64 s[4:5], -1, 0
	s_cmp_lg_u64 s[4:5], 0
	s_addc_u32 s48, s48, s49
	s_mul_i32 s4, s12, s48
	s_mul_hi_u32 s5, s12, s50
	s_add_i32 s4, s5, s4
	s_mul_i32 s13, s13, s50
	s_add_i32 s4, s4, s13
	s_mul_i32 s12, s12, s50
	s_mul_hi_u32 s13, s48, s12
	s_mul_i32 s49, s48, s12
	s_mul_i32 s53, s50, s4
	s_mul_hi_u32 s12, s50, s12
	s_mul_hi_u32 s52, s50, s4
	s_add_u32 s12, s12, s53
	s_addc_u32 s52, 0, s52
	s_add_u32 s12, s12, s49
	s_mul_hi_u32 s5, s48, s4
	s_addc_u32 s12, s52, s13
	s_addc_u32 s5, s5, 0
	s_mul_i32 s4, s48, s4
	s_add_u32 s4, s12, s4
	s_addc_u32 s12, 0, s5
	s_add_u32 s13, s50, s4
	s_cselect_b64 s[4:5], -1, 0
	s_cmp_lg_u64 s[4:5], 0
	s_addc_u32 s4, s48, s12
	v_readlane_b32 s50, v56, 29
	s_mul_i32 s12, s50, s4
	s_mul_hi_u32 s48, s50, s13
	s_mul_hi_u32 s5, s50, s4
	s_add_u32 s12, s48, s12
	s_addc_u32 s5, 0, s5
	s_mul_hi_u32 s49, s55, s13
	s_mul_i32 s13, s55, s13
	s_add_u32 s12, s12, s13
	s_mul_hi_u32 s48, s55, s4
	s_addc_u32 s5, s5, s49
	s_addc_u32 s12, s48, 0
	s_mul_i32 s4, s55, s4
	s_add_u32 s4, s5, s4
	s_addc_u32 s5, 0, s12
	s_mul_i32 s5, s33, s5
	s_mul_hi_u32 s12, s33, s4
	s_add_i32 s12, s12, s5
	s_mul_i32 s4, s33, s4
	s_sub_u32 s13, s50, s4
	s_cselect_b64 s[4:5], -1, 0
	s_cmp_lg_u64 s[4:5], 0
	s_subb_u32 s12, s55, s12
	s_sub_u32 s48, s13, s33
	s_cselect_b64 s[4:5], -1, 0
	s_cmp_lg_u64 s[4:5], 0
	s_subb_u32 s49, s12, 0
	;; [unrolled: 4-line block ×3, first 2 shown]
	s_cmp_ge_u32 s48, s33
	s_cselect_b32 s5, -1, 0
	s_cmp_eq_u32 s49, 0
	s_cselect_b32 s5, s5, -1
	s_cmp_lg_u32 s5, 0
	s_cselect_b32 s4, s4, s49
	s_cselect_b32 s48, s50, s48
	s_cmp_ge_u32 s13, s33
	s_cselect_b32 s5, -1, 0
	s_cmp_eq_u32 s12, 0
	s_cselect_b32 s5, s5, -1
	v_readlane_b32 s52, v56, 42
	s_cmp_lg_u32 s5, 0
	v_readlane_b32 s53, v56, 43
	s_cselect_b32 s5, s4, s12
	s_cselect_b32 s4, s48, s13
	s_mov_b64 s[12:13], 0
	s_branch .LBB180_444
.LBB180_443:                            ;   in Loop: Header=BB180_6 Depth=1
	s_mov_b64 s[12:13], -1
                                        ; implicit-def: $sgpr4_sgpr5
.LBB180_444:                            ;   in Loop: Header=BB180_6 Depth=1
	s_andn2_b64 vcc, exec, s[12:13]
	s_cbranch_vccnz .LBB180_446
; %bb.445:                              ;   in Loop: Header=BB180_6 Depth=1
	v_cvt_f32_u32_e32 v2, s33
	s_sub_i32 s4, 0, s33
	v_readlane_b32 s12, v56, 29
	v_rcp_iflag_f32_e32 v2, v2
	v_mul_f32_e32 v2, 0x4f7ffffe, v2
	v_cvt_u32_f32_e32 v2, v2
	v_readfirstlane_b32 s5, v2
	s_mul_i32 s4, s4, s5
	s_mul_hi_u32 s4, s5, s4
	s_add_i32 s5, s5, s4
	s_mul_hi_u32 s4, s12, s5
	s_mul_i32 s4, s4, s33
	s_sub_i32 s4, s12, s4
	s_sub_i32 s5, s4, s33
	s_cmp_ge_u32 s4, s33
	s_cselect_b32 s4, s5, s4
	s_sub_i32 s5, s4, s33
	s_cmp_ge_u32 s4, s33
	s_cselect_b32 s50, s5, s4
	s_mov_b64 s[4:5], s[50:51]
.LBB180_446:                            ;   in Loop: Header=BB180_6 Depth=1
	v_readlane_b32 s12, v56, 29
	v_readlane_b32 s48, v56, 31
	s_sub_u32 s12, s12, s4
	v_readlane_b32 s49, v56, 32
	s_subb_u32 s13, s49, s5
	v_cmp_gt_u64_e32 vcc, s[12:13], v[0:1]
                                        ; implicit-def: $vgpr6_vgpr7
	s_and_saveexec_b64 s[4:5], vcc
	s_cbranch_execz .LBB180_456
; %bb.447:                              ;   in Loop: Header=BB180_6 Depth=1
	v_mov_b32_e32 v8, v16
	v_mov_b32_e32 v13, v1
	s_mov_b64 s[54:55], 0
	v_mov_b32_e32 v9, v17
	v_mov_b32_e32 v12, v0
                                        ; implicit-def: $sgpr62_sgpr63
	s_branch .LBB180_451
.LBB180_448:                            ;   in Loop: Header=BB180_451 Depth=2
	s_or_b64 exec, exec, s[48:49]
	s_waitcnt lgkmcnt(0)
	s_barrier
	ds_read_b128 v[4:7], v19 offset:3072
	s_waitcnt lgkmcnt(0)
	s_barrier
	v_cmp_eq_f64_e32 vcc, 0, v[4:5]
	s_cbranch_vccz .LBB180_454
; %bb.449:                              ;   in Loop: Header=BB180_451 Depth=2
	v_add_co_u32_e32 v12, vcc, s33, v12
	v_addc_co_u32_e32 v13, vcc, 0, v13, vcc
	v_mov_b32_e32 v2, s29
	v_add_co_u32_e32 v8, vcc, s28, v8
	v_addc_co_u32_e32 v9, vcc, v9, v2, vcc
	v_cmp_le_u64_e32 vcc, s[12:13], v[12:13]
	s_mov_b64 s[48:49], 0
	s_orn2_b64 s[52:53], vcc, exec
.LBB180_450:                            ;   in Loop: Header=BB180_451 Depth=2
	s_and_b64 s[52:53], exec, s[52:53]
	s_or_b64 s[54:55], s[52:53], s[54:55]
	s_andn2_b64 s[52:53], s[62:63], exec
	s_and_b64 s[48:49], s[48:49], exec
	s_or_b64 s[62:63], s[52:53], s[48:49]
	s_andn2_b64 exec, exec, s[54:55]
	s_cbranch_execz .LBB180_455
.LBB180_451:                            ;   Parent Loop BB180_6 Depth=1
                                        ; =>  This Inner Loop Header: Depth=2
	v_cmp_gt_u64_e32 vcc, s[24:25], v[12:13]
	s_and_saveexec_b64 s[48:49], vcc
	s_cbranch_execz .LBB180_448
; %bb.452:                              ;   in Loop: Header=BB180_451 Depth=2
	global_load_dwordx2 v[4:5], v[8:9], off
	s_waitcnt vmcnt(0)
	v_cmp_o_f64_e32 vcc, v[4:5], v[4:5]
	v_ashrrev_i32_e32 v2, 31, v5
	v_or_b32_e32 v6, 0x80000000, v2
	v_xor_b32_e32 v6, v6, v5
	v_xor_b32_e32 v2, v2, v4
	v_cndmask_b32_e32 v6, -1, v6, vcc
	v_cndmask_b32_e32 v2, -1, v2, vcc
	v_and_b32_e32 v7, v6, v31
	v_and_b32_e32 v6, v2, v30
	v_cmp_eq_u64_e32 vcc, v[6:7], v[26:27]
	s_and_b64 exec, exec, vcc
	s_cbranch_execz .LBB180_448
; %bb.453:                              ;   in Loop: Header=BB180_451 Depth=2
	v_mov_b32_e32 v2, v19
	ds_write_b128 v19, v[2:5] offset:3072
	s_branch .LBB180_448
.LBB180_454:                            ;   in Loop: Header=BB180_451 Depth=2
	s_mov_b64 s[52:53], -1
                                        ; implicit-def: $vgpr12_vgpr13
                                        ; implicit-def: $vgpr8_vgpr9
	s_mov_b64 s[48:49], -1
	s_branch .LBB180_450
.LBB180_455:                            ;   in Loop: Header=BB180_6 Depth=1
	s_or_b64 exec, exec, s[54:55]
	s_andn2_b64 s[12:13], s[60:61], exec
	s_and_b64 s[48:49], s[62:63], exec
	v_readlane_b32 s52, v56, 42
	s_or_b64 s[60:61], s[12:13], s[48:49]
	v_readlane_b32 s53, v56, 43
.LBB180_456:                            ;   in Loop: Header=BB180_6 Depth=1
	s_or_b64 exec, exec, s[4:5]
	s_mov_b64 s[62:63], 0
	s_mov_b64 s[94:95], -1
.LBB180_457:                            ;   in Loop: Header=BB180_6 Depth=1
	s_orn2_b64 s[12:13], s[60:61], exec
.LBB180_458:                            ;   in Loop: Header=BB180_6 Depth=1
	v_readlane_b32 s4, v56, 46
	v_readlane_b32 s5, v56, 47
	s_or_b64 exec, exec, s[4:5]
	s_mov_b64 s[48:49], 0
	s_and_saveexec_b64 s[4:5], s[12:13]
	s_cbranch_execz .LBB180_469
; %bb.459:                              ;   in Loop: Header=BB180_6 Depth=1
	v_readlane_b32 s12, v56, 44
	v_readlane_b32 s13, v56, 45
	v_mov_b32_e32 v4, 1
	s_xor_b64 s[48:49], s[12:13], -1
	v_mov_b32_e32 v5, 0
	v_mov_b32_e32 v52, 1
	s_and_saveexec_b64 s[12:13], s[48:49]
	s_cbranch_execz .LBB180_468
; %bb.460:                              ;   in Loop: Header=BB180_6 Depth=1
	v_cmp_ge_u64_e32 vcc, s[16:17], v[10:11]
	s_and_saveexec_b64 s[48:49], vcc
	s_xor_b64 s[48:49], exec, s[48:49]
	s_cbranch_execz .LBB180_465
; %bb.461:                              ;   in Loop: Header=BB180_6 Depth=1
	ds_read_b64 v[4:5], v19 offset:5120
	v_and_b32_e32 v27, s91, v27
	v_and_b32_e32 v26, s90, v26
	v_or_b32_e32 v31, s19, v31
	v_or_b32_e32 v30, s18, v30
	s_waitcnt lgkmcnt(0)
	v_cmp_ne_u64_e32 vcc, 0, v[4:5]
	s_cbranch_vccnz .LBB180_465
; %bb.462:                              ;   in Loop: Header=BB180_6 Depth=1
	s_mov_b64 s[18:19], exec
	v_readlane_b32 s52, v56, 8
	v_readlane_b32 s53, v56, 9
	s_and_b64 s[52:53], s[18:19], s[52:53]
	s_mov_b64 exec, s[52:53]
; %bb.463:                              ;   in Loop: Header=BB180_6 Depth=1
	v_mov_b32_e32 v4, s16
	v_mov_b32_e32 v5, s17
	ds_write_b64 v19, v[4:5] offset:5128
; %bb.464:                              ;   in Loop: Header=BB180_6 Depth=1
	s_or_b64 exec, exec, s[18:19]
	s_waitcnt lgkmcnt(0)
	s_barrier
.LBB180_465:                            ;   in Loop: Header=BB180_6 Depth=1
	s_andn2_saveexec_b64 s[18:19], s[48:49]
; %bb.466:                              ;   in Loop: Header=BB180_6 Depth=1
	v_mov_b32_e32 v2, s17
	v_subrev_co_u32_e32 v10, vcc, s16, v10
	v_subb_co_u32_e32 v11, vcc, v11, v2, vcc
; %bb.467:                              ;   in Loop: Header=BB180_6 Depth=1
	s_or_b64 exec, exec, s[18:19]
	v_mov_b32_e32 v4, v10
	v_readlane_b32 s52, v56, 42
	v_mov_b32_e32 v52, 5
	v_mov_b32_e32 v5, v11
	v_readlane_b32 s53, v56, 43
.LBB180_468:                            ;   in Loop: Header=BB180_6 Depth=1
	s_or_b64 exec, exec, s[12:13]
	v_mov_b32_e32 v11, v5
	s_mov_b64 s[48:49], exec
	v_mov_b32_e32 v10, v4
.LBB180_469:                            ;   in Loop: Header=BB180_6 Depth=1
	s_or_b64 exec, exec, s[4:5]
	s_orn2_b64 s[4:5], s[48:49], exec
.LBB180_470:                            ;   in Loop: Header=BB180_6 Depth=1
	s_or_b64 exec, exec, s[10:11]
	s_andn2_b64 s[10:11], s[36:37], exec
	s_and_b64 s[12:13], s[94:95], exec
	s_or_b64 s[36:37], s[10:11], s[12:13]
	s_andn2_b64 s[10:11], s[20:21], exec
	s_and_b64 s[12:13], s[62:63], exec
	v_mov_b32_e32 v8, v10
	s_or_b64 s[20:21], s[10:11], s[12:13]
	s_and_b64 s[12:13], s[4:5], exec
	v_mov_b32_e32 v9, v11
.LBB180_471:                            ;   in Loop: Header=BB180_6 Depth=1
	s_or_b64 exec, exec, s[8:9]
	s_orn2_b64 s[4:5], s[12:13], exec
.LBB180_472:                            ;   in Loop: Header=BB180_6 Depth=1
	s_or_b64 exec, exec, s[38:39]
	s_andn2_b64 s[8:9], s[34:35], exec
	s_and_b64 s[10:11], s[36:37], exec
	s_or_b64 s[34:35], s[8:9], s[10:11]
	s_andn2_b64 s[8:9], s[30:31], exec
	s_and_b64 s[10:11], s[20:21], exec
	v_mov_b32_e32 v35, v9
	s_or_b64 s[30:31], s[8:9], s[10:11]
	s_and_b64 s[10:11], s[4:5], exec
	v_mov_b32_e32 v34, v8
.LBB180_473:                            ;   in Loop: Header=BB180_6 Depth=1
	s_or_b64 exec, exec, s[40:41]
	s_orn2_b64 s[4:5], s[10:11], exec
.LBB180_474:                            ;   in Loop: Header=BB180_6 Depth=1
	s_or_b64 exec, exec, s[6:7]
	s_mov_b64 s[6:7], s[44:45]
	s_mov_b64 s[8:9], s[42:43]
	s_and_saveexec_b64 s[10:11], s[4:5]
; %bb.475:                              ;   in Loop: Header=BB180_6 Depth=1
	v_cmp_ne_u32_e64 s[6:7], 5, v52
	v_cmp_eq_u32_e32 vcc, 5, v52
	s_andn2_b64 s[4:5], s[42:43], exec
	s_and_b64 s[6:7], s[6:7], exec
	s_or_b64 s[8:9], s[4:5], s[6:7]
	s_andn2_b64 s[4:5], s[44:45], exec
	s_and_b64 s[6:7], vcc, exec
	s_or_b64 s[6:7], s[4:5], s[6:7]
; %bb.476:                              ;   in Loop: Header=BB180_6 Depth=1
	s_or_b64 exec, exec, s[10:11]
	s_andn2_b64 s[4:5], s[14:15], exec
	s_and_b64 s[10:11], s[34:35], exec
	s_or_b64 s[14:15], s[4:5], s[10:11]
	s_andn2_b64 s[4:5], s[92:93], exec
	s_and_b64 s[10:11], s[30:31], exec
	s_or_b64 s[92:93], s[4:5], s[10:11]
	;; [unrolled: 3-line block ×4, first 2 shown]
.LBB180_477:                            ;   in Loop: Header=BB180_6 Depth=1
	s_or_b64 exec, exec, s[2:3]
	s_mov_b64 s[2:3], 0
	s_mov_b64 s[30:31], 0
	s_and_saveexec_b64 s[4:5], s[44:45]
.LBB180_478:                            ;   in Loop: Header=BB180_6 Depth=1
	v_mov_b32_e32 v52, 0
	s_or_b64 s[42:43], s[42:43], exec
.LBB180_479:                            ;   in Loop: Header=BB180_6 Depth=1
	s_or_b64 exec, exec, s[4:5]
	s_andn2_b64 s[6:7], s[86:87], exec
	s_and_b64 s[8:9], s[14:15], exec
	s_or_b64 s[86:87], s[6:7], s[8:9]
	s_andn2_b64 s[6:7], s[84:85], exec
	s_and_b64 s[8:9], s[92:93], exec
	s_or_b64 s[84:85], s[6:7], s[8:9]
	;; [unrolled: 3-line block ×3, first 2 shown]
	s_andn2_b64 s[6:7], s[80:81], exec
	s_and_b64 s[2:3], s[2:3], exec
	v_mov_b32_e32 v32, v34
	s_mov_b64 s[4:5], -1
	s_andn2_b64 s[88:89], s[88:89], exec
	s_or_b64 s[80:81], s[6:7], s[2:3]
	v_mov_b32_e32 v33, v35
	s_and_saveexec_b64 s[2:3], s[42:43]
	s_xor_b64 s[2:3], exec, s[2:3]
	s_cbranch_execz .LBB180_5
; %bb.480:                              ;   in Loop: Header=BB180_6 Depth=1
	v_cmp_eq_u32_e32 vcc, 0, v52
	s_mov_b64 s[6:7], -1
	s_and_saveexec_b64 s[8:9], vcc
	s_cbranch_execz .LBB180_4
; %bb.481:                              ;   in Loop: Header=BB180_6 Depth=1
	s_xor_b32 s57, s57, 1
	s_add_i32 s10, s56, -2
	s_cmp_eq_u32 s56, 0
	s_cselect_b64 s[4:5], -1, 0
	s_xor_b64 s[6:7], exec, -1
	s_orn2_b64 s[4:5], s[4:5], exec
	s_mov_b32 s56, s10
	s_branch .LBB180_4
.LBB180_482:
	s_or_b64 exec, exec, s[68:69]
	s_xor_b64 s[4:5], s[78:79], -1
	s_xor_b64 s[12:13], s[76:77], -1
	;; [unrolled: 1-line block ×5, first 2 shown]
	s_mov_b64 s[6:7], 0
	s_and_saveexec_b64 s[14:15], s[8:9]
	s_xor_b64 s[8:9], exec, s[14:15]
	s_cbranch_execnz .LBB180_487
; %bb.483:
	s_andn2_saveexec_b64 s[0:1], s[8:9]
	s_cbranch_execnz .LBB180_506
.LBB180_484:
	s_or_b64 exec, exec, s[0:1]
	s_and_saveexec_b64 s[0:1], s[6:7]
.LBB180_485:
	; divergent unreachable
.LBB180_486:
	s_endpgm
.LBB180_487:
	s_and_saveexec_b64 s[14:15], s[10:11]
	s_xor_b64 s[10:11], exec, s[14:15]
	s_cbranch_execz .LBB180_504
; %bb.488:
	s_and_saveexec_b64 s[14:15], s[12:13]
	s_xor_b64 s[12:13], exec, s[14:15]
	s_cbranch_execz .LBB180_502
; %bb.489:
	;; [unrolled: 4-line block ×3, first 2 shown]
	s_and_saveexec_b64 s[4:5], s[2:3]
	s_xor_b64 s[2:3], exec, s[4:5]
; %bb.491:
	v_lshrrev_b32_e32 v2, 31, v27
	v_add_co_u32_e32 v2, vcc, -1, v2
	v_addc_co_u32_e64 v3, s[4:5], 0, -1, vcc
	v_or_b32_e32 v3, 0x80000000, v3
	v_xor_b32_e32 v7, v3, v27
	v_xor_b32_e32 v6, v2, v26
; %bb.492:
	s_or_b64 exec, exec, s[2:3]
	s_mov_b64 s[2:3], exec
	v_readlane_b32 s6, v56, 10
	v_readlane_b32 s7, v56, 11
	s_load_dwordx2 s[52:53], s[6:7], 0x0
	v_readlane_b32 s4, v56, 8
	v_readlane_b32 s5, v56, 9
	v_readlane_b32 s54, v56, 16
	s_and_b64 s[4:5], s[2:3], s[4:5]
	v_readlane_b32 s55, v56, 17
	s_mov_b64 exec, s[4:5]
; %bb.493:
	v_mov_b32_e32 v2, 0
	v_mov_b32_e32 v3, v2
	ds_write_b64 v2, v[2:3] offset:5136
; %bb.494:
	s_or_b64 exec, exec, s[2:3]
	v_mov_b32_e32 v4, 0
	v_mov_b32_e32 v5, 0
	s_waitcnt lgkmcnt(0)
	s_barrier
	s_mov_b64 s[2:3], exec
	v_readlane_b32 s4, v56, 22
	v_readlane_b32 s5, v56, 23
	s_and_b64 s[4:5], s[2:3], s[4:5]
	s_mov_b64 exec, s[4:5]
	s_cbranch_execz .LBB180_496
; %bb.495:
	global_load_dwordx2 v[4:5], v[16:17], off
.LBB180_496:
	s_or_b64 exec, exec, s[2:3]
	v_readlane_b32 s4, v56, 12
	v_readlane_b32 s5, v56, 13
	s_mov_b32 s18, s4
	v_readlane_b32 s4, v56, 4
	v_cmp_o_f64_e32 vcc, v[6:7], v[6:7]
	s_add_u32 s2, s24, 63
	v_readlane_b32 s5, v56, 5
	v_readlane_b32 s20, v56, 0
	s_mul_i32 s3, s5, s18
	s_addc_u32 s17, s25, 0
	s_and_b32 s16, s2, 0xffffffc0
	s_mul_hi_u32 s2, s4, s18
	v_readlane_b32 s21, v56, 1
	s_add_i32 s3, s2, s3
	s_mul_i32 s2, s4, s18
	s_mul_i32 s4, s21, s18
	s_mul_hi_u32 s5, s20, s18
	s_add_i32 s5, s5, s4
	s_mul_i32 s4, s20, s18
	s_lshl_b64 s[2:3], s[2:3], 3
	v_readlane_b32 s18, v56, 6
	v_readlane_b32 s19, v56, 7
	s_add_u32 s46, s18, s2
	v_ashrrev_i32_e32 v2, 31, v7
	s_addc_u32 s47, s19, s3
	s_load_dwordx2 s[18:19], s[6:7], 0x368
	s_load_dwordx2 s[20:21], s[6:7], 0x510
	v_or_b32_e32 v3, 0x80000000, v2
	v_xor_b32_e32 v3, v3, v7
	v_xor_b32_e32 v2, v2, v6
	s_lshl_b64 s[2:3], s[4:5], 3
	v_readlane_b32 s4, v56, 2
	v_cndmask_b32_e32 v3, -1, v3, vcc
	v_cndmask_b32_e32 v2, -1, v2, vcc
	v_readlane_b32 s5, v56, 3
	s_add_u32 s48, s4, s2
	v_cmp_gt_u64_e32 vcc, s[16:17], v[0:1]
	s_addc_u32 s49, s5, s3
	s_mov_b64 s[34:35], -1
	s_mov_b64 s[2:3], 0
	s_mov_b64 s[4:5], 0
	s_and_saveexec_b64 s[30:31], vcc
	s_cbranch_execnz .LBB180_507
; %bb.497:
	s_or_b64 exec, exec, s[30:31]
	s_and_saveexec_b64 s[6:7], s[34:35]
	s_cbranch_execnz .LBB180_524
.LBB180_498:
	s_or_b64 exec, exec, s[6:7]
	s_and_saveexec_b64 s[0:1], s[4:5]
	s_xor_b64 s[0:1], exec, s[0:1]
	s_cbranch_execnz .LBB180_549
.LBB180_499:
	s_or_b64 exec, exec, s[0:1]
	s_and_b64 s[6:7], s[2:3], exec
.LBB180_500:
	s_andn2_saveexec_b64 s[0:1], s[14:15]
	s_cbranch_execnz .LBB180_551
.LBB180_501:
	s_or_b64 exec, exec, s[0:1]
	s_and_b64 s[6:7], s[6:7], exec
.LBB180_502:
	s_andn2_saveexec_b64 s[0:1], s[12:13]
	s_cbranch_execnz .LBB180_550
.LBB180_503:
	s_or_b64 exec, exec, s[0:1]
	s_and_b64 s[6:7], s[6:7], exec
.LBB180_504:
	s_andn2_saveexec_b64 s[0:1], s[10:11]
	s_cbranch_execnz .LBB180_545
.LBB180_505:
	s_or_b64 exec, exec, s[0:1]
	s_and_b64 s[6:7], s[6:7], exec
	s_andn2_saveexec_b64 s[0:1], s[8:9]
	s_cbranch_execz .LBB180_484
.LBB180_506:
	s_or_b64 s[6:7], s[6:7], exec
	s_trap 2
	s_or_b64 exec, exec, s[0:1]
	s_and_saveexec_b64 s[0:1], s[6:7]
	s_cbranch_execnz .LBB180_485
	s_branch .LBB180_486
.LBB180_507:
	v_add_u32_e32 v8, s33, v0
	v_mad_u64_u32 v[6:7], s[4:5], s22, v8, 0
	v_mov_b32_e32 v19, v1
	s_mov_b64 s[34:35], 0
	v_mad_u64_u32 v[7:8], s[4:5], s23, v8, v[7:8]
	v_readlane_b32 s4, v56, 14
	v_readlane_b32 s5, v56, 15
	s_add_u32 s4, s52, s4
	v_lshlrev_b64 v[6:7], 3, v[6:7]
	s_addc_u32 s5, s53, s5
	v_mov_b32_e32 v8, s5
	v_add_co_u32_e64 v6, s[4:5], s4, v6
	v_addc_co_u32_e64 v7, s[4:5], v8, v7, s[4:5]
	v_mov_b32_e32 v9, 0
	v_mov_b32_e32 v18, v0
                                        ; implicit-def: $sgpr36_sgpr37
                                        ; implicit-def: $vgpr14_vgpr15
	s_branch .LBB180_509
.LBB180_508:                            ;   in Loop: Header=BB180_509 Depth=1
	s_or_b64 exec, exec, s[38:39]
	s_xor_b64 s[4:5], s[40:41], -1
	s_and_b64 s[6:7], exec, s[6:7]
	s_or_b64 s[34:35], s[6:7], s[34:35]
	s_andn2_b64 s[6:7], s[36:37], exec
	s_and_b64 s[4:5], s[4:5], exec
	s_waitcnt vmcnt(0)
	v_mov_b32_e32 v4, v12
	v_mov_b32_e32 v19, v11
	s_or_b64 s[36:37], s[6:7], s[4:5]
	v_mov_b32_e32 v5, v13
	v_mov_b32_e32 v18, v10
	s_andn2_b64 exec, exec, s[34:35]
	s_cbranch_execz .LBB180_523
.LBB180_509:                            ; =>This Inner Loop Header: Depth=1
	v_add_co_u32_e64 v10, s[4:5], s33, v18
	v_addc_co_u32_e64 v11, s[4:5], 0, v19, s[4:5]
	v_cmp_gt_u64_e64 s[4:5], s[24:25], v[10:11]
	v_mov_b32_e32 v12, 0
	v_mov_b32_e32 v13, 0
	s_and_saveexec_b64 s[6:7], s[4:5]
	s_cbranch_execz .LBB180_511
; %bb.510:                              ;   in Loop: Header=BB180_509 Depth=1
	global_load_dwordx2 v[12:13], v[6:7], off
.LBB180_511:                            ;   in Loop: Header=BB180_509 Depth=1
	s_or_b64 exec, exec, s[6:7]
	v_cmp_gt_u64_e64 s[4:5], s[24:25], v[18:19]
	s_mov_b64 s[38:39], 0
	s_and_saveexec_b64 s[6:7], s[4:5]
	s_cbranch_execz .LBB180_513
; %bb.512:                              ;   in Loop: Header=BB180_509 Depth=1
	s_waitcnt vmcnt(0)
	v_cmp_o_f64_e64 s[4:5], v[4:5], v[4:5]
	v_ashrrev_i32_e32 v8, 31, v5
	v_or_b32_e32 v20, 0x80000000, v8
	v_xor_b32_e32 v20, v20, v5
	v_xor_b32_e32 v8, v8, v4
	v_cndmask_b32_e64 v21, -1, v20, s[4:5]
	v_cndmask_b32_e64 v20, -1, v8, s[4:5]
	v_cmp_gt_u64_e64 s[4:5], v[20:21], v[2:3]
	v_cndmask_b32_e64 v8, 0, 1, s[4:5]
	v_cmp_lt_u64_e64 s[4:5], v[20:21], v[2:3]
	v_cndmask_b32_e64 v20, 0, 1, s[4:5]
	v_cndmask_b32_e64 v8, v20, v8, s[54:55]
	v_and_b32_e32 v8, 1, v8
	v_cmp_eq_u32_e64 s[4:5], 1, v8
	s_and_b64 s[38:39], s[4:5], exec
.LBB180_513:                            ;   in Loop: Header=BB180_509 Depth=1
	s_or_b64 exec, exec, s[6:7]
	v_cndmask_b32_e64 v8, 0, 1, s[38:39]
	v_cmp_ne_u32_e64 s[4:5], 0, v8
	s_cmp_lg_u64 s[4:5], 0
	s_cselect_b64 s[6:7], -1, 0
	s_and_b64 s[6:7], s[0:1], s[6:7]
	s_and_saveexec_b64 s[40:41], s[6:7]
	s_cbranch_execz .LBB180_517
; %bb.514:                              ;   in Loop: Header=BB180_509 Depth=1
	s_mov_b64 s[44:45], exec
	v_mbcnt_lo_u32_b32 v8, s44, 0
	v_mbcnt_hi_u32_b32 v20, s45, v8
	s_bcnt1_i32_b64 s50, s[4:5]
	v_cmp_eq_u32_e64 s[6:7], 0, v20
                                        ; implicit-def: $vgpr14_vgpr15
	s_and_saveexec_b64 s[42:43], s[6:7]
	s_cbranch_execz .LBB180_516
; %bb.515:                              ;   in Loop: Header=BB180_509 Depth=1
	s_bcnt1_i32_b64 s6, s[44:45]
	s_mul_i32 s6, s50, s6
	v_mov_b32_e32 v8, s6
	s_waitcnt lgkmcnt(0)
	ds_add_rtn_u64 v[14:15], v9, v[8:9] offset:5136
.LBB180_516:                            ;   in Loop: Header=BB180_509 Depth=1
	s_or_b64 exec, exec, s[42:43]
	s_waitcnt lgkmcnt(0)
	v_readfirstlane_b32 s6, v15
	v_readfirstlane_b32 s7, v14
	v_mov_b32_e32 v14, s7
	v_mov_b32_e32 v15, s6
	v_mad_u64_u32 v[14:15], s[6:7], s50, v20, v[14:15]
.LBB180_517:                            ;   in Loop: Header=BB180_509 Depth=1
	s_or_b64 exec, exec, s[40:41]
	s_waitcnt lgkmcnt(0)
	ds_bpermute_b32 v14, v40, v14
	ds_bpermute_b32 v15, v40, v15
	s_mov_b64 s[6:7], -1
	s_mov_b64 s[42:43], -1
	s_and_saveexec_b64 s[40:41], s[38:39]
	s_cbranch_execz .LBB180_521
; %bb.518:                              ;   in Loop: Header=BB180_509 Depth=1
	v_and_b32_e32 v20, s4, v42
	v_and_b32_e32 v8, s5, v41
	v_bcnt_u32_b32 v20, v20, 0
	v_bcnt_u32_b32 v8, v8, v20
	s_waitcnt lgkmcnt(0)
	v_add_co_u32_e64 v20, s[4:5], v14, v8
	v_addc_co_u32_e64 v21, s[4:5], 0, v15, s[4:5]
	v_cmp_gt_u64_e64 s[4:5], s[26:27], v[20:21]
	s_mov_b64 s[38:39], 0
	s_and_saveexec_b64 s[42:43], s[4:5]
	s_cbranch_execz .LBB180_520
; %bb.519:                              ;   in Loop: Header=BB180_509 Depth=1
	v_mul_lo_u32 v8, v21, s18
	v_mul_lo_u32 v24, v20, s19
	v_mad_u64_u32 v[22:23], s[4:5], v20, s18, 0
	v_mul_lo_u32 v25, v21, s20
	v_mul_lo_u32 v26, v20, s21
	v_mad_u64_u32 v[20:21], s[4:5], v20, s20, 0
	v_add3_u32 v23, v23, v24, v8
	v_lshlrev_b64 v[22:23], 3, v[22:23]
	v_mov_b32_e32 v8, s47
	v_add_co_u32_e64 v22, s[4:5], s46, v22
	v_add3_u32 v21, v21, v26, v25
	v_addc_co_u32_e64 v23, s[4:5], v8, v23, s[4:5]
	s_waitcnt vmcnt(0)
	global_store_dwordx2 v[22:23], v[4:5], off
	v_lshlrev_b64 v[4:5], 3, v[20:21]
	v_mov_b32_e32 v8, s49
	v_add_co_u32_e64 v4, s[4:5], s48, v4
	s_mov_b64 s[38:39], exec
	v_addc_co_u32_e64 v5, s[4:5], v8, v5, s[4:5]
	global_store_dwordx2 v[4:5], v[18:19], off
.LBB180_520:                            ;   in Loop: Header=BB180_509 Depth=1
	s_or_b64 exec, exec, s[42:43]
	s_orn2_b64 s[42:43], s[38:39], exec
.LBB180_521:                            ;   in Loop: Header=BB180_509 Depth=1
	s_or_b64 exec, exec, s[40:41]
	s_mov_b64 s[40:41], -1
	s_and_saveexec_b64 s[38:39], s[42:43]
	s_cbranch_execz .LBB180_508
; %bb.522:                              ;   in Loop: Header=BB180_509 Depth=1
	s_waitcnt vmcnt(0)
	v_mov_b32_e32 v4, s29
	v_add_co_u32_e64 v6, s[4:5], s28, v6
	v_addc_co_u32_e64 v7, s[4:5], v7, v4, s[4:5]
	v_cmp_le_u64_e64 s[4:5], s[16:17], v[10:11]
	s_xor_b64 s[40:41], exec, -1
	s_orn2_b64 s[6:7], s[4:5], exec
	s_branch .LBB180_508
.LBB180_523:
	s_or_b64 exec, exec, s[34:35]
	s_mov_b64 s[4:5], exec
	s_orn2_b64 s[34:35], s[36:37], exec
	s_or_b64 exec, exec, s[30:31]
	s_and_saveexec_b64 s[6:7], s[34:35]
	s_cbranch_execz .LBB180_498
.LBB180_524:
	v_mov_b32_e32 v12, 0
	v_mov_b32_e32 v13, 0
	s_waitcnt vmcnt(0) lgkmcnt(0)
	s_barrier
	s_mov_b64 s[2:3], exec
	v_readlane_b32 s30, v56, 22
	v_readlane_b32 s31, v56, 23
	s_and_b64 s[30:31], s[2:3], s[30:31]
	s_mov_b64 exec, s[30:31]
	s_cbranch_execz .LBB180_526
; %bb.525:
	global_load_dwordx2 v[12:13], v[16:17], off
.LBB180_526:
	s_or_b64 exec, exec, s[2:3]
	s_mov_b64 s[2:3], 0
	s_and_saveexec_b64 s[30:31], vcc
	s_cbranch_execz .LBB180_548
; %bb.527:
	v_add_u32_e32 v6, s33, v0
	v_mad_u64_u32 v[4:5], s[2:3], s22, v6, 0
	v_mov_b32_e32 v7, 0
                                        ; implicit-def: $sgpr34_sgpr35
                                        ; implicit-def: $vgpr14_vgpr15
	v_mad_u64_u32 v[5:6], s[2:3], s23, v6, v[5:6]
	v_readlane_b32 s2, v56, 14
	v_readlane_b32 s3, v56, 15
	s_add_u32 s2, s52, s2
	v_lshlrev_b64 v[4:5], 3, v[4:5]
	s_addc_u32 s3, s53, s3
	v_mov_b32_e32 v6, s3
	v_add_co_u32_e32 v4, vcc, s2, v4
	v_addc_co_u32_e32 v5, vcc, v6, v5, vcc
	s_mov_b64 s[22:23], 0
	s_branch .LBB180_530
.LBB180_528:                            ;   in Loop: Header=BB180_530 Depth=1
	s_or_b64 exec, exec, s[38:39]
	s_orn2_b64 s[40:41], s[42:43], exec
	s_orn2_b64 s[38:39], s[36:37], exec
.LBB180_529:                            ;   in Loop: Header=BB180_530 Depth=1
	s_or_b64 exec, exec, s[2:3]
	s_xor_b64 s[2:3], s[40:41], -1
	s_and_b64 s[36:37], exec, s[38:39]
	s_or_b64 s[22:23], s[36:37], s[22:23]
	s_andn2_b64 s[34:35], s[34:35], exec
	s_and_b64 s[2:3], s[2:3], exec
	v_mov_b32_e32 v0, v8
	s_waitcnt vmcnt(0)
	v_mov_b32_e32 v13, v11
	s_or_b64 s[34:35], s[34:35], s[2:3]
	v_mov_b32_e32 v1, v9
	v_mov_b32_e32 v12, v10
	s_andn2_b64 exec, exec, s[22:23]
	s_cbranch_execz .LBB180_546
.LBB180_530:                            ; =>This Inner Loop Header: Depth=1
	v_add_co_u32_e32 v8, vcc, s33, v0
	v_addc_co_u32_e32 v9, vcc, 0, v1, vcc
	v_cmp_gt_u64_e32 vcc, s[24:25], v[8:9]
	v_mov_b32_e32 v10, 0
	v_mov_b32_e32 v11, 0
	s_and_saveexec_b64 s[2:3], vcc
	s_cbranch_execz .LBB180_532
; %bb.531:                              ;   in Loop: Header=BB180_530 Depth=1
	global_load_dwordx2 v[10:11], v[4:5], off
.LBB180_532:                            ;   in Loop: Header=BB180_530 Depth=1
	s_or_b64 exec, exec, s[2:3]
	v_cmp_gt_u64_e32 vcc, s[24:25], v[0:1]
	s_mov_b64 s[36:37], 0
	s_and_saveexec_b64 s[2:3], vcc
	s_cbranch_execz .LBB180_534
; %bb.533:                              ;   in Loop: Header=BB180_530 Depth=1
	s_waitcnt vmcnt(0)
	v_cmp_o_f64_e32 vcc, v[12:13], v[12:13]
	v_ashrrev_i32_e32 v6, 31, v13
	v_or_b32_e32 v16, 0x80000000, v6
	v_xor_b32_e32 v16, v16, v13
	v_xor_b32_e32 v6, v6, v12
	v_cndmask_b32_e32 v17, -1, v16, vcc
	v_cndmask_b32_e32 v16, -1, v6, vcc
	v_cmp_eq_u64_e32 vcc, v[16:17], v[2:3]
	s_and_b64 s[36:37], vcc, exec
.LBB180_534:                            ;   in Loop: Header=BB180_530 Depth=1
	s_or_b64 exec, exec, s[2:3]
	v_cndmask_b32_e64 v6, 0, 1, s[36:37]
	v_cmp_ne_u32_e32 vcc, 0, v6
	s_cmp_lg_u64 vcc, 0
	s_cselect_b64 s[2:3], -1, 0
	s_and_b64 s[2:3], s[0:1], s[2:3]
	s_and_saveexec_b64 s[38:39], s[2:3]
	s_cbranch_execz .LBB180_538
; %bb.535:                              ;   in Loop: Header=BB180_530 Depth=1
	s_mov_b64 s[42:43], exec
	v_mbcnt_lo_u32_b32 v6, s42, 0
	v_mbcnt_hi_u32_b32 v16, s43, v6
	s_bcnt1_i32_b64 s44, vcc
	v_cmp_eq_u32_e64 s[2:3], 0, v16
                                        ; implicit-def: $vgpr14_vgpr15
	s_and_saveexec_b64 s[40:41], s[2:3]
; %bb.536:                              ;   in Loop: Header=BB180_530 Depth=1
	s_bcnt1_i32_b64 s2, s[42:43]
	s_mul_i32 s2, s44, s2
	v_mov_b32_e32 v6, s2
	ds_add_rtn_u64 v[14:15], v7, v[6:7] offset:5136
; %bb.537:                              ;   in Loop: Header=BB180_530 Depth=1
	s_or_b64 exec, exec, s[40:41]
	s_waitcnt lgkmcnt(0)
	v_readfirstlane_b32 s2, v15
	v_readfirstlane_b32 s3, v14
	v_mov_b32_e32 v14, s3
	v_mov_b32_e32 v15, s2
	v_mad_u64_u32 v[14:15], s[2:3], s44, v16, v[14:15]
.LBB180_538:                            ;   in Loop: Header=BB180_530 Depth=1
	s_or_b64 exec, exec, s[38:39]
	ds_bpermute_b32 v14, v40, v14
	ds_bpermute_b32 v15, v40, v15
	s_cmp_eq_u64 vcc, 0
	s_cselect_b64 s[40:41], -1, 0
	s_mov_b64 s[38:39], -1
	s_waitcnt lgkmcnt(0)
	v_cmp_gt_u64_e64 s[2:3], s[26:27], v[14:15]
	s_or_b64 s[42:43], s[40:41], s[2:3]
	s_mov_b64 s[40:41], -1
	s_and_saveexec_b64 s[2:3], s[42:43]
	s_cbranch_execz .LBB180_529
; %bb.539:                              ;   in Loop: Header=BB180_530 Depth=1
	v_and_b32_e32 v16, vcc_lo, v42
	v_and_b32_e32 v6, vcc_hi, v41
	v_bcnt_u32_b32 v16, v16, 0
	v_bcnt_u32_b32 v6, v6, v16
	v_mov_b32_e32 v17, s27
	v_sub_co_u32_e32 v16, vcc, s26, v14
	v_subb_co_u32_e32 v17, vcc, v17, v15, vcc
	v_cmp_gt_u64_e32 vcc, v[16:17], v[6:7]
	s_mov_b64 s[42:43], -1
	s_and_b64 s[44:45], s[36:37], vcc
	s_mov_b64 s[36:37], -1
	s_and_saveexec_b64 s[38:39], s[44:45]
	s_cbranch_execz .LBB180_543
; %bb.540:                              ;   in Loop: Header=BB180_530 Depth=1
	v_add_co_u32_e32 v16, vcc, v14, v6
	v_addc_co_u32_e32 v17, vcc, 0, v15, vcc
	v_cmp_gt_u64_e32 vcc, s[26:27], v[16:17]
	s_mov_b64 s[40:41], 0
	s_and_saveexec_b64 s[42:43], vcc
	s_cbranch_execz .LBB180_542
; %bb.541:                              ;   in Loop: Header=BB180_530 Depth=1
	v_mul_lo_u32 v6, v17, s18
	v_mul_lo_u32 v20, v16, s19
	v_mad_u64_u32 v[18:19], s[44:45], v16, s18, 0
	v_mul_lo_u32 v21, v17, s20
	v_mul_lo_u32 v22, v16, s21
	v_mad_u64_u32 v[16:17], s[44:45], v16, s20, 0
	v_add3_u32 v19, v19, v20, v6
	v_lshlrev_b64 v[18:19], 3, v[18:19]
	v_mov_b32_e32 v6, s47
	v_add_co_u32_e32 v18, vcc, s46, v18
	v_add3_u32 v17, v17, v22, v21
	v_addc_co_u32_e32 v19, vcc, v6, v19, vcc
	s_waitcnt vmcnt(0)
	global_store_dwordx2 v[18:19], v[12:13], off
	v_lshlrev_b64 v[12:13], 3, v[16:17]
	v_mov_b32_e32 v6, s49
	v_add_co_u32_e32 v12, vcc, s48, v12
	s_mov_b64 s[40:41], exec
	v_addc_co_u32_e32 v13, vcc, v6, v13, vcc
	global_store_dwordx2 v[12:13], v[0:1], off
.LBB180_542:                            ;   in Loop: Header=BB180_530 Depth=1
	s_or_b64 exec, exec, s[42:43]
	s_xor_b64 s[42:43], exec, -1
	s_orn2_b64 s[40:41], s[40:41], exec
.LBB180_543:                            ;   in Loop: Header=BB180_530 Depth=1
	s_or_b64 exec, exec, s[38:39]
	s_and_saveexec_b64 s[38:39], s[40:41]
	s_cbranch_execz .LBB180_528
; %bb.544:                              ;   in Loop: Header=BB180_530 Depth=1
	v_mov_b32_e32 v0, s29
	v_add_co_u32_e32 v4, vcc, s28, v4
	v_addc_co_u32_e32 v5, vcc, v5, v0, vcc
	v_cmp_le_u64_e32 vcc, s[16:17], v[8:9]
	s_or_b64 s[42:43], s[42:43], exec
	s_orn2_b64 s[36:37], vcc, exec
	s_branch .LBB180_528
.LBB180_545:
	s_or_b64 s[6:7], s[6:7], exec
	s_trap 2
	s_branch .LBB180_505
.LBB180_546:
	s_or_b64 exec, exec, s[22:23]
	s_mov_b64 s[0:1], 0
	s_and_saveexec_b64 s[2:3], s[34:35]
	s_xor_b64 s[2:3], exec, s[2:3]
	s_cbranch_execnz .LBB180_552
.LBB180_547:
	s_or_b64 exec, exec, s[2:3]
	s_and_b64 s[2:3], s[0:1], exec
.LBB180_548:
	s_or_b64 exec, exec, s[30:31]
	s_and_b64 s[2:3], s[2:3], exec
	s_andn2_b64 s[4:5], s[4:5], exec
	s_or_b64 exec, exec, s[6:7]
	s_and_saveexec_b64 s[0:1], s[4:5]
	s_xor_b64 s[0:1], exec, s[0:1]
	s_cbranch_execz .LBB180_499
.LBB180_549:
	s_trap 2
	s_or_b64 s[2:3], s[2:3], exec
	s_branch .LBB180_499
.LBB180_550:
	s_or_b64 s[6:7], s[6:7], exec
	s_trap 2
	s_branch .LBB180_503
.LBB180_551:
	s_trap 2
	s_or_b64 s[6:7], s[6:7], exec
	s_branch .LBB180_501
.LBB180_552:
	s_mov_b64 s[0:1], exec
	s_trap 2
	s_branch .LBB180_547
	.section	.rodata,"a",@progbits
	.p2align	6, 0x0
	.amdhsa_kernel _ZN2at6native6sbtopk10gatherTopKIdmLi1ELb0EEEvNS_4cuda6detail10TensorInfoIKT_T0_EES8_S8_bS8_S8_NS5_IS6_S8_EES8_NS5_IlS8_EES8_PS6_
		.amdhsa_group_segment_fixed_size 5152
		.amdhsa_private_segment_fixed_size 0
		.amdhsa_kernarg_size 1568
		.amdhsa_user_sgpr_count 6
		.amdhsa_user_sgpr_private_segment_buffer 1
		.amdhsa_user_sgpr_dispatch_ptr 0
		.amdhsa_user_sgpr_queue_ptr 0
		.amdhsa_user_sgpr_kernarg_segment_ptr 1
		.amdhsa_user_sgpr_dispatch_id 0
		.amdhsa_user_sgpr_flat_scratch_init 0
		.amdhsa_user_sgpr_private_segment_size 0
		.amdhsa_uses_dynamic_stack 0
		.amdhsa_system_sgpr_private_segment_wavefront_offset 0
		.amdhsa_system_sgpr_workgroup_id_x 1
		.amdhsa_system_sgpr_workgroup_id_y 1
		.amdhsa_system_sgpr_workgroup_id_z 1
		.amdhsa_system_sgpr_workgroup_info 0
		.amdhsa_system_vgpr_workitem_id 0
		.amdhsa_next_free_vgpr 57
		.amdhsa_next_free_sgpr 96
		.amdhsa_reserve_vcc 1
		.amdhsa_reserve_flat_scratch 0
		.amdhsa_float_round_mode_32 0
		.amdhsa_float_round_mode_16_64 0
		.amdhsa_float_denorm_mode_32 3
		.amdhsa_float_denorm_mode_16_64 3
		.amdhsa_dx10_clamp 1
		.amdhsa_ieee_mode 1
		.amdhsa_fp16_overflow 0
		.amdhsa_exception_fp_ieee_invalid_op 0
		.amdhsa_exception_fp_denorm_src 0
		.amdhsa_exception_fp_ieee_div_zero 0
		.amdhsa_exception_fp_ieee_overflow 0
		.amdhsa_exception_fp_ieee_underflow 0
		.amdhsa_exception_fp_ieee_inexact 0
		.amdhsa_exception_int_div_zero 0
	.end_amdhsa_kernel
	.section	.text._ZN2at6native6sbtopk10gatherTopKIdmLi1ELb0EEEvNS_4cuda6detail10TensorInfoIKT_T0_EES8_S8_bS8_S8_NS5_IS6_S8_EES8_NS5_IlS8_EES8_PS6_,"axG",@progbits,_ZN2at6native6sbtopk10gatherTopKIdmLi1ELb0EEEvNS_4cuda6detail10TensorInfoIKT_T0_EES8_S8_bS8_S8_NS5_IS6_S8_EES8_NS5_IlS8_EES8_PS6_,comdat
.Lfunc_end180:
	.size	_ZN2at6native6sbtopk10gatherTopKIdmLi1ELb0EEEvNS_4cuda6detail10TensorInfoIKT_T0_EES8_S8_bS8_S8_NS5_IS6_S8_EES8_NS5_IlS8_EES8_PS6_, .Lfunc_end180-_ZN2at6native6sbtopk10gatherTopKIdmLi1ELb0EEEvNS_4cuda6detail10TensorInfoIKT_T0_EES8_S8_bS8_S8_NS5_IS6_S8_EES8_NS5_IlS8_EES8_PS6_
                                        ; -- End function
	.set _ZN2at6native6sbtopk10gatherTopKIdmLi1ELb0EEEvNS_4cuda6detail10TensorInfoIKT_T0_EES8_S8_bS8_S8_NS5_IS6_S8_EES8_NS5_IlS8_EES8_PS6_.num_vgpr, 57
	.set _ZN2at6native6sbtopk10gatherTopKIdmLi1ELb0EEEvNS_4cuda6detail10TensorInfoIKT_T0_EES8_S8_bS8_S8_NS5_IS6_S8_EES8_NS5_IlS8_EES8_PS6_.num_agpr, 0
	.set _ZN2at6native6sbtopk10gatherTopKIdmLi1ELb0EEEvNS_4cuda6detail10TensorInfoIKT_T0_EES8_S8_bS8_S8_NS5_IS6_S8_EES8_NS5_IlS8_EES8_PS6_.numbered_sgpr, 96
	.set _ZN2at6native6sbtopk10gatherTopKIdmLi1ELb0EEEvNS_4cuda6detail10TensorInfoIKT_T0_EES8_S8_bS8_S8_NS5_IS6_S8_EES8_NS5_IlS8_EES8_PS6_.num_named_barrier, 0
	.set _ZN2at6native6sbtopk10gatherTopKIdmLi1ELb0EEEvNS_4cuda6detail10TensorInfoIKT_T0_EES8_S8_bS8_S8_NS5_IS6_S8_EES8_NS5_IlS8_EES8_PS6_.private_seg_size, 0
	.set _ZN2at6native6sbtopk10gatherTopKIdmLi1ELb0EEEvNS_4cuda6detail10TensorInfoIKT_T0_EES8_S8_bS8_S8_NS5_IS6_S8_EES8_NS5_IlS8_EES8_PS6_.uses_vcc, 1
	.set _ZN2at6native6sbtopk10gatherTopKIdmLi1ELb0EEEvNS_4cuda6detail10TensorInfoIKT_T0_EES8_S8_bS8_S8_NS5_IS6_S8_EES8_NS5_IlS8_EES8_PS6_.uses_flat_scratch, 0
	.set _ZN2at6native6sbtopk10gatherTopKIdmLi1ELb0EEEvNS_4cuda6detail10TensorInfoIKT_T0_EES8_S8_bS8_S8_NS5_IS6_S8_EES8_NS5_IlS8_EES8_PS6_.has_dyn_sized_stack, 0
	.set _ZN2at6native6sbtopk10gatherTopKIdmLi1ELb0EEEvNS_4cuda6detail10TensorInfoIKT_T0_EES8_S8_bS8_S8_NS5_IS6_S8_EES8_NS5_IlS8_EES8_PS6_.has_recursion, 0
	.set _ZN2at6native6sbtopk10gatherTopKIdmLi1ELb0EEEvNS_4cuda6detail10TensorInfoIKT_T0_EES8_S8_bS8_S8_NS5_IS6_S8_EES8_NS5_IlS8_EES8_PS6_.has_indirect_call, 0
	.section	.AMDGPU.csdata,"",@progbits
; Kernel info:
; codeLenInByte = 26616
; TotalNumSgprs: 100
; NumVgprs: 57
; ScratchSize: 0
; MemoryBound: 0
; FloatMode: 240
; IeeeMode: 1
; LDSByteSize: 5152 bytes/workgroup (compile time only)
; SGPRBlocks: 12
; VGPRBlocks: 14
; NumSGPRsForWavesPerEU: 100
; NumVGPRsForWavesPerEU: 57
; Occupancy: 4
; WaveLimiterHint : 1
; COMPUTE_PGM_RSRC2:SCRATCH_EN: 0
; COMPUTE_PGM_RSRC2:USER_SGPR: 6
; COMPUTE_PGM_RSRC2:TRAP_HANDLER: 0
; COMPUTE_PGM_RSRC2:TGID_X_EN: 1
; COMPUTE_PGM_RSRC2:TGID_Y_EN: 1
; COMPUTE_PGM_RSRC2:TGID_Z_EN: 1
; COMPUTE_PGM_RSRC2:TIDIG_COMP_CNT: 0
	.section	.text._ZN2at6native6mbtopk23computeBlockDigitCountsIdmmLi2EEEvNS_4cuda6detail10TensorInfoIKT_T0_EEjPjjS8_iijT1_PSB_Ps,"axG",@progbits,_ZN2at6native6mbtopk23computeBlockDigitCountsIdmmLi2EEEvNS_4cuda6detail10TensorInfoIKT_T0_EEjPjjS8_iijT1_PSB_Ps,comdat
	.protected	_ZN2at6native6mbtopk23computeBlockDigitCountsIdmmLi2EEEvNS_4cuda6detail10TensorInfoIKT_T0_EEjPjjS8_iijT1_PSB_Ps ; -- Begin function _ZN2at6native6mbtopk23computeBlockDigitCountsIdmmLi2EEEvNS_4cuda6detail10TensorInfoIKT_T0_EEjPjjS8_iijT1_PSB_Ps
	.globl	_ZN2at6native6mbtopk23computeBlockDigitCountsIdmmLi2EEEvNS_4cuda6detail10TensorInfoIKT_T0_EEjPjjS8_iijT1_PSB_Ps
	.p2align	8
	.type	_ZN2at6native6mbtopk23computeBlockDigitCountsIdmmLi2EEEvNS_4cuda6detail10TensorInfoIKT_T0_EEjPjjS8_iijT1_PSB_Ps,@function
_ZN2at6native6mbtopk23computeBlockDigitCountsIdmmLi2EEEvNS_4cuda6detail10TensorInfoIKT_T0_EEjPjjS8_iijT1_PSB_Ps: ; @_ZN2at6native6mbtopk23computeBlockDigitCountsIdmmLi2EEEvNS_4cuda6detail10TensorInfoIKT_T0_EEjPjjS8_iijT1_PSB_Ps
; %bb.0:
	s_load_dwordx4 s[0:3], s[4:5], 0x1c0
	s_load_dwordx2 s[10:11], s[4:5], 0x1e8
	s_waitcnt lgkmcnt(0)
	s_load_dword s3, s[4:5], 0x1b0
	s_mov_b32 s13, 0
	v_cvt_f32_u32_e32 v1, s2
	s_mul_i32 s8, s11, s8
	s_add_i32 s7, s8, s7
	s_mul_i32 s20, s7, s10
	v_rcp_iflag_f32_e32 v1, v1
	s_sub_i32 s9, 0, s2
	s_add_i32 s20, s20, s6
	v_mul_f32_e32 v1, 0x4f7ffffe, v1
	v_cvt_u32_f32_e32 v1, v1
	v_readfirstlane_b32 s6, v1
	s_mul_i32 s9, s9, s6
	s_mul_hi_u32 s7, s6, s9
	s_add_i32 s6, s6, s7
	s_mul_hi_u32 s6, s20, s6
	s_mul_i32 s7, s6, s2
	s_sub_i32 s7, s20, s7
	s_add_i32 s8, s6, 1
	s_sub_i32 s9, s7, s2
	s_cmp_ge_u32 s7, s2
	s_cselect_b32 s6, s8, s6
	s_cselect_b32 s7, s9, s7
	s_add_i32 s8, s6, 1
	s_cmp_ge_u32 s7, s2
	s_cselect_b32 s12, s8, s6
	s_waitcnt lgkmcnt(0)
	s_cmp_ge_u32 s12, s3
	s_cbranch_scc1 .LBB181_23
; %bb.1:
	s_load_dwordx4 s[8:11], s[4:5], 0x1d0
	s_load_dwordx2 s[14:15], s[4:5], 0x10
	s_load_dwordx2 s[6:7], s[4:5], 0x1e0
	s_lshl_b64 s[16:17], s[12:13], 3
	s_waitcnt lgkmcnt(0)
	s_add_u32 s10, s10, s16
	v_mov_b32_e32 v1, s14
	v_mov_b32_e32 v2, s15
	v_cmp_lt_u64_e32 vcc, s[12:13], v[1:2]
	s_addc_u32 s11, s11, s17
	s_mov_b64 s[16:17], 0
	s_cbranch_vccnz .LBB181_3
; %bb.2:
	v_cvt_f32_u32_e32 v1, s14
	s_sub_i32 s3, 0, s14
	v_rcp_iflag_f32_e32 v1, v1
	v_mul_f32_e32 v1, 0x4f7ffffe, v1
	v_cvt_u32_f32_e32 v1, v1
	v_readfirstlane_b32 s13, v1
	s_mul_i32 s3, s3, s13
	s_mul_hi_u32 s3, s13, s3
	s_add_i32 s13, s13, s3
	s_mul_hi_u32 s3, s12, s13
	s_mul_i32 s16, s3, s14
	s_sub_i32 s16, s12, s16
	s_add_i32 s13, s3, 1
	s_sub_i32 s17, s16, s14
	s_cmp_ge_u32 s16, s14
	s_cselect_b32 s3, s13, s3
	s_cselect_b32 s16, s17, s16
	s_add_i32 s13, s3, 1
	s_cmp_ge_u32 s16, s14
	s_cselect_b32 s16, s13, s3
.LBB181_3:
	s_movk_i32 s3, 0x100
	v_cmp_gt_u32_e32 vcc, s3, v0
	v_lshlrev_b32_e32 v3, 2, v0
	s_and_saveexec_b64 s[18:19], vcc
; %bb.4:
	v_mov_b32_e32 v1, 0
	ds_write_b32 v3, v1
; %bb.5:
	s_or_b64 exec, exec, s[18:19]
	s_load_dword s13, s[4:5], 0x1a0
	s_mul_i32 s3, s12, s2
	s_sub_i32 s3, s20, s3
	s_add_i32 s17, s3, 1
	s_mul_i32 s3, s1, s3
	s_lshl_b32 s18, s3, 8
	s_waitcnt lgkmcnt(0)
	s_sub_i32 s3, s13, s18
	s_add_u32 s22, s3, 0xff
	s_addc_u32 s23, 0, 0
	s_lshr_b64 s[22:23], s[22:23], 8
	s_cmp_lt_u32 s17, s2
	s_cselect_b32 s17, s1, s22
	s_cmp_lt_i32 s17, 1
	s_mov_b32 s1, 0
	s_barrier
	s_cbranch_scc1 .LBB181_21
; %bb.6:
	s_load_dwordx2 s[2:3], s[10:11], 0x0
	s_load_dwordx2 s[22:23], s[4:5], 0x0
	s_load_dwordx4 s[24:27], s[4:5], 0xd0
	s_mul_i32 s10, s16, s15
	s_mul_hi_u32 s11, s16, s14
	s_add_i32 s11, s11, s10
	s_mul_i32 s10, s16, s14
	s_sub_u32 s10, s12, s10
	s_subb_u32 s11, 0, s11
	s_waitcnt lgkmcnt(0)
	s_mul_i32 s12, s10, s27
	s_mul_hi_u32 s14, s10, s26
	s_add_i32 s12, s14, s12
	s_mul_i32 s11, s11, s26
	s_add_i32 s11, s12, s11
	s_mul_i32 s12, s16, s25
	s_mul_hi_u32 s14, s16, s24
	s_add_i32 s15, s14, s12
	s_mul_i32 s14, s16, s24
	s_lshl_b64 s[14:15], s[14:15], 3
	s_mul_i32 s10, s10, s26
	s_add_u32 s12, s22, s14
	s_load_dwordx2 s[4:5], s[4:5], 0x1b8
	s_addc_u32 s15, s23, s15
	s_lshl_b64 s[10:11], s[10:11], 3
	s_add_u32 s14, s12, s10
	s_addc_u32 s15, s15, s11
	s_and_b32 s12, s0, 0xff
	s_cmp_eq_u32 s17, 1
	v_add_u32_e32 v4, s18, v0
	s_cbranch_scc1 .LBB181_16
; %bb.7:
	s_and_b32 s16, s17, 0x7ffffffe
	s_mov_b32 s18, 0
	v_mov_b32_e32 v5, 1
	v_mov_b32_e32 v6, 2
	;; [unrolled: 1-line block ×3, first 2 shown]
	s_branch .LBB181_9
.LBB181_8:                              ;   in Loop: Header=BB181_9 Depth=1
	s_or_b64 exec, exec, s[10:11]
	s_add_i32 s18, s18, 2
	s_cmp_eq_u32 s16, s18
	v_add_u32_e32 v7, 0x200, v7
	s_cbranch_scc1 .LBB181_15
.LBB181_9:                              ; =>This Inner Loop Header: Depth=1
	v_cmp_gt_u32_e64 s[0:1], s13, v7
	s_and_saveexec_b64 s[10:11], s[0:1]
	s_cbranch_execz .LBB181_12
; %bb.10:                               ;   in Loop: Header=BB181_9 Depth=1
	s_waitcnt lgkmcnt(0)
	v_mad_u64_u32 v[1:2], s[0:1], s4, v7, 0
	v_mad_u64_u32 v[8:9], s[0:1], s5, v7, v[2:3]
	v_mov_b32_e32 v9, s15
	v_mov_b32_e32 v2, v8
	v_lshlrev_b64 v[1:2], 3, v[1:2]
	v_add_co_u32_e64 v1, s[0:1], s14, v1
	v_addc_co_u32_e64 v2, s[0:1], v9, v2, s[0:1]
	global_load_dwordx2 v[1:2], v[1:2], off
	s_waitcnt vmcnt(0)
	v_cmp_o_f64_e64 s[0:1], v[1:2], v[1:2]
	v_ashrrev_i32_e32 v8, 31, v2
	v_or_b32_e32 v9, 0x80000000, v8
	v_xor_b32_e32 v9, v9, v2
	v_xor_b32_e32 v1, v8, v1
	v_cndmask_b32_e64 v2, -1, v9, s[0:1]
	v_cndmask_b32_e64 v1, -1, v1, s[0:1]
	v_xor_b32_e32 v8, s3, v2
	v_xor_b32_e32 v10, s2, v1
	v_and_b32_e32 v9, s9, v8
	v_and_b32_e32 v8, s8, v10
	v_cmp_eq_u64_e64 s[0:1], 0, v[8:9]
	s_and_b64 exec, exec, s[0:1]
; %bb.11:                               ;   in Loop: Header=BB181_9 Depth=1
	v_lshrrev_b64 v[1:2], s12, v[1:2]
	v_lshlrev_b32_sdwa v1, v6, v1 dst_sel:DWORD dst_unused:UNUSED_PAD src0_sel:DWORD src1_sel:BYTE_0
	ds_add_u32 v1, v5
.LBB181_12:                             ;   in Loop: Header=BB181_9 Depth=1
	s_or_b64 exec, exec, s[10:11]
	v_add_u32_e32 v1, 0x100, v7
	v_cmp_gt_u32_e64 s[0:1], s13, v1
	s_and_saveexec_b64 s[10:11], s[0:1]
	s_cbranch_execz .LBB181_8
; %bb.13:                               ;   in Loop: Header=BB181_9 Depth=1
	s_waitcnt lgkmcnt(0)
	v_mad_u64_u32 v[8:9], s[0:1], s4, v1, 0
	v_mov_b32_e32 v10, s15
	v_mov_b32_e32 v2, v9
	v_mad_u64_u32 v[1:2], s[0:1], s5, v1, v[2:3]
	v_mov_b32_e32 v9, v1
	v_lshlrev_b64 v[1:2], 3, v[8:9]
	v_add_co_u32_e64 v1, s[0:1], s14, v1
	v_addc_co_u32_e64 v2, s[0:1], v10, v2, s[0:1]
	global_load_dwordx2 v[1:2], v[1:2], off
	s_waitcnt vmcnt(0)
	v_cmp_o_f64_e64 s[0:1], v[1:2], v[1:2]
	v_ashrrev_i32_e32 v8, 31, v2
	v_or_b32_e32 v9, 0x80000000, v8
	v_xor_b32_e32 v9, v9, v2
	v_xor_b32_e32 v1, v8, v1
	v_cndmask_b32_e64 v2, -1, v9, s[0:1]
	v_cndmask_b32_e64 v1, -1, v1, s[0:1]
	v_xor_b32_e32 v8, s3, v2
	v_xor_b32_e32 v10, s2, v1
	v_and_b32_e32 v9, s9, v8
	v_and_b32_e32 v8, s8, v10
	v_cmp_eq_u64_e64 s[0:1], 0, v[8:9]
	s_and_b64 exec, exec, s[0:1]
	s_cbranch_execz .LBB181_8
; %bb.14:                               ;   in Loop: Header=BB181_9 Depth=1
	v_lshrrev_b64 v[1:2], s12, v[1:2]
	v_lshlrev_b32_sdwa v1, v6, v1 dst_sel:DWORD dst_unused:UNUSED_PAD src0_sel:DWORD src1_sel:BYTE_0
	ds_add_u32 v1, v5
	s_branch .LBB181_8
.LBB181_15:
	s_lshl_b32 s1, s16, 8
.LBB181_16:
	s_bitcmp0_b32 s17, 0
	s_cbranch_scc1 .LBB181_21
; %bb.17:
	v_add_u32_e32 v1, s1, v4
	v_cmp_gt_u32_e64 s[0:1], s13, v1
	s_and_saveexec_b64 s[10:11], s[0:1]
	s_cbranch_execz .LBB181_20
; %bb.18:
	s_waitcnt lgkmcnt(0)
	v_mad_u64_u32 v[4:5], s[0:1], s4, v1, 0
	v_mov_b32_e32 v6, s15
	v_mov_b32_e32 v2, v5
	v_mad_u64_u32 v[1:2], s[0:1], s5, v1, v[2:3]
	v_mov_b32_e32 v5, v1
	v_lshlrev_b64 v[1:2], 3, v[4:5]
	v_add_co_u32_e64 v1, s[0:1], s14, v1
	v_addc_co_u32_e64 v2, s[0:1], v6, v2, s[0:1]
	global_load_dwordx2 v[1:2], v[1:2], off
	s_waitcnt vmcnt(0)
	v_cmp_o_f64_e64 s[0:1], v[1:2], v[1:2]
	v_ashrrev_i32_e32 v4, 31, v2
	v_or_b32_e32 v5, 0x80000000, v4
	v_xor_b32_e32 v5, v5, v2
	v_xor_b32_e32 v1, v4, v1
	v_cndmask_b32_e64 v2, -1, v5, s[0:1]
	v_cndmask_b32_e64 v1, -1, v1, s[0:1]
	v_xor_b32_e32 v4, s3, v2
	v_xor_b32_e32 v6, s2, v1
	v_and_b32_e32 v5, s9, v4
	v_and_b32_e32 v4, s8, v6
	v_cmp_eq_u64_e64 s[0:1], 0, v[4:5]
	s_and_b64 exec, exec, s[0:1]
	s_cbranch_execz .LBB181_20
; %bb.19:
	v_lshrrev_b64 v[1:2], s12, v[1:2]
	v_mov_b32_e32 v2, 2
	v_lshlrev_b32_sdwa v1, v2, v1 dst_sel:DWORD dst_unused:UNUSED_PAD src0_sel:DWORD src1_sel:BYTE_0
	v_mov_b32_e32 v2, 1
	ds_add_u32 v1, v2
.LBB181_20:
	s_or_b64 exec, exec, s[10:11]
.LBB181_21:
	s_waitcnt lgkmcnt(0)
	s_barrier
	s_and_saveexec_b64 s[0:1], vcc
	s_cbranch_execz .LBB181_23
; %bb.22:
	v_lshl_or_b32 v0, s20, 8, v0
	v_mov_b32_e32 v1, 0
	ds_read_b32 v3, v3
	v_lshlrev_b64 v[0:1], 1, v[0:1]
	v_mov_b32_e32 v2, s7
	v_add_co_u32_e32 v0, vcc, s6, v0
	v_addc_co_u32_e32 v1, vcc, v2, v1, vcc
	s_waitcnt lgkmcnt(0)
	global_store_short v[0:1], v3, off
.LBB181_23:
	s_endpgm
	.section	.rodata,"a",@progbits
	.p2align	6, 0x0
	.amdhsa_kernel _ZN2at6native6mbtopk23computeBlockDigitCountsIdmmLi2EEEvNS_4cuda6detail10TensorInfoIKT_T0_EEjPjjS8_iijT1_PSB_Ps
		.amdhsa_group_segment_fixed_size 1024
		.amdhsa_private_segment_fixed_size 0
		.amdhsa_kernarg_size 744
		.amdhsa_user_sgpr_count 6
		.amdhsa_user_sgpr_private_segment_buffer 1
		.amdhsa_user_sgpr_dispatch_ptr 0
		.amdhsa_user_sgpr_queue_ptr 0
		.amdhsa_user_sgpr_kernarg_segment_ptr 1
		.amdhsa_user_sgpr_dispatch_id 0
		.amdhsa_user_sgpr_flat_scratch_init 0
		.amdhsa_user_sgpr_private_segment_size 0
		.amdhsa_uses_dynamic_stack 0
		.amdhsa_system_sgpr_private_segment_wavefront_offset 0
		.amdhsa_system_sgpr_workgroup_id_x 1
		.amdhsa_system_sgpr_workgroup_id_y 1
		.amdhsa_system_sgpr_workgroup_id_z 1
		.amdhsa_system_sgpr_workgroup_info 0
		.amdhsa_system_vgpr_workitem_id 0
		.amdhsa_next_free_vgpr 11
		.amdhsa_next_free_sgpr 28
		.amdhsa_reserve_vcc 1
		.amdhsa_reserve_flat_scratch 0
		.amdhsa_float_round_mode_32 0
		.amdhsa_float_round_mode_16_64 0
		.amdhsa_float_denorm_mode_32 3
		.amdhsa_float_denorm_mode_16_64 3
		.amdhsa_dx10_clamp 1
		.amdhsa_ieee_mode 1
		.amdhsa_fp16_overflow 0
		.amdhsa_exception_fp_ieee_invalid_op 0
		.amdhsa_exception_fp_denorm_src 0
		.amdhsa_exception_fp_ieee_div_zero 0
		.amdhsa_exception_fp_ieee_overflow 0
		.amdhsa_exception_fp_ieee_underflow 0
		.amdhsa_exception_fp_ieee_inexact 0
		.amdhsa_exception_int_div_zero 0
	.end_amdhsa_kernel
	.section	.text._ZN2at6native6mbtopk23computeBlockDigitCountsIdmmLi2EEEvNS_4cuda6detail10TensorInfoIKT_T0_EEjPjjS8_iijT1_PSB_Ps,"axG",@progbits,_ZN2at6native6mbtopk23computeBlockDigitCountsIdmmLi2EEEvNS_4cuda6detail10TensorInfoIKT_T0_EEjPjjS8_iijT1_PSB_Ps,comdat
.Lfunc_end181:
	.size	_ZN2at6native6mbtopk23computeBlockDigitCountsIdmmLi2EEEvNS_4cuda6detail10TensorInfoIKT_T0_EEjPjjS8_iijT1_PSB_Ps, .Lfunc_end181-_ZN2at6native6mbtopk23computeBlockDigitCountsIdmmLi2EEEvNS_4cuda6detail10TensorInfoIKT_T0_EEjPjjS8_iijT1_PSB_Ps
                                        ; -- End function
	.set _ZN2at6native6mbtopk23computeBlockDigitCountsIdmmLi2EEEvNS_4cuda6detail10TensorInfoIKT_T0_EEjPjjS8_iijT1_PSB_Ps.num_vgpr, 11
	.set _ZN2at6native6mbtopk23computeBlockDigitCountsIdmmLi2EEEvNS_4cuda6detail10TensorInfoIKT_T0_EEjPjjS8_iijT1_PSB_Ps.num_agpr, 0
	.set _ZN2at6native6mbtopk23computeBlockDigitCountsIdmmLi2EEEvNS_4cuda6detail10TensorInfoIKT_T0_EEjPjjS8_iijT1_PSB_Ps.numbered_sgpr, 28
	.set _ZN2at6native6mbtopk23computeBlockDigitCountsIdmmLi2EEEvNS_4cuda6detail10TensorInfoIKT_T0_EEjPjjS8_iijT1_PSB_Ps.num_named_barrier, 0
	.set _ZN2at6native6mbtopk23computeBlockDigitCountsIdmmLi2EEEvNS_4cuda6detail10TensorInfoIKT_T0_EEjPjjS8_iijT1_PSB_Ps.private_seg_size, 0
	.set _ZN2at6native6mbtopk23computeBlockDigitCountsIdmmLi2EEEvNS_4cuda6detail10TensorInfoIKT_T0_EEjPjjS8_iijT1_PSB_Ps.uses_vcc, 1
	.set _ZN2at6native6mbtopk23computeBlockDigitCountsIdmmLi2EEEvNS_4cuda6detail10TensorInfoIKT_T0_EEjPjjS8_iijT1_PSB_Ps.uses_flat_scratch, 0
	.set _ZN2at6native6mbtopk23computeBlockDigitCountsIdmmLi2EEEvNS_4cuda6detail10TensorInfoIKT_T0_EEjPjjS8_iijT1_PSB_Ps.has_dyn_sized_stack, 0
	.set _ZN2at6native6mbtopk23computeBlockDigitCountsIdmmLi2EEEvNS_4cuda6detail10TensorInfoIKT_T0_EEjPjjS8_iijT1_PSB_Ps.has_recursion, 0
	.set _ZN2at6native6mbtopk23computeBlockDigitCountsIdmmLi2EEEvNS_4cuda6detail10TensorInfoIKT_T0_EEjPjjS8_iijT1_PSB_Ps.has_indirect_call, 0
	.section	.AMDGPU.csdata,"",@progbits
; Kernel info:
; codeLenInByte = 1252
; TotalNumSgprs: 32
; NumVgprs: 11
; ScratchSize: 0
; MemoryBound: 0
; FloatMode: 240
; IeeeMode: 1
; LDSByteSize: 1024 bytes/workgroup (compile time only)
; SGPRBlocks: 3
; VGPRBlocks: 2
; NumSGPRsForWavesPerEU: 32
; NumVGPRsForWavesPerEU: 11
; Occupancy: 10
; WaveLimiterHint : 1
; COMPUTE_PGM_RSRC2:SCRATCH_EN: 0
; COMPUTE_PGM_RSRC2:USER_SGPR: 6
; COMPUTE_PGM_RSRC2:TRAP_HANDLER: 0
; COMPUTE_PGM_RSRC2:TGID_X_EN: 1
; COMPUTE_PGM_RSRC2:TGID_Y_EN: 1
; COMPUTE_PGM_RSRC2:TGID_Z_EN: 1
; COMPUTE_PGM_RSRC2:TIDIG_COMP_CNT: 0
	.section	.text._ZN2at6native6mbtopk10gatherTopKIdmLi2EEEvNS_4cuda6detail10TensorInfoIKT_T0_EES8_S8_bjS8_NS5_IS6_S8_EES8_NS5_IlS8_EES8_jjPS6_PjSD_j,"axG",@progbits,_ZN2at6native6mbtopk10gatherTopKIdmLi2EEEvNS_4cuda6detail10TensorInfoIKT_T0_EES8_S8_bjS8_NS5_IS6_S8_EES8_NS5_IlS8_EES8_jjPS6_PjSD_j,comdat
	.protected	_ZN2at6native6mbtopk10gatherTopKIdmLi2EEEvNS_4cuda6detail10TensorInfoIKT_T0_EES8_S8_bjS8_NS5_IS6_S8_EES8_NS5_IlS8_EES8_jjPS6_PjSD_j ; -- Begin function _ZN2at6native6mbtopk10gatherTopKIdmLi2EEEvNS_4cuda6detail10TensorInfoIKT_T0_EES8_S8_bjS8_NS5_IS6_S8_EES8_NS5_IlS8_EES8_jjPS6_PjSD_j
	.globl	_ZN2at6native6mbtopk10gatherTopKIdmLi2EEEvNS_4cuda6detail10TensorInfoIKT_T0_EES8_S8_bjS8_NS5_IS6_S8_EES8_NS5_IlS8_EES8_jjPS6_PjSD_j
	.p2align	8
	.type	_ZN2at6native6mbtopk10gatherTopKIdmLi2EEEvNS_4cuda6detail10TensorInfoIKT_T0_EES8_S8_bjS8_NS5_IS6_S8_EES8_NS5_IlS8_EES8_jjPS6_PjSD_j,@function
_ZN2at6native6mbtopk10gatherTopKIdmLi2EEEvNS_4cuda6detail10TensorInfoIKT_T0_EES8_S8_bjS8_NS5_IS6_S8_EES8_NS5_IlS8_EES8_jjPS6_PjSD_j: ; @_ZN2at6native6mbtopk10gatherTopKIdmLi2EEEvNS_4cuda6detail10TensorInfoIKT_T0_EES8_S8_bjS8_NS5_IS6_S8_EES8_NS5_IlS8_EES8_jjPS6_PjSD_j
; %bb.0:
	s_load_dwordx2 s[0:1], s[4:5], 0x538
	s_load_dword s2, s[4:5], 0x530
	s_waitcnt lgkmcnt(0)
	s_mul_i32 s1, s1, s8
	s_add_i32 s1, s1, s7
	s_mul_i32 s0, s1, s0
	s_add_i32 s0, s0, s6
	s_cmp_ge_u32 s0, s2
	s_cbranch_scc1 .LBB182_48
; %bb.1:
	s_load_dwordx2 s[34:35], s[4:5], 0x510
	s_load_dwordx2 s[38:39], s[4:5], 0x1d0
	s_load_dwordx4 s[8:11], s[4:5], 0x1a0
	s_load_dwordx2 s[36:37], s[4:5], 0x10
	s_mov_b32 s7, 0
	s_waitcnt lgkmcnt(0)
	v_cvt_f32_u32_e32 v1, s35
	s_sub_i32 s2, 0, s35
	s_lshl_b32 s1, s34, 8
	v_rcp_iflag_f32_e32 v1, v1
	v_mul_f32_e32 v1, 0x4f7ffffe, v1
	v_cvt_u32_f32_e32 v1, v1
	v_readfirstlane_b32 s3, v1
	s_mul_i32 s2, s2, s3
	s_mul_hi_u32 s2, s3, s2
	s_add_i32 s3, s3, s2
	s_mul_hi_u32 s2, s0, s3
	s_mul_i32 s3, s2, s35
	s_sub_i32 s3, s0, s3
	s_add_i32 s6, s2, 1
	s_sub_i32 s12, s3, s35
	s_cmp_ge_u32 s3, s35
	s_cselect_b32 s2, s6, s2
	s_cselect_b32 s3, s12, s3
	s_add_i32 s6, s2, 1
	s_cmp_ge_u32 s3, s35
	s_cselect_b32 s6, s6, s2
	s_mul_i32 s20, s6, s35
	s_sub_i32 s28, s0, s20
	s_add_i32 s0, s28, 1
	s_cmp_lt_u32 s0, s35
	s_mul_i32 s33, s28, s1
	s_cbranch_scc1 .LBB182_3
; %bb.2:
	s_sub_u32 s0, s8, s33
	s_subb_u32 s1, s9, 0
	s_add_u32 s0, s0, 0xff
	s_addc_u32 s1, s1, 0
	s_ashr_i32 s2, s1, 31
	s_lshr_b32 s2, s2, 24
	s_add_u32 s0, s0, s2
	s_addc_u32 s1, s1, 0
	s_lshr_b64 s[0:1], s[0:1], 8
	s_mov_b32 s34, s0
.LBB182_3:
	s_load_dwordx2 s[40:41], s[4:5], 0x378
	v_mov_b32_e32 v1, s36
	v_mov_b32_e32 v2, s37
	v_cmp_lt_u64_e32 vcc, s[6:7], v[1:2]
	s_mov_b64 s[44:45], 0
	s_mov_b64 s[42:43], 0
	s_cbranch_vccnz .LBB182_5
; %bb.4:
	v_cvt_f32_u32_e32 v1, s36
	s_sub_i32 s0, 0, s36
	v_rcp_iflag_f32_e32 v1, v1
	v_mul_f32_e32 v1, 0x4f7ffffe, v1
	v_cvt_u32_f32_e32 v1, v1
	v_readfirstlane_b32 s1, v1
	s_mul_i32 s0, s0, s1
	s_mul_hi_u32 s0, s1, s0
	s_add_i32 s1, s1, s0
	s_mul_hi_u32 s0, s6, s1
	s_mul_i32 s2, s0, s36
	s_sub_i32 s2, s6, s2
	s_add_i32 s1, s0, 1
	s_sub_i32 s3, s2, s36
	s_cmp_ge_u32 s2, s36
	s_cselect_b32 s0, s1, s0
	s_cselect_b32 s2, s3, s2
	s_add_i32 s1, s0, 1
	s_cmp_ge_u32 s2, s36
	s_cselect_b32 s42, s1, s0
.LBB182_5:
	v_mov_b32_e32 v1, s38
	v_mov_b32_e32 v2, s39
	v_cmp_lt_u64_e32 vcc, s[6:7], v[1:2]
	s_cbranch_vccnz .LBB182_7
; %bb.6:
	v_cvt_f32_u32_e32 v1, s38
	s_sub_i32 s0, 0, s38
	v_rcp_iflag_f32_e32 v1, v1
	v_mul_f32_e32 v1, 0x4f7ffffe, v1
	v_cvt_u32_f32_e32 v1, v1
	v_readfirstlane_b32 s1, v1
	s_mul_i32 s0, s0, s1
	s_mul_hi_u32 s0, s1, s0
	s_add_i32 s1, s1, s0
	s_mul_hi_u32 s0, s6, s1
	s_mul_i32 s2, s0, s38
	s_sub_i32 s2, s6, s2
	s_add_i32 s1, s0, 1
	s_sub_i32 s3, s2, s38
	s_cmp_ge_u32 s2, s38
	s_cselect_b32 s0, s1, s0
	s_cselect_b32 s2, s3, s2
	s_add_i32 s1, s0, 1
	s_cmp_ge_u32 s2, s38
	s_cselect_b32 s44, s1, s0
.LBB182_7:
	s_waitcnt lgkmcnt(0)
	v_mov_b32_e32 v1, s40
	v_mov_b32_e32 v2, s41
	v_cmp_lt_u64_e32 vcc, s[6:7], v[1:2]
	s_mov_b64 s[48:49], 0
	s_cbranch_vccnz .LBB182_9
; %bb.8:
	v_cvt_f32_u32_e32 v1, s40
	s_sub_i32 s0, 0, s40
	v_rcp_iflag_f32_e32 v1, v1
	v_mul_f32_e32 v1, 0x4f7ffffe, v1
	v_cvt_u32_f32_e32 v1, v1
	v_readfirstlane_b32 s1, v1
	s_mul_i32 s0, s0, s1
	s_mul_hi_u32 s0, s1, s0
	s_add_i32 s1, s1, s0
	s_mul_hi_u32 s0, s6, s1
	s_mul_i32 s2, s0, s40
	s_sub_i32 s2, s6, s2
	s_add_i32 s1, s0, 1
	s_sub_i32 s3, s2, s40
	s_cmp_ge_u32 s2, s40
	s_cselect_b32 s0, s1, s0
	s_cselect_b32 s2, s3, s2
	s_add_i32 s1, s0, 1
	s_cmp_ge_u32 s2, s40
	s_cselect_b32 s48, s1, s0
.LBB182_9:
	s_load_dwordx4 s[12:15], s[4:5], 0x518
	s_load_dwordx2 s[50:51], s[4:5], 0x0
	s_lshl_b64 s[0:1], s[6:7], 3
	s_mov_b32 s21, 0
	v_cmp_eq_u32_e64 s[2:3], 0, v0
	s_waitcnt lgkmcnt(0)
	s_add_u32 s0, s12, s0
	s_addc_u32 s1, s13, s1
	s_load_dwordx2 s[46:47], s[0:1], 0x0
	v_cmp_ne_u32_e64 s[0:1], 0, v0
	s_and_saveexec_b64 s[12:13], s[2:3]
	s_cbranch_execz .LBB182_25
; %bb.10:
	s_load_dwordx2 s[22:23], s[4:5], 0x528
	s_lshl_b64 s[24:25], s[20:21], 2
	s_add_u32 s16, s14, s24
	s_addc_u32 s17, s15, s25
	s_mov_b32 s20, 0
	s_waitcnt lgkmcnt(0)
	s_add_u32 s18, s22, s24
	s_addc_u32 s19, s23, s25
	s_cmp_lt_u32 s35, 4
	s_cbranch_scc1 .LBB182_22
; %bb.11:
	s_mov_b32 s29, 0
.LBB182_12:                             ; =>This Inner Loop Header: Depth=1
	s_add_u32 s26, s14, s24
	s_addc_u32 s27, s15, s25
	s_load_dwordx4 s[16:19], s[26:27], 0x0
	s_add_u32 s26, s22, s24
	s_addc_u32 s27, s23, s25
	s_cmp_ge_u32 s29, s28
	s_cbranch_scc0 .LBB182_19
; %bb.13:                               ;   in Loop: Header=BB182_12 Depth=1
	s_add_i32 s30, s29, 1
	s_cmp_ge_u32 s30, s28
	s_cbranch_scc0 .LBB182_20
.LBB182_14:                             ;   in Loop: Header=BB182_12 Depth=1
	s_add_i32 s30, s30, 1
	s_cmp_ge_u32 s30, s28
	s_cbranch_scc0 .LBB182_21
.LBB182_15:                             ;   in Loop: Header=BB182_12 Depth=1
	s_add_i32 s30, s30, 1
	s_cmp_ge_u32 s30, s28
	s_cbranch_scc1 .LBB182_17
.LBB182_16:                             ;   in Loop: Header=BB182_12 Depth=1
	s_load_dword s26, s[26:27], 0xc
	s_waitcnt lgkmcnt(0)
	s_add_i32 s21, s21, s19
	s_add_i32 s7, s26, s7
.LBB182_17:                             ;   in Loop: Header=BB182_12 Depth=1
	s_waitcnt lgkmcnt(0)
	s_add_i32 s16, s16, s20
	s_add_i32 s16, s16, s17
	;; [unrolled: 1-line block ×4, first 2 shown]
	s_add_u32 s14, s14, 16
	s_addc_u32 s15, s15, 0
	s_add_u32 s22, s22, 16
	s_addc_u32 s23, s23, 0
	s_add_i32 s27, s30, 4
	s_add_u32 s18, s22, s24
	s_addc_u32 s19, s23, s25
	s_add_u32 s16, s14, s24
	s_addc_u32 s17, s15, s25
	s_add_i32 s26, s30, 1
	s_cmp_ge_u32 s27, s35
	s_cbranch_scc1 .LBB182_23
; %bb.18:                               ;   in Loop: Header=BB182_12 Depth=1
	s_mov_b32 s29, s26
	s_branch .LBB182_12
.LBB182_19:                             ;   in Loop: Header=BB182_12 Depth=1
	s_load_dword s30, s[26:27], 0x0
	s_waitcnt lgkmcnt(0)
	s_add_i32 s21, s16, s21
	s_add_i32 s7, s30, s7
	;; [unrolled: 1-line block ×3, first 2 shown]
	s_cmp_ge_u32 s30, s28
	s_cbranch_scc1 .LBB182_14
.LBB182_20:                             ;   in Loop: Header=BB182_12 Depth=1
	s_load_dword s31, s[26:27], 0x4
	s_waitcnt lgkmcnt(0)
	s_add_i32 s21, s21, s17
	s_add_i32 s7, s31, s7
	;; [unrolled: 1-line block ×3, first 2 shown]
	s_cmp_ge_u32 s30, s28
	s_cbranch_scc1 .LBB182_15
.LBB182_21:                             ;   in Loop: Header=BB182_12 Depth=1
	s_load_dword s31, s[26:27], 0x8
	s_waitcnt lgkmcnt(0)
	s_add_i32 s21, s21, s18
	s_add_i32 s7, s31, s7
	;; [unrolled: 1-line block ×3, first 2 shown]
	s_cmp_ge_u32 s30, s28
	s_cbranch_scc0 .LBB182_16
	s_branch .LBB182_17
.LBB182_22:
	s_mov_b32 s14, 0
	s_cmp_ge_u32 s14, s35
	s_cbranch_scc0 .LBB182_46
	s_branch .LBB182_24
.LBB182_23:
	s_add_i32 s14, s29, 4
	s_cmp_ge_u32 s14, s35
	s_cbranch_scc0 .LBB182_46
.LBB182_24:
	v_mov_b32_e32 v1, s7
	v_mov_b32_e32 v2, s20
	;; [unrolled: 1-line block ×4, first 2 shown]
	ds_write_b96 v4, v[1:3] offset:1056
.LBB182_25:
	s_or_b64 exec, exec, s[12:13]
	s_load_dwordx4 s[12:15], s[4:5], 0x1b8
	s_load_dwordx4 s[24:27], s[4:5], 0xd0
	;; [unrolled: 1-line block ×5, first 2 shown]
	s_cmp_eq_u32 s34, 0
	s_waitcnt lgkmcnt(0)
	s_barrier
	s_cbranch_scc1 .LBB182_48
; %bb.26:
	s_mul_i32 s7, s44, s39
	s_mul_hi_u32 s35, s44, s38
	s_add_i32 s35, s35, s7
	s_mul_i32 s7, s44, s38
	s_sub_u32 s7, s6, s7
	s_subb_u32 s35, 0, s35
	s_mul_i32 s31, s7, s31
	s_mul_hi_u32 s38, s7, s30
	s_add_i32 s31, s38, s31
	s_mul_i32 s35, s35, s30
	s_mul_i32 s30, s7, s30
	;; [unrolled: 1-line block ×3, first 2 shown]
	s_mul_hi_u32 s29, s44, s28
	s_add_i32 s31, s31, s35
	s_add_i32 s29, s29, s7
	s_mul_i32 s7, s42, s37
	s_mul_hi_u32 s35, s42, s36
	s_add_i32 s35, s35, s7
	s_mul_i32 s7, s42, s36
	s_sub_u32 s7, s6, s7
	s_subb_u32 s35, 0, s35
	s_mul_i32 s27, s7, s27
	s_mul_hi_u32 s36, s7, s26
	s_add_i32 s27, s36, s27
	s_mul_i32 s35, s35, s26
	s_mul_i32 s26, s7, s26
	;; [unrolled: 1-line block ×3, first 2 shown]
	s_mul_hi_u32 s25, s42, s24
	s_add_i32 s27, s27, s35
	s_add_i32 s25, s25, s7
	s_mul_i32 s7, s48, s41
	s_mul_hi_u32 s35, s48, s40
	s_add_i32 s35, s35, s7
	s_mul_i32 s7, s48, s40
	s_sub_u32 s6, s6, s7
	s_subb_u32 s7, 0, s35
	s_mul_i32 s23, s6, s23
	s_mul_hi_u32 s35, s6, s22
	s_mul_i32 s24, s42, s24
	s_add_i32 s23, s35, s23
	s_mul_i32 s7, s7, s22
	s_mul_i32 s6, s6, s22
	;; [unrolled: 1-line block ×3, first 2 shown]
	s_mul_hi_u32 s22, s48, s20
	s_add_i32 s7, s23, s7
	s_add_i32 s21, s22, s21
	s_lshl_b64 s[22:23], s[24:25], 3
	s_add_u32 s24, s50, s22
	s_addc_u32 s25, s51, s23
	s_lshl_b64 s[22:23], s[26:27], 3
	s_mul_i32 s28, s44, s28
	s_add_u32 s22, s24, s22
	s_addc_u32 s23, s25, s23
	s_lshl_b64 s[24:25], s[28:29], 3
	s_add_u32 s24, s14, s24
	s_addc_u32 s25, s15, s25
	s_lshl_b64 s[14:15], s[30:31], 3
	s_mul_i32 s20, s48, s20
	s_add_u32 s24, s24, s14
	s_addc_u32 s25, s25, s15
	s_lshl_b64 s[14:15], s[20:21], 3
	v_cmp_o_f64_e64 s[20:21], s[46:47], s[46:47]
	s_add_u32 s14, s18, s14
	v_mov_b32_e32 v5, 0
	s_addc_u32 s15, s19, s15
	s_lshl_b64 s[6:7], s[6:7], 3
	ds_read_b96 v[1:3], v5 offset:1056
	s_add_u32 s26, s14, s6
	s_addc_u32 s27, s15, s7
	s_ashr_i32 s6, s47, 31
	s_or_b32 s7, s6, 0x80000000
	s_xor_b64 s[6:7], s[6:7], s[46:47]
	s_and_b64 s[14:15], s[20:21], exec
	s_waitcnt lgkmcnt(0)
	v_add_u32_e32 v1, v1, v2
	v_lshrrev_b32_e32 v2, 3, v0
	s_cselect_b32 s15, s7, -1
	s_load_dword s7, s[4:5], 0x1b0
	s_load_dwordx2 s[18:19], s[4:5], 0x508
	v_and_b32_e32 v2, 28, v2
	v_lshl_add_u32 v10, v0, 2, v2
	v_lshrrev_b32_e32 v2, 1, v0
	v_and_b32_e32 v11, 0x7c, v2
	v_add_u32_e32 v2, -1, v0
	v_lshrrev_b32_e32 v4, 3, v2
	v_and_b32_e32 v4, 0x1ffffffc, v4
	s_cselect_b32 s14, s6, -1
	s_waitcnt lgkmcnt(0)
	s_bitcmp1_b32 s7, 0
	v_cmp_gt_u32_e64 s[6:7], 64, v0
	v_lshlrev_b32_e32 v12, 4, v0
	v_lshl_add_u32 v13, v2, 2, v4
	v_add_u32_e32 v4, s33, v0
	v_mbcnt_lo_u32_b32 v0, -1, 0
	s_cselect_b64 s[4:5], -1, 0
	v_mbcnt_hi_u32_b32 v0, -1, v0
                                        ; implicit-def: $vgpr6_vgpr7
	s_branch .LBB182_29
.LBB182_27:                             ;   in Loop: Header=BB182_29 Depth=1
	s_or_b64 exec, exec, s[20:21]
	v_add_u32_e32 v1, v2, v1
.LBB182_28:                             ;   in Loop: Header=BB182_29 Depth=1
	s_add_i32 s34, s34, -1
	v_add_u32_e32 v3, v14, v3
	s_cmp_lg_u32 s34, 0
	v_add_u32_e32 v4, 0x100, v4
	s_cbranch_scc0 .LBB182_48
.LBB182_29:                             ; =>This Inner Loop Header: Depth=1
	v_cmp_gt_u64_e32 vcc, s[8:9], v[4:5]
	v_mov_b32_e32 v2, v5
	v_mov_b32_e32 v8, v5
	s_and_saveexec_b64 s[20:21], vcc
	s_cbranch_execz .LBB182_31
; %bb.30:                               ;   in Loop: Header=BB182_29 Depth=1
	v_mad_u64_u32 v[6:7], s[28:29], s12, v4, 0
	v_mov_b32_e32 v2, v7
	v_mad_u64_u32 v[7:8], s[28:29], s13, v4, v[2:3]
	v_mov_b32_e32 v2, s23
	v_lshlrev_b64 v[6:7], 3, v[6:7]
	v_add_co_u32_e32 v6, vcc, s22, v6
	v_addc_co_u32_e32 v7, vcc, v2, v7, vcc
	global_load_dwordx2 v[6:7], v[6:7], off
	s_waitcnt vmcnt(0)
	v_cmp_o_f64_e32 vcc, v[6:7], v[6:7]
	v_ashrrev_i32_e32 v2, 31, v7
	v_or_b32_e32 v8, 0x80000000, v2
	v_xor_b32_e32 v8, v8, v7
	v_xor_b32_e32 v2, v2, v6
	v_cndmask_b32_e32 v9, -1, v8, vcc
	v_cndmask_b32_e32 v8, -1, v2, vcc
	v_cmp_lt_u64_e32 vcc, s[14:15], v[8:9]
	v_cndmask_b32_e64 v2, 0, 1, vcc
	v_cmp_gt_u64_e32 vcc, s[14:15], v[8:9]
	v_cndmask_b32_e64 v14, 0, 1, vcc
	v_cmp_eq_u64_e32 vcc, s[14:15], v[8:9]
	v_cndmask_b32_e64 v2, v14, v2, s[4:5]
	v_and_b32_e32 v2, 1, v2
	v_cndmask_b32_e64 v8, 0, 1, vcc
.LBB182_31:                             ;   in Loop: Header=BB182_29 Depth=1
	s_or_b64 exec, exec, s[20:21]
	ds_write_b32 v10, v2
	s_waitcnt vmcnt(0) lgkmcnt(0)
	s_barrier
	s_and_saveexec_b64 s[20:21], s[6:7]
	s_cbranch_execz .LBB182_33
; %bb.32:                               ;   in Loop: Header=BB182_29 Depth=1
	v_add_u32_e32 v9, v11, v12
	ds_read2_b32 v[14:15], v9 offset1:1
	ds_read2_b32 v[16:17], v9 offset0:2 offset1:3
	v_and_b32_e32 v18, 15, v0
	v_cmp_ne_u32_e32 vcc, 0, v18
	s_waitcnt lgkmcnt(1)
	v_add_u32_e32 v15, v15, v14
	s_waitcnt lgkmcnt(0)
	v_add3_u32 v15, v15, v16, v17
	v_bfe_i32 v17, v0, 4, 1
	; wave barrier
	s_nop 0
	v_mov_b32_dpp v16, v15 row_shr:1 row_mask:0xf bank_mask:0xf
	v_cndmask_b32_e32 v16, 0, v16, vcc
	v_add_u32_e32 v15, v16, v15
	v_cmp_lt_u32_e32 vcc, 1, v18
	s_nop 0
	v_mov_b32_dpp v16, v15 row_shr:2 row_mask:0xf bank_mask:0xf
	v_cndmask_b32_e32 v16, 0, v16, vcc
	v_add_u32_e32 v15, v15, v16
	v_cmp_lt_u32_e32 vcc, 3, v18
	;; [unrolled: 5-line block ×4, first 2 shown]
	s_nop 0
	v_mov_b32_dpp v16, v15 row_bcast:15 row_mask:0xf bank_mask:0xf
	v_and_b32_e32 v16, v17, v16
	v_add_u32_e32 v15, v15, v16
	v_and_b32_e32 v17, 64, v0
	s_nop 0
	v_mov_b32_dpp v16, v15 row_bcast:31 row_mask:0xf bank_mask:0xf
	v_cndmask_b32_e32 v16, 0, v16, vcc
	v_add_u32_e32 v15, v15, v16
	v_add_u32_e32 v16, -1, v0
	v_cmp_lt_i32_e32 vcc, v16, v17
	v_cndmask_b32_e32 v16, v16, v0, vcc
	v_lshlrev_b32_e32 v16, 2, v16
	ds_bpermute_b32 v15, v16, v15
	s_waitcnt lgkmcnt(0)
	v_add_u32_e32 v14, v15, v14
	v_cndmask_b32_e64 v16, v14, v2, s[2:3]
	ds_write_b32 v9, v16
	; wave barrier
	ds_read2_b32 v[14:15], v9 offset0:1 offset1:2
	ds_read_b32 v17, v9 offset:12
	s_waitcnt lgkmcnt(1)
	v_add_u32_e32 v14, v14, v16
	v_add_u32_e32 v15, v15, v14
	ds_write2_b32 v9, v14, v15 offset0:1 offset1:2
	s_waitcnt lgkmcnt(1)
	v_add_u32_e32 v14, v17, v15
	ds_write_b32 v9, v14 offset:12
.LBB182_33:                             ;   in Loop: Header=BB182_29 Depth=1
	s_or_b64 exec, exec, s[20:21]
	v_mov_b32_e32 v9, 0
	s_waitcnt lgkmcnt(0)
	s_barrier
	s_and_saveexec_b64 s[20:21], s[0:1]
; %bb.34:                               ;   in Loop: Header=BB182_29 Depth=1
	ds_read_b32 v9, v13
; %bb.35:                               ;   in Loop: Header=BB182_29 Depth=1
	s_or_b64 exec, exec, s[20:21]
	ds_read_b32 v14, v5 offset:1048
	v_cmp_ne_u32_e32 vcc, 0, v2
	s_waitcnt lgkmcnt(0)
	s_barrier
	s_and_saveexec_b64 s[20:21], vcc
	s_cbranch_execz .LBB182_37
; %bb.36:                               ;   in Loop: Header=BB182_29 Depth=1
	v_add_u32_e32 v9, v9, v3
	v_mad_u64_u32 v[15:16], s[28:29], s16, v9, 0
	v_mad_u64_u32 v[17:18], s[28:29], s18, v9, 0
	v_mov_b32_e32 v2, v16
	v_mad_u64_u32 v[19:20], s[28:29], s17, v9, v[2:3]
	v_mov_b32_e32 v2, v18
	v_mov_b32_e32 v20, s25
	;; [unrolled: 1-line block ×3, first 2 shown]
	v_lshlrev_b64 v[15:16], 3, v[15:16]
	v_mad_u64_u32 v[18:19], s[28:29], s19, v9, v[2:3]
	v_add_co_u32_e32 v15, vcc, s24, v15
	v_addc_co_u32_e32 v16, vcc, v20, v16, vcc
	global_store_dwordx2 v[15:16], v[6:7], off
	v_lshlrev_b64 v[15:16], 3, v[17:18]
	v_mov_b32_e32 v2, s27
	v_add_co_u32_e32 v15, vcc, s26, v15
	v_addc_co_u32_e32 v16, vcc, v2, v16, vcc
	global_store_dwordx2 v[15:16], v[4:5], off
.LBB182_37:                             ;   in Loop: Header=BB182_29 Depth=1
	s_or_b64 exec, exec, s[20:21]
	v_mov_b32_e32 v2, v5
	v_cmp_le_u64_e32 vcc, s[10:11], v[1:2]
	s_cbranch_vccnz .LBB182_28
; %bb.38:                               ;   in Loop: Header=BB182_29 Depth=1
	ds_write_b32 v10, v8
	s_waitcnt vmcnt(0) lgkmcnt(0)
	s_barrier
	s_and_saveexec_b64 s[20:21], s[6:7]
	s_cbranch_execz .LBB182_40
; %bb.39:                               ;   in Loop: Header=BB182_29 Depth=1
	v_add_u32_e32 v2, v11, v12
	ds_read2_b32 v[15:16], v2 offset1:1
	ds_read2_b32 v[17:18], v2 offset0:2 offset1:3
	v_and_b32_e32 v9, 15, v0
	v_cmp_ne_u32_e32 vcc, 0, v9
	s_waitcnt lgkmcnt(1)
	v_add_u32_e32 v16, v16, v15
	s_waitcnt lgkmcnt(0)
	v_add3_u32 v16, v16, v17, v18
	; wave barrier
	s_nop 1
	v_mov_b32_dpp v17, v16 row_shr:1 row_mask:0xf bank_mask:0xf
	v_cndmask_b32_e32 v17, 0, v17, vcc
	v_add_u32_e32 v16, v17, v16
	v_cmp_lt_u32_e32 vcc, 1, v9
	s_nop 0
	v_mov_b32_dpp v17, v16 row_shr:2 row_mask:0xf bank_mask:0xf
	v_cndmask_b32_e32 v17, 0, v17, vcc
	v_add_u32_e32 v16, v16, v17
	v_cmp_lt_u32_e32 vcc, 3, v9
	s_nop 0
	v_mov_b32_dpp v17, v16 row_shr:4 row_mask:0xf bank_mask:0xf
	v_cndmask_b32_e32 v17, 0, v17, vcc
	v_add_u32_e32 v16, v16, v17
	v_cmp_lt_u32_e32 vcc, 7, v9
	s_nop 0
	v_mov_b32_dpp v17, v16 row_shr:8 row_mask:0xf bank_mask:0xf
	v_cndmask_b32_e32 v9, 0, v17, vcc
	v_add_u32_e32 v9, v16, v9
	v_bfe_i32 v17, v0, 4, 1
	v_cmp_lt_u32_e32 vcc, 31, v0
	v_mov_b32_dpp v16, v9 row_bcast:15 row_mask:0xf bank_mask:0xf
	v_and_b32_e32 v16, v17, v16
	v_add_u32_e32 v9, v9, v16
	v_and_b32_e32 v17, 64, v0
	s_nop 0
	v_mov_b32_dpp v16, v9 row_bcast:31 row_mask:0xf bank_mask:0xf
	v_cndmask_b32_e32 v16, 0, v16, vcc
	v_add_u32_e32 v9, v9, v16
	v_add_u32_e32 v16, -1, v0
	v_cmp_lt_i32_e32 vcc, v16, v17
	v_cndmask_b32_e32 v16, v16, v0, vcc
	v_lshlrev_b32_e32 v16, 2, v16
	ds_bpermute_b32 v9, v16, v9
	s_waitcnt lgkmcnt(0)
	v_add_u32_e32 v9, v9, v15
	v_cndmask_b32_e64 v9, v9, v8, s[2:3]
	ds_write_b32 v2, v9
	; wave barrier
	ds_read2_b32 v[15:16], v2 offset0:1 offset1:2
	ds_read_b32 v17, v2 offset:12
	s_waitcnt lgkmcnt(1)
	v_add_u32_e32 v9, v15, v9
	v_add_u32_e32 v15, v16, v9
	ds_write2_b32 v2, v9, v15 offset0:1 offset1:2
	s_waitcnt lgkmcnt(1)
	v_add_u32_e32 v9, v17, v15
	ds_write_b32 v2, v9 offset:12
.LBB182_40:                             ;   in Loop: Header=BB182_29 Depth=1
	s_or_b64 exec, exec, s[20:21]
	v_mov_b32_e32 v9, 0
	s_waitcnt lgkmcnt(0)
	s_barrier
	s_and_saveexec_b64 s[20:21], s[0:1]
; %bb.41:                               ;   in Loop: Header=BB182_29 Depth=1
	ds_read_b32 v9, v13
; %bb.42:                               ;   in Loop: Header=BB182_29 Depth=1
	s_or_b64 exec, exec, s[20:21]
	ds_read_b32 v2, v5 offset:1048
	v_cmp_ne_u32_e32 vcc, 0, v8
	s_waitcnt lgkmcnt(0)
	s_barrier
	s_and_saveexec_b64 s[20:21], vcc
	s_cbranch_execz .LBB182_27
; %bb.43:                               ;   in Loop: Header=BB182_29 Depth=1
	v_add_u32_e32 v8, v9, v1
	v_mov_b32_e32 v9, v5
	v_cmp_gt_u64_e32 vcc, s[10:11], v[8:9]
	s_and_b64 exec, exec, vcc
	s_cbranch_execz .LBB182_27
; %bb.44:                               ;   in Loop: Header=BB182_29 Depth=1
	v_mad_u64_u32 v[15:16], s[28:29], s16, v8, 0
	v_mad_u64_u32 v[17:18], s[28:29], s18, v8, 0
	v_mov_b32_e32 v9, v16
	v_mad_u64_u32 v[19:20], s[28:29], s17, v8, v[9:10]
	v_mov_b32_e32 v9, v18
	;; [unrolled: 2-line block ×3, first 2 shown]
	v_lshlrev_b64 v[15:16], 3, v[15:16]
	v_mov_b32_e32 v18, v8
	v_mov_b32_e32 v20, s25
	v_add_co_u32_e32 v15, vcc, s24, v15
	v_lshlrev_b64 v[8:9], 3, v[17:18]
	v_addc_co_u32_e32 v16, vcc, v20, v16, vcc
	global_store_dwordx2 v[15:16], v[6:7], off
	v_mov_b32_e32 v15, s27
	v_add_co_u32_e32 v8, vcc, s26, v8
	v_addc_co_u32_e32 v9, vcc, v15, v9, vcc
	global_store_dwordx2 v[8:9], v[4:5], off
	s_branch .LBB182_27
.LBB182_45:                             ;   in Loop: Header=BB182_46 Depth=1
	s_add_u32 s16, s16, 4
	s_addc_u32 s17, s17, 0
	s_waitcnt lgkmcnt(0)
	s_add_i32 s20, s15, s20
	s_add_u32 s18, s18, 4
	s_addc_u32 s19, s19, 0
	s_add_i32 s14, s14, 1
	s_cmp_lt_u32 s14, s35
	s_cbranch_scc0 .LBB182_24
.LBB182_46:                             ; =>This Inner Loop Header: Depth=1
	s_load_dword s15, s[16:17], 0x0
	s_cmp_ge_u32 s14, s28
	s_cbranch_scc1 .LBB182_45
; %bb.47:                               ;   in Loop: Header=BB182_46 Depth=1
	s_load_dword s22, s[18:19], 0x0
	s_waitcnt lgkmcnt(0)
	s_add_i32 s21, s15, s21
	s_add_i32 s7, s22, s7
	s_branch .LBB182_45
.LBB182_48:
	s_endpgm
	.section	.rodata,"a",@progbits
	.p2align	6, 0x0
	.amdhsa_kernel _ZN2at6native6mbtopk10gatherTopKIdmLi2EEEvNS_4cuda6detail10TensorInfoIKT_T0_EES8_S8_bjS8_NS5_IS6_S8_EES8_NS5_IlS8_EES8_jjPS6_PjSD_j
		.amdhsa_group_segment_fixed_size 1068
		.amdhsa_private_segment_fixed_size 0
		.amdhsa_kernarg_size 1592
		.amdhsa_user_sgpr_count 6
		.amdhsa_user_sgpr_private_segment_buffer 1
		.amdhsa_user_sgpr_dispatch_ptr 0
		.amdhsa_user_sgpr_queue_ptr 0
		.amdhsa_user_sgpr_kernarg_segment_ptr 1
		.amdhsa_user_sgpr_dispatch_id 0
		.amdhsa_user_sgpr_flat_scratch_init 0
		.amdhsa_user_sgpr_private_segment_size 0
		.amdhsa_uses_dynamic_stack 0
		.amdhsa_system_sgpr_private_segment_wavefront_offset 0
		.amdhsa_system_sgpr_workgroup_id_x 1
		.amdhsa_system_sgpr_workgroup_id_y 1
		.amdhsa_system_sgpr_workgroup_id_z 1
		.amdhsa_system_sgpr_workgroup_info 0
		.amdhsa_system_vgpr_workitem_id 0
		.amdhsa_next_free_vgpr 21
		.amdhsa_next_free_sgpr 52
		.amdhsa_reserve_vcc 1
		.amdhsa_reserve_flat_scratch 0
		.amdhsa_float_round_mode_32 0
		.amdhsa_float_round_mode_16_64 0
		.amdhsa_float_denorm_mode_32 3
		.amdhsa_float_denorm_mode_16_64 3
		.amdhsa_dx10_clamp 1
		.amdhsa_ieee_mode 1
		.amdhsa_fp16_overflow 0
		.amdhsa_exception_fp_ieee_invalid_op 0
		.amdhsa_exception_fp_denorm_src 0
		.amdhsa_exception_fp_ieee_div_zero 0
		.amdhsa_exception_fp_ieee_overflow 0
		.amdhsa_exception_fp_ieee_underflow 0
		.amdhsa_exception_fp_ieee_inexact 0
		.amdhsa_exception_int_div_zero 0
	.end_amdhsa_kernel
	.section	.text._ZN2at6native6mbtopk10gatherTopKIdmLi2EEEvNS_4cuda6detail10TensorInfoIKT_T0_EES8_S8_bjS8_NS5_IS6_S8_EES8_NS5_IlS8_EES8_jjPS6_PjSD_j,"axG",@progbits,_ZN2at6native6mbtopk10gatherTopKIdmLi2EEEvNS_4cuda6detail10TensorInfoIKT_T0_EES8_S8_bjS8_NS5_IS6_S8_EES8_NS5_IlS8_EES8_jjPS6_PjSD_j,comdat
.Lfunc_end182:
	.size	_ZN2at6native6mbtopk10gatherTopKIdmLi2EEEvNS_4cuda6detail10TensorInfoIKT_T0_EES8_S8_bjS8_NS5_IS6_S8_EES8_NS5_IlS8_EES8_jjPS6_PjSD_j, .Lfunc_end182-_ZN2at6native6mbtopk10gatherTopKIdmLi2EEEvNS_4cuda6detail10TensorInfoIKT_T0_EES8_S8_bjS8_NS5_IS6_S8_EES8_NS5_IlS8_EES8_jjPS6_PjSD_j
                                        ; -- End function
	.set _ZN2at6native6mbtopk10gatherTopKIdmLi2EEEvNS_4cuda6detail10TensorInfoIKT_T0_EES8_S8_bjS8_NS5_IS6_S8_EES8_NS5_IlS8_EES8_jjPS6_PjSD_j.num_vgpr, 21
	.set _ZN2at6native6mbtopk10gatherTopKIdmLi2EEEvNS_4cuda6detail10TensorInfoIKT_T0_EES8_S8_bjS8_NS5_IS6_S8_EES8_NS5_IlS8_EES8_jjPS6_PjSD_j.num_agpr, 0
	.set _ZN2at6native6mbtopk10gatherTopKIdmLi2EEEvNS_4cuda6detail10TensorInfoIKT_T0_EES8_S8_bjS8_NS5_IS6_S8_EES8_NS5_IlS8_EES8_jjPS6_PjSD_j.numbered_sgpr, 52
	.set _ZN2at6native6mbtopk10gatherTopKIdmLi2EEEvNS_4cuda6detail10TensorInfoIKT_T0_EES8_S8_bjS8_NS5_IS6_S8_EES8_NS5_IlS8_EES8_jjPS6_PjSD_j.num_named_barrier, 0
	.set _ZN2at6native6mbtopk10gatherTopKIdmLi2EEEvNS_4cuda6detail10TensorInfoIKT_T0_EES8_S8_bjS8_NS5_IS6_S8_EES8_NS5_IlS8_EES8_jjPS6_PjSD_j.private_seg_size, 0
	.set _ZN2at6native6mbtopk10gatherTopKIdmLi2EEEvNS_4cuda6detail10TensorInfoIKT_T0_EES8_S8_bjS8_NS5_IS6_S8_EES8_NS5_IlS8_EES8_jjPS6_PjSD_j.uses_vcc, 1
	.set _ZN2at6native6mbtopk10gatherTopKIdmLi2EEEvNS_4cuda6detail10TensorInfoIKT_T0_EES8_S8_bjS8_NS5_IS6_S8_EES8_NS5_IlS8_EES8_jjPS6_PjSD_j.uses_flat_scratch, 0
	.set _ZN2at6native6mbtopk10gatherTopKIdmLi2EEEvNS_4cuda6detail10TensorInfoIKT_T0_EES8_S8_bjS8_NS5_IS6_S8_EES8_NS5_IlS8_EES8_jjPS6_PjSD_j.has_dyn_sized_stack, 0
	.set _ZN2at6native6mbtopk10gatherTopKIdmLi2EEEvNS_4cuda6detail10TensorInfoIKT_T0_EES8_S8_bjS8_NS5_IS6_S8_EES8_NS5_IlS8_EES8_jjPS6_PjSD_j.has_recursion, 0
	.set _ZN2at6native6mbtopk10gatherTopKIdmLi2EEEvNS_4cuda6detail10TensorInfoIKT_T0_EES8_S8_bjS8_NS5_IS6_S8_EES8_NS5_IlS8_EES8_jjPS6_PjSD_j.has_indirect_call, 0
	.section	.AMDGPU.csdata,"",@progbits
; Kernel info:
; codeLenInByte = 2764
; TotalNumSgprs: 56
; NumVgprs: 21
; ScratchSize: 0
; MemoryBound: 0
; FloatMode: 240
; IeeeMode: 1
; LDSByteSize: 1068 bytes/workgroup (compile time only)
; SGPRBlocks: 6
; VGPRBlocks: 5
; NumSGPRsForWavesPerEU: 56
; NumVGPRsForWavesPerEU: 21
; Occupancy: 10
; WaveLimiterHint : 1
; COMPUTE_PGM_RSRC2:SCRATCH_EN: 0
; COMPUTE_PGM_RSRC2:USER_SGPR: 6
; COMPUTE_PGM_RSRC2:TRAP_HANDLER: 0
; COMPUTE_PGM_RSRC2:TGID_X_EN: 1
; COMPUTE_PGM_RSRC2:TGID_Y_EN: 1
; COMPUTE_PGM_RSRC2:TGID_Z_EN: 1
; COMPUTE_PGM_RSRC2:TIDIG_COMP_CNT: 0
	.section	.text._ZN2at6native6sbtopk10gatherTopKIdmLi2ELb0EEEvNS_4cuda6detail10TensorInfoIKT_T0_EES8_S8_bS8_S8_NS5_IS6_S8_EES8_NS5_IlS8_EES8_PS6_,"axG",@progbits,_ZN2at6native6sbtopk10gatherTopKIdmLi2ELb0EEEvNS_4cuda6detail10TensorInfoIKT_T0_EES8_S8_bS8_S8_NS5_IS6_S8_EES8_NS5_IlS8_EES8_PS6_,comdat
	.protected	_ZN2at6native6sbtopk10gatherTopKIdmLi2ELb0EEEvNS_4cuda6detail10TensorInfoIKT_T0_EES8_S8_bS8_S8_NS5_IS6_S8_EES8_NS5_IlS8_EES8_PS6_ ; -- Begin function _ZN2at6native6sbtopk10gatherTopKIdmLi2ELb0EEEvNS_4cuda6detail10TensorInfoIKT_T0_EES8_S8_bS8_S8_NS5_IS6_S8_EES8_NS5_IlS8_EES8_PS6_
	.globl	_ZN2at6native6sbtopk10gatherTopKIdmLi2ELb0EEEvNS_4cuda6detail10TensorInfoIKT_T0_EES8_S8_bS8_S8_NS5_IS6_S8_EES8_NS5_IlS8_EES8_PS6_
	.p2align	8
	.type	_ZN2at6native6sbtopk10gatherTopKIdmLi2ELb0EEEvNS_4cuda6detail10TensorInfoIKT_T0_EES8_S8_bS8_S8_NS5_IS6_S8_EES8_NS5_IlS8_EES8_PS6_,@function
_ZN2at6native6sbtopk10gatherTopKIdmLi2ELb0EEEvNS_4cuda6detail10TensorInfoIKT_T0_EES8_S8_bS8_S8_NS5_IS6_S8_EES8_NS5_IlS8_EES8_PS6_: ; @_ZN2at6native6sbtopk10gatherTopKIdmLi2ELb0EEEvNS_4cuda6detail10TensorInfoIKT_T0_EES8_S8_bS8_S8_NS5_IS6_S8_EES8_NS5_IlS8_EES8_PS6_
; %bb.0:
	s_load_dwordx2 s[16:17], s[4:5], 0x520
	s_load_dwordx4 s[20:23], s[4:5], 0x1b8
	s_add_u32 s14, s4, 0x520
	s_addc_u32 s15, s5, 0
	s_mov_b32 s29, 0
	s_waitcnt lgkmcnt(0)
	s_mul_i32 s0, s17, s8
	s_add_i32 s0, s0, s7
	s_mul_i32 s0, s0, s16
	s_add_i32 s28, s0, s6
	v_mov_b32_e32 v1, s28
	v_mov_b32_e32 v2, s29
	v_cmp_le_u64_e32 vcc, s[20:21], v[1:2]
	s_cbranch_vccnz .LBB183_491
; %bb.1:
	s_load_dwordx2 s[8:9], s[4:5], 0x10
	s_load_dwordx2 s[12:13], s[4:5], 0x380
	;; [unrolled: 1-line block ×3, first 2 shown]
                                        ; implicit-def: $vgpr46 : SGPR spill to VGPR lane
	s_mov_b64 s[10:11], 0
	s_waitcnt lgkmcnt(0)
	v_mov_b32_e32 v1, s8
	v_mov_b32_e32 v2, s9
	v_writelane_b32 v46, s0, 0
	v_cmp_lt_u64_e32 vcc, s[28:29], v[1:2]
	v_writelane_b32 v46, s1, 1
	s_mov_b64 s[0:1], 0
	v_writelane_b32 v46, s0, 2
	v_writelane_b32 v46, s1, 3
	s_cbranch_vccnz .LBB183_3
; %bb.2:
	v_cvt_f32_u32_e32 v1, s8
	s_sub_i32 s0, 0, s8
	v_rcp_iflag_f32_e32 v1, v1
	v_mul_f32_e32 v1, 0x4f7ffffe, v1
	v_cvt_u32_f32_e32 v1, v1
	v_readfirstlane_b32 s1, v1
	s_mul_i32 s0, s0, s1
	s_mul_hi_u32 s0, s1, s0
	s_add_i32 s1, s1, s0
	s_mul_hi_u32 s0, s28, s1
	s_mul_i32 s2, s0, s8
	s_sub_i32 s2, s28, s2
	s_add_i32 s1, s0, 1
	s_sub_i32 s3, s2, s8
	s_cmp_ge_u32 s2, s8
	s_cselect_b32 s0, s1, s0
	s_cselect_b32 s2, s3, s2
	s_add_i32 s1, s0, 1
	s_cmp_ge_u32 s2, s8
	s_cselect_b32 s10, s1, s0
.LBB183_3:
	s_load_dwordx2 s[0:1], s[4:5], 0x1d8
	s_waitcnt lgkmcnt(0)
	v_mov_b32_e32 v2, s1
	v_mov_b32_e32 v1, s0
	v_cmp_lt_u64_e32 vcc, s[28:29], v[1:2]
	s_cbranch_vccnz .LBB183_5
; %bb.4:
	s_load_dwordx2 s[18:19], s[4:5], 0x1d8
	s_waitcnt lgkmcnt(0)
	v_cvt_f32_u32_e32 v1, s18
	s_sub_i32 s0, 0, s18
	v_rcp_iflag_f32_e32 v1, v1
	v_mul_f32_e32 v1, 0x4f7ffffe, v1
	v_cvt_u32_f32_e32 v1, v1
	v_readfirstlane_b32 s1, v1
	s_mul_i32 s0, s0, s1
	s_mul_hi_u32 s0, s1, s0
	s_add_i32 s1, s1, s0
	s_mul_hi_u32 s0, s28, s1
	s_mul_i32 s2, s0, s18
	s_sub_i32 s2, s28, s2
	s_add_i32 s1, s0, 1
	s_sub_i32 s3, s2, s18
	s_cmp_ge_u32 s2, s18
	s_cselect_b32 s0, s1, s0
	s_cselect_b32 s2, s3, s2
	s_add_i32 s1, s0, 1
	s_cmp_ge_u32 s2, s18
	s_cselect_b32 s0, s1, s0
	v_writelane_b32 v46, s0, 2
	v_writelane_b32 v46, s1, 3
.LBB183_5:
	s_load_dwordx2 s[20:21], s[4:5], 0x0
	v_mov_b32_e32 v1, s12
	v_mov_b32_e32 v2, s13
	v_cmp_lt_u64_e32 vcc, s[28:29], v[1:2]
	s_mov_b64 s[0:1], 0
	v_writelane_b32 v46, s0, 4
	v_writelane_b32 v46, s1, 5
	s_cbranch_vccnz .LBB183_7
; %bb.6:
	v_cvt_f32_u32_e32 v1, s12
	s_sub_i32 s0, 0, s12
	v_rcp_iflag_f32_e32 v1, v1
	v_mul_f32_e32 v1, 0x4f7ffffe, v1
	v_cvt_u32_f32_e32 v1, v1
	v_readfirstlane_b32 s1, v1
	s_mul_i32 s0, s0, s1
	s_mul_hi_u32 s0, s1, s0
	s_add_i32 s1, s1, s0
	s_mul_hi_u32 s0, s28, s1
	s_mul_i32 s2, s0, s12
	s_sub_i32 s2, s28, s2
	s_add_i32 s1, s0, 1
	s_sub_i32 s3, s2, s12
	s_cmp_ge_u32 s2, s12
	s_cselect_b32 s0, s1, s0
	s_cselect_b32 s2, s3, s2
	s_add_i32 s1, s0, 1
	s_cmp_ge_u32 s2, s12
	s_cselect_b32 s0, s1, s0
	v_writelane_b32 v46, s0, 4
	v_writelane_b32 v46, s1, 5
.LBB183_7:
	s_load_dwordx2 s[0:1], s[4:5], 0x370
	v_writelane_b32 v46, s12, 6
	v_writelane_b32 v46, s13, 7
	s_mov_b32 s53, 0
	v_cmp_eq_u32_e64 s[18:19], 0, v0
	s_waitcnt lgkmcnt(0)
	v_writelane_b32 v46, s0, 8
	v_writelane_b32 v46, s1, 9
	s_load_dwordx2 s[0:1], s[4:5], 0x1c8
	s_waitcnt lgkmcnt(0)
	v_writelane_b32 v46, s0, 10
	v_writelane_b32 v46, s1, 11
	s_load_dwordx4 s[0:3], s[4:5], 0xd0
	s_load_dwordx4 s[24:27], s[4:5], 0x1a0
	s_mov_b64 s[12:13], exec
	v_writelane_b32 v46, s18, 12
	v_writelane_b32 v46, s19, 13
	s_and_b64 s[18:19], s[12:13], s[18:19]
	s_mov_b64 exec, s[18:19]
	s_cbranch_execz .LBB183_9
; %bb.8:
	v_mov_b32_e32 v1, 0
	s_waitcnt lgkmcnt(0)
	v_mov_b32_e32 v3, s24
	v_mov_b32_e32 v4, s25
	;; [unrolled: 1-line block ×3, first 2 shown]
	ds_write_b32 v1, v1 offset:5144
	ds_write_b128 v1, v[1:4] offset:5120
.LBB183_9:
	s_or_b64 exec, exec, s[12:13]
	s_load_dwordx4 s[36:39], s[4:5], 0x440
	s_mul_i32 s7, s10, s9
	s_mul_hi_u32 s9, s10, s8
	s_add_i32 s9, s9, s7
	s_mul_i32 s7, s10, s8
	s_mov_b32 s8, s28
	s_sub_u32 s7, s28, s7
	s_load_dwordx4 s[28:31], s[4:5], 0x298
	s_waitcnt lgkmcnt(0)
	v_writelane_b32 v46, s36, 14
	v_writelane_b32 v46, s37, 15
	v_writelane_b32 v46, s38, 16
	v_writelane_b32 v46, s39, 17
	v_writelane_b32 v46, s8, 18
	v_writelane_b32 v46, s9, 19
	v_writelane_b32 v46, s28, 20
	s_subb_u32 s8, 0, s9
	v_writelane_b32 v46, s29, 21
	s_mul_i32 s3, s7, s3
	s_mul_hi_u32 s9, s7, s2
	s_mul_i32 s8, s8, s2
	s_mul_i32 s2, s7, s2
	;; [unrolled: 1-line block ×3, first 2 shown]
	s_mul_hi_u32 s7, s10, s0
	v_writelane_b32 v46, s30, 22
	s_add_i32 s3, s9, s3
	s_add_i32 s1, s7, s1
	s_mul_i32 s0, s10, s0
	v_writelane_b32 v46, s31, 23
	s_add_i32 s3, s3, s8
	s_lshl_b64 s[0:1], s[0:1], 3
	v_writelane_b32 v46, s4, 24
	s_load_dword s7, s[4:5], 0x1b0
	s_add_u32 s8, s20, s0
	v_writelane_b32 v46, s5, 25
	s_addc_u32 s5, s21, s1
	s_lshl_b64 s[0:1], s[2:3], 3
	s_add_u32 s33, s8, s0
	s_addc_u32 s54, s5, s1
	s_waitcnt lgkmcnt(0)
	s_bitcmp1_b32 s7, 0
	s_cselect_b64 s[0:1], -1, 0
	v_writelane_b32 v46, s0, 26
	v_mbcnt_lo_u32_b32 v1, -1, 0
	v_writelane_b32 v46, s1, 27
	s_xor_b64 s[0:1], s[0:1], -1
	v_mbcnt_hi_u32_b32 v35, -1, v1
	v_writelane_b32 v46, s0, 28
	v_cmp_gt_u32_e32 vcc, 64, v0
	v_cmp_gt_i32_e64 s[10:11], 4, v35
	v_mad_u64_u32 v[2:3], s[2:3], s22, v0, 0
	v_writelane_b32 v46, s1, 29
	v_mov_b32_e32 v4, 0x180
	s_and_b64 s[2:3], vcc, s[10:11]
	v_mov_b32_e32 v5, 0
	v_writelane_b32 v46, s2, 30
	v_writelane_b32 v46, s3, 31
	v_cmp_gt_u64_e64 s[2:3], s[24:25], v[4:5]
	v_mov_b32_e32 v1, v3
	v_writelane_b32 v46, s2, 32
	v_mov_b32_e32 v19, 0
	v_writelane_b32 v46, s3, 33
	v_mad_u64_u32 v[3:4], s[2:3], s23, v0, v[1:2]
	v_mov_b32_e32 v1, v19
	v_cmp_gt_u64_e64 s[2:3], s[24:25], v[0:1]
	v_writelane_b32 v46, s2, 34
	v_writelane_b32 v46, s3, 35
	v_cmp_gt_u32_e64 s[2:3], 2, v0
	v_writelane_b32 v46, s2, 36
	s_barrier
	v_writelane_b32 v46, s3, 37
	s_load_dword s2, s[14:15], 0xc
	v_lshlrev_b64 v[2:3], 3, v[2:3]
	v_mov_b32_e32 v4, s54
	v_add_co_u32_e32 v16, vcc, s33, v2
	s_waitcnt lgkmcnt(0)
	s_and_b32 s55, s2, 0xffff
	s_bfe_u32 s2, s2, 0xa0006
	s_cmp_gt_u32 s55, 63
	s_cselect_b64 s[4:5], -1, 0
	v_writelane_b32 v46, s4, 38
	s_add_u32 s3, s55, -1
	v_writelane_b32 v46, s5, 39
	s_addc_u32 s4, 0, -1
	v_writelane_b32 v46, s3, 40
	s_add_u32 s3, s3, s24
	s_addc_u32 s61, s4, s25
	s_cmp_lt_u32 s6, s16
	v_writelane_b32 v46, s3, 41
	s_cselect_b32 s3, 12, 18
	v_writelane_b32 v46, s4, 42
	s_add_u32 s4, s14, s3
	s_addc_u32 s5, s15, 0
	v_writelane_b32 v46, s4, 43
	s_add_i32 s3, s2, -1
	v_writelane_b32 v46, s5, 44
	s_bfe_u32 s4, s55, 0x30006
	s_and_b32 s3, s3, 0xffff
	v_addc_co_u32_e32 v17, vcc, v4, v3, vcc
	v_lshlrev_b64 v[2:3], v35, -1
	s_cmp_gt_u32 s3, 6
	s_cselect_b64 s[6:7], -1, 0
	v_not_b32_e32 v34, v2
	v_lshrrev_b32_e32 v2, 1, v0
	v_writelane_b32 v46, s6, 45
	s_and_b32 s57, s2, 0x3f8
	v_and_b32_e32 v2, 0x1e0, v2
	v_writelane_b32 v46, s7, 46
	s_cmp_lg_u32 s4, 0
	v_lshlrev_b32_e32 v36, 3, v0
	v_lshlrev_b32_e32 v4, 2, v35
	v_or_b32_e32 v38, 0xc00, v2
	v_writelane_b32 v46, s4, 47
	s_cselect_b64 s[2:3], -1, 0
	v_mov_b32_e32 v2, 0xc00
	v_mov_b32_e32 v6, 0
	;; [unrolled: 1-line block ×5, first 2 shown]
	v_cmp_eq_u32_e64 s[0:1], 0, v35
	v_lshlrev_b32_e32 v20, 2, v0
	v_mov_b32_e32 v21, v19
	v_add_u32_e32 v37, 0xc00, v36
	v_and_b32_e32 v32, 0x100, v4
	v_not_b32_e32 v33, v3
	v_writelane_b32 v46, s2, 48
	v_lshl_or_b32 v39, v35, 3, v2
	s_lshl_b32 s62, s55, 3
	s_mov_b32 s63, 62
	v_mov_b32_e32 v7, 0
	s_mov_b64 s[68:69], 0
	v_mov_b32_e32 v23, 0
	v_mov_b32_e32 v25, 0
	;; [unrolled: 1-line block ×3, first 2 shown]
	v_lshlrev_b32_e32 v40, 5, v0
	s_mov_b32 s56, 0
	v_mov_b32_e32 v41, 0x4f800000
	v_mov_b32_e32 v27, s27
	v_writelane_b32 v46, s3, 49
                                        ; implicit-def: $sgpr70_sgpr71
                                        ; implicit-def: $sgpr72_sgpr73
                                        ; implicit-def: $sgpr76_sgpr77
                                        ; implicit-def: $sgpr78_sgpr79
                                        ; implicit-def: $sgpr74_sgpr75
                                        ; implicit-def: $sgpr80_sgpr81
                                        ; implicit-def: $sgpr82_sgpr83
                                        ; implicit-def: $sgpr84_sgpr85
                                        ; implicit-def: $sgpr86_sgpr87
                                        ; implicit-def: $sgpr88_sgpr89
	s_branch .LBB183_12
.LBB183_10:                             ;   in Loop: Header=BB183_12 Depth=1
	s_or_b64 exec, exec, s[8:9]
	s_andn2_b64 s[8:9], s[88:89], exec
	s_and_b64 s[6:7], s[6:7], exec
	v_mov_b32_e32 v26, v28
	s_or_b64 s[88:89], s[8:9], s[6:7]
	s_andn2_b64 s[86:87], s[86:87], exec
	s_andn2_b64 s[84:85], s[84:85], exec
	;; [unrolled: 1-line block ×4, first 2 shown]
	s_orn2_b64 s[4:5], s[4:5], exec
	v_mov_b32_e32 v27, v29
.LBB183_11:                             ;   in Loop: Header=BB183_12 Depth=1
	s_or_b64 exec, exec, s[2:3]
	s_and_b64 s[2:3], exec, s[4:5]
	s_or_b64 s[68:69], s[2:3], s[68:69]
	s_andn2_b64 s[2:3], s[74:75], exec
	s_and_b64 s[4:5], s[88:89], exec
	s_or_b64 s[74:75], s[2:3], s[4:5]
	s_andn2_b64 s[2:3], s[78:79], exec
	s_and_b64 s[4:5], s[86:87], exec
	;; [unrolled: 3-line block ×5, first 2 shown]
	s_or_b64 s[70:71], s[2:3], s[4:5]
	s_andn2_b64 exec, exec, s[68:69]
	s_cbranch_execz .LBB183_487
.LBB183_12:                             ; =>This Loop Header: Depth=1
                                        ;     Child Loop BB183_18 Depth 2
                                        ;     Child Loop BB183_31 Depth 2
	;; [unrolled: 1-line block ×24, first 2 shown]
	ds_read_b128 v[8:11], v19 offset:5120
	s_waitcnt lgkmcnt(0)
	v_readfirstlane_b32 s29, v9
	v_readfirstlane_b32 s28, v8
	s_cmp_lg_u64 s[28:29], 0
	s_cbranch_scc1 .LBB183_39
; %bb.13:                               ;   in Loop: Header=BB183_12 Depth=1
	v_readlane_b32 s2, v46, 32
	v_readlane_b32 s3, v46, 33
	s_and_b64 vcc, exec, s[2:3]
	s_cbranch_vccz .LBB183_26
; %bb.14:                               ;   in Loop: Header=BB183_12 Depth=1
	s_mov_b64 s[2:3], 0x181
	v_cmp_gt_u64_e32 vcc, s[2:3], v[10:11]
	s_mov_b64 s[2:3], 0
	s_mov_b64 s[4:5], 0
	s_cbranch_vccz .LBB183_27
; %bb.15:                               ;   in Loop: Header=BB183_12 Depth=1
	s_mov_b64 s[8:9], exec
	v_readlane_b32 s4, v46, 34
	v_readlane_b32 s5, v46, 35
	s_and_b64 s[4:5], s[8:9], s[4:5]
	s_mov_b64 exec, s[4:5]
	s_cbranch_execz .LBB183_95
; %bb.16:                               ;   in Loop: Header=BB183_12 Depth=1
	v_readlane_b32 s4, v46, 43
	v_readlane_b32 s5, v46, 44
	global_load_dwordx2 v[4:5], v[16:17], off
	v_mov_b32_e32 v9, v1
	s_mov_b64 s[10:11], 0
	v_mov_b32_e32 v8, v0
	s_nop 0
	global_load_ushort v2, v19, s[4:5]
	s_branch .LBB183_18
.LBB183_17:                             ;   in Loop: Header=BB183_18 Depth=2
	s_or_b64 exec, exec, s[4:5]
	s_waitcnt vmcnt(0)
	v_mov_b32_e32 v4, v10
	v_mov_b32_e32 v5, v11
	s_andn2_b64 exec, exec, s[10:11]
	s_cbranch_execz .LBB183_95
.LBB183_18:                             ;   Parent Loop BB183_12 Depth=1
                                        ; =>  This Inner Loop Header: Depth=2
	s_waitcnt vmcnt(0)
	v_add_co_u32_sdwa v8, vcc, v8, v2 dst_sel:DWORD dst_unused:UNUSED_PAD src0_sel:DWORD src1_sel:WORD_0
	v_addc_co_u32_e32 v9, vcc, 0, v9, vcc
	v_cmp_gt_u64_e64 s[6:7], s[24:25], v[8:9]
	v_cmp_le_u64_e32 vcc, s[24:25], v[8:9]
	v_mov_b32_e32 v10, 0
	v_mov_b32_e32 v11, 0
	s_and_saveexec_b64 s[4:5], s[6:7]
	s_cbranch_execz .LBB183_20
; %bb.19:                               ;   in Loop: Header=BB183_18 Depth=2
	s_waitcnt lgkmcnt(0)
	v_mul_lo_u32 v12, v9, s22
	v_mul_lo_u32 v13, v8, s23
	v_mad_u64_u32 v[10:11], s[6:7], v8, s22, 0
	v_add3_u32 v11, v11, v13, v12
	v_lshlrev_b64 v[10:11], 3, v[10:11]
	v_mov_b32_e32 v12, s54
	v_add_co_u32_e64 v10, s[6:7], s33, v10
	v_addc_co_u32_e64 v11, s[6:7], v12, v11, s[6:7]
	global_load_dwordx2 v[10:11], v[10:11], off
.LBB183_20:                             ;   in Loop: Header=BB183_18 Depth=2
	s_or_b64 exec, exec, s[4:5]
	v_cmp_o_f64_e64 s[6:7], v[4:5], v[4:5]
	s_waitcnt lgkmcnt(0)
	v_ashrrev_i32_e32 v12, 31, v5
	v_or_b32_e32 v13, 0x80000000, v12
	v_xor_b32_e32 v13, v13, v5
	v_xor_b32_e32 v12, v12, v4
	v_cndmask_b32_e64 v13, -1, v13, s[6:7]
	v_cndmask_b32_e64 v12, -1, v12, s[6:7]
	v_and_b32_e32 v13, v13, v25
	v_and_b32_e32 v12, v12, v24
	v_cmp_eq_u64_e64 s[14:15], v[12:13], v[22:23]
	v_mov_b32_e32 v12, 0
	s_cmp_lg_u64 s[14:15], 0
	s_cselect_b64 s[4:5], -1, 0
	s_and_b64 s[6:7], s[0:1], s[4:5]
	s_and_saveexec_b64 s[4:5], s[6:7]
	s_cbranch_execz .LBB183_24
; %bb.21:                               ;   in Loop: Header=BB183_18 Depth=2
	s_mov_b64 s[16:17], exec
	v_mbcnt_lo_u32_b32 v12, s16, 0
	v_mbcnt_hi_u32_b32 v12, s17, v12
	s_bcnt1_i32_b64 s18, s[14:15]
	v_cmp_eq_u32_e64 s[6:7], 0, v12
                                        ; implicit-def: $vgpr13
	s_and_saveexec_b64 s[12:13], s[6:7]
; %bb.22:                               ;   in Loop: Header=BB183_18 Depth=2
	s_bcnt1_i32_b64 s6, s[16:17]
	s_mul_i32 s6, s18, s6
	v_mov_b32_e32 v13, s6
	ds_add_rtn_u32 v13, v19, v13 offset:5144
; %bb.23:                               ;   in Loop: Header=BB183_18 Depth=2
	s_or_b64 exec, exec, s[12:13]
	s_waitcnt lgkmcnt(0)
	v_readfirstlane_b32 s6, v13
	v_mov_b32_e32 v13, s6
	v_mad_u32_u24 v12, s18, v12, v13
.LBB183_24:                             ;   in Loop: Header=BB183_18 Depth=2
	s_or_b64 exec, exec, s[4:5]
	ds_bpermute_b32 v12, v32, v12
	s_and_b64 s[4:5], exec, vcc
	s_or_b64 s[10:11], s[4:5], s[10:11]
	s_and_saveexec_b64 s[4:5], s[14:15]
	s_cbranch_execz .LBB183_17
; %bb.25:                               ;   in Loop: Header=BB183_18 Depth=2
	v_and_b32_e32 v14, s14, v34
	v_and_b32_e32 v13, s15, v33
	v_bcnt_u32_b32 v14, v14, 0
	v_bcnt_u32_b32 v13, v13, v14
	v_lshlrev_b32_e32 v13, 3, v13
	s_waitcnt lgkmcnt(0)
	v_lshl_add_u32 v12, v12, 3, v13
	ds_write_b64 v12, v[4:5]
	s_branch .LBB183_17
.LBB183_26:                             ;   in Loop: Header=BB183_12 Depth=1
	s_mov_b64 s[2:3], -1
	s_mov_b64 s[4:5], 0
.LBB183_27:                             ;   in Loop: Header=BB183_12 Depth=1
	s_and_b64 vcc, exec, s[2:3]
	s_cbranch_vccz .LBB183_37
.LBB183_28:                             ;   in Loop: Header=BB183_12 Depth=1
	s_mov_b64 s[2:3], exec
	v_readlane_b32 s4, v46, 34
	v_readlane_b32 s5, v46, 35
	s_and_b64 s[4:5], s[2:3], s[4:5]
	s_mov_b64 exec, s[4:5]
	s_cbranch_execz .LBB183_34
; %bb.29:                               ;   in Loop: Header=BB183_12 Depth=1
	v_readlane_b32 s4, v46, 43
	v_readlane_b32 s5, v46, 44
	s_nop 4
	global_load_ushort v2, v19, s[4:5]
	global_load_dwordx2 v[4:5], v[16:17], off
	v_mov_b32_e32 v8, v0
	s_waitcnt vmcnt(1)
	v_and_b32_e32 v2, 0xffff, v2
	v_add_u32_e32 v18, v2, v0
	v_cmp_gt_u64_e32 vcc, s[24:25], v[18:19]
	s_and_saveexec_b64 s[4:5], vcc
	s_cbranch_execz .LBB183_33
; %bb.30:                               ;   in Loop: Header=BB183_12 Depth=1
	v_mov_b32_e32 v12, v18
	v_mov_b32_e32 v9, v1
	s_mov_b64 s[6:7], 0
	v_mov_b32_e32 v13, v19
	v_mov_b32_e32 v8, v0
.LBB183_31:                             ;   Parent Loop BB183_12 Depth=1
                                        ; =>  This Inner Loop Header: Depth=2
	v_mov_b32_e32 v15, v13
	v_mov_b32_e32 v14, v12
	v_mul_lo_u32 v11, v15, s22
	v_mul_lo_u32 v12, v14, s23
	v_mad_u64_u32 v[9:10], s[8:9], v14, s22, 0
	v_mov_b32_e32 v13, s54
	v_lshlrev_b32_e32 v8, 3, v8
	v_add3_u32 v10, v10, v12, v11
	v_lshlrev_b64 v[9:10], 3, v[9:10]
	s_waitcnt vmcnt(0)
	ds_write_b64 v8, v[4:5]
	v_add_co_u32_e32 v9, vcc, s33, v9
	v_addc_co_u32_e32 v10, vcc, v13, v10, vcc
	global_load_dwordx2 v[10:11], v[9:10], off
	v_add_co_u32_e32 v12, vcc, v14, v2
	v_addc_co_u32_e32 v13, vcc, 0, v15, vcc
	v_cmp_le_u64_e32 vcc, s[24:25], v[12:13]
	v_mov_b32_e32 v8, v14
	s_or_b64 s[6:7], vcc, s[6:7]
	v_mov_b32_e32 v9, v15
	s_waitcnt vmcnt(0)
	v_mov_b32_e32 v4, v10
	v_mov_b32_e32 v5, v11
	s_andn2_b64 exec, exec, s[6:7]
	s_cbranch_execnz .LBB183_31
; %bb.32:                               ;   in Loop: Header=BB183_12 Depth=1
	s_or_b64 exec, exec, s[6:7]
	v_mov_b32_e32 v4, v10
	v_sub_u32_e32 v8, v12, v2
	v_mov_b32_e32 v5, v11
.LBB183_33:                             ;   in Loop: Header=BB183_12 Depth=1
	s_or_b64 exec, exec, s[4:5]
	v_lshlrev_b32_e32 v2, 3, v8
	s_waitcnt vmcnt(0)
	ds_write_b64 v2, v[4:5]
.LBB183_34:                             ;   in Loop: Header=BB183_12 Depth=1
	s_or_b64 exec, exec, s[2:3]
	s_waitcnt lgkmcnt(0)
	s_barrier
	s_mov_b64 s[2:3], exec
	v_readlane_b32 s4, v46, 12
	v_readlane_b32 s5, v46, 13
	s_and_b64 s[4:5], s[2:3], s[4:5]
	s_mov_b64 exec, s[4:5]
; %bb.35:                               ;   in Loop: Header=BB183_12 Depth=1
	v_mov_b32_e32 v4, s24
	v_mov_b32_e32 v5, s25
	ds_write_b64 v19, v[4:5] offset:5120
; %bb.36:                               ;   in Loop: Header=BB183_12 Depth=1
	s_or_b64 exec, exec, s[2:3]
	s_mov_b64 s[4:5], -1
	s_waitcnt lgkmcnt(0)
	s_barrier
.LBB183_37:                             ;   in Loop: Header=BB183_12 Depth=1
	s_mov_b64 s[28:29], 0
	s_and_b64 vcc, exec, s[4:5]
	s_cbranch_vccz .LBB183_39
; %bb.38:                               ;   in Loop: Header=BB183_12 Depth=1
	ds_read_b64 v[4:5], v19 offset:5120
	s_waitcnt lgkmcnt(0)
	v_readfirstlane_b32 s28, v4
.LBB183_39:                             ;   in Loop: Header=BB183_12 Depth=1
	s_cmp_lt_i32 s28, 1
	s_mov_b64 s[2:3], -1
                                        ; implicit-def: $vgpr8_vgpr9
                                        ; implicit-def: $vgpr12_vgpr13
	s_cbranch_scc1 .LBB183_49
; %bb.40:                               ;   in Loop: Header=BB183_12 Depth=1
	s_and_b64 vcc, exec, s[2:3]
	s_cbranch_vccnz .LBB183_63
.LBB183_41:                             ;   in Loop: Header=BB183_12 Depth=1
	s_lshl_b32 s4, s56, 6
	s_and_saveexec_b64 s[2:3], s[0:1]
	s_cbranch_execz .LBB183_43
.LBB183_42:                             ;   in Loop: Header=BB183_12 Depth=1
	v_lshl_add_u32 v2, s4, 3, v38
	ds_write_b128 v2, v[8:11]
	ds_write_b128 v2, v[12:15] offset:16
.LBB183_43:                             ;   in Loop: Header=BB183_12 Depth=1
	s_or_b64 exec, exec, s[2:3]
	s_waitcnt lgkmcnt(0)
	s_barrier
	s_mov_b64 s[2:3], exec
	v_readlane_b32 s6, v46, 30
	v_readlane_b32 s7, v46, 31
	s_and_b64 s[6:7], s[2:3], s[6:7]
	s_mov_b64 exec, s[6:7]
	s_cbranch_execz .LBB183_78
; %bb.44:                               ;   in Loop: Header=BB183_12 Depth=1
	v_readlane_b32 s6, v46, 38
	v_mov_b32_e32 v4, 0
	v_readlane_b32 s7, v46, 39
	v_mov_b32_e32 v5, 0
	s_andn2_b64 vcc, exec, s[6:7]
	s_cbranch_vccnz .LBB183_77
; %bb.45:                               ;   in Loop: Header=BB183_12 Depth=1
	v_readlane_b32 s6, v46, 45
	v_readlane_b32 s7, v46, 46
	s_andn2_b64 vcc, exec, s[6:7]
	s_cbranch_vccnz .LBB183_73
; %bb.46:                               ;   in Loop: Header=BB183_12 Depth=1
	v_mov_b32_e32 v4, 0
	v_lshl_add_u32 v2, s56, 9, v39
	v_mov_b32_e32 v5, 0
	s_mov_b32 s5, 0
.LBB183_47:                             ;   Parent Loop BB183_12 Depth=1
                                        ; =>  This Inner Loop Header: Depth=2
	ds_read2_b64 v[8:11], v2 offset1:4
	ds_read2_b64 v[12:15], v2 offset0:8 offset1:12
	ds_read2_b64 v[28:31], v2 offset0:16 offset1:20
	;; [unrolled: 1-line block ×3, first 2 shown]
	s_add_i32 s5, s5, 8
	s_waitcnt lgkmcnt(3)
	v_add_co_u32_e32 v4, vcc, v8, v4
	v_addc_co_u32_e32 v5, vcc, v9, v5, vcc
	v_add_co_u32_e32 v4, vcc, v10, v4
	v_addc_co_u32_e32 v5, vcc, v11, v5, vcc
	s_waitcnt lgkmcnt(2)
	v_add_co_u32_e32 v4, vcc, v12, v4
	v_addc_co_u32_e32 v5, vcc, v13, v5, vcc
	v_add_co_u32_e32 v4, vcc, v14, v4
	v_addc_co_u32_e32 v5, vcc, v15, v5, vcc
	;; [unrolled: 5-line block ×3, first 2 shown]
	s_waitcnt lgkmcnt(0)
	v_add_co_u32_e32 v4, vcc, v42, v4
	v_addc_co_u32_e32 v5, vcc, v43, v5, vcc
	v_add_co_u32_e32 v4, vcc, v44, v4
	v_add_u32_e32 v2, 0x100, v2
	s_cmp_eq_u32 s57, s5
	v_addc_co_u32_e32 v5, vcc, v45, v5, vcc
	s_cbranch_scc0 .LBB183_47
; %bb.48:                               ;   in Loop: Header=BB183_12 Depth=1
	s_mov_b32 s5, s57
	s_branch .LBB183_74
.LBB183_49:                             ;   in Loop: Header=BB183_12 Depth=1
	v_readlane_b32 s2, v46, 43
	v_readlane_b32 s3, v46, 44
	s_nop 4
	global_load_ushort v2, v19, s[2:3]
	s_mov_b32 s2, s53
	s_waitcnt vmcnt(0)
	v_readfirstlane_b32 s3, v2
	s_and_b32 s3, 0xffff, s3
	s_lshl_b32 s8, s3, 2
	s_mov_b32 s3, s25
	s_cmp_lg_u64 s[2:3], 0
	s_cbranch_scc0 .LBB183_72
; %bb.50:                               ;   in Loop: Header=BB183_12 Depth=1
	v_cvt_f32_u32_e32 v4, s8
	s_sub_u32 s4, 0, s8
	s_subb_u32 s5, 0, 0
	v_mac_f32_e32 v4, 0, v41
	v_rcp_f32_e32 v4, v4
	v_mul_f32_e32 v4, 0x5f7ffffc, v4
	v_mul_f32_e32 v5, 0x2f800000, v4
	v_trunc_f32_e32 v5, v5
	v_mac_f32_e32 v4, 0xcf800000, v5
	v_cvt_u32_f32_e32 v5, v5
	v_cvt_u32_f32_e32 v4, v4
	v_readfirstlane_b32 s6, v5
	v_readfirstlane_b32 s2, v4
	s_mul_i32 s3, s4, s6
	s_mul_hi_u32 s9, s4, s2
	s_mul_i32 s7, s5, s2
	s_add_i32 s3, s9, s3
	s_mul_i32 s10, s4, s2
	s_add_i32 s3, s3, s7
	s_mul_hi_u32 s9, s2, s10
	s_mul_i32 s11, s2, s3
	s_mul_hi_u32 s7, s2, s3
	s_add_u32 s9, s9, s11
	s_addc_u32 s7, 0, s7
	s_mul_hi_u32 s12, s6, s10
	s_mul_i32 s10, s6, s10
	s_add_u32 s9, s9, s10
	s_mul_hi_u32 s11, s6, s3
	s_addc_u32 s7, s7, s12
	s_addc_u32 s9, s11, 0
	s_mul_i32 s3, s6, s3
	s_add_u32 s3, s7, s3
	s_addc_u32 s7, 0, s9
	s_add_u32 s9, s2, s3
	s_cselect_b64 s[2:3], -1, 0
	s_cmp_lg_u64 s[2:3], 0
	s_addc_u32 s6, s6, s7
	s_mul_i32 s2, s4, s6
	s_mul_hi_u32 s3, s4, s9
	s_add_i32 s2, s3, s2
	s_mul_i32 s5, s5, s9
	s_add_i32 s2, s2, s5
	s_mul_i32 s4, s4, s9
	s_mul_hi_u32 s5, s6, s4
	s_mul_i32 s7, s6, s4
	s_mul_i32 s11, s9, s2
	s_mul_hi_u32 s4, s9, s4
	s_mul_hi_u32 s10, s9, s2
	s_add_u32 s4, s4, s11
	s_addc_u32 s10, 0, s10
	s_add_u32 s4, s4, s7
	s_mul_hi_u32 s3, s6, s2
	s_addc_u32 s4, s10, s5
	s_addc_u32 s3, s3, 0
	s_mul_i32 s2, s6, s2
	s_add_u32 s2, s4, s2
	s_addc_u32 s4, 0, s3
	s_add_u32 s5, s9, s2
	s_cselect_b64 s[2:3], -1, 0
	s_cmp_lg_u64 s[2:3], 0
	s_addc_u32 s2, s6, s4
	s_mul_i32 s4, s24, s2
	s_mul_hi_u32 s6, s24, s5
	s_mul_hi_u32 s3, s24, s2
	s_add_u32 s4, s6, s4
	s_addc_u32 s3, 0, s3
	s_mul_hi_u32 s7, s25, s5
	s_mul_i32 s5, s25, s5
	s_add_u32 s4, s4, s5
	s_mul_hi_u32 s6, s25, s2
	s_addc_u32 s3, s3, s7
	s_addc_u32 s4, s6, 0
	s_mul_i32 s2, s25, s2
	s_add_u32 s2, s3, s2
	s_addc_u32 s3, 0, s4
	s_mul_i32 s3, s8, s3
	s_mul_hi_u32 s4, s8, s2
	s_add_i32 s4, s4, s3
	s_mul_i32 s2, s8, s2
	s_sub_u32 s5, s24, s2
	s_cselect_b64 s[2:3], -1, 0
	s_cmp_lg_u64 s[2:3], 0
	s_subb_u32 s4, s25, s4
	s_sub_u32 s6, s5, s8
	s_cselect_b64 s[2:3], -1, 0
	s_cmp_lg_u64 s[2:3], 0
	s_subb_u32 s7, s4, 0
	;; [unrolled: 4-line block ×3, first 2 shown]
	s_cmp_ge_u32 s6, s8
	s_cselect_b32 s3, -1, 0
	s_cmp_eq_u32 s7, 0
	s_cselect_b32 s3, s3, -1
	s_cmp_lg_u32 s3, 0
	s_cselect_b32 s2, s2, s7
	s_cselect_b32 s6, s9, s6
	s_cmp_ge_u32 s5, s8
	s_cselect_b32 s3, -1, 0
	s_cmp_eq_u32 s4, 0
	s_cselect_b32 s3, s3, -1
	s_cmp_lg_u32 s3, 0
	s_cselect_b32 s3, s2, s4
	s_cselect_b32 s2, s6, s5
	s_cbranch_execnz .LBB183_52
.LBB183_51:                             ;   in Loop: Header=BB183_12 Depth=1
	v_cvt_f32_u32_e32 v4, s8
	s_sub_i32 s2, 0, s8
	v_rcp_iflag_f32_e32 v4, v4
	v_mul_f32_e32 v4, 0x4f7ffffe, v4
	v_cvt_u32_f32_e32 v4, v4
	v_readfirstlane_b32 s3, v4
	s_mul_i32 s2, s2, s3
	s_mul_hi_u32 s2, s3, s2
	s_add_i32 s3, s3, s2
	s_mul_hi_u32 s2, s24, s3
	s_mul_i32 s2, s2, s8
	s_sub_i32 s2, s24, s2
	s_sub_i32 s3, s2, s8
	s_cmp_ge_u32 s2, s8
	s_cselect_b32 s2, s3, s2
	s_sub_i32 s3, s2, s8
	s_cmp_ge_u32 s2, s8
	s_cselect_b32 s52, s3, s2
	s_mov_b64 s[2:3], s[52:53]
.LBB183_52:                             ;   in Loop: Header=BB183_12 Depth=1
	s_sub_u32 s2, s24, s2
	s_subb_u32 s3, s25, s3
	v_cmp_gt_u64_e32 vcc, s[2:3], v[20:21]
	v_mov_b32_e32 v8, 0
	v_mov_b32_e32 v10, 0
	;; [unrolled: 1-line block ×8, first 2 shown]
	s_and_saveexec_b64 s[30:31], vcc
	s_cbranch_execz .LBB183_56
; %bb.53:                               ;   in Loop: Header=BB183_12 Depth=1
	v_mov_b32_e32 v4, v20
	s_mov_b64 s[36:37], 0
	s_mov_b64 s[38:39], 0
	;; [unrolled: 1-line block ×5, first 2 shown]
	v_mov_b32_e32 v5, v21
.LBB183_54:                             ;   Parent Loop BB183_12 Depth=1
                                        ; =>  This Inner Loop Header: Depth=2
	v_mul_lo_u32 v10, v5, s22
	v_mul_lo_u32 v11, v4, s23
	v_mad_u64_u32 v[8:9], s[4:5], v4, s22, 0
	s_lshl_b64 s[4:5], s[22:23], 3
	v_mov_b32_e32 v18, s5
	v_add3_u32 v9, v9, v11, v10
	v_lshlrev_b64 v[8:9], 3, v[8:9]
	v_mov_b32_e32 v10, s54
	v_add_co_u32_e32 v8, vcc, s33, v8
	v_addc_co_u32_e32 v9, vcc, v10, v9, vcc
	global_load_dwordx2 v[10:11], v[8:9], off
	v_add_co_u32_e32 v8, vcc, s4, v8
	v_addc_co_u32_e32 v9, vcc, v9, v18, vcc
	global_load_dwordx2 v[12:13], v[8:9], off
	v_add_co_u32_e32 v8, vcc, s4, v8
	v_addc_co_u32_e32 v9, vcc, v9, v18, vcc
	global_load_dwordx2 v[14:15], v[8:9], off
	v_add_co_u32_e32 v8, vcc, s4, v8
	v_addc_co_u32_e32 v9, vcc, v9, v18, vcc
	global_load_dwordx2 v[8:9], v[8:9], off
	s_waitcnt vmcnt(3)
	v_cmp_o_f64_e32 vcc, v[10:11], v[10:11]
	v_ashrrev_i32_e32 v18, 31, v11
	v_or_b32_e32 v28, 0x80000000, v18
	v_xor_b32_e32 v11, v28, v11
	v_xor_b32_e32 v10, v18, v10
	v_cndmask_b32_e32 v29, -1, v11, vcc
	v_cndmask_b32_e32 v28, -1, v10, vcc
	s_waitcnt vmcnt(2)
	v_cmp_o_f64_e32 vcc, v[12:13], v[12:13]
	v_ashrrev_i32_e32 v10, 31, v13
	v_or_b32_e32 v11, 0x80000000, v10
	v_xor_b32_e32 v11, v11, v13
	v_xor_b32_e32 v10, v10, v12
	v_cndmask_b32_e32 v31, -1, v11, vcc
	v_cndmask_b32_e32 v30, -1, v10, vcc
	;; [unrolled: 8-line block ×4, first 2 shown]
	v_and_b32_e32 v9, v29, v25
	v_and_b32_e32 v8, v28, v24
	v_cmp_eq_u64_e32 vcc, v[8:9], v[22:23]
	v_and_b32_e32 v9, v31, v25
	v_and_b32_e32 v8, v30, v24
	v_cmp_eq_u64_e64 s[14:15], v[8:9], v[22:23]
	v_and_b32_e32 v9, v13, v25
	v_and_b32_e32 v8, v12, v24
	v_cmp_eq_u64_e64 s[16:17], v[8:9], v[22:23]
	;; [unrolled: 3-line block ×3, first 2 shown]
	v_lshrrev_b64 v[8:9], s63, v[28:29]
	v_lshrrev_b64 v[12:13], s63, v[12:13]
	v_and_b32_e32 v18, 3, v8
	v_lshrrev_b64 v[8:9], s63, v[30:31]
	v_cmp_eq_u64_e64 s[6:7], 0, v[18:19]
	v_and_b32_e32 v8, 3, v8
	v_mov_b32_e32 v9, v19
	s_and_b64 s[4:5], vcc, s[6:7]
	v_cmp_eq_u64_e64 s[6:7], 0, v[8:9]
	v_and_b32_e32 v12, 3, v12
	v_mov_b32_e32 v13, v19
	v_lshrrev_b64 v[10:11], s63, v[10:11]
	s_and_b64 s[10:11], s[14:15], s[6:7]
	v_cmp_eq_u64_e64 s[6:7], 0, v[12:13]
	v_and_b32_e32 v10, 3, v10
	v_mov_b32_e32 v11, v19
	s_and_b64 s[12:13], s[16:17], s[6:7]
	v_cmp_eq_u64_e64 s[6:7], 0, v[10:11]
	v_cndmask_b32_e64 v14, 0, 1, s[4:5]
	s_and_b64 s[20:21], s[18:19], s[6:7]
	v_cmp_ne_u32_e64 s[6:7], 0, v14
	v_cndmask_b32_e64 v14, 0, 1, s[10:11]
	s_bcnt1_i32_b64 s4, s[6:7]
	v_cmp_ne_u32_e64 s[6:7], 0, v14
	v_cndmask_b32_e64 v14, 0, 1, s[12:13]
	s_bcnt1_i32_b64 s5, s[6:7]
	;; [unrolled: 3-line block ×3, first 2 shown]
	v_cmp_ne_u32_e64 s[6:7], 0, v14
	s_bcnt1_i32_b64 s6, s[6:7]
	s_add_u32 s4, s4, s46
	s_addc_u32 s7, 0, s47
	s_add_u32 s4, s4, s5
	s_addc_u32 s5, s7, 0
	;; [unrolled: 2-line block ×3, first 2 shown]
	s_add_u32 s46, s4, s6
	v_cmp_eq_u64_e64 s[6:7], 1, v[18:19]
	s_addc_u32 s47, s5, 0
	s_and_b64 s[4:5], vcc, s[6:7]
	v_cmp_eq_u64_e64 s[6:7], 1, v[8:9]
	v_cndmask_b32_e64 v14, 0, 1, s[4:5]
	s_and_b64 s[10:11], s[14:15], s[6:7]
	v_cmp_eq_u64_e64 s[6:7], 1, v[12:13]
	s_and_b64 s[12:13], s[16:17], s[6:7]
	v_cmp_eq_u64_e64 s[6:7], 1, v[10:11]
	s_and_b64 s[20:21], s[18:19], s[6:7]
	v_cmp_ne_u32_e64 s[6:7], 0, v14
	v_cndmask_b32_e64 v14, 0, 1, s[10:11]
	s_bcnt1_i32_b64 s4, s[6:7]
	v_cmp_ne_u32_e64 s[6:7], 0, v14
	v_cndmask_b32_e64 v14, 0, 1, s[12:13]
	s_bcnt1_i32_b64 s5, s[6:7]
	;; [unrolled: 3-line block ×3, first 2 shown]
	v_cmp_ne_u32_e64 s[6:7], 0, v14
	s_bcnt1_i32_b64 s6, s[6:7]
	s_add_u32 s4, s4, s44
	s_addc_u32 s7, 0, s45
	s_add_u32 s4, s4, s5
	s_addc_u32 s5, s7, 0
	;; [unrolled: 2-line block ×3, first 2 shown]
	s_add_u32 s44, s4, s6
	v_cmp_eq_u64_e64 s[6:7], 2, v[18:19]
	s_addc_u32 s45, s5, 0
	s_and_b64 s[4:5], vcc, s[6:7]
	v_cmp_eq_u64_e64 s[6:7], 2, v[8:9]
	v_cndmask_b32_e64 v14, 0, 1, s[4:5]
	s_and_b64 s[10:11], s[14:15], s[6:7]
	v_cmp_eq_u64_e64 s[6:7], 2, v[12:13]
	s_and_b64 s[12:13], s[16:17], s[6:7]
	v_cmp_eq_u64_e64 s[6:7], 2, v[10:11]
	s_and_b64 s[20:21], s[18:19], s[6:7]
	v_cmp_ne_u32_e64 s[6:7], 0, v14
	v_cndmask_b32_e64 v14, 0, 1, s[10:11]
	s_bcnt1_i32_b64 s4, s[6:7]
	v_cmp_ne_u32_e64 s[6:7], 0, v14
	v_cndmask_b32_e64 v14, 0, 1, s[12:13]
	s_bcnt1_i32_b64 s5, s[6:7]
	;; [unrolled: 3-line block ×3, first 2 shown]
	v_cmp_ne_u32_e64 s[6:7], 0, v14
	s_bcnt1_i32_b64 s6, s[6:7]
	s_add_u32 s4, s4, s40
	s_addc_u32 s7, 0, s41
	s_add_u32 s4, s4, s5
	s_addc_u32 s5, s7, 0
	s_add_u32 s4, s4, s9
	s_addc_u32 s5, s5, 0
	s_add_u32 s40, s4, s6
	v_cmp_eq_u64_e64 s[6:7], 3, v[18:19]
	s_addc_u32 s41, s5, 0
	s_and_b64 s[4:5], vcc, s[6:7]
	v_cmp_eq_u64_e32 vcc, 3, v[8:9]
	v_cndmask_b32_e64 v8, 0, 1, s[4:5]
	s_and_b64 s[6:7], s[14:15], vcc
	v_cmp_eq_u64_e32 vcc, 3, v[12:13]
	v_mov_b32_e32 v12, s40
	s_and_b64 s[10:11], s[16:17], vcc
	v_cmp_eq_u64_e32 vcc, 3, v[10:11]
	v_mov_b32_e32 v10, s44
	s_and_b64 s[12:13], s[18:19], vcc
	v_cmp_ne_u32_e32 vcc, 0, v8
	v_cndmask_b32_e64 v8, 0, 1, s[6:7]
	s_bcnt1_i32_b64 s4, vcc
	v_cmp_ne_u32_e32 vcc, 0, v8
	v_cndmask_b32_e64 v8, 0, 1, s[10:11]
	s_bcnt1_i32_b64 s5, vcc
	;; [unrolled: 3-line block ×3, first 2 shown]
	v_cmp_ne_u32_e32 vcc, 0, v8
	s_bcnt1_i32_b64 s7, vcc
	s_add_u32 s4, s4, s38
	s_addc_u32 s9, 0, s39
	s_add_u32 s4, s4, s5
	s_addc_u32 s5, s9, 0
	s_add_u32 s4, s4, s6
	v_add_co_u32_e32 v4, vcc, s8, v4
	s_addc_u32 s5, s5, 0
	v_addc_co_u32_e32 v5, vcc, 0, v5, vcc
	s_add_u32 s38, s4, s7
	v_cmp_le_u64_e32 vcc, s[2:3], v[4:5]
	s_addc_u32 s39, s5, 0
	v_mov_b32_e32 v8, s46
	v_mov_b32_e32 v14, s38
	s_or_b64 s[36:37], vcc, s[36:37]
	v_mov_b32_e32 v9, s47
	v_mov_b32_e32 v11, s45
	;; [unrolled: 1-line block ×4, first 2 shown]
	s_andn2_b64 exec, exec, s[36:37]
	s_cbranch_execnz .LBB183_54
; %bb.55:                               ;   in Loop: Header=BB183_12 Depth=1
	s_or_b64 exec, exec, s[36:37]
.LBB183_56:                             ;   in Loop: Header=BB183_12 Depth=1
	s_or_b64 exec, exec, s[30:31]
	v_mov_b32_e32 v5, s3
	v_add_co_u32_e32 v4, vcc, s2, v0
	v_addc_co_u32_e32 v5, vcc, 0, v5, vcc
	v_cmp_gt_u64_e32 vcc, s[24:25], v[4:5]
	s_and_saveexec_b64 s[2:3], vcc
	s_cbranch_execz .LBB183_62
; %bb.57:                               ;   in Loop: Header=BB183_12 Depth=1
	v_mul_lo_u32 v18, v5, s22
	v_mul_lo_u32 v30, v4, s23
	v_mad_u64_u32 v[28:29], s[4:5], v4, s22, 0
	s_mov_b64 s[8:9], 0
	v_add3_u32 v29, v29, v30, v18
	v_lshlrev_b64 v[28:29], 3, v[28:29]
	v_mov_b32_e32 v18, s54
	v_add_co_u32_e32 v28, vcc, s33, v28
	v_addc_co_u32_e32 v29, vcc, v18, v29, vcc
	global_load_dwordx2 v[30:31], v[28:29], off
	s_branch .LBB183_59
.LBB183_58:                             ;   in Loop: Header=BB183_59 Depth=2
	s_or_b64 exec, exec, s[4:5]
	s_waitcnt vmcnt(0)
	v_cmp_o_f64_e64 s[6:7], v[30:31], v[30:31]
	v_ashrrev_i32_e32 v18, 31, v31
	v_or_b32_e32 v42, 0x80000000, v18
	v_xor_b32_e32 v42, v42, v31
	v_xor_b32_e32 v18, v18, v30
	s_and_b64 s[4:5], exec, vcc
	s_or_b64 s[8:9], s[4:5], s[8:9]
	v_cndmask_b32_e64 v31, -1, v42, s[6:7]
	v_cndmask_b32_e64 v30, -1, v18, s[6:7]
	v_and_b32_e32 v43, v31, v25
	v_and_b32_e32 v42, v30, v24
	v_lshrrev_b64 v[30:31], s63, v[30:31]
	v_cmp_eq_u64_e32 vcc, v[42:43], v[22:23]
	v_and_b32_e32 v18, 3, v30
	v_cmp_eq_u64_e64 s[6:7], 0, v[18:19]
	s_and_b64 s[4:5], vcc, s[6:7]
	v_cndmask_b32_e64 v30, 0, 1, s[4:5]
	v_cmp_ne_u32_e64 s[6:7], 0, v30
	s_bcnt1_i32_b64 s4, s[6:7]
	v_cmp_eq_u64_e64 s[6:7], 1, v[18:19]
	v_add_co_u32_e64 v8, s[14:15], s4, v8
	s_and_b64 s[4:5], vcc, s[6:7]
	v_cndmask_b32_e64 v30, 0, 1, s[4:5]
	v_cmp_ne_u32_e64 s[6:7], 0, v30
	s_bcnt1_i32_b64 s4, s[6:7]
	v_cmp_eq_u64_e64 s[6:7], 2, v[18:19]
	v_addc_co_u32_e64 v9, s[14:15], 0, v9, s[14:15]
	v_add_co_u32_e64 v10, s[14:15], s4, v10
	s_and_b64 s[4:5], vcc, s[6:7]
	v_cndmask_b32_e64 v30, 0, 1, s[4:5]
	v_cmp_ne_u32_e64 s[6:7], 0, v30
	s_bcnt1_i32_b64 s4, s[6:7]
	v_cmp_eq_u64_e64 s[6:7], 3, v[18:19]
	v_addc_co_u32_e64 v11, s[14:15], 0, v11, s[14:15]
	v_add_co_u32_e64 v12, s[14:15], s4, v12
	s_and_b64 s[4:5], vcc, s[6:7]
	v_cndmask_b32_e64 v18, 0, 1, s[4:5]
	v_cmp_ne_u32_e32 vcc, 0, v18
	s_bcnt1_i32_b64 s4, vcc
	v_add_co_u32_e32 v14, vcc, s4, v14
	v_mov_b32_e32 v31, v29
	v_addc_co_u32_e64 v13, s[14:15], 0, v13, s[14:15]
	v_addc_co_u32_e32 v15, vcc, 0, v15, vcc
	v_mov_b32_e32 v30, v28
	s_andn2_b64 exec, exec, s[8:9]
	s_cbranch_execz .LBB183_61
.LBB183_59:                             ;   Parent Loop BB183_12 Depth=1
                                        ; =>  This Inner Loop Header: Depth=2
	v_add_co_u32_sdwa v4, vcc, v4, v2 dst_sel:DWORD dst_unused:UNUSED_PAD src0_sel:DWORD src1_sel:WORD_0
	v_addc_co_u32_e32 v5, vcc, 0, v5, vcc
	v_cmp_gt_u64_e64 s[6:7], s[24:25], v[4:5]
	v_cmp_le_u64_e32 vcc, s[24:25], v[4:5]
	v_mov_b32_e32 v28, 0
	v_mov_b32_e32 v29, 0
	s_and_saveexec_b64 s[4:5], s[6:7]
	s_cbranch_execz .LBB183_58
; %bb.60:                               ;   in Loop: Header=BB183_59 Depth=2
	v_mul_lo_u32 v18, v5, s22
	v_mul_lo_u32 v42, v4, s23
	v_mad_u64_u32 v[28:29], s[6:7], v4, s22, 0
	v_add3_u32 v29, v29, v42, v18
	v_lshlrev_b64 v[28:29], 3, v[28:29]
	v_mov_b32_e32 v18, s54
	v_add_co_u32_e64 v28, s[6:7], s33, v28
	v_addc_co_u32_e64 v29, s[6:7], v18, v29, s[6:7]
	global_load_dwordx2 v[28:29], v[28:29], off
	s_branch .LBB183_58
.LBB183_61:                             ;   in Loop: Header=BB183_12 Depth=1
	s_or_b64 exec, exec, s[8:9]
.LBB183_62:                             ;   in Loop: Header=BB183_12 Depth=1
	s_or_b64 exec, exec, s[2:3]
	s_branch .LBB183_41
.LBB183_63:                             ;   in Loop: Header=BB183_12 Depth=1
	v_readlane_b32 s2, v46, 43
	v_readlane_b32 s3, v46, 44
	v_mov_b32_e32 v8, 0
	v_mov_b32_e32 v10, 0
	;; [unrolled: 1-line block ×5, first 2 shown]
	global_load_ushort v2, v19, s[2:3]
	v_mov_b32_e32 v11, 0
	v_mov_b32_e32 v13, 0
	;; [unrolled: 1-line block ×3, first 2 shown]
	s_waitcnt vmcnt(0)
	v_readfirstlane_b32 s2, v2
	s_and_b32 s4, 0xffff, s2
	s_lshl_b32 s5, s4, 2
	v_cvt_f32_u32_e32 v4, s5
	s_sub_i32 s2, 0, s5
	v_rcp_iflag_f32_e32 v4, v4
	v_mul_f32_e32 v4, 0x4f7ffffe, v4
	v_cvt_u32_f32_e32 v4, v4
	v_readfirstlane_b32 s3, v4
	s_mul_i32 s2, s2, s3
	s_mul_hi_u32 s2, s3, s2
	s_add_i32 s3, s3, s2
	s_mul_hi_u32 s2, s28, s3
	s_mul_i32 s3, s2, s5
	s_sub_i32 s3, s28, s3
	s_add_i32 s6, s2, 1
	s_sub_i32 s7, s3, s5
	s_cmp_ge_u32 s3, s5
	s_cselect_b32 s2, s6, s2
	s_cselect_b32 s3, s7, s3
	s_add_i32 s6, s2, 1
	s_cmp_ge_u32 s3, s5
	s_cselect_b32 s2, s6, s2
	s_mul_hi_u32 s3, s4, s2
	s_mul_i32 s2, s4, s2
	s_lshl_b64 s[30:31], s[2:3], 2
	v_cmp_gt_u64_e32 vcc, s[30:31], v[20:21]
	s_and_saveexec_b64 s[36:37], vcc
	s_cbranch_execz .LBB183_67
; %bb.64:                               ;   in Loop: Header=BB183_12 Depth=1
	v_mov_b32_e32 v4, v20
	s_lshl_b32 s3, s4, 5
	s_mov_b64 s[38:39], 0
	v_mov_b32_e32 v28, v40
	s_mov_b64 s[40:41], 0
	s_mov_b64 s[44:45], 0
	;; [unrolled: 1-line block ×4, first 2 shown]
	v_mov_b32_e32 v5, v21
.LBB183_65:                             ;   Parent Loop BB183_12 Depth=1
                                        ; =>  This Inner Loop Header: Depth=2
	ds_read_b128 v[8:11], v28
	ds_read_b128 v[12:15], v28 offset:16
	v_add_u32_e32 v28, s3, v28
	s_waitcnt lgkmcnt(1)
	v_cmp_o_f64_e32 vcc, v[8:9], v[8:9]
	v_ashrrev_i32_e32 v18, 31, v9
	v_or_b32_e32 v29, 0x80000000, v18
	v_xor_b32_e32 v9, v29, v9
	v_xor_b32_e32 v8, v18, v8
	v_ashrrev_i32_e32 v18, 31, v11
	v_or_b32_e32 v29, 0x80000000, v18
	v_cndmask_b32_e32 v9, -1, v9, vcc
	v_cndmask_b32_e32 v8, -1, v8, vcc
	v_cmp_o_f64_e32 vcc, v[10:11], v[10:11]
	v_xor_b32_e32 v11, v29, v11
	v_xor_b32_e32 v10, v18, v10
	v_cndmask_b32_e32 v30, -1, v11, vcc
	v_cndmask_b32_e32 v29, -1, v10, vcc
	s_waitcnt lgkmcnt(0)
	v_cmp_o_f64_e32 vcc, v[12:13], v[12:13]
	v_ashrrev_i32_e32 v10, 31, v13
	v_or_b32_e32 v11, 0x80000000, v10
	v_xor_b32_e32 v11, v11, v13
	v_xor_b32_e32 v10, v10, v12
	v_cndmask_b32_e32 v13, -1, v11, vcc
	v_cndmask_b32_e32 v12, -1, v10, vcc
	v_cmp_o_f64_e32 vcc, v[14:15], v[14:15]
	v_ashrrev_i32_e32 v10, 31, v15
	v_or_b32_e32 v11, 0x80000000, v10
	v_xor_b32_e32 v11, v11, v15
	v_xor_b32_e32 v10, v10, v14
	v_and_b32_e32 v15, v9, v25
	v_and_b32_e32 v14, v8, v24
	v_lshrrev_b64 v[8:9], s63, v[8:9]
	v_cndmask_b32_e32 v11, -1, v11, vcc
	v_and_b32_e32 v18, 3, v8
	v_lshrrev_b64 v[8:9], s63, v[29:30]
	v_cndmask_b32_e32 v10, -1, v10, vcc
	v_cmp_eq_u64_e32 vcc, v[14:15], v[22:23]
	v_and_b32_e32 v15, v30, v25
	v_and_b32_e32 v14, v29, v24
	v_cmp_eq_u64_e64 s[6:7], 0, v[18:19]
	v_cmp_eq_u64_e64 s[14:15], v[14:15], v[22:23]
	v_and_b32_e32 v15, v13, v25
	v_and_b32_e32 v14, v12, v24
	;; [unrolled: 1-line block ×3, first 2 shown]
	v_mov_b32_e32 v9, v19
	v_lshrrev_b64 v[12:13], s63, v[12:13]
	s_and_b64 s[8:9], vcc, s[6:7]
	v_cmp_eq_u64_e64 s[6:7], 0, v[8:9]
	v_cmp_eq_u64_e64 s[16:17], v[14:15], v[22:23]
	v_and_b32_e32 v15, v11, v25
	v_and_b32_e32 v14, v10, v24
	;; [unrolled: 1-line block ×3, first 2 shown]
	v_mov_b32_e32 v13, v19
	v_lshrrev_b64 v[10:11], s63, v[10:11]
	s_and_b64 s[10:11], s[14:15], s[6:7]
	v_cmp_eq_u64_e64 s[6:7], 0, v[12:13]
	v_and_b32_e32 v10, 3, v10
	v_mov_b32_e32 v11, v19
	v_cmp_eq_u64_e64 s[18:19], v[14:15], v[22:23]
	s_and_b64 s[12:13], s[16:17], s[6:7]
	v_cmp_eq_u64_e64 s[6:7], 0, v[10:11]
	v_cndmask_b32_e64 v14, 0, 1, s[8:9]
	s_and_b64 s[20:21], s[18:19], s[6:7]
	v_cmp_ne_u32_e64 s[6:7], 0, v14
	v_cndmask_b32_e64 v14, 0, 1, s[10:11]
	s_bcnt1_i32_b64 s8, s[6:7]
	v_cmp_ne_u32_e64 s[6:7], 0, v14
	v_cndmask_b32_e64 v14, 0, 1, s[12:13]
	s_bcnt1_i32_b64 s9, s[6:7]
	;; [unrolled: 3-line block ×3, first 2 shown]
	v_cmp_ne_u32_e64 s[6:7], 0, v14
	s_bcnt1_i32_b64 s6, s[6:7]
	s_add_u32 s7, s8, s48
	s_addc_u32 s8, 0, s49
	s_add_u32 s7, s7, s9
	s_addc_u32 s8, s8, 0
	;; [unrolled: 2-line block ×3, first 2 shown]
	s_add_u32 s48, s7, s6
	v_cmp_eq_u64_e64 s[6:7], 1, v[18:19]
	s_addc_u32 s49, s8, 0
	s_and_b64 s[8:9], vcc, s[6:7]
	v_cmp_eq_u64_e64 s[6:7], 1, v[8:9]
	v_cndmask_b32_e64 v14, 0, 1, s[8:9]
	s_and_b64 s[10:11], s[14:15], s[6:7]
	v_cmp_eq_u64_e64 s[6:7], 1, v[12:13]
	s_and_b64 s[12:13], s[16:17], s[6:7]
	v_cmp_eq_u64_e64 s[6:7], 1, v[10:11]
	s_and_b64 s[20:21], s[18:19], s[6:7]
	v_cmp_ne_u32_e64 s[6:7], 0, v14
	v_cndmask_b32_e64 v14, 0, 1, s[10:11]
	s_bcnt1_i32_b64 s8, s[6:7]
	v_cmp_ne_u32_e64 s[6:7], 0, v14
	v_cndmask_b32_e64 v14, 0, 1, s[12:13]
	s_bcnt1_i32_b64 s9, s[6:7]
	;; [unrolled: 3-line block ×3, first 2 shown]
	v_cmp_ne_u32_e64 s[6:7], 0, v14
	s_bcnt1_i32_b64 s6, s[6:7]
	s_add_u32 s7, s8, s46
	s_addc_u32 s8, 0, s47
	s_add_u32 s7, s7, s9
	s_addc_u32 s8, s8, 0
	;; [unrolled: 2-line block ×3, first 2 shown]
	s_add_u32 s46, s7, s6
	v_cmp_eq_u64_e64 s[6:7], 2, v[18:19]
	s_addc_u32 s47, s8, 0
	s_and_b64 s[8:9], vcc, s[6:7]
	v_cmp_eq_u64_e64 s[6:7], 2, v[8:9]
	v_cndmask_b32_e64 v14, 0, 1, s[8:9]
	s_and_b64 s[10:11], s[14:15], s[6:7]
	v_cmp_eq_u64_e64 s[6:7], 2, v[12:13]
	s_and_b64 s[12:13], s[16:17], s[6:7]
	v_cmp_eq_u64_e64 s[6:7], 2, v[10:11]
	s_and_b64 s[20:21], s[18:19], s[6:7]
	v_cmp_ne_u32_e64 s[6:7], 0, v14
	v_cndmask_b32_e64 v14, 0, 1, s[10:11]
	s_bcnt1_i32_b64 s8, s[6:7]
	v_cmp_ne_u32_e64 s[6:7], 0, v14
	v_cndmask_b32_e64 v14, 0, 1, s[12:13]
	s_bcnt1_i32_b64 s9, s[6:7]
	;; [unrolled: 3-line block ×3, first 2 shown]
	v_cmp_ne_u32_e64 s[6:7], 0, v14
	s_bcnt1_i32_b64 s6, s[6:7]
	s_add_u32 s7, s8, s44
	s_addc_u32 s8, 0, s45
	s_add_u32 s7, s7, s9
	s_addc_u32 s8, s8, 0
	s_add_u32 s7, s7, s10
	s_addc_u32 s8, s8, 0
	s_add_u32 s44, s7, s6
	v_cmp_eq_u64_e64 s[6:7], 3, v[18:19]
	s_addc_u32 s45, s8, 0
	s_and_b64 s[6:7], vcc, s[6:7]
	v_cmp_eq_u64_e32 vcc, 3, v[8:9]
	v_cndmask_b32_e64 v8, 0, 1, s[6:7]
	s_and_b64 s[8:9], s[14:15], vcc
	v_cmp_eq_u64_e32 vcc, 3, v[12:13]
	v_mov_b32_e32 v12, s44
	s_and_b64 s[10:11], s[16:17], vcc
	v_cmp_eq_u64_e32 vcc, 3, v[10:11]
	v_mov_b32_e32 v10, s46
	s_and_b64 s[12:13], s[18:19], vcc
	v_cmp_ne_u32_e32 vcc, 0, v8
	v_cndmask_b32_e64 v8, 0, 1, s[8:9]
	s_bcnt1_i32_b64 s6, vcc
	v_cmp_ne_u32_e32 vcc, 0, v8
	v_cndmask_b32_e64 v8, 0, 1, s[10:11]
	s_bcnt1_i32_b64 s7, vcc
	;; [unrolled: 3-line block ×3, first 2 shown]
	v_cmp_ne_u32_e32 vcc, 0, v8
	s_bcnt1_i32_b64 s9, vcc
	s_add_u32 s6, s6, s40
	s_addc_u32 s10, 0, s41
	s_add_u32 s6, s6, s7
	s_addc_u32 s7, s10, 0
	s_add_u32 s6, s6, s8
	v_add_co_u32_e32 v4, vcc, s5, v4
	s_addc_u32 s7, s7, 0
	v_addc_co_u32_e32 v5, vcc, 0, v5, vcc
	s_add_u32 s40, s6, s9
	v_cmp_le_u64_e32 vcc, s[30:31], v[4:5]
	s_addc_u32 s41, s7, 0
	v_mov_b32_e32 v8, s48
	v_mov_b32_e32 v14, s40
	s_or_b64 s[38:39], vcc, s[38:39]
	v_mov_b32_e32 v9, s49
	v_mov_b32_e32 v11, s47
	;; [unrolled: 1-line block ×4, first 2 shown]
	s_andn2_b64 exec, exec, s[38:39]
	s_cbranch_execnz .LBB183_65
; %bb.66:                               ;   in Loop: Header=BB183_12 Depth=1
	s_or_b64 exec, exec, s[38:39]
.LBB183_67:                             ;   in Loop: Header=BB183_12 Depth=1
	s_or_b64 exec, exec, s[36:37]
	v_mov_b32_e32 v5, s31
	v_add_co_u32_e32 v4, vcc, s30, v0
	s_and_b32 s52, s28, 0x7fffffff
	v_addc_co_u32_e32 v5, vcc, 0, v5, vcc
	v_cmp_gt_u64_e32 vcc, s[52:53], v[4:5]
	s_and_saveexec_b64 s[8:9], vcc
	s_cbranch_execz .LBB183_71
; %bb.68:                               ;   in Loop: Header=BB183_12 Depth=1
	v_lshl_add_u32 v28, s2, 5, v36
	s_lshl_b32 s4, s4, 3
	s_mov_b64 s[2:3], 0
.LBB183_69:                             ;   Parent Loop BB183_12 Depth=1
                                        ; =>  This Inner Loop Header: Depth=2
	ds_read_b64 v[29:30], v28
	v_add_u32_e32 v28, s4, v28
	s_waitcnt lgkmcnt(0)
	v_cmp_o_f64_e32 vcc, v[29:30], v[29:30]
	v_ashrrev_i32_e32 v18, 31, v30
	v_or_b32_e32 v31, 0x80000000, v18
	v_xor_b32_e32 v30, v31, v30
	v_xor_b32_e32 v18, v18, v29
	v_cndmask_b32_e32 v30, -1, v30, vcc
	v_cndmask_b32_e32 v29, -1, v18, vcc
	v_and_b32_e32 v43, v30, v25
	v_and_b32_e32 v42, v29, v24
	v_lshrrev_b64 v[29:30], s63, v[29:30]
	v_cmp_eq_u64_e32 vcc, v[42:43], v[22:23]
	v_and_b32_e32 v18, 3, v29
	v_cmp_eq_u64_e64 s[6:7], 0, v[18:19]
	s_and_b64 s[6:7], vcc, s[6:7]
	v_cndmask_b32_e64 v29, 0, 1, s[6:7]
	v_cmp_ne_u32_e64 s[6:7], 0, v29
	s_bcnt1_i32_b64 s5, s[6:7]
	v_add_co_u32_e64 v8, s[6:7], s5, v8
	v_addc_co_u32_e64 v9, s[6:7], 0, v9, s[6:7]
	v_cmp_eq_u64_e64 s[6:7], 1, v[18:19]
	s_and_b64 s[6:7], vcc, s[6:7]
	v_cndmask_b32_e64 v29, 0, 1, s[6:7]
	v_cmp_ne_u32_e64 s[6:7], 0, v29
	s_bcnt1_i32_b64 s5, s[6:7]
	v_add_co_u32_e64 v10, s[6:7], s5, v10
	v_addc_co_u32_e64 v11, s[6:7], 0, v11, s[6:7]
	v_cmp_eq_u64_e64 s[6:7], 2, v[18:19]
	s_and_b64 s[6:7], vcc, s[6:7]
	v_cndmask_b32_e64 v29, 0, 1, s[6:7]
	v_cmp_ne_u32_e64 s[6:7], 0, v29
	s_bcnt1_i32_b64 s5, s[6:7]
	v_add_co_u32_e64 v12, s[6:7], s5, v12
	v_addc_co_u32_e64 v13, s[6:7], 0, v13, s[6:7]
	v_cmp_eq_u64_e64 s[6:7], 3, v[18:19]
	s_and_b64 s[6:7], vcc, s[6:7]
	v_cndmask_b32_e64 v18, 0, 1, s[6:7]
	v_cmp_ne_u32_e32 vcc, 0, v18
	s_bcnt1_i32_b64 s5, vcc
	v_add_co_u32_e32 v14, vcc, s5, v14
	v_addc_co_u32_e32 v15, vcc, 0, v15, vcc
	v_add_co_u32_sdwa v4, vcc, v4, v2 dst_sel:DWORD dst_unused:UNUSED_PAD src0_sel:DWORD src1_sel:WORD_0
	v_addc_co_u32_e32 v5, vcc, 0, v5, vcc
	v_cmp_le_u64_e32 vcc, s[52:53], v[4:5]
	s_or_b64 s[2:3], vcc, s[2:3]
	s_andn2_b64 exec, exec, s[2:3]
	s_cbranch_execnz .LBB183_69
; %bb.70:                               ;   in Loop: Header=BB183_12 Depth=1
	s_or_b64 exec, exec, s[2:3]
.LBB183_71:                             ;   in Loop: Header=BB183_12 Depth=1
	s_or_b64 exec, exec, s[8:9]
	s_lshl_b32 s4, s56, 6
	s_and_saveexec_b64 s[2:3], s[0:1]
	s_cbranch_execnz .LBB183_42
	s_branch .LBB183_43
.LBB183_72:                             ;   in Loop: Header=BB183_12 Depth=1
                                        ; implicit-def: $sgpr2_sgpr3
	s_branch .LBB183_51
.LBB183_73:                             ;   in Loop: Header=BB183_12 Depth=1
	v_mov_b32_e32 v4, 0
	v_mov_b32_e32 v5, 0
	s_mov_b32 s5, 0
.LBB183_74:                             ;   in Loop: Header=BB183_12 Depth=1
	v_readlane_b32 s6, v46, 48
	v_readlane_b32 s7, v46, 49
	s_andn2_b64 vcc, exec, s[6:7]
	s_cbranch_vccnz .LBB183_77
; %bb.75:                               ;   in Loop: Header=BB183_12 Depth=1
	s_lshl_b32 s6, s56, 9
	s_lshl_b32 s5, s5, 5
	s_add_i32 s6, s6, s5
	v_add_u32_e32 v2, s6, v39
	v_readlane_b32 s5, v46, 47
.LBB183_76:                             ;   Parent Loop BB183_12 Depth=1
                                        ; =>  This Inner Loop Header: Depth=2
	ds_read_b64 v[8:9], v2
	s_add_i32 s5, s5, -1
	v_add_u32_e32 v2, 32, v2
	s_cmp_lg_u32 s5, 0
	s_waitcnt lgkmcnt(0)
	v_add_co_u32_e32 v4, vcc, v8, v4
	v_addc_co_u32_e32 v5, vcc, v9, v5, vcc
	s_cbranch_scc1 .LBB183_76
.LBB183_77:                             ;   in Loop: Header=BB183_12 Depth=1
	v_add_lshl_u32 v2, s4, v35, 3
	ds_write_b64 v2, v[4:5] offset:3072
.LBB183_78:                             ;   in Loop: Header=BB183_12 Depth=1
	s_or_b64 exec, exec, s[2:3]
	s_lshl_b32 s2, s4, 3
	v_mov_b32_e32 v2, s2
	s_waitcnt lgkmcnt(0)
	s_barrier
	ds_read_b128 v[8:11], v2 offset:3072
	ds_read_b128 v[12:15], v2 offset:3088
	v_readlane_b32 s2, v46, 28
	s_lshl_b64 s[18:19], 3, s63
	v_cmp_eq_u64_e64 s[14:15], 1, v[26:27]
	v_readlane_b32 s3, v46, 29
	s_waitcnt lgkmcnt(1)
	v_readfirstlane_b32 s17, v9
	v_readfirstlane_b32 s16, v8
	v_readfirstlane_b32 s95, v11
	v_readfirstlane_b32 s94, v10
	s_waitcnt lgkmcnt(0)
	v_readfirstlane_b32 s49, v13
	v_readfirstlane_b32 s48, v12
	;; [unrolled: 1-line block ×4, first 2 shown]
	s_not_b64 s[90:91], s[18:19]
	s_mov_b64 s[44:45], -1
	s_mov_b64 s[92:93], 0
	s_andn2_b64 vcc, exec, s[2:3]
	s_mov_b64 s[30:31], 0
	s_mov_b64 s[28:29], 0
                                        ; implicit-def: $sgpr36_sgpr37
                                        ; implicit-def: $sgpr38_sgpr39
                                        ; implicit-def: $vgpr28_vgpr29
                                        ; implicit-def: $vgpr42
                                        ; implicit-def: $vgpr12_vgpr13
                                        ; implicit-def: $vgpr14_vgpr15
                                        ; implicit-def: $vgpr10_vgpr11
	s_cbranch_vccnz .LBB183_282
; %bb.79:                               ;   in Loop: Header=BB183_12 Depth=1
	s_cmp_eq_u64 s[16:17], 1
	s_cselect_b64 s[2:3], -1, 0
	v_mov_b32_e32 v12, v22
	v_mov_b32_e32 v14, v24
	;; [unrolled: 1-line block ×3, first 2 shown]
	s_and_b64 s[2:3], s[2:3], s[14:15]
	s_mov_b64 s[4:5], -1
	v_mov_b32_e32 v13, v23
	v_mov_b32_e32 v15, v25
	;; [unrolled: 1-line block ×3, first 2 shown]
                                        ; implicit-def: $sgpr38_sgpr39
                                        ; implicit-def: $sgpr36_sgpr37
	s_and_saveexec_b64 s[6:7], s[2:3]
	s_cbranch_execz .LBB183_116
; %bb.80:                               ;   in Loop: Header=BB183_12 Depth=1
	ds_read_b64 v[4:5], v19 offset:5120
	s_waitcnt lgkmcnt(0)
	s_barrier
	v_readfirstlane_b32 s10, v4
	v_readfirstlane_b32 s11, v5
	s_mov_b64 s[4:5], exec
	v_readlane_b32 s8, v46, 36
	v_readlane_b32 s9, v46, 37
	s_and_b64 s[8:9], s[4:5], s[8:9]
	s_mov_b64 exec, s[8:9]
; %bb.81:                               ;   in Loop: Header=BB183_12 Depth=1
	v_mov_b32_e32 v18, v19
	ds_write_b64 v37, v[18:19]
; %bb.82:                               ;   in Loop: Header=BB183_12 Depth=1
	s_or_b64 exec, exec, s[4:5]
	v_and_b32_e32 v13, s91, v23
	v_and_b32_e32 v12, s90, v22
	v_or_b32_e32 v15, s19, v25
	v_or_b32_e32 v14, s18, v24
	s_mov_b64 s[36:37], -1
	s_mov_b64 s[38:39], 0
	s_cmp_eq_u64 s[10:11], 0
	s_mov_b64 s[8:9], 0
	s_mov_b64 s[20:21], -1
	s_waitcnt lgkmcnt(0)
	s_barrier
                                        ; implicit-def: $vgpr10_vgpr11
	s_cbranch_scc1 .LBB183_100
; %bb.83:                               ;   in Loop: Header=BB183_12 Depth=1
	v_readlane_b32 s4, v46, 40
	s_add_u32 s20, s10, s4
	v_readlane_b32 s4, v46, 42
	s_addc_u32 s9, s11, s4
	s_mov_b32 s8, s53
	s_cmp_lg_u64 s[8:9], 0
	s_cbranch_scc0 .LBB183_143
; %bb.84:                               ;   in Loop: Header=BB183_12 Depth=1
	v_cvt_f32_u32_e32 v2, s55
	s_sub_u32 s8, 0, s55
	s_subb_u32 s12, 0, 0
	v_mac_f32_e32 v2, 0, v41
	v_rcp_f32_e32 v2, v2
	v_mul_f32_e32 v2, 0x5f7ffffc, v2
	v_mul_f32_e32 v4, 0x2f800000, v2
	v_trunc_f32_e32 v4, v4
	v_mac_f32_e32 v2, 0xcf800000, v4
	v_cvt_u32_f32_e32 v4, v4
	v_cvt_u32_f32_e32 v2, v2
	v_readfirstlane_b32 s13, v4
	v_readfirstlane_b32 s4, v2
	s_mul_i32 s5, s8, s13
	s_mul_hi_u32 s28, s8, s4
	s_mul_i32 s21, s12, s4
	s_add_i32 s5, s28, s5
	s_mul_i32 s29, s8, s4
	s_add_i32 s5, s5, s21
	s_mul_hi_u32 s28, s4, s29
	s_mul_i32 s30, s4, s5
	s_mul_hi_u32 s21, s4, s5
	s_add_u32 s28, s28, s30
	s_addc_u32 s21, 0, s21
	s_mul_hi_u32 s31, s13, s29
	s_mul_i32 s29, s13, s29
	s_add_u32 s28, s28, s29
	s_mul_hi_u32 s30, s13, s5
	s_addc_u32 s21, s21, s31
	s_addc_u32 s28, s30, 0
	s_mul_i32 s5, s13, s5
	s_add_u32 s5, s21, s5
	s_addc_u32 s21, 0, s28
	s_add_u32 s28, s4, s5
	s_cselect_b64 s[4:5], -1, 0
	s_cmp_lg_u64 s[4:5], 0
	s_addc_u32 s13, s13, s21
	s_mul_i32 s4, s8, s13
	s_mul_hi_u32 s5, s8, s28
	s_add_i32 s4, s5, s4
	s_mul_i32 s12, s12, s28
	s_add_i32 s4, s4, s12
	s_mul_i32 s8, s8, s28
	s_mul_hi_u32 s12, s13, s8
	s_mul_i32 s21, s13, s8
	s_mul_i32 s30, s28, s4
	s_mul_hi_u32 s8, s28, s8
	s_mul_hi_u32 s29, s28, s4
	s_add_u32 s8, s8, s30
	s_addc_u32 s29, 0, s29
	s_add_u32 s8, s8, s21
	s_mul_hi_u32 s5, s13, s4
	s_addc_u32 s8, s29, s12
	s_addc_u32 s5, s5, 0
	s_mul_i32 s4, s13, s4
	s_add_u32 s4, s8, s4
	s_addc_u32 s8, 0, s5
	s_add_u32 s12, s28, s4
	s_cselect_b64 s[4:5], -1, 0
	s_cmp_lg_u64 s[4:5], 0
	s_addc_u32 s4, s13, s8
	s_mul_i32 s8, s20, s4
	s_mul_hi_u32 s13, s20, s12
	s_mul_hi_u32 s5, s20, s4
	s_add_u32 s8, s13, s8
	s_addc_u32 s5, 0, s5
	s_mul_hi_u32 s21, s9, s12
	s_mul_i32 s12, s9, s12
	s_add_u32 s8, s8, s12
	s_mul_hi_u32 s13, s9, s4
	s_addc_u32 s5, s5, s21
	s_addc_u32 s8, s13, 0
	s_mul_i32 s4, s9, s4
	s_add_u32 s4, s5, s4
	s_addc_u32 s5, 0, s8
	s_mul_i32 s5, s55, s5
	s_mul_hi_u32 s8, s55, s4
	s_add_i32 s8, s8, s5
	s_mul_i32 s4, s55, s4
	s_sub_u32 s12, s20, s4
	s_cselect_b64 s[4:5], -1, 0
	s_cmp_lg_u64 s[4:5], 0
	s_subb_u32 s8, s9, s8
	s_sub_u32 s13, s12, s55
	s_cselect_b64 s[4:5], -1, 0
	s_cmp_lg_u64 s[4:5], 0
	s_subb_u32 s21, s8, 0
	;; [unrolled: 4-line block ×3, first 2 shown]
	s_cmp_ge_u32 s13, s55
	s_cselect_b32 s5, -1, 0
	s_cmp_eq_u32 s21, 0
	s_cselect_b32 s5, s5, -1
	s_cmp_lg_u32 s5, 0
	s_cselect_b32 s4, s4, s21
	s_cselect_b32 s13, s28, s13
	s_cmp_ge_u32 s12, s55
	s_cselect_b32 s5, -1, 0
	s_cmp_eq_u32 s8, 0
	s_cselect_b32 s5, s5, -1
	s_cmp_lg_u32 s5, 0
	s_cselect_b32 s5, s4, s8
	s_cselect_b32 s4, s13, s12
	s_cbranch_execnz .LBB183_86
.LBB183_85:                             ;   in Loop: Header=BB183_12 Depth=1
	v_cvt_f32_u32_e32 v2, s55
	s_sub_i32 s4, 0, s55
	v_rcp_iflag_f32_e32 v2, v2
	v_mul_f32_e32 v2, 0x4f7ffffe, v2
	v_cvt_u32_f32_e32 v2, v2
	v_readfirstlane_b32 s5, v2
	s_mul_i32 s4, s4, s5
	s_mul_hi_u32 s4, s5, s4
	s_add_i32 s5, s5, s4
	s_mul_hi_u32 s4, s20, s5
	s_mul_i32 s4, s4, s55
	s_sub_i32 s4, s20, s4
	s_sub_i32 s5, s4, s55
	s_cmp_ge_u32 s4, s55
	s_cselect_b32 s4, s5, s4
	s_sub_i32 s5, s4, s55
	s_cmp_ge_u32 s4, s55
	s_cselect_b32 s52, s5, s4
	s_mov_b64 s[4:5], s[52:53]
.LBB183_86:                             ;   in Loop: Header=BB183_12 Depth=1
	s_sub_u32 s12, s20, s4
	s_subb_u32 s13, s9, s5
	v_cmp_gt_u64_e32 vcc, s[12:13], v[0:1]
	s_mov_b64 s[20:21], 0
	s_mov_b64 s[8:9], 0
                                        ; implicit-def: $vgpr10_vgpr11
	s_and_saveexec_b64 s[28:29], vcc
	s_cbranch_execz .LBB183_99
; %bb.87:                               ;   in Loop: Header=BB183_12 Depth=1
	v_mov_b32_e32 v29, v1
	v_mov_b32_e32 v18, v36
	;; [unrolled: 1-line block ×3, first 2 shown]
                                        ; implicit-def: $sgpr4_sgpr5
	s_branch .LBB183_91
.LBB183_88:                             ;   in Loop: Header=BB183_91 Depth=2
	s_or_b64 exec, exec, s[30:31]
	s_waitcnt lgkmcnt(0)
	s_barrier
	ds_read_b128 v[8:11], v19 offset:3072
	s_waitcnt lgkmcnt(0)
	s_barrier
	v_cmp_neq_f64_e32 vcc, 0, v[8:9]
	s_cbranch_vccnz .LBB183_94
; %bb.89:                               ;   in Loop: Header=BB183_91 Depth=2
	v_add_co_u32_e32 v28, vcc, s55, v28
	v_addc_co_u32_e32 v29, vcc, 0, v29, vcc
	v_cmp_le_u64_e32 vcc, s[12:13], v[28:29]
	v_add_u32_e32 v18, s62, v18
	s_mov_b64 s[30:31], 0
	s_orn2_b64 s[34:35], vcc, exec
.LBB183_90:                             ;   in Loop: Header=BB183_91 Depth=2
	s_and_b64 s[34:35], exec, s[34:35]
	s_or_b64 s[8:9], s[34:35], s[8:9]
	s_andn2_b64 s[4:5], s[4:5], exec
	s_and_b64 s[30:31], s[30:31], exec
	s_or_b64 s[4:5], s[4:5], s[30:31]
	s_andn2_b64 exec, exec, s[8:9]
	s_cbranch_execz .LBB183_98
.LBB183_91:                             ;   Parent Loop BB183_12 Depth=1
                                        ; =>  This Inner Loop Header: Depth=2
	v_cmp_gt_u64_e32 vcc, s[10:11], v[28:29]
	s_and_saveexec_b64 s[30:31], vcc
	s_cbranch_execz .LBB183_88
; %bb.92:                               ;   in Loop: Header=BB183_91 Depth=2
	ds_read_b64 v[4:5], v18
	s_waitcnt lgkmcnt(0)
	v_cmp_o_f64_e32 vcc, v[4:5], v[4:5]
	v_ashrrev_i32_e32 v2, 31, v5
	v_or_b32_e32 v8, 0x80000000, v2
	v_xor_b32_e32 v8, v8, v5
	v_xor_b32_e32 v2, v2, v4
	v_cndmask_b32_e32 v8, -1, v8, vcc
	v_cndmask_b32_e32 v2, -1, v2, vcc
	v_and_b32_e32 v9, v8, v15
	v_and_b32_e32 v8, v2, v14
	v_cmp_eq_u64_e32 vcc, v[8:9], v[12:13]
	s_and_b64 exec, exec, vcc
	s_cbranch_execz .LBB183_88
; %bb.93:                               ;   in Loop: Header=BB183_91 Depth=2
	v_mov_b32_e32 v2, v19
	ds_write_b128 v19, v[2:5] offset:3072
	s_branch .LBB183_88
.LBB183_94:                             ;   in Loop: Header=BB183_91 Depth=2
	s_mov_b64 s[34:35], -1
                                        ; implicit-def: $vgpr28_vgpr29
                                        ; implicit-def: $vgpr18
	s_mov_b64 s[30:31], -1
	s_branch .LBB183_90
.LBB183_95:                             ;   in Loop: Header=BB183_12 Depth=1
	s_or_b64 exec, exec, s[8:9]
	s_waitcnt lgkmcnt(0)
	s_barrier
	s_mov_b64 s[4:5], exec
	v_readlane_b32 s6, v46, 12
	v_readlane_b32 s7, v46, 13
	s_and_b64 s[6:7], s[4:5], s[6:7]
	s_mov_b64 exec, s[6:7]
	s_cbranch_execz .LBB183_97
; %bb.96:                               ;   in Loop: Header=BB183_12 Depth=1
	ds_read_b32 v4, v19 offset:5144
	s_waitcnt lgkmcnt(0)
	v_ashrrev_i32_e32 v5, 31, v4
	ds_write_b64 v19, v[4:5] offset:5120
.LBB183_97:                             ;   in Loop: Header=BB183_12 Depth=1
	s_or_b64 exec, exec, s[4:5]
	s_waitcnt lgkmcnt(0)
	s_barrier
	s_mov_b64 s[4:5], -1
	s_and_b64 vcc, exec, s[2:3]
	s_cbranch_vccnz .LBB183_28
	s_branch .LBB183_37
.LBB183_98:                             ;   in Loop: Header=BB183_12 Depth=1
	s_or_b64 exec, exec, s[8:9]
	s_and_b64 s[8:9], s[4:5], exec
.LBB183_99:                             ;   in Loop: Header=BB183_12 Depth=1
	s_or_b64 exec, exec, s[28:29]
.LBB183_100:                            ;   in Loop: Header=BB183_12 Depth=1
	s_and_b64 vcc, exec, s[20:21]
	s_cbranch_vccz .LBB183_115
; %bb.101:                              ;   in Loop: Header=BB183_12 Depth=1
	s_mov_b32 s60, s53
	s_cmp_lg_u64 s[60:61], 0
	s_cbranch_scc0 .LBB183_144
; %bb.102:                              ;   in Loop: Header=BB183_12 Depth=1
	v_cvt_f32_u32_e32 v2, s55
	s_sub_u32 s10, 0, s55
	s_subb_u32 s11, 0, 0
	v_mac_f32_e32 v2, 0, v41
	v_rcp_f32_e32 v2, v2
	v_mul_f32_e32 v2, 0x5f7ffffc, v2
	v_mul_f32_e32 v4, 0x2f800000, v2
	v_trunc_f32_e32 v4, v4
	v_mac_f32_e32 v2, 0xcf800000, v4
	v_cvt_u32_f32_e32 v4, v4
	v_cvt_u32_f32_e32 v2, v2
	v_readfirstlane_b32 s12, v4
	v_readfirstlane_b32 s4, v2
	s_mul_i32 s5, s10, s12
	s_mul_hi_u32 s20, s10, s4
	s_mul_i32 s13, s11, s4
	s_add_i32 s5, s20, s5
	s_mul_i32 s21, s10, s4
	s_add_i32 s5, s5, s13
	s_mul_hi_u32 s20, s4, s21
	s_mul_i32 s28, s4, s5
	s_mul_hi_u32 s13, s4, s5
	s_add_u32 s20, s20, s28
	s_addc_u32 s13, 0, s13
	s_mul_hi_u32 s29, s12, s21
	s_mul_i32 s21, s12, s21
	s_add_u32 s20, s20, s21
	s_mul_hi_u32 s28, s12, s5
	s_addc_u32 s13, s13, s29
	s_addc_u32 s20, s28, 0
	s_mul_i32 s5, s12, s5
	s_add_u32 s5, s13, s5
	s_addc_u32 s13, 0, s20
	s_add_u32 s20, s4, s5
	s_cselect_b64 s[4:5], -1, 0
	s_cmp_lg_u64 s[4:5], 0
	s_addc_u32 s12, s12, s13
	s_mul_i32 s4, s10, s12
	s_mul_hi_u32 s5, s10, s20
	s_add_i32 s4, s5, s4
	s_mul_i32 s11, s11, s20
	s_add_i32 s4, s4, s11
	s_mul_i32 s10, s10, s20
	s_mul_hi_u32 s11, s12, s10
	s_mul_i32 s13, s12, s10
	s_mul_i32 s28, s20, s4
	s_mul_hi_u32 s10, s20, s10
	s_mul_hi_u32 s21, s20, s4
	s_add_u32 s10, s10, s28
	s_addc_u32 s21, 0, s21
	s_add_u32 s10, s10, s13
	s_mul_hi_u32 s5, s12, s4
	s_addc_u32 s10, s21, s11
	s_addc_u32 s5, s5, 0
	s_mul_i32 s4, s12, s4
	s_add_u32 s4, s10, s4
	s_addc_u32 s10, 0, s5
	s_add_u32 s11, s20, s4
	s_cselect_b64 s[4:5], -1, 0
	s_cmp_lg_u64 s[4:5], 0
	s_addc_u32 s4, s12, s10
	v_readlane_b32 s21, v46, 41
	s_mul_i32 s10, s21, s4
	s_mul_hi_u32 s12, s21, s11
	s_mul_hi_u32 s5, s21, s4
	s_add_u32 s10, s12, s10
	s_addc_u32 s5, 0, s5
	s_mul_hi_u32 s13, s61, s11
	s_mul_i32 s11, s61, s11
	s_add_u32 s10, s10, s11
	s_mul_hi_u32 s12, s61, s4
	s_addc_u32 s5, s5, s13
	s_addc_u32 s10, s12, 0
	s_mul_i32 s4, s61, s4
	s_add_u32 s4, s5, s4
	s_addc_u32 s5, 0, s10
	s_mul_i32 s5, s55, s5
	s_mul_hi_u32 s10, s55, s4
	s_add_i32 s10, s10, s5
	s_mul_i32 s4, s55, s4
	s_sub_u32 s11, s21, s4
	s_cselect_b64 s[4:5], -1, 0
	s_cmp_lg_u64 s[4:5], 0
	s_subb_u32 s10, s61, s10
	s_sub_u32 s12, s11, s55
	s_cselect_b64 s[4:5], -1, 0
	s_cmp_lg_u64 s[4:5], 0
	s_subb_u32 s13, s10, 0
	;; [unrolled: 4-line block ×3, first 2 shown]
	s_cmp_ge_u32 s12, s55
	s_cselect_b32 s5, -1, 0
	s_cmp_eq_u32 s13, 0
	s_cselect_b32 s5, s5, -1
	s_cmp_lg_u32 s5, 0
	s_cselect_b32 s4, s4, s13
	s_cselect_b32 s12, s20, s12
	s_cmp_ge_u32 s11, s55
	s_cselect_b32 s5, -1, 0
	s_cmp_eq_u32 s10, 0
	s_cselect_b32 s5, s5, -1
	s_cmp_lg_u32 s5, 0
	s_cselect_b32 s5, s4, s10
	s_cselect_b32 s4, s12, s11
	s_cbranch_execnz .LBB183_104
.LBB183_103:                            ;   in Loop: Header=BB183_12 Depth=1
	v_cvt_f32_u32_e32 v2, s55
	s_sub_i32 s4, 0, s55
	v_rcp_iflag_f32_e32 v2, v2
	v_mul_f32_e32 v2, 0x4f7ffffe, v2
	v_cvt_u32_f32_e32 v2, v2
	v_readfirstlane_b32 s5, v2
	s_mul_i32 s4, s4, s5
	s_mul_hi_u32 s4, s5, s4
	s_add_i32 s5, s5, s4
	s_mul_hi_u32 s4, s21, s5
	s_mul_i32 s4, s4, s55
	s_sub_i32 s4, s21, s4
	s_sub_i32 s5, s4, s55
	s_cmp_ge_u32 s4, s55
	s_cselect_b32 s4, s5, s4
	s_sub_i32 s5, s4, s55
	s_cmp_ge_u32 s4, s55
	s_cselect_b32 s52, s5, s4
	s_mov_b64 s[4:5], s[52:53]
.LBB183_104:                            ;   in Loop: Header=BB183_12 Depth=1
	s_sub_u32 s20, s21, s4
	s_subb_u32 s21, s61, s5
	v_cmp_gt_u64_e32 vcc, s[20:21], v[0:1]
                                        ; implicit-def: $vgpr10_vgpr11
	s_and_saveexec_b64 s[10:11], vcc
	s_cbranch_execz .LBB183_114
; %bb.105:                              ;   in Loop: Header=BB183_12 Depth=1
	v_mov_b32_e32 v29, v1
	s_mov_b64 s[28:29], 0
	v_mov_b32_e32 v28, v0
                                        ; implicit-def: $sgpr12_sgpr13
	s_branch .LBB183_109
.LBB183_106:                            ;   in Loop: Header=BB183_109 Depth=2
	s_or_b64 exec, exec, s[4:5]
	s_waitcnt lgkmcnt(0)
	s_barrier
	ds_read_b128 v[8:11], v19 offset:3072
	s_waitcnt lgkmcnt(0)
	s_barrier
	v_cmp_neq_f64_e32 vcc, 0, v[8:9]
	s_cbranch_vccnz .LBB183_112
; %bb.107:                              ;   in Loop: Header=BB183_109 Depth=2
	v_add_co_u32_e32 v28, vcc, s55, v28
	v_addc_co_u32_e32 v29, vcc, 0, v29, vcc
	v_cmp_le_u64_e32 vcc, s[20:21], v[28:29]
	s_mov_b64 s[4:5], 0
	s_orn2_b64 s[30:31], vcc, exec
.LBB183_108:                            ;   in Loop: Header=BB183_109 Depth=2
	s_and_b64 s[30:31], exec, s[30:31]
	s_or_b64 s[28:29], s[30:31], s[28:29]
	s_andn2_b64 s[12:13], s[12:13], exec
	s_and_b64 s[4:5], s[4:5], exec
	s_or_b64 s[12:13], s[12:13], s[4:5]
	s_andn2_b64 exec, exec, s[28:29]
	s_cbranch_execz .LBB183_113
.LBB183_109:                            ;   Parent Loop BB183_12 Depth=1
                                        ; =>  This Inner Loop Header: Depth=2
	v_cmp_gt_u64_e32 vcc, s[24:25], v[28:29]
	s_and_saveexec_b64 s[4:5], vcc
	s_cbranch_execz .LBB183_106
; %bb.110:                              ;   in Loop: Header=BB183_109 Depth=2
	v_mul_lo_u32 v2, v29, s22
	v_mul_lo_u32 v8, v28, s23
	v_mad_u64_u32 v[4:5], s[30:31], v28, s22, 0
	v_add3_u32 v5, v5, v8, v2
	v_lshlrev_b64 v[4:5], 3, v[4:5]
	v_mov_b32_e32 v2, s54
	v_add_co_u32_e32 v4, vcc, s33, v4
	v_addc_co_u32_e32 v5, vcc, v2, v5, vcc
	global_load_dwordx2 v[4:5], v[4:5], off
	s_waitcnt vmcnt(0)
	v_cmp_o_f64_e32 vcc, v[4:5], v[4:5]
	v_ashrrev_i32_e32 v2, 31, v5
	v_or_b32_e32 v8, 0x80000000, v2
	v_xor_b32_e32 v8, v8, v5
	v_xor_b32_e32 v2, v2, v4
	v_cndmask_b32_e32 v8, -1, v8, vcc
	v_cndmask_b32_e32 v2, -1, v2, vcc
	v_and_b32_e32 v9, v8, v15
	v_and_b32_e32 v8, v2, v14
	v_cmp_eq_u64_e32 vcc, v[8:9], v[12:13]
	s_and_b64 exec, exec, vcc
	s_cbranch_execz .LBB183_106
; %bb.111:                              ;   in Loop: Header=BB183_109 Depth=2
	v_mov_b32_e32 v2, v19
	ds_write_b128 v19, v[2:5] offset:3072
	s_branch .LBB183_106
.LBB183_112:                            ;   in Loop: Header=BB183_109 Depth=2
	s_mov_b64 s[30:31], -1
                                        ; implicit-def: $vgpr28_vgpr29
	s_mov_b64 s[4:5], -1
	s_branch .LBB183_108
.LBB183_113:                            ;   in Loop: Header=BB183_12 Depth=1
	s_or_b64 exec, exec, s[28:29]
	s_andn2_b64 s[4:5], s[8:9], exec
	s_and_b64 s[8:9], s[12:13], exec
	s_or_b64 s[8:9], s[4:5], s[8:9]
.LBB183_114:                            ;   in Loop: Header=BB183_12 Depth=1
	s_or_b64 exec, exec, s[10:11]
	s_mov_b64 s[36:37], 0
	s_mov_b64 s[38:39], -1
.LBB183_115:                            ;   in Loop: Header=BB183_12 Depth=1
	s_orn2_b64 s[4:5], s[8:9], exec
.LBB183_116:                            ;   in Loop: Header=BB183_12 Depth=1
	s_or_b64 exec, exec, s[6:7]
	s_mov_b64 s[44:45], 0
	s_mov_b64 s[30:31], 0
	;; [unrolled: 1-line block ×3, first 2 shown]
                                        ; implicit-def: $vgpr28_vgpr29
                                        ; implicit-def: $vgpr42
	s_and_saveexec_b64 s[46:47], s[4:5]
	s_cbranch_execz .LBB183_281
; %bb.117:                              ;   in Loop: Header=BB183_12 Depth=1
	v_mov_b32_e32 v28, 1
	s_xor_b64 s[6:7], s[2:3], -1
	v_mov_b32_e32 v42, 1
	v_mov_b32_e32 v29, 0
	s_mov_b64 s[4:5], 0
	s_and_saveexec_b64 s[2:3], s[6:7]
	s_cbranch_execz .LBB183_126
; %bb.118:                              ;   in Loop: Header=BB183_12 Depth=1
	v_cmp_ge_u64_e32 vcc, s[16:17], v[26:27]
	s_and_saveexec_b64 s[4:5], vcc
	s_xor_b64 s[4:5], exec, s[4:5]
	s_cbranch_execz .LBB183_123
; %bb.119:                              ;   in Loop: Header=BB183_12 Depth=1
	ds_read_b64 v[4:5], v19 offset:5120
	v_and_b32_e32 v13, s91, v13
	v_and_b32_e32 v12, s90, v12
	v_or_b32_e32 v15, s19, v15
	v_or_b32_e32 v14, s18, v14
	s_waitcnt lgkmcnt(0)
	v_cmp_ne_u64_e32 vcc, 0, v[4:5]
	s_cbranch_vccnz .LBB183_123
; %bb.120:                              ;   in Loop: Header=BB183_12 Depth=1
	s_mov_b64 s[6:7], exec
	v_readlane_b32 s8, v46, 12
	v_readlane_b32 s9, v46, 13
	s_and_b64 s[8:9], s[6:7], s[8:9]
	s_mov_b64 exec, s[8:9]
; %bb.121:                              ;   in Loop: Header=BB183_12 Depth=1
	v_mov_b32_e32 v4, s16
	v_mov_b32_e32 v5, s17
	ds_write_b64 v19, v[4:5] offset:5128
; %bb.122:                              ;   in Loop: Header=BB183_12 Depth=1
	s_or_b64 exec, exec, s[6:7]
	s_waitcnt lgkmcnt(0)
	s_barrier
.LBB183_123:                            ;   in Loop: Header=BB183_12 Depth=1
	s_or_saveexec_b64 s[4:5], s[4:5]
	v_mov_b32_e32 v29, v27
	s_mov_b64 s[6:7], 0
	v_mov_b32_e32 v42, 8
	v_mov_b32_e32 v28, v26
	s_xor_b64 exec, exec, s[4:5]
; %bb.124:                              ;   in Loop: Header=BB183_12 Depth=1
	v_subrev_co_u32_e32 v28, vcc, s16, v26
	v_mov_b32_e32 v2, s17
	v_subb_co_u32_e32 v29, vcc, v27, v2, vcc
	v_mov_b32_e32 v42, 0
	s_mov_b64 s[6:7], exec
; %bb.125:                              ;   in Loop: Header=BB183_12 Depth=1
	s_or_b64 exec, exec, s[4:5]
	s_and_b64 s[4:5], s[6:7], exec
.LBB183_126:                            ;   in Loop: Header=BB183_12 Depth=1
	s_or_b64 exec, exec, s[2:3]
	s_mov_b64 s[2:3], -1
                                        ; implicit-def: $sgpr28_sgpr29
                                        ; implicit-def: $sgpr30_sgpr31
	s_and_saveexec_b64 s[6:7], s[4:5]
	s_xor_b64 s[6:7], exec, s[6:7]
	s_cbranch_execz .LBB183_278
; %bb.127:                              ;   in Loop: Header=BB183_12 Depth=1
	s_cmp_eq_u64 s[94:95], 1
	v_cmp_eq_u64_e32 vcc, 1, v[28:29]
	s_cselect_b64 s[2:3], -1, 0
	s_and_b64 s[20:21], s[2:3], vcc
	s_mov_b64 s[4:5], -1
                                        ; implicit-def: $sgpr30_sgpr31
                                        ; implicit-def: $sgpr28_sgpr29
	s_and_saveexec_b64 s[2:3], s[20:21]
	s_cbranch_execz .LBB183_163
; %bb.128:                              ;   in Loop: Header=BB183_12 Depth=1
	ds_read_b64 v[4:5], v19 offset:5120
	s_waitcnt lgkmcnt(0)
	s_barrier
	v_readfirstlane_b32 s10, v4
	v_readfirstlane_b32 s11, v5
	s_mov_b64 s[4:5], exec
	v_readlane_b32 s8, v46, 36
	v_readlane_b32 s9, v46, 37
	s_and_b64 s[8:9], s[4:5], s[8:9]
	s_mov_b64 exec, s[8:9]
; %bb.129:                              ;   in Loop: Header=BB183_12 Depth=1
	v_mov_b32_e32 v18, v19
	ds_write_b64 v37, v[18:19]
; %bb.130:                              ;   in Loop: Header=BB183_12 Depth=1
	s_or_b64 exec, exec, s[4:5]
	s_lshl_b64 s[4:5], 1, s63
	v_and_b32_e32 v2, s91, v13
	v_and_b32_e32 v4, s90, v12
	v_or_b32_e32 v13, s5, v2
	v_or_b32_e32 v12, s4, v4
	;; [unrolled: 1-line block ×4, first 2 shown]
	s_mov_b64 s[28:29], -1
	s_mov_b64 s[30:31], 0
	s_cmp_eq_u64 s[10:11], 0
	s_mov_b64 s[8:9], 0
	s_mov_b64 s[34:35], -1
	s_waitcnt lgkmcnt(0)
	s_barrier
                                        ; implicit-def: $vgpr10_vgpr11
	s_cbranch_scc1 .LBB183_147
; %bb.131:                              ;   in Loop: Header=BB183_12 Depth=1
	v_readlane_b32 s4, v46, 40
	s_add_u32 s34, s10, s4
	v_readlane_b32 s4, v46, 42
	s_addc_u32 s9, s11, s4
	s_mov_b32 s8, s53
	s_cmp_lg_u64 s[8:9], 0
	s_cbranch_scc0 .LBB183_190
; %bb.132:                              ;   in Loop: Header=BB183_12 Depth=1
	v_cvt_f32_u32_e32 v2, s55
	s_sub_u32 s8, 0, s55
	s_subb_u32 s12, 0, 0
	v_mac_f32_e32 v2, 0, v41
	v_rcp_f32_e32 v2, v2
	v_mul_f32_e32 v2, 0x5f7ffffc, v2
	v_mul_f32_e32 v4, 0x2f800000, v2
	v_trunc_f32_e32 v4, v4
	v_mac_f32_e32 v2, 0xcf800000, v4
	v_cvt_u32_f32_e32 v4, v4
	v_cvt_u32_f32_e32 v2, v2
	v_readfirstlane_b32 s13, v4
	v_readfirstlane_b32 s4, v2
	s_mul_i32 s5, s8, s13
	s_mul_hi_u32 s40, s8, s4
	s_mul_i32 s35, s12, s4
	s_add_i32 s5, s40, s5
	s_mul_i32 s41, s8, s4
	s_add_i32 s5, s5, s35
	s_mul_hi_u32 s40, s4, s41
	s_mul_i32 s42, s4, s5
	s_mul_hi_u32 s35, s4, s5
	s_add_u32 s40, s40, s42
	s_addc_u32 s35, 0, s35
	s_mul_hi_u32 s43, s13, s41
	s_mul_i32 s41, s13, s41
	s_add_u32 s40, s40, s41
	s_mul_hi_u32 s42, s13, s5
	s_addc_u32 s35, s35, s43
	s_addc_u32 s40, s42, 0
	s_mul_i32 s5, s13, s5
	s_add_u32 s5, s35, s5
	s_addc_u32 s35, 0, s40
	s_add_u32 s40, s4, s5
	s_cselect_b64 s[4:5], -1, 0
	s_cmp_lg_u64 s[4:5], 0
	s_addc_u32 s13, s13, s35
	s_mul_i32 s4, s8, s13
	s_mul_hi_u32 s5, s8, s40
	s_add_i32 s4, s5, s4
	s_mul_i32 s12, s12, s40
	s_add_i32 s4, s4, s12
	s_mul_i32 s8, s8, s40
	s_mul_hi_u32 s12, s13, s8
	s_mul_i32 s35, s13, s8
	s_mul_i32 s42, s40, s4
	s_mul_hi_u32 s8, s40, s8
	s_mul_hi_u32 s41, s40, s4
	s_add_u32 s8, s8, s42
	s_addc_u32 s41, 0, s41
	s_add_u32 s8, s8, s35
	s_mul_hi_u32 s5, s13, s4
	s_addc_u32 s8, s41, s12
	s_addc_u32 s5, s5, 0
	s_mul_i32 s4, s13, s4
	s_add_u32 s4, s8, s4
	s_addc_u32 s8, 0, s5
	s_add_u32 s12, s40, s4
	s_cselect_b64 s[4:5], -1, 0
	s_cmp_lg_u64 s[4:5], 0
	s_addc_u32 s4, s13, s8
	s_mul_i32 s8, s34, s4
	s_mul_hi_u32 s13, s34, s12
	s_mul_hi_u32 s5, s34, s4
	s_add_u32 s8, s13, s8
	s_addc_u32 s5, 0, s5
	s_mul_hi_u32 s35, s9, s12
	s_mul_i32 s12, s9, s12
	s_add_u32 s8, s8, s12
	s_mul_hi_u32 s13, s9, s4
	s_addc_u32 s5, s5, s35
	s_addc_u32 s8, s13, 0
	s_mul_i32 s4, s9, s4
	s_add_u32 s4, s5, s4
	s_addc_u32 s5, 0, s8
	s_mul_i32 s5, s55, s5
	s_mul_hi_u32 s8, s55, s4
	s_add_i32 s8, s8, s5
	s_mul_i32 s4, s55, s4
	s_sub_u32 s12, s34, s4
	s_cselect_b64 s[4:5], -1, 0
	s_cmp_lg_u64 s[4:5], 0
	s_subb_u32 s8, s9, s8
	s_sub_u32 s13, s12, s55
	s_cselect_b64 s[4:5], -1, 0
	s_cmp_lg_u64 s[4:5], 0
	s_subb_u32 s35, s8, 0
	;; [unrolled: 4-line block ×3, first 2 shown]
	s_cmp_ge_u32 s13, s55
	s_cselect_b32 s5, -1, 0
	s_cmp_eq_u32 s35, 0
	s_cselect_b32 s5, s5, -1
	s_cmp_lg_u32 s5, 0
	s_cselect_b32 s4, s4, s35
	s_cselect_b32 s13, s40, s13
	s_cmp_ge_u32 s12, s55
	s_cselect_b32 s5, -1, 0
	s_cmp_eq_u32 s8, 0
	s_cselect_b32 s5, s5, -1
	s_cmp_lg_u32 s5, 0
	s_cselect_b32 s5, s4, s8
	s_cselect_b32 s4, s13, s12
	s_cbranch_execnz .LBB183_134
.LBB183_133:                            ;   in Loop: Header=BB183_12 Depth=1
	v_cvt_f32_u32_e32 v2, s55
	s_sub_i32 s4, 0, s55
	v_rcp_iflag_f32_e32 v2, v2
	v_mul_f32_e32 v2, 0x4f7ffffe, v2
	v_cvt_u32_f32_e32 v2, v2
	v_readfirstlane_b32 s5, v2
	s_mul_i32 s4, s4, s5
	s_mul_hi_u32 s4, s5, s4
	s_add_i32 s5, s5, s4
	s_mul_hi_u32 s4, s34, s5
	s_mul_i32 s4, s4, s55
	s_sub_i32 s4, s34, s4
	s_sub_i32 s5, s4, s55
	s_cmp_ge_u32 s4, s55
	s_cselect_b32 s4, s5, s4
	s_sub_i32 s5, s4, s55
	s_cmp_ge_u32 s4, s55
	s_cselect_b32 s52, s5, s4
	s_mov_b64 s[4:5], s[52:53]
.LBB183_134:                            ;   in Loop: Header=BB183_12 Depth=1
	s_sub_u32 s42, s34, s4
	s_subb_u32 s43, s9, s5
	v_cmp_gt_u64_e32 vcc, s[42:43], v[0:1]
	s_mov_b64 s[34:35], 0
	s_mov_b64 s[8:9], 0
                                        ; implicit-def: $vgpr10_vgpr11
	s_and_saveexec_b64 s[40:41], vcc
	s_cbranch_execz .LBB183_146
; %bb.135:                              ;   in Loop: Header=BB183_12 Depth=1
	v_mov_b32_e32 v31, v1
	v_mov_b32_e32 v18, v36
	;; [unrolled: 1-line block ×3, first 2 shown]
                                        ; implicit-def: $sgpr12_sgpr13
	s_branch .LBB183_139
.LBB183_136:                            ;   in Loop: Header=BB183_139 Depth=2
	s_or_b64 exec, exec, s[4:5]
	s_waitcnt lgkmcnt(0)
	s_barrier
	ds_read_b128 v[8:11], v19 offset:3072
	s_waitcnt lgkmcnt(0)
	s_barrier
	v_cmp_neq_f64_e32 vcc, 0, v[8:9]
	s_cbranch_vccnz .LBB183_142
; %bb.137:                              ;   in Loop: Header=BB183_139 Depth=2
	v_add_co_u32_e32 v30, vcc, s55, v30
	v_addc_co_u32_e32 v31, vcc, 0, v31, vcc
	v_cmp_le_u64_e32 vcc, s[42:43], v[30:31]
	v_add_u32_e32 v18, s62, v18
	s_mov_b64 s[4:5], 0
	s_orn2_b64 s[58:59], vcc, exec
.LBB183_138:                            ;   in Loop: Header=BB183_139 Depth=2
	s_and_b64 s[58:59], exec, s[58:59]
	s_or_b64 s[8:9], s[58:59], s[8:9]
	s_andn2_b64 s[12:13], s[12:13], exec
	s_and_b64 s[4:5], s[4:5], exec
	s_or_b64 s[12:13], s[12:13], s[4:5]
	s_andn2_b64 exec, exec, s[8:9]
	s_cbranch_execz .LBB183_145
.LBB183_139:                            ;   Parent Loop BB183_12 Depth=1
                                        ; =>  This Inner Loop Header: Depth=2
	v_cmp_gt_u64_e32 vcc, s[10:11], v[30:31]
	s_and_saveexec_b64 s[4:5], vcc
	s_cbranch_execz .LBB183_136
; %bb.140:                              ;   in Loop: Header=BB183_139 Depth=2
	ds_read_b64 v[4:5], v18
	s_waitcnt lgkmcnt(0)
	v_cmp_o_f64_e32 vcc, v[4:5], v[4:5]
	v_ashrrev_i32_e32 v2, 31, v5
	v_or_b32_e32 v8, 0x80000000, v2
	v_xor_b32_e32 v8, v8, v5
	v_xor_b32_e32 v2, v2, v4
	v_cndmask_b32_e32 v8, -1, v8, vcc
	v_cndmask_b32_e32 v2, -1, v2, vcc
	v_and_b32_e32 v9, v8, v15
	v_and_b32_e32 v8, v2, v14
	v_cmp_eq_u64_e32 vcc, v[8:9], v[12:13]
	s_and_b64 exec, exec, vcc
	s_cbranch_execz .LBB183_136
; %bb.141:                              ;   in Loop: Header=BB183_139 Depth=2
	v_mov_b32_e32 v2, v19
	ds_write_b128 v19, v[2:5] offset:3072
	s_branch .LBB183_136
.LBB183_142:                            ;   in Loop: Header=BB183_139 Depth=2
	s_mov_b64 s[58:59], -1
                                        ; implicit-def: $vgpr30_vgpr31
                                        ; implicit-def: $vgpr18
	s_mov_b64 s[4:5], -1
	s_branch .LBB183_138
.LBB183_143:                            ;   in Loop: Header=BB183_12 Depth=1
                                        ; implicit-def: $sgpr4_sgpr5
	s_branch .LBB183_85
.LBB183_144:                            ;   in Loop: Header=BB183_12 Depth=1
	v_readlane_b32 s21, v46, 41
                                        ; implicit-def: $sgpr4_sgpr5
	s_branch .LBB183_103
.LBB183_145:                            ;   in Loop: Header=BB183_12 Depth=1
	s_or_b64 exec, exec, s[8:9]
	s_and_b64 s[8:9], s[12:13], exec
.LBB183_146:                            ;   in Loop: Header=BB183_12 Depth=1
	s_or_b64 exec, exec, s[40:41]
.LBB183_147:                            ;   in Loop: Header=BB183_12 Depth=1
	s_and_b64 vcc, exec, s[34:35]
	s_cbranch_vccz .LBB183_162
; %bb.148:                              ;   in Loop: Header=BB183_12 Depth=1
	s_mov_b32 s60, s53
	s_cmp_lg_u64 s[60:61], 0
	s_cbranch_scc0 .LBB183_191
; %bb.149:                              ;   in Loop: Header=BB183_12 Depth=1
	v_cvt_f32_u32_e32 v2, s55
	s_sub_u32 s10, 0, s55
	s_subb_u32 s11, 0, 0
	v_mac_f32_e32 v2, 0, v41
	v_rcp_f32_e32 v2, v2
	v_mul_f32_e32 v2, 0x5f7ffffc, v2
	v_mul_f32_e32 v4, 0x2f800000, v2
	v_trunc_f32_e32 v4, v4
	v_mac_f32_e32 v2, 0xcf800000, v4
	v_cvt_u32_f32_e32 v4, v4
	v_cvt_u32_f32_e32 v2, v2
	v_readfirstlane_b32 s12, v4
	v_readfirstlane_b32 s4, v2
	s_mul_i32 s5, s10, s12
	s_mul_hi_u32 s28, s10, s4
	s_mul_i32 s13, s11, s4
	s_add_i32 s5, s28, s5
	s_mul_i32 s29, s10, s4
	s_add_i32 s5, s5, s13
	s_mul_hi_u32 s28, s4, s29
	s_mul_i32 s30, s4, s5
	s_mul_hi_u32 s13, s4, s5
	s_add_u32 s28, s28, s30
	s_addc_u32 s13, 0, s13
	s_mul_hi_u32 s31, s12, s29
	s_mul_i32 s29, s12, s29
	s_add_u32 s28, s28, s29
	s_mul_hi_u32 s30, s12, s5
	s_addc_u32 s13, s13, s31
	s_addc_u32 s28, s30, 0
	s_mul_i32 s5, s12, s5
	s_add_u32 s5, s13, s5
	s_addc_u32 s13, 0, s28
	s_add_u32 s28, s4, s5
	s_cselect_b64 s[4:5], -1, 0
	s_cmp_lg_u64 s[4:5], 0
	s_addc_u32 s12, s12, s13
	s_mul_i32 s4, s10, s12
	s_mul_hi_u32 s5, s10, s28
	s_add_i32 s4, s5, s4
	s_mul_i32 s11, s11, s28
	s_add_i32 s4, s4, s11
	s_mul_i32 s10, s10, s28
	s_mul_hi_u32 s11, s12, s10
	s_mul_i32 s13, s12, s10
	s_mul_i32 s30, s28, s4
	s_mul_hi_u32 s10, s28, s10
	s_mul_hi_u32 s29, s28, s4
	s_add_u32 s10, s10, s30
	s_addc_u32 s29, 0, s29
	s_add_u32 s10, s10, s13
	s_mul_hi_u32 s5, s12, s4
	s_addc_u32 s10, s29, s11
	s_addc_u32 s5, s5, 0
	s_mul_i32 s4, s12, s4
	s_add_u32 s4, s10, s4
	s_addc_u32 s10, 0, s5
	s_add_u32 s11, s28, s4
	s_cselect_b64 s[4:5], -1, 0
	s_cmp_lg_u64 s[4:5], 0
	s_addc_u32 s4, s12, s10
	v_readlane_b32 s29, v46, 41
	s_mul_i32 s10, s29, s4
	s_mul_hi_u32 s12, s29, s11
	s_mul_hi_u32 s5, s29, s4
	s_add_u32 s10, s12, s10
	s_addc_u32 s5, 0, s5
	s_mul_hi_u32 s13, s61, s11
	s_mul_i32 s11, s61, s11
	s_add_u32 s10, s10, s11
	s_mul_hi_u32 s12, s61, s4
	s_addc_u32 s5, s5, s13
	s_addc_u32 s10, s12, 0
	s_mul_i32 s4, s61, s4
	s_add_u32 s4, s5, s4
	s_addc_u32 s5, 0, s10
	s_mul_i32 s5, s55, s5
	s_mul_hi_u32 s10, s55, s4
	s_add_i32 s10, s10, s5
	s_mul_i32 s4, s55, s4
	s_sub_u32 s11, s29, s4
	s_cselect_b64 s[4:5], -1, 0
	s_cmp_lg_u64 s[4:5], 0
	s_subb_u32 s10, s61, s10
	s_sub_u32 s12, s11, s55
	s_cselect_b64 s[4:5], -1, 0
	s_cmp_lg_u64 s[4:5], 0
	s_subb_u32 s13, s10, 0
	;; [unrolled: 4-line block ×3, first 2 shown]
	s_cmp_ge_u32 s12, s55
	s_cselect_b32 s5, -1, 0
	s_cmp_eq_u32 s13, 0
	s_cselect_b32 s5, s5, -1
	s_cmp_lg_u32 s5, 0
	s_cselect_b32 s4, s4, s13
	s_cselect_b32 s12, s28, s12
	s_cmp_ge_u32 s11, s55
	s_cselect_b32 s5, -1, 0
	s_cmp_eq_u32 s10, 0
	s_cselect_b32 s5, s5, -1
	s_cmp_lg_u32 s5, 0
	s_cselect_b32 s5, s4, s10
	s_cselect_b32 s4, s12, s11
	s_cbranch_execnz .LBB183_151
.LBB183_150:                            ;   in Loop: Header=BB183_12 Depth=1
	v_cvt_f32_u32_e32 v2, s55
	s_sub_i32 s4, 0, s55
	v_rcp_iflag_f32_e32 v2, v2
	v_mul_f32_e32 v2, 0x4f7ffffe, v2
	v_cvt_u32_f32_e32 v2, v2
	v_readfirstlane_b32 s5, v2
	s_mul_i32 s4, s4, s5
	s_mul_hi_u32 s4, s5, s4
	s_add_i32 s5, s5, s4
	s_mul_hi_u32 s4, s29, s5
	s_mul_i32 s4, s4, s55
	s_sub_i32 s4, s29, s4
	s_sub_i32 s5, s4, s55
	s_cmp_ge_u32 s4, s55
	s_cselect_b32 s4, s5, s4
	s_sub_i32 s5, s4, s55
	s_cmp_ge_u32 s4, s55
	s_cselect_b32 s52, s5, s4
	s_mov_b64 s[4:5], s[52:53]
.LBB183_151:                            ;   in Loop: Header=BB183_12 Depth=1
	s_sub_u32 s28, s29, s4
	s_subb_u32 s29, s61, s5
	v_cmp_gt_u64_e32 vcc, s[28:29], v[0:1]
                                        ; implicit-def: $vgpr10_vgpr11
	s_and_saveexec_b64 s[10:11], vcc
	s_cbranch_execz .LBB183_161
; %bb.152:                              ;   in Loop: Header=BB183_12 Depth=1
	v_mov_b32_e32 v31, v1
	s_mov_b64 s[12:13], 0
	v_mov_b32_e32 v30, v0
                                        ; implicit-def: $sgpr30_sgpr31
	s_branch .LBB183_156
.LBB183_153:                            ;   in Loop: Header=BB183_156 Depth=2
	s_or_b64 exec, exec, s[4:5]
	s_waitcnt lgkmcnt(0)
	s_barrier
	ds_read_b128 v[8:11], v19 offset:3072
	s_waitcnt lgkmcnt(0)
	s_barrier
	v_cmp_eq_f64_e32 vcc, 0, v[8:9]
	s_cbranch_vccz .LBB183_159
; %bb.154:                              ;   in Loop: Header=BB183_156 Depth=2
	v_add_co_u32_e32 v30, vcc, s55, v30
	v_addc_co_u32_e32 v31, vcc, 0, v31, vcc
	v_cmp_le_u64_e32 vcc, s[28:29], v[30:31]
	s_mov_b64 s[4:5], 0
	s_orn2_b64 s[34:35], vcc, exec
.LBB183_155:                            ;   in Loop: Header=BB183_156 Depth=2
	s_and_b64 s[34:35], exec, s[34:35]
	s_or_b64 s[12:13], s[34:35], s[12:13]
	s_andn2_b64 s[30:31], s[30:31], exec
	s_and_b64 s[4:5], s[4:5], exec
	s_or_b64 s[30:31], s[30:31], s[4:5]
	s_andn2_b64 exec, exec, s[12:13]
	s_cbranch_execz .LBB183_160
.LBB183_156:                            ;   Parent Loop BB183_12 Depth=1
                                        ; =>  This Inner Loop Header: Depth=2
	v_cmp_gt_u64_e32 vcc, s[24:25], v[30:31]
	s_and_saveexec_b64 s[4:5], vcc
	s_cbranch_execz .LBB183_153
; %bb.157:                              ;   in Loop: Header=BB183_156 Depth=2
	v_mul_lo_u32 v2, v31, s22
	v_mul_lo_u32 v8, v30, s23
	v_mad_u64_u32 v[4:5], s[34:35], v30, s22, 0
	v_add3_u32 v5, v5, v8, v2
	v_lshlrev_b64 v[4:5], 3, v[4:5]
	v_mov_b32_e32 v2, s54
	v_add_co_u32_e32 v4, vcc, s33, v4
	v_addc_co_u32_e32 v5, vcc, v2, v5, vcc
	global_load_dwordx2 v[4:5], v[4:5], off
	s_waitcnt vmcnt(0)
	v_cmp_o_f64_e32 vcc, v[4:5], v[4:5]
	v_ashrrev_i32_e32 v2, 31, v5
	v_or_b32_e32 v8, 0x80000000, v2
	v_xor_b32_e32 v8, v8, v5
	v_xor_b32_e32 v2, v2, v4
	v_cndmask_b32_e32 v8, -1, v8, vcc
	v_cndmask_b32_e32 v2, -1, v2, vcc
	v_and_b32_e32 v9, v8, v15
	v_and_b32_e32 v8, v2, v14
	v_cmp_eq_u64_e32 vcc, v[8:9], v[12:13]
	s_and_b64 exec, exec, vcc
	s_cbranch_execz .LBB183_153
; %bb.158:                              ;   in Loop: Header=BB183_156 Depth=2
	v_mov_b32_e32 v2, v19
	ds_write_b128 v19, v[2:5] offset:3072
	s_branch .LBB183_153
.LBB183_159:                            ;   in Loop: Header=BB183_156 Depth=2
	s_mov_b64 s[34:35], -1
                                        ; implicit-def: $vgpr30_vgpr31
	s_mov_b64 s[4:5], -1
	s_branch .LBB183_155
.LBB183_160:                            ;   in Loop: Header=BB183_12 Depth=1
	s_or_b64 exec, exec, s[12:13]
	s_andn2_b64 s[4:5], s[8:9], exec
	s_and_b64 s[8:9], s[30:31], exec
	s_or_b64 s[8:9], s[4:5], s[8:9]
.LBB183_161:                            ;   in Loop: Header=BB183_12 Depth=1
	s_or_b64 exec, exec, s[10:11]
	s_mov_b64 s[28:29], 0
	s_mov_b64 s[30:31], -1
.LBB183_162:                            ;   in Loop: Header=BB183_12 Depth=1
	s_orn2_b64 s[4:5], s[8:9], exec
.LBB183_163:                            ;   in Loop: Header=BB183_12 Depth=1
	s_or_b64 exec, exec, s[2:3]
	s_mov_b64 s[8:9], 0
	s_and_saveexec_b64 s[2:3], s[4:5]
	s_cbranch_execz .LBB183_277
; %bb.164:                              ;   in Loop: Header=BB183_12 Depth=1
	v_mov_b32_e32 v30, 1
	s_xor_b64 s[4:5], s[20:21], -1
	v_mov_b32_e32 v42, 1
	v_mov_b32_e32 v31, 0
	s_mov_b64 s[10:11], 0
	s_and_saveexec_b64 s[8:9], s[4:5]
	s_cbranch_execz .LBB183_173
; %bb.165:                              ;   in Loop: Header=BB183_12 Depth=1
	v_cmp_ge_u64_e32 vcc, s[94:95], v[28:29]
	s_and_saveexec_b64 s[4:5], vcc
	s_xor_b64 s[4:5], exec, s[4:5]
	s_cbranch_execz .LBB183_170
; %bb.166:                              ;   in Loop: Header=BB183_12 Depth=1
	s_lshl_b64 s[10:11], 1, s63
	v_and_b32_e32 v4, s90, v12
	v_or_b32_e32 v12, s10, v4
	ds_read_b64 v[4:5], v19 offset:5120
	v_and_b32_e32 v2, s91, v13
	v_or_b32_e32 v13, s11, v2
	v_or_b32_e32 v15, s19, v15
	;; [unrolled: 1-line block ×3, first 2 shown]
	s_waitcnt lgkmcnt(0)
	v_cmp_ne_u64_e32 vcc, 0, v[4:5]
	s_cbranch_vccnz .LBB183_170
; %bb.167:                              ;   in Loop: Header=BB183_12 Depth=1
	s_mov_b64 s[10:11], exec
	v_readlane_b32 s12, v46, 12
	v_readlane_b32 s13, v46, 13
	s_and_b64 s[12:13], s[10:11], s[12:13]
	s_mov_b64 exec, s[12:13]
; %bb.168:                              ;   in Loop: Header=BB183_12 Depth=1
	v_mov_b32_e32 v4, s94
	v_mov_b32_e32 v5, s95
	ds_write_b64 v19, v[4:5] offset:5128
; %bb.169:                              ;   in Loop: Header=BB183_12 Depth=1
	s_or_b64 exec, exec, s[10:11]
	s_waitcnt lgkmcnt(0)
	s_barrier
.LBB183_170:                            ;   in Loop: Header=BB183_12 Depth=1
	s_or_saveexec_b64 s[4:5], s[4:5]
	s_mov_b64 s[10:11], 0
	v_mov_b32_e32 v42, 8
	s_xor_b64 exec, exec, s[4:5]
; %bb.171:                              ;   in Loop: Header=BB183_12 Depth=1
	v_subrev_co_u32_e32 v28, vcc, s94, v28
	v_mov_b32_e32 v2, s95
	v_subb_co_u32_e32 v29, vcc, v29, v2, vcc
	v_mov_b32_e32 v42, 0
	s_mov_b64 s[10:11], exec
; %bb.172:                              ;   in Loop: Header=BB183_12 Depth=1
	s_or_b64 exec, exec, s[4:5]
	v_mov_b32_e32 v31, v29
	s_and_b64 s[10:11], s[10:11], exec
	v_mov_b32_e32 v30, v28
.LBB183_173:                            ;   in Loop: Header=BB183_12 Depth=1
	s_or_b64 exec, exec, s[8:9]
	s_mov_b64 s[4:5], -1
                                        ; implicit-def: $sgpr42_sgpr43
                                        ; implicit-def: $sgpr64_sgpr65
	s_and_saveexec_b64 s[40:41], s[10:11]
	s_cbranch_execz .LBB183_276
; %bb.174:                              ;   in Loop: Header=BB183_12 Depth=1
	s_cmp_eq_u64 s[48:49], 1
	v_cmp_eq_u64_e32 vcc, 1, v[30:31]
	s_cselect_b64 s[4:5], -1, 0
	s_and_b64 s[20:21], s[4:5], vcc
	s_mov_b64 s[4:5], -1
                                        ; implicit-def: $sgpr64_sgpr65
                                        ; implicit-def: $sgpr42_sgpr43
	s_and_saveexec_b64 s[66:67], s[20:21]
	s_cbranch_execz .LBB183_210
; %bb.175:                              ;   in Loop: Header=BB183_12 Depth=1
	ds_read_b64 v[4:5], v19 offset:5120
	s_waitcnt lgkmcnt(0)
	s_barrier
	v_readfirstlane_b32 s10, v4
	v_readfirstlane_b32 s11, v5
	s_mov_b64 s[4:5], exec
	v_readlane_b32 s8, v46, 36
	v_readlane_b32 s9, v46, 37
	s_and_b64 s[8:9], s[4:5], s[8:9]
	s_mov_b64 exec, s[8:9]
; %bb.176:                              ;   in Loop: Header=BB183_12 Depth=1
	v_mov_b32_e32 v18, v19
	ds_write_b64 v37, v[18:19]
; %bb.177:                              ;   in Loop: Header=BB183_12 Depth=1
	s_or_b64 exec, exec, s[4:5]
	s_lshl_b64 s[4:5], 2, s63
	v_and_b32_e32 v2, s91, v13
	v_and_b32_e32 v4, s90, v12
	v_or_b32_e32 v13, s5, v2
	v_or_b32_e32 v12, s4, v4
	;; [unrolled: 1-line block ×4, first 2 shown]
	s_mov_b64 s[42:43], -1
	s_mov_b64 s[64:65], 0
	s_cmp_eq_u64 s[10:11], 0
	s_mov_b64 s[8:9], 0
	s_mov_b64 s[34:35], -1
	s_waitcnt lgkmcnt(0)
	s_barrier
                                        ; implicit-def: $vgpr10_vgpr11
	s_cbranch_scc1 .LBB183_194
; %bb.178:                              ;   in Loop: Header=BB183_12 Depth=1
	v_readlane_b32 s4, v46, 40
	s_add_u32 s34, s10, s4
	v_readlane_b32 s4, v46, 42
	s_addc_u32 s9, s11, s4
	s_mov_b32 s8, s53
	s_cmp_lg_u64 s[8:9], 0
	s_cbranch_scc0 .LBB183_227
; %bb.179:                              ;   in Loop: Header=BB183_12 Depth=1
	v_cvt_f32_u32_e32 v2, s55
	s_sub_u32 s8, 0, s55
	s_subb_u32 s12, 0, 0
	v_mac_f32_e32 v2, 0, v41
	v_rcp_f32_e32 v2, v2
	v_mul_f32_e32 v2, 0x5f7ffffc, v2
	v_mul_f32_e32 v4, 0x2f800000, v2
	v_trunc_f32_e32 v4, v4
	v_mac_f32_e32 v2, 0xcf800000, v4
	v_cvt_u32_f32_e32 v4, v4
	v_cvt_u32_f32_e32 v2, v2
	v_readfirstlane_b32 s13, v4
	v_readfirstlane_b32 s4, v2
	s_mul_i32 s5, s8, s13
	s_mul_hi_u32 s42, s8, s4
	s_mul_i32 s35, s12, s4
	s_add_i32 s5, s42, s5
	s_mul_i32 s43, s8, s4
	s_add_i32 s5, s5, s35
	s_mul_hi_u32 s42, s4, s43
	s_mul_i32 s52, s4, s5
	s_mul_hi_u32 s35, s4, s5
	s_add_u32 s42, s42, s52
	s_addc_u32 s35, 0, s35
	s_mul_hi_u32 s58, s13, s43
	s_mul_i32 s43, s13, s43
	s_add_u32 s42, s42, s43
	s_mul_hi_u32 s52, s13, s5
	s_addc_u32 s35, s35, s58
	s_addc_u32 s42, s52, 0
	s_mul_i32 s5, s13, s5
	s_add_u32 s5, s35, s5
	s_addc_u32 s35, 0, s42
	s_add_u32 s42, s4, s5
	s_cselect_b64 s[4:5], -1, 0
	s_cmp_lg_u64 s[4:5], 0
	s_addc_u32 s13, s13, s35
	s_mul_i32 s4, s8, s13
	s_mul_hi_u32 s5, s8, s42
	s_add_i32 s4, s5, s4
	s_mul_i32 s12, s12, s42
	s_add_i32 s4, s4, s12
	s_mul_i32 s8, s8, s42
	s_mul_hi_u32 s12, s13, s8
	s_mul_i32 s35, s13, s8
	s_mul_i32 s52, s42, s4
	s_mul_hi_u32 s8, s42, s8
	s_mul_hi_u32 s43, s42, s4
	s_add_u32 s8, s8, s52
	s_addc_u32 s43, 0, s43
	s_add_u32 s8, s8, s35
	s_mul_hi_u32 s5, s13, s4
	s_addc_u32 s8, s43, s12
	s_addc_u32 s5, s5, 0
	s_mul_i32 s4, s13, s4
	s_add_u32 s4, s8, s4
	s_addc_u32 s8, 0, s5
	s_add_u32 s12, s42, s4
	s_cselect_b64 s[4:5], -1, 0
	s_cmp_lg_u64 s[4:5], 0
	s_addc_u32 s4, s13, s8
	s_mul_i32 s8, s34, s4
	s_mul_hi_u32 s13, s34, s12
	s_mul_hi_u32 s5, s34, s4
	s_add_u32 s8, s13, s8
	s_addc_u32 s5, 0, s5
	s_mul_hi_u32 s35, s9, s12
	s_mul_i32 s12, s9, s12
	s_add_u32 s8, s8, s12
	s_mul_hi_u32 s13, s9, s4
	s_addc_u32 s5, s5, s35
	s_addc_u32 s8, s13, 0
	s_mul_i32 s4, s9, s4
	s_add_u32 s4, s5, s4
	s_addc_u32 s5, 0, s8
	s_mul_i32 s5, s55, s5
	s_mul_hi_u32 s8, s55, s4
	s_add_i32 s8, s8, s5
	s_mul_i32 s4, s55, s4
	s_sub_u32 s12, s34, s4
	s_cselect_b64 s[4:5], -1, 0
	s_cmp_lg_u64 s[4:5], 0
	s_subb_u32 s8, s9, s8
	s_sub_u32 s13, s12, s55
	s_cselect_b64 s[4:5], -1, 0
	s_cmp_lg_u64 s[4:5], 0
	s_subb_u32 s35, s8, 0
	;; [unrolled: 4-line block ×3, first 2 shown]
	s_cmp_ge_u32 s13, s55
	s_cselect_b32 s5, -1, 0
	s_cmp_eq_u32 s35, 0
	s_cselect_b32 s5, s5, -1
	s_cmp_lg_u32 s5, 0
	s_cselect_b32 s4, s4, s35
	s_cselect_b32 s13, s42, s13
	s_cmp_ge_u32 s12, s55
	s_cselect_b32 s5, -1, 0
	s_cmp_eq_u32 s8, 0
	s_cselect_b32 s5, s5, -1
	s_cmp_lg_u32 s5, 0
	s_cselect_b32 s5, s4, s8
	s_cselect_b32 s4, s13, s12
	s_cbranch_execnz .LBB183_181
.LBB183_180:                            ;   in Loop: Header=BB183_12 Depth=1
	v_cvt_f32_u32_e32 v2, s55
	s_sub_i32 s4, 0, s55
	v_rcp_iflag_f32_e32 v2, v2
	v_mul_f32_e32 v2, 0x4f7ffffe, v2
	v_cvt_u32_f32_e32 v2, v2
	v_readfirstlane_b32 s5, v2
	s_mul_i32 s4, s4, s5
	s_mul_hi_u32 s4, s5, s4
	s_add_i32 s5, s5, s4
	s_mul_hi_u32 s4, s34, s5
	s_mul_i32 s4, s4, s55
	s_sub_i32 s4, s34, s4
	s_sub_i32 s5, s4, s55
	s_cmp_ge_u32 s4, s55
	s_cselect_b32 s4, s5, s4
	s_sub_i32 s5, s4, s55
	s_cmp_ge_u32 s4, s55
	s_cselect_b32 s52, s5, s4
	s_mov_b64 s[4:5], s[52:53]
.LBB183_181:                            ;   in Loop: Header=BB183_12 Depth=1
	s_sub_u32 s12, s34, s4
	s_subb_u32 s13, s9, s5
	v_cmp_gt_u64_e32 vcc, s[12:13], v[0:1]
	s_mov_b64 s[34:35], 0
	s_mov_b64 s[8:9], 0
                                        ; implicit-def: $vgpr10_vgpr11
	s_and_saveexec_b64 s[58:59], vcc
	s_cbranch_execz .LBB183_193
; %bb.182:                              ;   in Loop: Header=BB183_12 Depth=1
	v_mov_b32_e32 v29, v1
	v_mov_b32_e32 v18, v36
	;; [unrolled: 1-line block ×3, first 2 shown]
                                        ; implicit-def: $sgpr4_sgpr5
	s_branch .LBB183_186
.LBB183_183:                            ;   in Loop: Header=BB183_186 Depth=2
	s_or_b64 exec, exec, s[42:43]
	s_waitcnt lgkmcnt(0)
	s_barrier
	ds_read_b128 v[8:11], v19 offset:3072
	s_waitcnt lgkmcnt(0)
	s_barrier
	v_cmp_neq_f64_e32 vcc, 0, v[8:9]
	s_cbranch_vccnz .LBB183_189
; %bb.184:                              ;   in Loop: Header=BB183_186 Depth=2
	v_add_co_u32_e32 v28, vcc, s55, v28
	v_addc_co_u32_e32 v29, vcc, 0, v29, vcc
	v_cmp_le_u64_e32 vcc, s[12:13], v[28:29]
	v_add_u32_e32 v18, s62, v18
	s_mov_b64 s[42:43], 0
	s_orn2_b64 vcc, vcc, exec
.LBB183_185:                            ;   in Loop: Header=BB183_186 Depth=2
	s_and_b64 vcc, exec, vcc
	s_or_b64 s[8:9], vcc, s[8:9]
	s_andn2_b64 s[4:5], s[4:5], exec
	s_and_b64 s[42:43], s[42:43], exec
	s_or_b64 s[4:5], s[4:5], s[42:43]
	s_andn2_b64 exec, exec, s[8:9]
	s_cbranch_execz .LBB183_192
.LBB183_186:                            ;   Parent Loop BB183_12 Depth=1
                                        ; =>  This Inner Loop Header: Depth=2
	v_cmp_gt_u64_e32 vcc, s[10:11], v[28:29]
	s_and_saveexec_b64 s[42:43], vcc
	s_cbranch_execz .LBB183_183
; %bb.187:                              ;   in Loop: Header=BB183_186 Depth=2
	ds_read_b64 v[4:5], v18
	s_waitcnt lgkmcnt(0)
	v_cmp_o_f64_e32 vcc, v[4:5], v[4:5]
	v_ashrrev_i32_e32 v2, 31, v5
	v_or_b32_e32 v8, 0x80000000, v2
	v_xor_b32_e32 v8, v8, v5
	v_xor_b32_e32 v2, v2, v4
	v_cndmask_b32_e32 v8, -1, v8, vcc
	v_cndmask_b32_e32 v2, -1, v2, vcc
	v_and_b32_e32 v9, v8, v15
	v_and_b32_e32 v8, v2, v14
	v_cmp_eq_u64_e32 vcc, v[8:9], v[12:13]
	s_and_b64 exec, exec, vcc
	s_cbranch_execz .LBB183_183
; %bb.188:                              ;   in Loop: Header=BB183_186 Depth=2
	v_mov_b32_e32 v2, v19
	ds_write_b128 v19, v[2:5] offset:3072
	s_branch .LBB183_183
.LBB183_189:                            ;   in Loop: Header=BB183_186 Depth=2
	s_mov_b64 vcc, -1
                                        ; implicit-def: $vgpr28_vgpr29
                                        ; implicit-def: $vgpr18
	s_mov_b64 s[42:43], -1
	s_branch .LBB183_185
.LBB183_190:                            ;   in Loop: Header=BB183_12 Depth=1
                                        ; implicit-def: $sgpr4_sgpr5
	s_branch .LBB183_133
.LBB183_191:                            ;   in Loop: Header=BB183_12 Depth=1
	v_readlane_b32 s29, v46, 41
                                        ; implicit-def: $sgpr4_sgpr5
	s_branch .LBB183_150
.LBB183_192:                            ;   in Loop: Header=BB183_12 Depth=1
	s_or_b64 exec, exec, s[8:9]
	s_and_b64 s[8:9], s[4:5], exec
.LBB183_193:                            ;   in Loop: Header=BB183_12 Depth=1
	s_or_b64 exec, exec, s[58:59]
	s_mov_b64 s[42:43], -1
.LBB183_194:                            ;   in Loop: Header=BB183_12 Depth=1
	s_and_b64 vcc, exec, s[34:35]
	s_cbranch_vccz .LBB183_209
; %bb.195:                              ;   in Loop: Header=BB183_12 Depth=1
	s_mov_b32 s60, s53
	s_cmp_lg_u64 s[60:61], 0
	s_cbranch_scc0 .LBB183_228
; %bb.196:                              ;   in Loop: Header=BB183_12 Depth=1
	v_cvt_f32_u32_e32 v2, s55
	s_sub_u32 s10, 0, s55
	s_subb_u32 s11, 0, 0
	v_mac_f32_e32 v2, 0, v41
	v_rcp_f32_e32 v2, v2
	v_mul_f32_e32 v2, 0x5f7ffffc, v2
	v_mul_f32_e32 v4, 0x2f800000, v2
	v_trunc_f32_e32 v4, v4
	v_mac_f32_e32 v2, 0xcf800000, v4
	v_cvt_u32_f32_e32 v4, v4
	v_cvt_u32_f32_e32 v2, v2
	v_readfirstlane_b32 s12, v4
	v_readfirstlane_b32 s4, v2
	s_mul_i32 s5, s10, s12
	s_mul_hi_u32 s34, s10, s4
	s_mul_i32 s13, s11, s4
	s_add_i32 s5, s34, s5
	s_mul_i32 s35, s10, s4
	s_add_i32 s5, s5, s13
	s_mul_hi_u32 s34, s4, s35
	s_mul_i32 s42, s4, s5
	s_mul_hi_u32 s13, s4, s5
	s_add_u32 s34, s34, s42
	s_addc_u32 s13, 0, s13
	s_mul_hi_u32 s43, s12, s35
	s_mul_i32 s35, s12, s35
	s_add_u32 s34, s34, s35
	s_mul_hi_u32 s42, s12, s5
	s_addc_u32 s13, s13, s43
	s_addc_u32 s34, s42, 0
	s_mul_i32 s5, s12, s5
	s_add_u32 s5, s13, s5
	s_addc_u32 s13, 0, s34
	s_add_u32 s34, s4, s5
	s_cselect_b64 s[4:5], -1, 0
	s_cmp_lg_u64 s[4:5], 0
	s_addc_u32 s12, s12, s13
	s_mul_i32 s4, s10, s12
	s_mul_hi_u32 s5, s10, s34
	s_add_i32 s4, s5, s4
	s_mul_i32 s11, s11, s34
	s_add_i32 s4, s4, s11
	s_mul_i32 s10, s10, s34
	s_mul_hi_u32 s11, s12, s10
	s_mul_i32 s13, s12, s10
	s_mul_i32 s42, s34, s4
	s_mul_hi_u32 s10, s34, s10
	s_mul_hi_u32 s35, s34, s4
	s_add_u32 s10, s10, s42
	s_addc_u32 s35, 0, s35
	s_add_u32 s10, s10, s13
	s_mul_hi_u32 s5, s12, s4
	s_addc_u32 s10, s35, s11
	s_addc_u32 s5, s5, 0
	s_mul_i32 s4, s12, s4
	s_add_u32 s4, s10, s4
	s_addc_u32 s10, 0, s5
	s_add_u32 s11, s34, s4
	s_cselect_b64 s[4:5], -1, 0
	s_cmp_lg_u64 s[4:5], 0
	s_addc_u32 s4, s12, s10
	v_readlane_b32 s35, v46, 41
	s_mul_i32 s10, s35, s4
	s_mul_hi_u32 s12, s35, s11
	s_mul_hi_u32 s5, s35, s4
	s_add_u32 s10, s12, s10
	s_addc_u32 s5, 0, s5
	s_mul_hi_u32 s13, s61, s11
	s_mul_i32 s11, s61, s11
	s_add_u32 s10, s10, s11
	s_mul_hi_u32 s12, s61, s4
	s_addc_u32 s5, s5, s13
	s_addc_u32 s10, s12, 0
	s_mul_i32 s4, s61, s4
	s_add_u32 s4, s5, s4
	s_addc_u32 s5, 0, s10
	s_mul_i32 s5, s55, s5
	s_mul_hi_u32 s10, s55, s4
	s_add_i32 s10, s10, s5
	s_mul_i32 s4, s55, s4
	s_sub_u32 s11, s35, s4
	s_cselect_b64 s[4:5], -1, 0
	s_cmp_lg_u64 s[4:5], 0
	s_subb_u32 s10, s61, s10
	s_sub_u32 s12, s11, s55
	s_cselect_b64 s[4:5], -1, 0
	s_cmp_lg_u64 s[4:5], 0
	s_subb_u32 s13, s10, 0
	s_sub_u32 s34, s12, s55
	s_cselect_b64 s[4:5], -1, 0
	s_cmp_lg_u64 s[4:5], 0
	s_subb_u32 s4, s13, 0
	s_cmp_ge_u32 s12, s55
	s_cselect_b32 s5, -1, 0
	s_cmp_eq_u32 s13, 0
	s_cselect_b32 s5, s5, -1
	s_cmp_lg_u32 s5, 0
	s_cselect_b32 s4, s4, s13
	s_cselect_b32 s12, s34, s12
	s_cmp_ge_u32 s11, s55
	s_cselect_b32 s5, -1, 0
	s_cmp_eq_u32 s10, 0
	s_cselect_b32 s5, s5, -1
	s_cmp_lg_u32 s5, 0
	s_cselect_b32 s5, s4, s10
	s_cselect_b32 s4, s12, s11
	s_cbranch_execnz .LBB183_198
.LBB183_197:                            ;   in Loop: Header=BB183_12 Depth=1
	v_cvt_f32_u32_e32 v2, s55
	s_sub_i32 s4, 0, s55
	v_rcp_iflag_f32_e32 v2, v2
	v_mul_f32_e32 v2, 0x4f7ffffe, v2
	v_cvt_u32_f32_e32 v2, v2
	v_readfirstlane_b32 s5, v2
	s_mul_i32 s4, s4, s5
	s_mul_hi_u32 s4, s5, s4
	s_add_i32 s5, s5, s4
	s_mul_hi_u32 s4, s35, s5
	s_mul_i32 s4, s4, s55
	s_sub_i32 s4, s35, s4
	s_sub_i32 s5, s4, s55
	s_cmp_ge_u32 s4, s55
	s_cselect_b32 s4, s5, s4
	s_sub_i32 s5, s4, s55
	s_cmp_ge_u32 s4, s55
	s_cselect_b32 s52, s5, s4
	s_mov_b64 s[4:5], s[52:53]
.LBB183_198:                            ;   in Loop: Header=BB183_12 Depth=1
	s_sub_u32 s34, s35, s4
	s_subb_u32 s35, s61, s5
	v_cmp_gt_u64_e32 vcc, s[34:35], v[0:1]
                                        ; implicit-def: $vgpr10_vgpr11
	s_and_saveexec_b64 s[10:11], vcc
	s_cbranch_execz .LBB183_208
; %bb.199:                              ;   in Loop: Header=BB183_12 Depth=1
	v_mov_b32_e32 v29, v1
	s_mov_b64 s[12:13], 0
	v_mov_b32_e32 v28, v0
                                        ; implicit-def: $sgpr42_sgpr43
	s_branch .LBB183_203
.LBB183_200:                            ;   in Loop: Header=BB183_203 Depth=2
	s_or_b64 exec, exec, s[4:5]
	s_waitcnt lgkmcnt(0)
	s_barrier
	ds_read_b128 v[8:11], v19 offset:3072
	s_waitcnt lgkmcnt(0)
	s_barrier
	v_cmp_eq_f64_e32 vcc, 0, v[8:9]
	s_cbranch_vccz .LBB183_206
; %bb.201:                              ;   in Loop: Header=BB183_203 Depth=2
	v_add_co_u32_e32 v28, vcc, s55, v28
	v_addc_co_u32_e32 v29, vcc, 0, v29, vcc
	v_cmp_le_u64_e32 vcc, s[34:35], v[28:29]
	s_mov_b64 s[4:5], 0
	s_orn2_b64 s[58:59], vcc, exec
.LBB183_202:                            ;   in Loop: Header=BB183_203 Depth=2
	s_and_b64 s[58:59], exec, s[58:59]
	s_or_b64 s[12:13], s[58:59], s[12:13]
	s_andn2_b64 s[42:43], s[42:43], exec
	s_and_b64 s[4:5], s[4:5], exec
	s_or_b64 s[42:43], s[42:43], s[4:5]
	s_andn2_b64 exec, exec, s[12:13]
	s_cbranch_execz .LBB183_207
.LBB183_203:                            ;   Parent Loop BB183_12 Depth=1
                                        ; =>  This Inner Loop Header: Depth=2
	v_cmp_gt_u64_e32 vcc, s[24:25], v[28:29]
	s_and_saveexec_b64 s[4:5], vcc
	s_cbranch_execz .LBB183_200
; %bb.204:                              ;   in Loop: Header=BB183_203 Depth=2
	v_mul_lo_u32 v2, v29, s22
	v_mul_lo_u32 v8, v28, s23
	v_mad_u64_u32 v[4:5], s[58:59], v28, s22, 0
	v_add3_u32 v5, v5, v8, v2
	v_lshlrev_b64 v[4:5], 3, v[4:5]
	v_mov_b32_e32 v2, s54
	v_add_co_u32_e32 v4, vcc, s33, v4
	v_addc_co_u32_e32 v5, vcc, v2, v5, vcc
	global_load_dwordx2 v[4:5], v[4:5], off
	s_waitcnt vmcnt(0)
	v_cmp_o_f64_e32 vcc, v[4:5], v[4:5]
	v_ashrrev_i32_e32 v2, 31, v5
	v_or_b32_e32 v8, 0x80000000, v2
	v_xor_b32_e32 v8, v8, v5
	v_xor_b32_e32 v2, v2, v4
	v_cndmask_b32_e32 v8, -1, v8, vcc
	v_cndmask_b32_e32 v2, -1, v2, vcc
	v_and_b32_e32 v9, v8, v15
	v_and_b32_e32 v8, v2, v14
	v_cmp_eq_u64_e32 vcc, v[8:9], v[12:13]
	s_and_b64 exec, exec, vcc
	s_cbranch_execz .LBB183_200
; %bb.205:                              ;   in Loop: Header=BB183_203 Depth=2
	v_mov_b32_e32 v2, v19
	ds_write_b128 v19, v[2:5] offset:3072
	s_branch .LBB183_200
.LBB183_206:                            ;   in Loop: Header=BB183_203 Depth=2
	s_mov_b64 s[58:59], -1
                                        ; implicit-def: $vgpr28_vgpr29
	s_mov_b64 s[4:5], -1
	s_branch .LBB183_202
.LBB183_207:                            ;   in Loop: Header=BB183_12 Depth=1
	s_or_b64 exec, exec, s[12:13]
	s_andn2_b64 s[4:5], s[8:9], exec
	s_and_b64 s[8:9], s[42:43], exec
	s_or_b64 s[8:9], s[4:5], s[8:9]
.LBB183_208:                            ;   in Loop: Header=BB183_12 Depth=1
	s_or_b64 exec, exec, s[10:11]
	s_mov_b64 s[42:43], 0
	s_mov_b64 s[64:65], -1
.LBB183_209:                            ;   in Loop: Header=BB183_12 Depth=1
	s_orn2_b64 s[4:5], s[8:9], exec
.LBB183_210:                            ;   in Loop: Header=BB183_12 Depth=1
	s_or_b64 exec, exec, s[66:67]
	s_mov_b64 s[8:9], 0
	s_and_saveexec_b64 s[66:67], s[4:5]
	s_cbranch_execz .LBB183_275
; %bb.211:                              ;   in Loop: Header=BB183_12 Depth=1
	v_mov_b32_e32 v28, 1
	s_xor_b64 s[4:5], s[20:21], -1
	v_mov_b32_e32 v42, 1
	v_mov_b32_e32 v29, 0
	s_mov_b64 s[10:11], 0
	s_and_saveexec_b64 s[8:9], s[4:5]
	s_cbranch_execz .LBB183_220
; %bb.212:                              ;   in Loop: Header=BB183_12 Depth=1
	v_cmp_ge_u64_e32 vcc, s[48:49], v[30:31]
	s_and_saveexec_b64 s[4:5], vcc
	s_xor_b64 s[4:5], exec, s[4:5]
	s_cbranch_execz .LBB183_217
; %bb.213:                              ;   in Loop: Header=BB183_12 Depth=1
	s_lshl_b64 s[10:11], 2, s63
	v_and_b32_e32 v4, s90, v12
	v_or_b32_e32 v12, s10, v4
	ds_read_b64 v[4:5], v19 offset:5120
	v_and_b32_e32 v2, s91, v13
	v_or_b32_e32 v13, s11, v2
	v_or_b32_e32 v15, s19, v15
	;; [unrolled: 1-line block ×3, first 2 shown]
	s_waitcnt lgkmcnt(0)
	v_cmp_ne_u64_e32 vcc, 0, v[4:5]
	s_cbranch_vccnz .LBB183_217
; %bb.214:                              ;   in Loop: Header=BB183_12 Depth=1
	s_mov_b64 s[10:11], exec
	v_readlane_b32 s12, v46, 12
	v_readlane_b32 s13, v46, 13
	s_and_b64 s[12:13], s[10:11], s[12:13]
	s_mov_b64 exec, s[12:13]
; %bb.215:                              ;   in Loop: Header=BB183_12 Depth=1
	v_mov_b32_e32 v4, s48
	v_mov_b32_e32 v5, s49
	ds_write_b64 v19, v[4:5] offset:5128
; %bb.216:                              ;   in Loop: Header=BB183_12 Depth=1
	s_or_b64 exec, exec, s[10:11]
	s_waitcnt lgkmcnt(0)
	s_barrier
.LBB183_217:                            ;   in Loop: Header=BB183_12 Depth=1
	s_or_saveexec_b64 s[4:5], s[4:5]
	s_mov_b64 s[10:11], 0
	v_mov_b32_e32 v42, 8
	s_xor_b64 exec, exec, s[4:5]
; %bb.218:                              ;   in Loop: Header=BB183_12 Depth=1
	v_subrev_co_u32_e32 v30, vcc, s48, v30
	v_mov_b32_e32 v2, s49
	v_subb_co_u32_e32 v31, vcc, v31, v2, vcc
	v_mov_b32_e32 v42, 0
	s_mov_b64 s[10:11], exec
; %bb.219:                              ;   in Loop: Header=BB183_12 Depth=1
	s_or_b64 exec, exec, s[4:5]
	v_mov_b32_e32 v28, v30
	s_and_b64 s[10:11], s[10:11], exec
	v_mov_b32_e32 v29, v31
.LBB183_220:                            ;   in Loop: Header=BB183_12 Depth=1
	s_or_b64 exec, exec, s[8:9]
	s_mov_b64 s[4:5], -1
                                        ; implicit-def: $sgpr12_sgpr13
                                        ; implicit-def: $sgpr34_sgpr35
	s_and_saveexec_b64 s[20:21], s[10:11]
	s_cbranch_execz .LBB183_274
; %bb.221:                              ;   in Loop: Header=BB183_12 Depth=1
	s_cmp_eq_u64 s[50:51], 1
	v_cmp_eq_u64_e32 vcc, 1, v[28:29]
	s_cselect_b64 s[4:5], -1, 0
	s_and_b64 s[8:9], s[4:5], vcc
	s_mov_b64 s[4:5], -1
                                        ; implicit-def: $sgpr12_sgpr13
                                        ; implicit-def: $sgpr34_sgpr35
	s_mov_b64 s[10:11], exec
	v_writelane_b32 v46, s8, 52
	v_writelane_b32 v46, s9, 53
	;; [unrolled: 1-line block ×3, first 2 shown]
	s_and_b64 s[8:9], s[10:11], s[8:9]
	v_writelane_b32 v46, s11, 51
	s_mov_b64 exec, s[8:9]
	s_cbranch_execz .LBB183_262
; %bb.222:                              ;   in Loop: Header=BB183_12 Depth=1
	ds_read_b64 v[4:5], v19 offset:5120
	s_waitcnt lgkmcnt(0)
	s_barrier
	v_readfirstlane_b32 s34, v4
	v_readfirstlane_b32 s35, v5
	s_mov_b64 s[4:5], exec
	v_readlane_b32 s8, v46, 36
	v_readlane_b32 s9, v46, 37
	s_and_b64 s[8:9], s[4:5], s[8:9]
	s_mov_b64 exec, s[8:9]
; %bb.223:                              ;   in Loop: Header=BB183_12 Depth=1
	v_mov_b32_e32 v18, v19
	ds_write_b64 v37, v[18:19]
; %bb.224:                              ;   in Loop: Header=BB183_12 Depth=1
	s_or_b64 exec, exec, s[4:5]
	v_or_b32_e32 v13, s19, v13
	v_or_b32_e32 v12, s18, v12
	;; [unrolled: 1-line block ×4, first 2 shown]
	s_cmp_eq_u64 s[34:35], 0
	s_mov_b64 s[58:59], 0
	s_mov_b64 s[10:11], -1
	s_waitcnt lgkmcnt(0)
	s_barrier
                                        ; implicit-def: $vgpr10_vgpr11
	s_cbranch_scc1 .LBB183_243
; %bb.225:                              ;   in Loop: Header=BB183_12 Depth=1
	v_writelane_b32 v46, s42, 54
	v_writelane_b32 v46, s43, 55
	v_readlane_b32 s4, v46, 40
	s_add_u32 s12, s34, s4
	v_readlane_b32 s4, v46, 42
	s_addc_u32 s11, s35, s4
	s_mov_b32 s10, s53
	s_cmp_lg_u64 s[10:11], 0
	s_cbranch_scc0 .LBB183_229
; %bb.226:                              ;   in Loop: Header=BB183_12 Depth=1
	v_cvt_f32_u32_e32 v2, s55
	s_sub_u32 s8, 0, s55
	s_subb_u32 s9, 0, 0
	v_mac_f32_e32 v2, 0, v41
	v_rcp_f32_e32 v2, v2
	v_mul_f32_e32 v2, 0x5f7ffffc, v2
	v_mul_f32_e32 v4, 0x2f800000, v2
	v_trunc_f32_e32 v4, v4
	v_mac_f32_e32 v2, 0xcf800000, v4
	v_cvt_u32_f32_e32 v4, v4
	v_cvt_u32_f32_e32 v2, v2
	v_readfirstlane_b32 s10, v4
	v_readfirstlane_b32 s4, v2
	s_mul_i32 s5, s8, s10
	s_mul_hi_u32 s42, s8, s4
	s_mul_i32 s13, s9, s4
	s_add_i32 s5, s42, s5
	s_mul_i32 s43, s8, s4
	s_add_i32 s5, s5, s13
	s_mul_hi_u32 s42, s4, s43
	s_mul_i32 s52, s4, s5
	s_mul_hi_u32 s13, s4, s5
	s_add_u32 s42, s42, s52
	s_addc_u32 s13, 0, s13
	s_mul_hi_u32 s58, s10, s43
	s_mul_i32 s43, s10, s43
	s_add_u32 s42, s42, s43
	s_mul_hi_u32 s52, s10, s5
	s_addc_u32 s13, s13, s58
	s_addc_u32 s42, s52, 0
	s_mul_i32 s5, s10, s5
	s_add_u32 s5, s13, s5
	s_addc_u32 s13, 0, s42
	s_add_u32 s42, s4, s5
	s_cselect_b64 s[4:5], -1, 0
	s_cmp_lg_u64 s[4:5], 0
	s_addc_u32 s10, s10, s13
	s_mul_i32 s4, s8, s10
	s_mul_hi_u32 s5, s8, s42
	s_add_i32 s4, s5, s4
	s_mul_i32 s9, s9, s42
	s_add_i32 s4, s4, s9
	s_mul_i32 s8, s8, s42
	s_mul_hi_u32 s9, s10, s8
	s_mul_i32 s13, s10, s8
	s_mul_i32 s52, s42, s4
	s_mul_hi_u32 s8, s42, s8
	s_mul_hi_u32 s43, s42, s4
	s_add_u32 s8, s8, s52
	s_addc_u32 s43, 0, s43
	s_add_u32 s8, s8, s13
	s_mul_hi_u32 s5, s10, s4
	s_addc_u32 s8, s43, s9
	s_addc_u32 s5, s5, 0
	s_mul_i32 s4, s10, s4
	s_add_u32 s4, s8, s4
	s_addc_u32 s8, 0, s5
	s_add_u32 s9, s42, s4
	s_cselect_b64 s[4:5], -1, 0
	s_cmp_lg_u64 s[4:5], 0
	s_addc_u32 s4, s10, s8
	s_mul_i32 s8, s12, s4
	s_mul_hi_u32 s10, s12, s9
	s_mul_hi_u32 s5, s12, s4
	s_add_u32 s8, s10, s8
	s_addc_u32 s5, 0, s5
	s_mul_hi_u32 s13, s11, s9
	s_mul_i32 s9, s11, s9
	s_add_u32 s8, s8, s9
	s_mul_hi_u32 s10, s11, s4
	s_addc_u32 s5, s5, s13
	s_addc_u32 s8, s10, 0
	s_mul_i32 s4, s11, s4
	s_add_u32 s4, s5, s4
	s_addc_u32 s5, 0, s8
	s_mul_i32 s5, s55, s5
	s_mul_hi_u32 s8, s55, s4
	s_add_i32 s8, s8, s5
	s_mul_i32 s4, s55, s4
	s_sub_u32 s9, s12, s4
	s_cselect_b64 s[4:5], -1, 0
	s_cmp_lg_u64 s[4:5], 0
	s_subb_u32 s8, s11, s8
	s_sub_u32 s10, s9, s55
	s_cselect_b64 s[4:5], -1, 0
	s_cmp_lg_u64 s[4:5], 0
	s_subb_u32 s13, s8, 0
	;; [unrolled: 4-line block ×3, first 2 shown]
	s_cmp_ge_u32 s10, s55
	s_cselect_b32 s5, -1, 0
	s_cmp_eq_u32 s13, 0
	s_cselect_b32 s5, s5, -1
	s_cmp_lg_u32 s5, 0
	s_cselect_b32 s4, s4, s13
	s_cselect_b32 s10, s42, s10
	s_cmp_ge_u32 s9, s55
	s_cselect_b32 s5, -1, 0
	s_cmp_eq_u32 s8, 0
	s_cselect_b32 s5, s5, -1
	s_cmp_lg_u32 s5, 0
	s_cselect_b32 s5, s4, s8
	s_cselect_b32 s4, s10, s9
	s_mov_b64 s[8:9], 0
	s_branch .LBB183_230
.LBB183_227:                            ;   in Loop: Header=BB183_12 Depth=1
                                        ; implicit-def: $sgpr4_sgpr5
	s_branch .LBB183_180
.LBB183_228:                            ;   in Loop: Header=BB183_12 Depth=1
	v_readlane_b32 s35, v46, 41
                                        ; implicit-def: $sgpr4_sgpr5
	s_branch .LBB183_197
.LBB183_229:                            ;   in Loop: Header=BB183_12 Depth=1
	s_mov_b64 s[8:9], -1
                                        ; implicit-def: $sgpr4_sgpr5
.LBB183_230:                            ;   in Loop: Header=BB183_12 Depth=1
	s_andn2_b64 vcc, exec, s[8:9]
	s_cbranch_vccnz .LBB183_232
; %bb.231:                              ;   in Loop: Header=BB183_12 Depth=1
	v_cvt_f32_u32_e32 v2, s55
	s_sub_i32 s4, 0, s55
	v_rcp_iflag_f32_e32 v2, v2
	v_mul_f32_e32 v2, 0x4f7ffffe, v2
	v_cvt_u32_f32_e32 v2, v2
	v_readfirstlane_b32 s5, v2
	s_mul_i32 s4, s4, s5
	s_mul_hi_u32 s4, s5, s4
	s_add_i32 s5, s5, s4
	s_mul_hi_u32 s4, s12, s5
	s_mul_i32 s4, s4, s55
	s_sub_i32 s4, s12, s4
	s_sub_i32 s5, s4, s55
	s_cmp_ge_u32 s4, s55
	s_cselect_b32 s4, s5, s4
	s_sub_i32 s5, s4, s55
	s_cmp_ge_u32 s4, s55
	s_cselect_b32 s52, s5, s4
	s_mov_b64 s[4:5], s[52:53]
.LBB183_232:                            ;   in Loop: Header=BB183_12 Depth=1
	s_sub_u32 s12, s12, s4
	s_subb_u32 s13, s11, s5
	v_cmp_gt_u64_e32 vcc, s[12:13], v[0:1]
	s_mov_b64 s[10:11], 0
	s_mov_b64 s[8:9], 0
                                        ; implicit-def: $vgpr10_vgpr11
	s_and_saveexec_b64 s[58:59], vcc
	s_cbranch_execz .LBB183_242
; %bb.233:                              ;   in Loop: Header=BB183_12 Depth=1
	v_mov_b32_e32 v31, v1
	v_mov_b32_e32 v18, v36
	;; [unrolled: 1-line block ×3, first 2 shown]
                                        ; implicit-def: $sgpr4_sgpr5
	s_branch .LBB183_237
.LBB183_234:                            ;   in Loop: Header=BB183_237 Depth=2
	s_or_b64 exec, exec, s[42:43]
	s_waitcnt lgkmcnt(0)
	s_barrier
	ds_read_b128 v[8:11], v19 offset:3072
	s_waitcnt lgkmcnt(0)
	s_barrier
	v_cmp_neq_f64_e32 vcc, 0, v[8:9]
	s_cbranch_vccnz .LBB183_240
; %bb.235:                              ;   in Loop: Header=BB183_237 Depth=2
	v_add_co_u32_e32 v30, vcc, s55, v30
	v_addc_co_u32_e32 v31, vcc, 0, v31, vcc
	v_cmp_le_u64_e32 vcc, s[12:13], v[30:31]
	v_add_u32_e32 v18, s62, v18
	s_mov_b64 s[42:43], 0
	s_orn2_b64 vcc, vcc, exec
.LBB183_236:                            ;   in Loop: Header=BB183_237 Depth=2
	s_and_b64 vcc, exec, vcc
	s_or_b64 s[8:9], vcc, s[8:9]
	s_andn2_b64 s[4:5], s[4:5], exec
	s_and_b64 s[42:43], s[42:43], exec
	s_or_b64 s[4:5], s[4:5], s[42:43]
	s_andn2_b64 exec, exec, s[8:9]
	s_cbranch_execz .LBB183_241
.LBB183_237:                            ;   Parent Loop BB183_12 Depth=1
                                        ; =>  This Inner Loop Header: Depth=2
	v_cmp_gt_u64_e32 vcc, s[34:35], v[30:31]
	s_and_saveexec_b64 s[42:43], vcc
	s_cbranch_execz .LBB183_234
; %bb.238:                              ;   in Loop: Header=BB183_237 Depth=2
	ds_read_b64 v[4:5], v18
	s_waitcnt lgkmcnt(0)
	v_cmp_o_f64_e32 vcc, v[4:5], v[4:5]
	v_ashrrev_i32_e32 v2, 31, v5
	v_or_b32_e32 v8, 0x80000000, v2
	v_xor_b32_e32 v8, v8, v5
	v_xor_b32_e32 v2, v2, v4
	v_cndmask_b32_e32 v8, -1, v8, vcc
	v_cndmask_b32_e32 v2, -1, v2, vcc
	v_and_b32_e32 v9, v8, v15
	v_and_b32_e32 v8, v2, v14
	v_cmp_eq_u64_e32 vcc, v[8:9], v[12:13]
	s_and_b64 exec, exec, vcc
	s_cbranch_execz .LBB183_234
; %bb.239:                              ;   in Loop: Header=BB183_237 Depth=2
	v_mov_b32_e32 v2, v19
	ds_write_b128 v19, v[2:5] offset:3072
	s_branch .LBB183_234
.LBB183_240:                            ;   in Loop: Header=BB183_237 Depth=2
	s_mov_b64 vcc, -1
                                        ; implicit-def: $vgpr30_vgpr31
                                        ; implicit-def: $vgpr18
	s_mov_b64 s[42:43], -1
	s_branch .LBB183_236
.LBB183_241:                            ;   in Loop: Header=BB183_12 Depth=1
	s_or_b64 exec, exec, s[8:9]
	s_and_b64 s[8:9], s[4:5], exec
.LBB183_242:                            ;   in Loop: Header=BB183_12 Depth=1
	s_or_b64 exec, exec, s[58:59]
	v_readlane_b32 s42, v46, 54
	v_readlane_b32 s43, v46, 55
	s_mov_b64 s[58:59], s[8:9]
.LBB183_243:                            ;   in Loop: Header=BB183_12 Depth=1
	s_and_b64 vcc, exec, s[10:11]
	s_cbranch_vccz .LBB183_246
; %bb.244:                              ;   in Loop: Header=BB183_12 Depth=1
	s_mov_b32 s60, s53
	s_cmp_lg_u64 s[60:61], 0
	s_cbranch_scc0 .LBB183_247
; %bb.245:                              ;   in Loop: Header=BB183_12 Depth=1
	v_cvt_f32_u32_e32 v2, s55
	s_sub_u32 s8, 0, s55
	s_subb_u32 s9, 0, 0
	v_mac_f32_e32 v2, 0, v41
	v_rcp_f32_e32 v2, v2
	v_mul_f32_e32 v2, 0x5f7ffffc, v2
	v_mul_f32_e32 v4, 0x2f800000, v2
	v_trunc_f32_e32 v4, v4
	v_mac_f32_e32 v2, 0xcf800000, v4
	v_cvt_u32_f32_e32 v4, v4
	v_cvt_u32_f32_e32 v2, v2
	v_readfirstlane_b32 s10, v4
	v_readfirstlane_b32 s4, v2
	s_mul_i32 s5, s8, s10
	s_mul_hi_u32 s12, s8, s4
	s_mul_i32 s11, s9, s4
	s_add_i32 s5, s12, s5
	s_mul_i32 s13, s8, s4
	s_add_i32 s5, s5, s11
	s_mul_hi_u32 s12, s4, s13
	s_mul_i32 s34, s4, s5
	s_mul_hi_u32 s11, s4, s5
	s_add_u32 s12, s12, s34
	s_addc_u32 s11, 0, s11
	s_mul_hi_u32 s35, s10, s13
	s_mul_i32 s13, s10, s13
	s_add_u32 s12, s12, s13
	s_mul_hi_u32 s34, s10, s5
	s_addc_u32 s11, s11, s35
	s_addc_u32 s12, s34, 0
	s_mul_i32 s5, s10, s5
	s_add_u32 s5, s11, s5
	s_addc_u32 s11, 0, s12
	s_add_u32 s12, s4, s5
	s_cselect_b64 s[4:5], -1, 0
	s_cmp_lg_u64 s[4:5], 0
	s_addc_u32 s10, s10, s11
	s_mul_i32 s4, s8, s10
	s_mul_hi_u32 s5, s8, s12
	s_add_i32 s4, s5, s4
	s_mul_i32 s9, s9, s12
	s_add_i32 s4, s4, s9
	s_mul_i32 s8, s8, s12
	s_mul_hi_u32 s9, s10, s8
	s_mul_i32 s11, s10, s8
	s_mul_i32 s34, s12, s4
	s_mul_hi_u32 s8, s12, s8
	s_mul_hi_u32 s13, s12, s4
	s_add_u32 s8, s8, s34
	s_addc_u32 s13, 0, s13
	s_add_u32 s8, s8, s11
	s_mul_hi_u32 s5, s10, s4
	s_addc_u32 s8, s13, s9
	s_addc_u32 s5, s5, 0
	s_mul_i32 s4, s10, s4
	s_add_u32 s4, s8, s4
	s_addc_u32 s8, 0, s5
	s_add_u32 s9, s12, s4
	s_cselect_b64 s[4:5], -1, 0
	s_cmp_lg_u64 s[4:5], 0
	s_addc_u32 s4, s10, s8
	v_readlane_b32 s13, v46, 41
	s_mul_i32 s8, s13, s4
	s_mul_hi_u32 s10, s13, s9
	s_mul_hi_u32 s5, s13, s4
	s_add_u32 s8, s10, s8
	s_addc_u32 s5, 0, s5
	s_mul_hi_u32 s11, s61, s9
	s_mul_i32 s9, s61, s9
	s_add_u32 s8, s8, s9
	s_mul_hi_u32 s10, s61, s4
	s_addc_u32 s5, s5, s11
	s_addc_u32 s8, s10, 0
	s_mul_i32 s4, s61, s4
	s_add_u32 s4, s5, s4
	s_addc_u32 s5, 0, s8
	s_mul_i32 s5, s55, s5
	s_mul_hi_u32 s8, s55, s4
	s_add_i32 s8, s8, s5
	s_mul_i32 s4, s55, s4
	s_sub_u32 s9, s13, s4
	s_cselect_b64 s[4:5], -1, 0
	s_cmp_lg_u64 s[4:5], 0
	s_subb_u32 s8, s61, s8
	s_sub_u32 s10, s9, s55
	s_cselect_b64 s[4:5], -1, 0
	s_cmp_lg_u64 s[4:5], 0
	s_subb_u32 s11, s8, 0
	s_sub_u32 s12, s10, s55
	s_cselect_b64 s[4:5], -1, 0
	s_cmp_lg_u64 s[4:5], 0
	s_subb_u32 s4, s11, 0
	s_cmp_ge_u32 s10, s55
	s_cselect_b32 s5, -1, 0
	s_cmp_eq_u32 s11, 0
	s_cselect_b32 s5, s5, -1
	s_cmp_lg_u32 s5, 0
	s_cselect_b32 s4, s4, s11
	s_cselect_b32 s10, s12, s10
	s_cmp_ge_u32 s9, s55
	s_cselect_b32 s5, -1, 0
	s_cmp_eq_u32 s8, 0
	s_cselect_b32 s5, s5, -1
	s_cmp_lg_u32 s5, 0
	s_cselect_b32 s5, s4, s8
	s_cselect_b32 s4, s10, s9
	s_mov_b64 s[8:9], 0
	s_branch .LBB183_248
.LBB183_246:                            ;   in Loop: Header=BB183_12 Depth=1
	s_mov_b64 s[34:35], -1
	s_mov_b64 s[12:13], 0
	s_branch .LBB183_261
.LBB183_247:                            ;   in Loop: Header=BB183_12 Depth=1
	s_mov_b64 s[8:9], -1
	v_readlane_b32 s13, v46, 41
                                        ; implicit-def: $sgpr4_sgpr5
.LBB183_248:                            ;   in Loop: Header=BB183_12 Depth=1
	s_andn2_b64 vcc, exec, s[8:9]
	s_cbranch_vccnz .LBB183_250
; %bb.249:                              ;   in Loop: Header=BB183_12 Depth=1
	v_cvt_f32_u32_e32 v2, s55
	s_sub_i32 s4, 0, s55
	v_rcp_iflag_f32_e32 v2, v2
	v_mul_f32_e32 v2, 0x4f7ffffe, v2
	v_cvt_u32_f32_e32 v2, v2
	v_readfirstlane_b32 s5, v2
	s_mul_i32 s4, s4, s5
	s_mul_hi_u32 s4, s5, s4
	s_add_i32 s5, s5, s4
	s_mul_hi_u32 s4, s13, s5
	s_mul_i32 s4, s4, s55
	s_sub_i32 s4, s13, s4
	s_sub_i32 s5, s4, s55
	s_cmp_ge_u32 s4, s55
	s_cselect_b32 s4, s5, s4
	s_sub_i32 s5, s4, s55
	s_cmp_ge_u32 s4, s55
	s_cselect_b32 s52, s5, s4
	s_mov_b64 s[4:5], s[52:53]
.LBB183_250:                            ;   in Loop: Header=BB183_12 Depth=1
	s_sub_u32 s10, s13, s4
	s_subb_u32 s11, s61, s5
	v_cmp_gt_u64_e32 vcc, s[10:11], v[0:1]
                                        ; implicit-def: $vgpr10_vgpr11
	s_and_saveexec_b64 s[8:9], vcc
	s_cbranch_execz .LBB183_260
; %bb.251:                              ;   in Loop: Header=BB183_12 Depth=1
	v_mov_b32_e32 v31, v1
	v_writelane_b32 v46, s42, 54
	s_mov_b64 s[12:13], 0
	v_mov_b32_e32 v30, v0
	v_writelane_b32 v46, s43, 55
                                        ; implicit-def: $sgpr34_sgpr35
	s_branch .LBB183_255
.LBB183_252:                            ;   in Loop: Header=BB183_255 Depth=2
	s_or_b64 exec, exec, s[4:5]
	s_waitcnt lgkmcnt(0)
	s_barrier
	ds_read_b128 v[8:11], v19 offset:3072
	s_waitcnt lgkmcnt(0)
	s_barrier
	v_cmp_eq_f64_e32 vcc, 0, v[8:9]
	s_cbranch_vccz .LBB183_258
; %bb.253:                              ;   in Loop: Header=BB183_255 Depth=2
	v_add_co_u32_e32 v30, vcc, s55, v30
	v_addc_co_u32_e32 v31, vcc, 0, v31, vcc
	v_cmp_le_u64_e32 vcc, s[10:11], v[30:31]
	s_mov_b64 s[4:5], 0
	s_orn2_b64 s[42:43], vcc, exec
.LBB183_254:                            ;   in Loop: Header=BB183_255 Depth=2
	s_and_b64 s[42:43], exec, s[42:43]
	s_or_b64 s[12:13], s[42:43], s[12:13]
	s_andn2_b64 s[34:35], s[34:35], exec
	s_and_b64 s[4:5], s[4:5], exec
	s_or_b64 s[34:35], s[34:35], s[4:5]
	s_andn2_b64 exec, exec, s[12:13]
	s_cbranch_execz .LBB183_259
.LBB183_255:                            ;   Parent Loop BB183_12 Depth=1
                                        ; =>  This Inner Loop Header: Depth=2
	v_cmp_gt_u64_e32 vcc, s[24:25], v[30:31]
	s_and_saveexec_b64 s[4:5], vcc
	s_cbranch_execz .LBB183_252
; %bb.256:                              ;   in Loop: Header=BB183_255 Depth=2
	v_mul_lo_u32 v2, v31, s22
	v_mul_lo_u32 v8, v30, s23
	v_mad_u64_u32 v[4:5], s[42:43], v30, s22, 0
	v_add3_u32 v5, v5, v8, v2
	v_lshlrev_b64 v[4:5], 3, v[4:5]
	v_mov_b32_e32 v2, s54
	v_add_co_u32_e32 v4, vcc, s33, v4
	v_addc_co_u32_e32 v5, vcc, v2, v5, vcc
	global_load_dwordx2 v[4:5], v[4:5], off
	s_waitcnt vmcnt(0)
	v_cmp_o_f64_e32 vcc, v[4:5], v[4:5]
	v_ashrrev_i32_e32 v2, 31, v5
	v_or_b32_e32 v8, 0x80000000, v2
	v_xor_b32_e32 v8, v8, v5
	v_xor_b32_e32 v2, v2, v4
	v_cndmask_b32_e32 v8, -1, v8, vcc
	v_cndmask_b32_e32 v2, -1, v2, vcc
	v_and_b32_e32 v9, v8, v15
	v_and_b32_e32 v8, v2, v14
	v_cmp_eq_u64_e32 vcc, v[8:9], v[12:13]
	s_and_b64 exec, exec, vcc
	s_cbranch_execz .LBB183_252
; %bb.257:                              ;   in Loop: Header=BB183_255 Depth=2
	v_mov_b32_e32 v2, v19
	ds_write_b128 v19, v[2:5] offset:3072
	s_branch .LBB183_252
.LBB183_258:                            ;   in Loop: Header=BB183_255 Depth=2
	s_mov_b64 s[42:43], -1
                                        ; implicit-def: $vgpr30_vgpr31
	s_mov_b64 s[4:5], -1
	s_branch .LBB183_254
.LBB183_259:                            ;   in Loop: Header=BB183_12 Depth=1
	s_or_b64 exec, exec, s[12:13]
	s_andn2_b64 s[4:5], s[58:59], exec
	s_and_b64 s[10:11], s[34:35], exec
	v_readlane_b32 s42, v46, 54
	s_or_b64 s[58:59], s[4:5], s[10:11]
	v_readlane_b32 s43, v46, 55
.LBB183_260:                            ;   in Loop: Header=BB183_12 Depth=1
	s_or_b64 exec, exec, s[8:9]
	s_mov_b64 s[34:35], 0
	s_mov_b64 s[12:13], -1
.LBB183_261:                            ;   in Loop: Header=BB183_12 Depth=1
	s_orn2_b64 s[4:5], s[58:59], exec
.LBB183_262:                            ;   in Loop: Header=BB183_12 Depth=1
	v_readlane_b32 s8, v46, 50
	v_readlane_b32 s9, v46, 51
	s_or_b64 exec, exec, s[8:9]
	s_mov_b64 s[8:9], 0
	s_and_saveexec_b64 s[10:11], s[4:5]
	s_cbranch_execz .LBB183_273
; %bb.263:                              ;   in Loop: Header=BB183_12 Depth=1
	v_readlane_b32 s4, v46, 52
	v_readlane_b32 s5, v46, 53
	v_mov_b32_e32 v4, 1
	s_xor_b64 s[8:9], s[4:5], -1
	v_mov_b32_e32 v5, 0
	v_mov_b32_e32 v42, 1
	s_and_saveexec_b64 s[4:5], s[8:9]
	s_cbranch_execz .LBB183_272
; %bb.264:                              ;   in Loop: Header=BB183_12 Depth=1
	v_cmp_ge_u64_e32 vcc, s[50:51], v[28:29]
	s_mov_b64 s[58:59], s[12:13]
	s_and_saveexec_b64 s[8:9], vcc
	s_xor_b64 s[8:9], exec, s[8:9]
	s_cbranch_execz .LBB183_269
; %bb.265:                              ;   in Loop: Header=BB183_12 Depth=1
	ds_read_b64 v[4:5], v19 offset:5120
	v_or_b32_e32 v13, s19, v13
	v_or_b32_e32 v12, s18, v12
	;; [unrolled: 1-line block ×4, first 2 shown]
	s_waitcnt lgkmcnt(0)
	v_cmp_ne_u64_e32 vcc, 0, v[4:5]
	s_cbranch_vccnz .LBB183_269
; %bb.266:                              ;   in Loop: Header=BB183_12 Depth=1
	s_mov_b64 vcc, s[34:35]
	s_mov_b64 s[12:13], exec
	v_readlane_b32 s34, v46, 12
	v_readlane_b32 s35, v46, 13
	s_and_b64 s[34:35], s[12:13], s[34:35]
	s_mov_b64 exec, s[34:35]
; %bb.267:                              ;   in Loop: Header=BB183_12 Depth=1
	v_mov_b32_e32 v4, s50
	v_mov_b32_e32 v5, s51
	ds_write_b64 v19, v[4:5] offset:5128
; %bb.268:                              ;   in Loop: Header=BB183_12 Depth=1
	s_or_b64 exec, exec, s[12:13]
	s_mov_b64 s[34:35], vcc
	s_waitcnt lgkmcnt(0)
	s_barrier
.LBB183_269:                            ;   in Loop: Header=BB183_12 Depth=1
	s_andn2_saveexec_b64 s[8:9], s[8:9]
; %bb.270:                              ;   in Loop: Header=BB183_12 Depth=1
	v_mov_b32_e32 v2, s51
	v_subrev_co_u32_e32 v28, vcc, s50, v28
	v_subb_co_u32_e32 v29, vcc, v29, v2, vcc
; %bb.271:                              ;   in Loop: Header=BB183_12 Depth=1
	s_or_b64 exec, exec, s[8:9]
	v_mov_b32_e32 v4, v28
	v_mov_b32_e32 v42, 8
	v_mov_b32_e32 v5, v29
	s_mov_b64 s[12:13], s[58:59]
.LBB183_272:                            ;   in Loop: Header=BB183_12 Depth=1
	s_or_b64 exec, exec, s[4:5]
	v_mov_b32_e32 v29, v5
	s_mov_b64 s[8:9], exec
	v_mov_b32_e32 v28, v4
.LBB183_273:                            ;   in Loop: Header=BB183_12 Depth=1
	s_or_b64 exec, exec, s[10:11]
	s_orn2_b64 s[4:5], s[8:9], exec
.LBB183_274:                            ;   in Loop: Header=BB183_12 Depth=1
	s_or_b64 exec, exec, s[20:21]
	s_andn2_b64 s[8:9], s[64:65], exec
	s_and_b64 s[10:11], s[12:13], exec
	s_or_b64 s[64:65], s[8:9], s[10:11]
	s_andn2_b64 s[8:9], s[42:43], exec
	s_and_b64 s[10:11], s[34:35], exec
	v_mov_b32_e32 v31, v29
	s_or_b64 s[42:43], s[8:9], s[10:11]
	s_and_b64 s[8:9], s[4:5], exec
	v_mov_b32_e32 v30, v28
.LBB183_275:                            ;   in Loop: Header=BB183_12 Depth=1
	s_or_b64 exec, exec, s[66:67]
	s_orn2_b64 s[4:5], s[8:9], exec
.LBB183_276:                            ;   in Loop: Header=BB183_12 Depth=1
	s_or_b64 exec, exec, s[40:41]
	s_andn2_b64 s[8:9], s[30:31], exec
	s_and_b64 s[10:11], s[64:65], exec
	s_or_b64 s[30:31], s[8:9], s[10:11]
	s_andn2_b64 s[8:9], s[28:29], exec
	s_and_b64 s[10:11], s[42:43], exec
	v_mov_b32_e32 v28, v30
	s_or_b64 s[28:29], s[8:9], s[10:11]
	s_and_b64 s[8:9], s[4:5], exec
	v_mov_b32_e32 v29, v31
.LBB183_277:                            ;   in Loop: Header=BB183_12 Depth=1
	s_or_b64 exec, exec, s[2:3]
	s_orn2_b64 s[2:3], s[8:9], exec
.LBB183_278:                            ;   in Loop: Header=BB183_12 Depth=1
	s_or_b64 exec, exec, s[6:7]
	s_mov_b64 s[4:5], 0
	s_mov_b64 s[6:7], 0
	s_and_saveexec_b64 s[8:9], s[2:3]
	s_xor_b64 s[2:3], exec, s[8:9]
; %bb.279:                              ;   in Loop: Header=BB183_12 Depth=1
	v_cmp_eq_u32_e32 vcc, 8, v42
	v_cmp_ne_u32_e64 s[6:7], 8, v42
	s_and_b64 s[6:7], s[6:7], exec
	s_and_b64 s[4:5], vcc, exec
; %bb.280:                              ;   in Loop: Header=BB183_12 Depth=1
	s_or_b64 exec, exec, s[2:3]
	s_andn2_b64 s[2:3], s[38:39], exec
	s_and_b64 s[8:9], s[30:31], exec
	s_or_b64 s[38:39], s[2:3], s[8:9]
	s_andn2_b64 s[2:3], s[36:37], exec
	s_and_b64 s[8:9], s[28:29], exec
	s_or_b64 s[36:37], s[2:3], s[8:9]
	s_and_b64 s[28:29], s[6:7], exec
	s_and_b64 s[30:31], s[4:5], exec
.LBB183_281:                            ;   in Loop: Header=BB183_12 Depth=1
	s_or_b64 exec, exec, s[46:47]
.LBB183_282:                            ;   in Loop: Header=BB183_12 Depth=1
	s_and_b64 vcc, exec, s[44:45]
	s_cbranch_vccz .LBB183_299
; %bb.283:                              ;   in Loop: Header=BB183_12 Depth=1
	s_cmp_eq_u64 s[50:51], 1
	s_cselect_b64 s[2:3], -1, 0
	s_and_b64 s[2:3], s[2:3], s[14:15]
	s_mov_b64 s[4:5], -1
                                        ; implicit-def: $sgpr14_sgpr15
                                        ; implicit-def: $sgpr92_sgpr93
	s_and_saveexec_b64 s[6:7], s[2:3]
	s_cbranch_execz .LBB183_318
; %bb.284:                              ;   in Loop: Header=BB183_12 Depth=1
	ds_read_b64 v[4:5], v19 offset:5120
	s_waitcnt lgkmcnt(0)
	s_barrier
	v_readfirstlane_b32 s10, v4
	v_readfirstlane_b32 s11, v5
	s_mov_b64 s[4:5], exec
	v_readlane_b32 s8, v46, 36
	v_readlane_b32 s9, v46, 37
	s_and_b64 s[8:9], s[4:5], s[8:9]
	s_mov_b64 exec, s[8:9]
; %bb.285:                              ;   in Loop: Header=BB183_12 Depth=1
	v_mov_b32_e32 v18, v19
	ds_write_b64 v37, v[18:19]
; %bb.286:                              ;   in Loop: Header=BB183_12 Depth=1
	s_or_b64 exec, exec, s[4:5]
	v_or_b32_e32 v23, s19, v23
	v_or_b32_e32 v22, s18, v22
	;; [unrolled: 1-line block ×4, first 2 shown]
	s_mov_b64 s[92:93], -1
	s_mov_b64 s[14:15], 0
	s_cmp_eq_u64 s[10:11], 0
	s_mov_b64 s[8:9], 0
	s_mov_b64 s[20:21], -1
	s_waitcnt lgkmcnt(0)
	s_barrier
                                        ; implicit-def: $vgpr6_vgpr7
	s_cbranch_scc1 .LBB183_302
; %bb.287:                              ;   in Loop: Header=BB183_12 Depth=1
	v_readlane_b32 s4, v46, 40
	s_add_u32 s20, s10, s4
	v_readlane_b32 s4, v46, 42
	s_addc_u32 s9, s11, s4
	s_mov_b32 s8, s53
	s_cmp_lg_u64 s[8:9], 0
	s_cbranch_scc0 .LBB183_345
; %bb.288:                              ;   in Loop: Header=BB183_12 Depth=1
	v_cvt_f32_u32_e32 v2, s55
	s_sub_u32 s8, 0, s55
	s_subb_u32 s12, 0, 0
	v_mac_f32_e32 v2, 0, v41
	v_rcp_f32_e32 v2, v2
	v_mul_f32_e32 v2, 0x5f7ffffc, v2
	v_mul_f32_e32 v4, 0x2f800000, v2
	v_trunc_f32_e32 v4, v4
	v_mac_f32_e32 v2, 0xcf800000, v4
	v_cvt_u32_f32_e32 v4, v4
	v_cvt_u32_f32_e32 v2, v2
	v_readfirstlane_b32 s13, v4
	v_readfirstlane_b32 s4, v2
	s_mul_i32 s5, s8, s13
	s_mul_hi_u32 s34, s8, s4
	s_mul_i32 s21, s12, s4
	s_add_i32 s5, s34, s5
	s_mul_i32 s35, s8, s4
	s_add_i32 s5, s5, s21
	s_mul_hi_u32 s34, s4, s35
	s_mul_i32 s36, s4, s5
	s_mul_hi_u32 s21, s4, s5
	s_add_u32 s34, s34, s36
	s_addc_u32 s21, 0, s21
	s_mul_hi_u32 s37, s13, s35
	s_mul_i32 s35, s13, s35
	s_add_u32 s34, s34, s35
	s_mul_hi_u32 s36, s13, s5
	s_addc_u32 s21, s21, s37
	s_addc_u32 s34, s36, 0
	s_mul_i32 s5, s13, s5
	s_add_u32 s5, s21, s5
	s_addc_u32 s21, 0, s34
	s_add_u32 s34, s4, s5
	s_cselect_b64 s[4:5], -1, 0
	s_cmp_lg_u64 s[4:5], 0
	s_addc_u32 s13, s13, s21
	s_mul_i32 s4, s8, s13
	s_mul_hi_u32 s5, s8, s34
	s_add_i32 s4, s5, s4
	s_mul_i32 s12, s12, s34
	s_add_i32 s4, s4, s12
	s_mul_i32 s8, s8, s34
	s_mul_hi_u32 s12, s13, s8
	s_mul_i32 s21, s13, s8
	s_mul_i32 s36, s34, s4
	s_mul_hi_u32 s8, s34, s8
	s_mul_hi_u32 s35, s34, s4
	s_add_u32 s8, s8, s36
	s_addc_u32 s35, 0, s35
	s_add_u32 s8, s8, s21
	s_mul_hi_u32 s5, s13, s4
	s_addc_u32 s8, s35, s12
	s_addc_u32 s5, s5, 0
	s_mul_i32 s4, s13, s4
	s_add_u32 s4, s8, s4
	s_addc_u32 s8, 0, s5
	s_add_u32 s12, s34, s4
	s_cselect_b64 s[4:5], -1, 0
	s_cmp_lg_u64 s[4:5], 0
	s_addc_u32 s4, s13, s8
	s_mul_i32 s8, s20, s4
	s_mul_hi_u32 s13, s20, s12
	s_mul_hi_u32 s5, s20, s4
	s_add_u32 s8, s13, s8
	s_addc_u32 s5, 0, s5
	s_mul_hi_u32 s21, s9, s12
	s_mul_i32 s12, s9, s12
	s_add_u32 s8, s8, s12
	s_mul_hi_u32 s13, s9, s4
	s_addc_u32 s5, s5, s21
	s_addc_u32 s8, s13, 0
	s_mul_i32 s4, s9, s4
	s_add_u32 s4, s5, s4
	s_addc_u32 s5, 0, s8
	s_mul_i32 s5, s55, s5
	s_mul_hi_u32 s8, s55, s4
	s_add_i32 s8, s8, s5
	s_mul_i32 s4, s55, s4
	s_sub_u32 s12, s20, s4
	s_cselect_b64 s[4:5], -1, 0
	s_cmp_lg_u64 s[4:5], 0
	s_subb_u32 s8, s9, s8
	s_sub_u32 s13, s12, s55
	s_cselect_b64 s[4:5], -1, 0
	s_cmp_lg_u64 s[4:5], 0
	s_subb_u32 s21, s8, 0
	s_sub_u32 s34, s13, s55
	s_cselect_b64 s[4:5], -1, 0
	s_cmp_lg_u64 s[4:5], 0
	s_subb_u32 s4, s21, 0
	s_cmp_ge_u32 s13, s55
	s_cselect_b32 s5, -1, 0
	s_cmp_eq_u32 s21, 0
	s_cselect_b32 s5, s5, -1
	s_cmp_lg_u32 s5, 0
	s_cselect_b32 s4, s4, s21
	s_cselect_b32 s13, s34, s13
	s_cmp_ge_u32 s12, s55
	s_cselect_b32 s5, -1, 0
	s_cmp_eq_u32 s8, 0
	s_cselect_b32 s5, s5, -1
	s_cmp_lg_u32 s5, 0
	s_cselect_b32 s5, s4, s8
	s_cselect_b32 s4, s13, s12
	s_cbranch_execnz .LBB183_290
.LBB183_289:                            ;   in Loop: Header=BB183_12 Depth=1
	v_cvt_f32_u32_e32 v2, s55
	s_sub_i32 s4, 0, s55
	v_rcp_iflag_f32_e32 v2, v2
	v_mul_f32_e32 v2, 0x4f7ffffe, v2
	v_cvt_u32_f32_e32 v2, v2
	v_readfirstlane_b32 s5, v2
	s_mul_i32 s4, s4, s5
	s_mul_hi_u32 s4, s5, s4
	s_add_i32 s5, s5, s4
	s_mul_hi_u32 s4, s20, s5
	s_mul_i32 s4, s4, s55
	s_sub_i32 s4, s20, s4
	s_sub_i32 s5, s4, s55
	s_cmp_ge_u32 s4, s55
	s_cselect_b32 s4, s5, s4
	s_sub_i32 s5, s4, s55
	s_cmp_ge_u32 s4, s55
	s_cselect_b32 s52, s5, s4
	s_mov_b64 s[4:5], s[52:53]
.LBB183_290:                            ;   in Loop: Header=BB183_12 Depth=1
	s_sub_u32 s36, s20, s4
	s_subb_u32 s37, s9, s5
	v_cmp_gt_u64_e32 vcc, s[36:37], v[0:1]
	s_mov_b64 s[20:21], 0
	s_mov_b64 s[8:9], 0
                                        ; implicit-def: $vgpr6_vgpr7
	s_and_saveexec_b64 s[34:35], vcc
	s_cbranch_execz .LBB183_301
; %bb.291:                              ;   in Loop: Header=BB183_12 Depth=1
	v_mov_b32_e32 v9, v1
	v_mov_b32_e32 v10, v36
	;; [unrolled: 1-line block ×3, first 2 shown]
                                        ; implicit-def: $sgpr12_sgpr13
	s_branch .LBB183_295
.LBB183_292:                            ;   in Loop: Header=BB183_295 Depth=2
	s_or_b64 exec, exec, s[4:5]
	s_waitcnt lgkmcnt(0)
	s_barrier
	ds_read_b128 v[4:7], v19 offset:3072
	s_waitcnt lgkmcnt(0)
	s_barrier
	v_cmp_neq_f64_e32 vcc, 0, v[4:5]
	s_cbranch_vccnz .LBB183_298
; %bb.293:                              ;   in Loop: Header=BB183_295 Depth=2
	v_add_co_u32_e32 v8, vcc, s55, v8
	v_addc_co_u32_e32 v9, vcc, 0, v9, vcc
	v_cmp_le_u64_e32 vcc, s[36:37], v[8:9]
	v_add_u32_e32 v10, s62, v10
	s_mov_b64 s[4:5], 0
	s_orn2_b64 s[38:39], vcc, exec
.LBB183_294:                            ;   in Loop: Header=BB183_295 Depth=2
	s_and_b64 s[38:39], exec, s[38:39]
	s_or_b64 s[8:9], s[38:39], s[8:9]
	s_andn2_b64 s[12:13], s[12:13], exec
	s_and_b64 s[4:5], s[4:5], exec
	s_or_b64 s[12:13], s[12:13], s[4:5]
	s_andn2_b64 exec, exec, s[8:9]
	s_cbranch_execz .LBB183_300
.LBB183_295:                            ;   Parent Loop BB183_12 Depth=1
                                        ; =>  This Inner Loop Header: Depth=2
	v_cmp_gt_u64_e32 vcc, s[10:11], v[8:9]
	s_and_saveexec_b64 s[4:5], vcc
	s_cbranch_execz .LBB183_292
; %bb.296:                              ;   in Loop: Header=BB183_295 Depth=2
	ds_read_b64 v[4:5], v10
	s_waitcnt lgkmcnt(0)
	v_cmp_o_f64_e32 vcc, v[4:5], v[4:5]
	v_ashrrev_i32_e32 v2, 31, v5
	v_or_b32_e32 v6, 0x80000000, v2
	v_xor_b32_e32 v6, v6, v5
	v_xor_b32_e32 v2, v2, v4
	v_cndmask_b32_e32 v6, -1, v6, vcc
	v_cndmask_b32_e32 v2, -1, v2, vcc
	v_and_b32_e32 v7, v6, v25
	v_and_b32_e32 v6, v2, v24
	v_cmp_eq_u64_e32 vcc, v[6:7], v[22:23]
	s_and_b64 exec, exec, vcc
	s_cbranch_execz .LBB183_292
; %bb.297:                              ;   in Loop: Header=BB183_295 Depth=2
	v_mov_b32_e32 v2, v19
	ds_write_b128 v19, v[2:5] offset:3072
	s_branch .LBB183_292
.LBB183_298:                            ;   in Loop: Header=BB183_295 Depth=2
	s_mov_b64 s[38:39], -1
                                        ; implicit-def: $vgpr8_vgpr9
                                        ; implicit-def: $vgpr10
	s_mov_b64 s[4:5], -1
	s_branch .LBB183_294
.LBB183_299:                            ;   in Loop: Header=BB183_12 Depth=1
	v_mov_b32_e32 v23, v13
	v_mov_b32_e32 v25, v15
	;; [unrolled: 1-line block ×3, first 2 shown]
	s_mov_b64 s[14:15], 0
	v_mov_b32_e32 v22, v12
	v_mov_b32_e32 v24, v14
	;; [unrolled: 1-line block ×3, first 2 shown]
	s_and_saveexec_b64 s[2:3], s[30:31]
	s_cbranch_execnz .LBB183_483
	s_branch .LBB183_484
.LBB183_300:                            ;   in Loop: Header=BB183_12 Depth=1
	s_or_b64 exec, exec, s[8:9]
	s_and_b64 s[8:9], s[12:13], exec
.LBB183_301:                            ;   in Loop: Header=BB183_12 Depth=1
	s_or_b64 exec, exec, s[34:35]
.LBB183_302:                            ;   in Loop: Header=BB183_12 Depth=1
	s_and_b64 vcc, exec, s[20:21]
	s_cbranch_vccz .LBB183_317
; %bb.303:                              ;   in Loop: Header=BB183_12 Depth=1
	s_mov_b32 s60, s53
	s_cmp_lg_u64 s[60:61], 0
	s_cbranch_scc0 .LBB183_346
; %bb.304:                              ;   in Loop: Header=BB183_12 Depth=1
	v_cvt_f32_u32_e32 v2, s55
	s_sub_u32 s10, 0, s55
	s_subb_u32 s11, 0, 0
	v_mac_f32_e32 v2, 0, v41
	v_rcp_f32_e32 v2, v2
	v_mul_f32_e32 v2, 0x5f7ffffc, v2
	v_mul_f32_e32 v4, 0x2f800000, v2
	v_trunc_f32_e32 v4, v4
	v_mac_f32_e32 v2, 0xcf800000, v4
	v_cvt_u32_f32_e32 v4, v4
	v_cvt_u32_f32_e32 v2, v2
	v_readfirstlane_b32 s12, v4
	v_readfirstlane_b32 s4, v2
	s_mul_i32 s5, s10, s12
	s_mul_hi_u32 s14, s10, s4
	s_mul_i32 s13, s11, s4
	s_add_i32 s5, s14, s5
	s_mul_i32 s15, s10, s4
	s_add_i32 s5, s5, s13
	s_mul_hi_u32 s14, s4, s15
	s_mul_i32 s20, s4, s5
	s_mul_hi_u32 s13, s4, s5
	s_add_u32 s14, s14, s20
	s_addc_u32 s13, 0, s13
	s_mul_hi_u32 s21, s12, s15
	s_mul_i32 s15, s12, s15
	s_add_u32 s14, s14, s15
	s_mul_hi_u32 s20, s12, s5
	s_addc_u32 s13, s13, s21
	s_addc_u32 s14, s20, 0
	s_mul_i32 s5, s12, s5
	s_add_u32 s5, s13, s5
	s_addc_u32 s13, 0, s14
	s_add_u32 s14, s4, s5
	s_cselect_b64 s[4:5], -1, 0
	s_cmp_lg_u64 s[4:5], 0
	s_addc_u32 s12, s12, s13
	s_mul_i32 s4, s10, s12
	s_mul_hi_u32 s5, s10, s14
	s_add_i32 s4, s5, s4
	s_mul_i32 s11, s11, s14
	s_add_i32 s4, s4, s11
	s_mul_i32 s10, s10, s14
	s_mul_hi_u32 s11, s12, s10
	s_mul_i32 s13, s12, s10
	s_mul_i32 s20, s14, s4
	s_mul_hi_u32 s10, s14, s10
	s_mul_hi_u32 s15, s14, s4
	s_add_u32 s10, s10, s20
	s_addc_u32 s15, 0, s15
	s_add_u32 s10, s10, s13
	s_mul_hi_u32 s5, s12, s4
	s_addc_u32 s10, s15, s11
	s_addc_u32 s5, s5, 0
	s_mul_i32 s4, s12, s4
	s_add_u32 s4, s10, s4
	s_addc_u32 s10, 0, s5
	s_add_u32 s11, s14, s4
	s_cselect_b64 s[4:5], -1, 0
	s_cmp_lg_u64 s[4:5], 0
	s_addc_u32 s4, s12, s10
	v_readlane_b32 s15, v46, 41
	s_mul_i32 s10, s15, s4
	s_mul_hi_u32 s12, s15, s11
	s_mul_hi_u32 s5, s15, s4
	s_add_u32 s10, s12, s10
	s_addc_u32 s5, 0, s5
	s_mul_hi_u32 s13, s61, s11
	s_mul_i32 s11, s61, s11
	s_add_u32 s10, s10, s11
	s_mul_hi_u32 s12, s61, s4
	s_addc_u32 s5, s5, s13
	s_addc_u32 s10, s12, 0
	s_mul_i32 s4, s61, s4
	s_add_u32 s4, s5, s4
	s_addc_u32 s5, 0, s10
	s_mul_i32 s5, s55, s5
	s_mul_hi_u32 s10, s55, s4
	s_add_i32 s10, s10, s5
	s_mul_i32 s4, s55, s4
	s_sub_u32 s11, s15, s4
	s_cselect_b64 s[4:5], -1, 0
	s_cmp_lg_u64 s[4:5], 0
	s_subb_u32 s10, s61, s10
	s_sub_u32 s12, s11, s55
	s_cselect_b64 s[4:5], -1, 0
	s_cmp_lg_u64 s[4:5], 0
	s_subb_u32 s13, s10, 0
	s_sub_u32 s14, s12, s55
	s_cselect_b64 s[4:5], -1, 0
	s_cmp_lg_u64 s[4:5], 0
	s_subb_u32 s4, s13, 0
	s_cmp_ge_u32 s12, s55
	s_cselect_b32 s5, -1, 0
	s_cmp_eq_u32 s13, 0
	s_cselect_b32 s5, s5, -1
	s_cmp_lg_u32 s5, 0
	s_cselect_b32 s4, s4, s13
	s_cselect_b32 s12, s14, s12
	s_cmp_ge_u32 s11, s55
	s_cselect_b32 s5, -1, 0
	s_cmp_eq_u32 s10, 0
	s_cselect_b32 s5, s5, -1
	s_cmp_lg_u32 s5, 0
	s_cselect_b32 s5, s4, s10
	s_cselect_b32 s4, s12, s11
	s_cbranch_execnz .LBB183_306
.LBB183_305:                            ;   in Loop: Header=BB183_12 Depth=1
	v_cvt_f32_u32_e32 v2, s55
	s_sub_i32 s4, 0, s55
	v_rcp_iflag_f32_e32 v2, v2
	v_mul_f32_e32 v2, 0x4f7ffffe, v2
	v_cvt_u32_f32_e32 v2, v2
	v_readfirstlane_b32 s5, v2
	s_mul_i32 s4, s4, s5
	s_mul_hi_u32 s4, s5, s4
	s_add_i32 s5, s5, s4
	s_mul_hi_u32 s4, s15, s5
	s_mul_i32 s4, s4, s55
	s_sub_i32 s4, s15, s4
	s_sub_i32 s5, s4, s55
	s_cmp_ge_u32 s4, s55
	s_cselect_b32 s4, s5, s4
	s_sub_i32 s5, s4, s55
	s_cmp_ge_u32 s4, s55
	s_cselect_b32 s52, s5, s4
	s_mov_b64 s[4:5], s[52:53]
.LBB183_306:                            ;   in Loop: Header=BB183_12 Depth=1
	s_sub_u32 s14, s15, s4
	s_subb_u32 s15, s61, s5
	v_cmp_gt_u64_e32 vcc, s[14:15], v[0:1]
                                        ; implicit-def: $vgpr6_vgpr7
	s_and_saveexec_b64 s[10:11], vcc
	s_cbranch_execz .LBB183_316
; %bb.307:                              ;   in Loop: Header=BB183_12 Depth=1
	v_mov_b32_e32 v9, v1
	s_mov_b64 s[20:21], 0
	v_mov_b32_e32 v8, v0
                                        ; implicit-def: $sgpr12_sgpr13
	s_branch .LBB183_311
.LBB183_308:                            ;   in Loop: Header=BB183_311 Depth=2
	s_or_b64 exec, exec, s[4:5]
	s_waitcnt lgkmcnt(0)
	s_barrier
	ds_read_b128 v[4:7], v19 offset:3072
	s_waitcnt lgkmcnt(0)
	s_barrier
	v_cmp_neq_f64_e32 vcc, 0, v[4:5]
	s_cbranch_vccnz .LBB183_314
; %bb.309:                              ;   in Loop: Header=BB183_311 Depth=2
	v_add_co_u32_e32 v8, vcc, s55, v8
	v_addc_co_u32_e32 v9, vcc, 0, v9, vcc
	v_cmp_le_u64_e32 vcc, s[14:15], v[8:9]
	s_mov_b64 s[4:5], 0
	s_orn2_b64 s[34:35], vcc, exec
.LBB183_310:                            ;   in Loop: Header=BB183_311 Depth=2
	s_and_b64 s[34:35], exec, s[34:35]
	s_or_b64 s[20:21], s[34:35], s[20:21]
	s_andn2_b64 s[12:13], s[12:13], exec
	s_and_b64 s[4:5], s[4:5], exec
	s_or_b64 s[12:13], s[12:13], s[4:5]
	s_andn2_b64 exec, exec, s[20:21]
	s_cbranch_execz .LBB183_315
.LBB183_311:                            ;   Parent Loop BB183_12 Depth=1
                                        ; =>  This Inner Loop Header: Depth=2
	v_cmp_gt_u64_e32 vcc, s[24:25], v[8:9]
	s_and_saveexec_b64 s[4:5], vcc
	s_cbranch_execz .LBB183_308
; %bb.312:                              ;   in Loop: Header=BB183_311 Depth=2
	v_mul_lo_u32 v2, v9, s22
	v_mul_lo_u32 v6, v8, s23
	v_mad_u64_u32 v[4:5], s[34:35], v8, s22, 0
	v_add3_u32 v5, v5, v6, v2
	v_lshlrev_b64 v[4:5], 3, v[4:5]
	v_mov_b32_e32 v2, s54
	v_add_co_u32_e32 v4, vcc, s33, v4
	v_addc_co_u32_e32 v5, vcc, v2, v5, vcc
	global_load_dwordx2 v[4:5], v[4:5], off
	s_waitcnt vmcnt(0)
	v_cmp_o_f64_e32 vcc, v[4:5], v[4:5]
	v_ashrrev_i32_e32 v2, 31, v5
	v_or_b32_e32 v6, 0x80000000, v2
	v_xor_b32_e32 v6, v6, v5
	v_xor_b32_e32 v2, v2, v4
	v_cndmask_b32_e32 v6, -1, v6, vcc
	v_cndmask_b32_e32 v2, -1, v2, vcc
	v_and_b32_e32 v7, v6, v25
	v_and_b32_e32 v6, v2, v24
	v_cmp_eq_u64_e32 vcc, v[6:7], v[22:23]
	s_and_b64 exec, exec, vcc
	s_cbranch_execz .LBB183_308
; %bb.313:                              ;   in Loop: Header=BB183_311 Depth=2
	v_mov_b32_e32 v2, v19
	ds_write_b128 v19, v[2:5] offset:3072
	s_branch .LBB183_308
.LBB183_314:                            ;   in Loop: Header=BB183_311 Depth=2
	s_mov_b64 s[34:35], -1
                                        ; implicit-def: $vgpr8_vgpr9
	s_mov_b64 s[4:5], -1
	s_branch .LBB183_310
.LBB183_315:                            ;   in Loop: Header=BB183_12 Depth=1
	s_or_b64 exec, exec, s[20:21]
	s_andn2_b64 s[4:5], s[8:9], exec
	s_and_b64 s[8:9], s[12:13], exec
	s_or_b64 s[8:9], s[4:5], s[8:9]
.LBB183_316:                            ;   in Loop: Header=BB183_12 Depth=1
	s_or_b64 exec, exec, s[10:11]
	s_mov_b64 s[92:93], 0
	s_mov_b64 s[14:15], -1
.LBB183_317:                            ;   in Loop: Header=BB183_12 Depth=1
	s_orn2_b64 s[4:5], s[8:9], exec
.LBB183_318:                            ;   in Loop: Header=BB183_12 Depth=1
	s_or_b64 exec, exec, s[6:7]
                                        ; implicit-def: $vgpr28_vgpr29
                                        ; implicit-def: $vgpr42
	s_and_saveexec_b64 s[36:37], s[4:5]
	s_cbranch_execz .LBB183_482
; %bb.319:                              ;   in Loop: Header=BB183_12 Depth=1
	v_mov_b32_e32 v28, 1
	s_xor_b64 s[6:7], s[2:3], -1
	v_mov_b32_e32 v42, 1
	v_mov_b32_e32 v29, 0
	s_mov_b64 s[4:5], 0
	s_and_saveexec_b64 s[2:3], s[6:7]
	s_cbranch_execz .LBB183_328
; %bb.320:                              ;   in Loop: Header=BB183_12 Depth=1
	v_cmp_ge_u64_e32 vcc, s[50:51], v[26:27]
	s_and_saveexec_b64 s[4:5], vcc
	s_xor_b64 s[4:5], exec, s[4:5]
	s_cbranch_execz .LBB183_325
; %bb.321:                              ;   in Loop: Header=BB183_12 Depth=1
	ds_read_b64 v[4:5], v19 offset:5120
	v_or_b32_e32 v23, s19, v23
	v_or_b32_e32 v22, s18, v22
	;; [unrolled: 1-line block ×4, first 2 shown]
	s_waitcnt lgkmcnt(0)
	v_cmp_ne_u64_e32 vcc, 0, v[4:5]
	s_cbranch_vccnz .LBB183_325
; %bb.322:                              ;   in Loop: Header=BB183_12 Depth=1
	s_mov_b64 s[6:7], exec
	v_readlane_b32 s8, v46, 12
	v_readlane_b32 s9, v46, 13
	s_and_b64 s[8:9], s[6:7], s[8:9]
	s_mov_b64 exec, s[8:9]
; %bb.323:                              ;   in Loop: Header=BB183_12 Depth=1
	v_mov_b32_e32 v4, s50
	v_mov_b32_e32 v5, s51
	ds_write_b64 v19, v[4:5] offset:5128
; %bb.324:                              ;   in Loop: Header=BB183_12 Depth=1
	s_or_b64 exec, exec, s[6:7]
	s_waitcnt lgkmcnt(0)
	s_barrier
.LBB183_325:                            ;   in Loop: Header=BB183_12 Depth=1
	s_or_saveexec_b64 s[4:5], s[4:5]
	s_mov_b64 s[6:7], 0
	v_mov_b32_e32 v42, 5
	s_xor_b64 exec, exec, s[4:5]
; %bb.326:                              ;   in Loop: Header=BB183_12 Depth=1
	v_subrev_co_u32_e32 v26, vcc, s50, v26
	v_mov_b32_e32 v2, s51
	v_subb_co_u32_e32 v27, vcc, v27, v2, vcc
	v_mov_b32_e32 v42, 0
	s_mov_b64 s[6:7], exec
; %bb.327:                              ;   in Loop: Header=BB183_12 Depth=1
	s_or_b64 exec, exec, s[4:5]
	v_mov_b32_e32 v29, v27
	s_and_b64 s[4:5], s[6:7], exec
	v_mov_b32_e32 v28, v26
.LBB183_328:                            ;   in Loop: Header=BB183_12 Depth=1
	s_or_b64 exec, exec, s[2:3]
	s_mov_b64 s[2:3], -1
                                        ; implicit-def: $sgpr38_sgpr39
                                        ; implicit-def: $sgpr44_sgpr45
	s_and_saveexec_b64 s[6:7], s[4:5]
	s_xor_b64 s[6:7], exec, s[6:7]
	s_cbranch_execz .LBB183_479
; %bb.329:                              ;   in Loop: Header=BB183_12 Depth=1
	s_cmp_eq_u64 s[48:49], 1
	v_cmp_eq_u64_e32 vcc, 1, v[28:29]
	s_cselect_b64 s[2:3], -1, 0
	s_and_b64 s[2:3], s[2:3], vcc
	s_mov_b64 s[4:5], -1
                                        ; implicit-def: $sgpr44_sgpr45
                                        ; implicit-def: $sgpr38_sgpr39
	s_and_saveexec_b64 s[20:21], s[2:3]
	s_cbranch_execz .LBB183_365
; %bb.330:                              ;   in Loop: Header=BB183_12 Depth=1
	ds_read_b64 v[4:5], v19 offset:5120
	s_waitcnt lgkmcnt(0)
	s_barrier
	v_readfirstlane_b32 s10, v4
	v_readfirstlane_b32 s11, v5
	s_mov_b64 s[4:5], exec
	v_readlane_b32 s8, v46, 36
	v_readlane_b32 s9, v46, 37
	s_and_b64 s[8:9], s[4:5], s[8:9]
	s_mov_b64 exec, s[8:9]
; %bb.331:                              ;   in Loop: Header=BB183_12 Depth=1
	v_mov_b32_e32 v18, v19
	ds_write_b64 v37, v[18:19]
; %bb.332:                              ;   in Loop: Header=BB183_12 Depth=1
	s_or_b64 exec, exec, s[4:5]
	s_lshl_b64 s[4:5], 2, s63
	v_and_b32_e32 v2, s91, v23
	v_and_b32_e32 v4, s90, v22
	v_or_b32_e32 v23, s5, v2
	v_or_b32_e32 v22, s4, v4
	;; [unrolled: 1-line block ×4, first 2 shown]
	s_mov_b64 s[38:39], -1
	s_mov_b64 s[44:45], 0
	s_cmp_eq_u64 s[10:11], 0
	s_mov_b64 s[8:9], 0
	s_mov_b64 s[34:35], -1
	s_waitcnt lgkmcnt(0)
	s_barrier
                                        ; implicit-def: $vgpr6_vgpr7
	s_cbranch_scc1 .LBB183_349
; %bb.333:                              ;   in Loop: Header=BB183_12 Depth=1
	v_readlane_b32 s4, v46, 40
	s_add_u32 s34, s10, s4
	v_readlane_b32 s4, v46, 42
	s_addc_u32 s9, s11, s4
	s_mov_b32 s8, s53
	s_cmp_lg_u64 s[8:9], 0
	s_cbranch_scc0 .LBB183_392
; %bb.334:                              ;   in Loop: Header=BB183_12 Depth=1
	v_cvt_f32_u32_e32 v2, s55
	s_sub_u32 s8, 0, s55
	s_subb_u32 s12, 0, 0
	v_mac_f32_e32 v2, 0, v41
	v_rcp_f32_e32 v2, v2
	v_mul_f32_e32 v2, 0x5f7ffffc, v2
	v_mul_f32_e32 v4, 0x2f800000, v2
	v_trunc_f32_e32 v4, v4
	v_mac_f32_e32 v2, 0xcf800000, v4
	v_cvt_u32_f32_e32 v4, v4
	v_cvt_u32_f32_e32 v2, v2
	v_readfirstlane_b32 s13, v4
	v_readfirstlane_b32 s4, v2
	s_mul_i32 s5, s8, s13
	s_mul_hi_u32 s40, s8, s4
	s_mul_i32 s35, s12, s4
	s_add_i32 s5, s40, s5
	s_mul_i32 s41, s8, s4
	s_add_i32 s5, s5, s35
	s_mul_hi_u32 s40, s4, s41
	s_mul_i32 s42, s4, s5
	s_mul_hi_u32 s35, s4, s5
	s_add_u32 s40, s40, s42
	s_addc_u32 s35, 0, s35
	s_mul_hi_u32 s43, s13, s41
	s_mul_i32 s41, s13, s41
	s_add_u32 s40, s40, s41
	s_mul_hi_u32 s42, s13, s5
	s_addc_u32 s35, s35, s43
	s_addc_u32 s40, s42, 0
	s_mul_i32 s5, s13, s5
	s_add_u32 s5, s35, s5
	s_addc_u32 s35, 0, s40
	s_add_u32 s40, s4, s5
	s_cselect_b64 s[4:5], -1, 0
	s_cmp_lg_u64 s[4:5], 0
	s_addc_u32 s13, s13, s35
	s_mul_i32 s4, s8, s13
	s_mul_hi_u32 s5, s8, s40
	s_add_i32 s4, s5, s4
	s_mul_i32 s12, s12, s40
	s_add_i32 s4, s4, s12
	s_mul_i32 s8, s8, s40
	s_mul_hi_u32 s12, s13, s8
	s_mul_i32 s35, s13, s8
	s_mul_i32 s42, s40, s4
	s_mul_hi_u32 s8, s40, s8
	s_mul_hi_u32 s41, s40, s4
	s_add_u32 s8, s8, s42
	s_addc_u32 s41, 0, s41
	s_add_u32 s8, s8, s35
	s_mul_hi_u32 s5, s13, s4
	s_addc_u32 s8, s41, s12
	s_addc_u32 s5, s5, 0
	s_mul_i32 s4, s13, s4
	s_add_u32 s4, s8, s4
	s_addc_u32 s8, 0, s5
	s_add_u32 s12, s40, s4
	s_cselect_b64 s[4:5], -1, 0
	s_cmp_lg_u64 s[4:5], 0
	s_addc_u32 s4, s13, s8
	s_mul_i32 s8, s34, s4
	s_mul_hi_u32 s13, s34, s12
	s_mul_hi_u32 s5, s34, s4
	s_add_u32 s8, s13, s8
	s_addc_u32 s5, 0, s5
	s_mul_hi_u32 s35, s9, s12
	s_mul_i32 s12, s9, s12
	s_add_u32 s8, s8, s12
	s_mul_hi_u32 s13, s9, s4
	s_addc_u32 s5, s5, s35
	s_addc_u32 s8, s13, 0
	s_mul_i32 s4, s9, s4
	s_add_u32 s4, s5, s4
	s_addc_u32 s5, 0, s8
	s_mul_i32 s5, s55, s5
	s_mul_hi_u32 s8, s55, s4
	s_add_i32 s8, s8, s5
	s_mul_i32 s4, s55, s4
	s_sub_u32 s12, s34, s4
	s_cselect_b64 s[4:5], -1, 0
	s_cmp_lg_u64 s[4:5], 0
	s_subb_u32 s8, s9, s8
	s_sub_u32 s13, s12, s55
	s_cselect_b64 s[4:5], -1, 0
	s_cmp_lg_u64 s[4:5], 0
	s_subb_u32 s35, s8, 0
	;; [unrolled: 4-line block ×3, first 2 shown]
	s_cmp_ge_u32 s13, s55
	s_cselect_b32 s5, -1, 0
	s_cmp_eq_u32 s35, 0
	s_cselect_b32 s5, s5, -1
	s_cmp_lg_u32 s5, 0
	s_cselect_b32 s4, s4, s35
	s_cselect_b32 s13, s40, s13
	s_cmp_ge_u32 s12, s55
	s_cselect_b32 s5, -1, 0
	s_cmp_eq_u32 s8, 0
	s_cselect_b32 s5, s5, -1
	s_cmp_lg_u32 s5, 0
	s_cselect_b32 s5, s4, s8
	s_cselect_b32 s4, s13, s12
	s_cbranch_execnz .LBB183_336
.LBB183_335:                            ;   in Loop: Header=BB183_12 Depth=1
	v_cvt_f32_u32_e32 v2, s55
	s_sub_i32 s4, 0, s55
	v_rcp_iflag_f32_e32 v2, v2
	v_mul_f32_e32 v2, 0x4f7ffffe, v2
	v_cvt_u32_f32_e32 v2, v2
	v_readfirstlane_b32 s5, v2
	s_mul_i32 s4, s4, s5
	s_mul_hi_u32 s4, s5, s4
	s_add_i32 s5, s5, s4
	s_mul_hi_u32 s4, s34, s5
	s_mul_i32 s4, s4, s55
	s_sub_i32 s4, s34, s4
	s_sub_i32 s5, s4, s55
	s_cmp_ge_u32 s4, s55
	s_cselect_b32 s4, s5, s4
	s_sub_i32 s5, s4, s55
	s_cmp_ge_u32 s4, s55
	s_cselect_b32 s52, s5, s4
	s_mov_b64 s[4:5], s[52:53]
.LBB183_336:                            ;   in Loop: Header=BB183_12 Depth=1
	s_sub_u32 s42, s34, s4
	s_subb_u32 s43, s9, s5
	v_cmp_gt_u64_e32 vcc, s[42:43], v[0:1]
	s_mov_b64 s[34:35], 0
	s_mov_b64 s[8:9], 0
                                        ; implicit-def: $vgpr6_vgpr7
	s_and_saveexec_b64 s[40:41], vcc
	s_cbranch_execz .LBB183_348
; %bb.337:                              ;   in Loop: Header=BB183_12 Depth=1
	v_mov_b32_e32 v9, v1
	v_mov_b32_e32 v10, v36
	;; [unrolled: 1-line block ×3, first 2 shown]
                                        ; implicit-def: $sgpr12_sgpr13
	s_branch .LBB183_341
.LBB183_338:                            ;   in Loop: Header=BB183_341 Depth=2
	s_or_b64 exec, exec, s[4:5]
	s_waitcnt lgkmcnt(0)
	s_barrier
	ds_read_b128 v[4:7], v19 offset:3072
	s_waitcnt lgkmcnt(0)
	s_barrier
	v_cmp_neq_f64_e32 vcc, 0, v[4:5]
	s_cbranch_vccnz .LBB183_344
; %bb.339:                              ;   in Loop: Header=BB183_341 Depth=2
	v_add_co_u32_e32 v8, vcc, s55, v8
	v_addc_co_u32_e32 v9, vcc, 0, v9, vcc
	v_cmp_le_u64_e32 vcc, s[42:43], v[8:9]
	v_add_u32_e32 v10, s62, v10
	s_mov_b64 s[4:5], 0
	s_orn2_b64 s[46:47], vcc, exec
.LBB183_340:                            ;   in Loop: Header=BB183_341 Depth=2
	s_and_b64 s[46:47], exec, s[46:47]
	s_or_b64 s[8:9], s[46:47], s[8:9]
	s_andn2_b64 s[12:13], s[12:13], exec
	s_and_b64 s[4:5], s[4:5], exec
	s_or_b64 s[12:13], s[12:13], s[4:5]
	s_andn2_b64 exec, exec, s[8:9]
	s_cbranch_execz .LBB183_347
.LBB183_341:                            ;   Parent Loop BB183_12 Depth=1
                                        ; =>  This Inner Loop Header: Depth=2
	v_cmp_gt_u64_e32 vcc, s[10:11], v[8:9]
	s_and_saveexec_b64 s[4:5], vcc
	s_cbranch_execz .LBB183_338
; %bb.342:                              ;   in Loop: Header=BB183_341 Depth=2
	ds_read_b64 v[4:5], v10
	s_waitcnt lgkmcnt(0)
	v_cmp_o_f64_e32 vcc, v[4:5], v[4:5]
	v_ashrrev_i32_e32 v2, 31, v5
	v_or_b32_e32 v6, 0x80000000, v2
	v_xor_b32_e32 v6, v6, v5
	v_xor_b32_e32 v2, v2, v4
	v_cndmask_b32_e32 v6, -1, v6, vcc
	v_cndmask_b32_e32 v2, -1, v2, vcc
	v_and_b32_e32 v7, v6, v25
	v_and_b32_e32 v6, v2, v24
	v_cmp_eq_u64_e32 vcc, v[6:7], v[22:23]
	s_and_b64 exec, exec, vcc
	s_cbranch_execz .LBB183_338
; %bb.343:                              ;   in Loop: Header=BB183_341 Depth=2
	v_mov_b32_e32 v2, v19
	ds_write_b128 v19, v[2:5] offset:3072
	s_branch .LBB183_338
.LBB183_344:                            ;   in Loop: Header=BB183_341 Depth=2
	s_mov_b64 s[46:47], -1
                                        ; implicit-def: $vgpr8_vgpr9
                                        ; implicit-def: $vgpr10
	s_mov_b64 s[4:5], -1
	s_branch .LBB183_340
.LBB183_345:                            ;   in Loop: Header=BB183_12 Depth=1
                                        ; implicit-def: $sgpr4_sgpr5
	s_branch .LBB183_289
.LBB183_346:                            ;   in Loop: Header=BB183_12 Depth=1
	v_readlane_b32 s15, v46, 41
                                        ; implicit-def: $sgpr4_sgpr5
	s_branch .LBB183_305
.LBB183_347:                            ;   in Loop: Header=BB183_12 Depth=1
	s_or_b64 exec, exec, s[8:9]
	s_and_b64 s[8:9], s[12:13], exec
.LBB183_348:                            ;   in Loop: Header=BB183_12 Depth=1
	s_or_b64 exec, exec, s[40:41]
.LBB183_349:                            ;   in Loop: Header=BB183_12 Depth=1
	s_and_b64 vcc, exec, s[34:35]
	s_cbranch_vccz .LBB183_364
; %bb.350:                              ;   in Loop: Header=BB183_12 Depth=1
	s_mov_b32 s60, s53
	s_cmp_lg_u64 s[60:61], 0
	s_cbranch_scc0 .LBB183_393
; %bb.351:                              ;   in Loop: Header=BB183_12 Depth=1
	v_cvt_f32_u32_e32 v2, s55
	s_sub_u32 s10, 0, s55
	s_subb_u32 s11, 0, 0
	v_mac_f32_e32 v2, 0, v41
	v_rcp_f32_e32 v2, v2
	v_mul_f32_e32 v2, 0x5f7ffffc, v2
	v_mul_f32_e32 v4, 0x2f800000, v2
	v_trunc_f32_e32 v4, v4
	v_mac_f32_e32 v2, 0xcf800000, v4
	v_cvt_u32_f32_e32 v4, v4
	v_cvt_u32_f32_e32 v2, v2
	v_readfirstlane_b32 s12, v4
	v_readfirstlane_b32 s4, v2
	s_mul_i32 s5, s10, s12
	s_mul_hi_u32 s34, s10, s4
	s_mul_i32 s13, s11, s4
	s_add_i32 s5, s34, s5
	s_mul_i32 s35, s10, s4
	s_add_i32 s5, s5, s13
	s_mul_hi_u32 s34, s4, s35
	s_mul_i32 s38, s4, s5
	s_mul_hi_u32 s13, s4, s5
	s_add_u32 s34, s34, s38
	s_addc_u32 s13, 0, s13
	s_mul_hi_u32 s39, s12, s35
	s_mul_i32 s35, s12, s35
	s_add_u32 s34, s34, s35
	s_mul_hi_u32 s38, s12, s5
	s_addc_u32 s13, s13, s39
	s_addc_u32 s34, s38, 0
	s_mul_i32 s5, s12, s5
	s_add_u32 s5, s13, s5
	s_addc_u32 s13, 0, s34
	s_add_u32 s34, s4, s5
	s_cselect_b64 s[4:5], -1, 0
	s_cmp_lg_u64 s[4:5], 0
	s_addc_u32 s12, s12, s13
	s_mul_i32 s4, s10, s12
	s_mul_hi_u32 s5, s10, s34
	s_add_i32 s4, s5, s4
	s_mul_i32 s11, s11, s34
	s_add_i32 s4, s4, s11
	s_mul_i32 s10, s10, s34
	s_mul_hi_u32 s11, s12, s10
	s_mul_i32 s13, s12, s10
	s_mul_i32 s38, s34, s4
	s_mul_hi_u32 s10, s34, s10
	s_mul_hi_u32 s35, s34, s4
	s_add_u32 s10, s10, s38
	s_addc_u32 s35, 0, s35
	s_add_u32 s10, s10, s13
	s_mul_hi_u32 s5, s12, s4
	s_addc_u32 s10, s35, s11
	s_addc_u32 s5, s5, 0
	s_mul_i32 s4, s12, s4
	s_add_u32 s4, s10, s4
	s_addc_u32 s10, 0, s5
	s_add_u32 s11, s34, s4
	s_cselect_b64 s[4:5], -1, 0
	s_cmp_lg_u64 s[4:5], 0
	s_addc_u32 s4, s12, s10
	v_readlane_b32 s35, v46, 41
	s_mul_i32 s10, s35, s4
	s_mul_hi_u32 s12, s35, s11
	s_mul_hi_u32 s5, s35, s4
	s_add_u32 s10, s12, s10
	s_addc_u32 s5, 0, s5
	s_mul_hi_u32 s13, s61, s11
	s_mul_i32 s11, s61, s11
	s_add_u32 s10, s10, s11
	s_mul_hi_u32 s12, s61, s4
	s_addc_u32 s5, s5, s13
	s_addc_u32 s10, s12, 0
	s_mul_i32 s4, s61, s4
	s_add_u32 s4, s5, s4
	s_addc_u32 s5, 0, s10
	s_mul_i32 s5, s55, s5
	s_mul_hi_u32 s10, s55, s4
	s_add_i32 s10, s10, s5
	s_mul_i32 s4, s55, s4
	s_sub_u32 s11, s35, s4
	s_cselect_b64 s[4:5], -1, 0
	s_cmp_lg_u64 s[4:5], 0
	s_subb_u32 s10, s61, s10
	s_sub_u32 s12, s11, s55
	s_cselect_b64 s[4:5], -1, 0
	s_cmp_lg_u64 s[4:5], 0
	s_subb_u32 s13, s10, 0
	;; [unrolled: 4-line block ×3, first 2 shown]
	s_cmp_ge_u32 s12, s55
	s_cselect_b32 s5, -1, 0
	s_cmp_eq_u32 s13, 0
	s_cselect_b32 s5, s5, -1
	s_cmp_lg_u32 s5, 0
	s_cselect_b32 s4, s4, s13
	s_cselect_b32 s12, s34, s12
	s_cmp_ge_u32 s11, s55
	s_cselect_b32 s5, -1, 0
	s_cmp_eq_u32 s10, 0
	s_cselect_b32 s5, s5, -1
	s_cmp_lg_u32 s5, 0
	s_cselect_b32 s5, s4, s10
	s_cselect_b32 s4, s12, s11
	s_cbranch_execnz .LBB183_353
.LBB183_352:                            ;   in Loop: Header=BB183_12 Depth=1
	v_cvt_f32_u32_e32 v2, s55
	s_sub_i32 s4, 0, s55
	v_rcp_iflag_f32_e32 v2, v2
	v_mul_f32_e32 v2, 0x4f7ffffe, v2
	v_cvt_u32_f32_e32 v2, v2
	v_readfirstlane_b32 s5, v2
	s_mul_i32 s4, s4, s5
	s_mul_hi_u32 s4, s5, s4
	s_add_i32 s5, s5, s4
	s_mul_hi_u32 s4, s35, s5
	s_mul_i32 s4, s4, s55
	s_sub_i32 s4, s35, s4
	s_sub_i32 s5, s4, s55
	s_cmp_ge_u32 s4, s55
	s_cselect_b32 s4, s5, s4
	s_sub_i32 s5, s4, s55
	s_cmp_ge_u32 s4, s55
	s_cselect_b32 s52, s5, s4
	s_mov_b64 s[4:5], s[52:53]
.LBB183_353:                            ;   in Loop: Header=BB183_12 Depth=1
	s_sub_u32 s34, s35, s4
	s_subb_u32 s35, s61, s5
	v_cmp_gt_u64_e32 vcc, s[34:35], v[0:1]
                                        ; implicit-def: $vgpr6_vgpr7
	s_and_saveexec_b64 s[10:11], vcc
	s_cbranch_execz .LBB183_363
; %bb.354:                              ;   in Loop: Header=BB183_12 Depth=1
	v_mov_b32_e32 v9, v1
	s_mov_b64 s[12:13], 0
	v_mov_b32_e32 v8, v0
                                        ; implicit-def: $sgpr38_sgpr39
	s_branch .LBB183_358
.LBB183_355:                            ;   in Loop: Header=BB183_358 Depth=2
	s_or_b64 exec, exec, s[4:5]
	s_waitcnt lgkmcnt(0)
	s_barrier
	ds_read_b128 v[4:7], v19 offset:3072
	s_waitcnt lgkmcnt(0)
	s_barrier
	v_cmp_eq_f64_e32 vcc, 0, v[4:5]
	s_cbranch_vccz .LBB183_361
; %bb.356:                              ;   in Loop: Header=BB183_358 Depth=2
	v_add_co_u32_e32 v8, vcc, s55, v8
	v_addc_co_u32_e32 v9, vcc, 0, v9, vcc
	v_cmp_le_u64_e32 vcc, s[34:35], v[8:9]
	s_mov_b64 s[4:5], 0
	s_orn2_b64 s[40:41], vcc, exec
.LBB183_357:                            ;   in Loop: Header=BB183_358 Depth=2
	s_and_b64 s[40:41], exec, s[40:41]
	s_or_b64 s[12:13], s[40:41], s[12:13]
	s_andn2_b64 s[38:39], s[38:39], exec
	s_and_b64 s[4:5], s[4:5], exec
	s_or_b64 s[38:39], s[38:39], s[4:5]
	s_andn2_b64 exec, exec, s[12:13]
	s_cbranch_execz .LBB183_362
.LBB183_358:                            ;   Parent Loop BB183_12 Depth=1
                                        ; =>  This Inner Loop Header: Depth=2
	v_cmp_gt_u64_e32 vcc, s[24:25], v[8:9]
	s_and_saveexec_b64 s[4:5], vcc
	s_cbranch_execz .LBB183_355
; %bb.359:                              ;   in Loop: Header=BB183_358 Depth=2
	v_mul_lo_u32 v2, v9, s22
	v_mul_lo_u32 v6, v8, s23
	v_mad_u64_u32 v[4:5], s[40:41], v8, s22, 0
	v_add3_u32 v5, v5, v6, v2
	v_lshlrev_b64 v[4:5], 3, v[4:5]
	v_mov_b32_e32 v2, s54
	v_add_co_u32_e32 v4, vcc, s33, v4
	v_addc_co_u32_e32 v5, vcc, v2, v5, vcc
	global_load_dwordx2 v[4:5], v[4:5], off
	s_waitcnt vmcnt(0)
	v_cmp_o_f64_e32 vcc, v[4:5], v[4:5]
	v_ashrrev_i32_e32 v2, 31, v5
	v_or_b32_e32 v6, 0x80000000, v2
	v_xor_b32_e32 v6, v6, v5
	v_xor_b32_e32 v2, v2, v4
	v_cndmask_b32_e32 v6, -1, v6, vcc
	v_cndmask_b32_e32 v2, -1, v2, vcc
	v_and_b32_e32 v7, v6, v25
	v_and_b32_e32 v6, v2, v24
	v_cmp_eq_u64_e32 vcc, v[6:7], v[22:23]
	s_and_b64 exec, exec, vcc
	s_cbranch_execz .LBB183_355
; %bb.360:                              ;   in Loop: Header=BB183_358 Depth=2
	v_mov_b32_e32 v2, v19
	ds_write_b128 v19, v[2:5] offset:3072
	s_branch .LBB183_355
.LBB183_361:                            ;   in Loop: Header=BB183_358 Depth=2
	s_mov_b64 s[40:41], -1
                                        ; implicit-def: $vgpr8_vgpr9
	s_mov_b64 s[4:5], -1
	s_branch .LBB183_357
.LBB183_362:                            ;   in Loop: Header=BB183_12 Depth=1
	s_or_b64 exec, exec, s[12:13]
	s_andn2_b64 s[4:5], s[8:9], exec
	s_and_b64 s[8:9], s[38:39], exec
	s_or_b64 s[8:9], s[4:5], s[8:9]
.LBB183_363:                            ;   in Loop: Header=BB183_12 Depth=1
	s_or_b64 exec, exec, s[10:11]
	s_mov_b64 s[38:39], 0
	s_mov_b64 s[44:45], -1
.LBB183_364:                            ;   in Loop: Header=BB183_12 Depth=1
	s_orn2_b64 s[4:5], s[8:9], exec
.LBB183_365:                            ;   in Loop: Header=BB183_12 Depth=1
	s_or_b64 exec, exec, s[20:21]
	s_mov_b64 s[8:9], 0
	s_and_saveexec_b64 s[46:47], s[4:5]
	s_cbranch_execz .LBB183_478
; %bb.366:                              ;   in Loop: Header=BB183_12 Depth=1
	v_mov_b32_e32 v8, 1
	s_xor_b64 s[4:5], s[2:3], -1
	v_mov_b32_e32 v42, 1
	v_mov_b32_e32 v9, 0
	s_and_saveexec_b64 s[2:3], s[4:5]
	s_cbranch_execz .LBB183_375
; %bb.367:                              ;   in Loop: Header=BB183_12 Depth=1
	v_cmp_ge_u64_e32 vcc, s[48:49], v[28:29]
	s_and_saveexec_b64 s[4:5], vcc
	s_xor_b64 s[4:5], exec, s[4:5]
	s_cbranch_execz .LBB183_372
; %bb.368:                              ;   in Loop: Header=BB183_12 Depth=1
	s_lshl_b64 s[8:9], 2, s63
	v_and_b32_e32 v4, s90, v22
	v_or_b32_e32 v22, s8, v4
	ds_read_b64 v[4:5], v19 offset:5120
	v_and_b32_e32 v2, s91, v23
	v_or_b32_e32 v23, s9, v2
	v_or_b32_e32 v25, s19, v25
	;; [unrolled: 1-line block ×3, first 2 shown]
	s_waitcnt lgkmcnt(0)
	v_cmp_ne_u64_e32 vcc, 0, v[4:5]
	s_cbranch_vccnz .LBB183_372
; %bb.369:                              ;   in Loop: Header=BB183_12 Depth=1
	s_mov_b64 s[8:9], exec
	v_readlane_b32 s10, v46, 12
	v_readlane_b32 s11, v46, 13
	s_and_b64 s[10:11], s[8:9], s[10:11]
	s_mov_b64 exec, s[10:11]
; %bb.370:                              ;   in Loop: Header=BB183_12 Depth=1
	v_mov_b32_e32 v4, s48
	v_mov_b32_e32 v5, s49
	ds_write_b64 v19, v[4:5] offset:5128
; %bb.371:                              ;   in Loop: Header=BB183_12 Depth=1
	s_or_b64 exec, exec, s[8:9]
	s_waitcnt lgkmcnt(0)
	s_barrier
.LBB183_372:                            ;   in Loop: Header=BB183_12 Depth=1
	s_or_saveexec_b64 s[4:5], s[4:5]
	s_mov_b64 s[8:9], 0
	v_mov_b32_e32 v42, 5
	s_xor_b64 exec, exec, s[4:5]
; %bb.373:                              ;   in Loop: Header=BB183_12 Depth=1
	v_subrev_co_u32_e32 v28, vcc, s48, v28
	v_mov_b32_e32 v2, s49
	v_subb_co_u32_e32 v29, vcc, v29, v2, vcc
	v_mov_b32_e32 v42, 0
	s_mov_b64 s[8:9], exec
; %bb.374:                              ;   in Loop: Header=BB183_12 Depth=1
	s_or_b64 exec, exec, s[4:5]
	v_mov_b32_e32 v8, v28
	s_and_b64 s[8:9], s[8:9], exec
	v_mov_b32_e32 v9, v29
.LBB183_375:                            ;   in Loop: Header=BB183_12 Depth=1
	s_or_b64 exec, exec, s[2:3]
	s_mov_b64 s[4:5], -1
                                        ; implicit-def: $sgpr40_sgpr41
                                        ; implicit-def: $sgpr42_sgpr43
	s_and_saveexec_b64 s[2:3], s[8:9]
	s_cbranch_execz .LBB183_477
; %bb.376:                              ;   in Loop: Header=BB183_12 Depth=1
	s_cmp_eq_u64 s[94:95], 1
	v_cmp_eq_u64_e32 vcc, 1, v[8:9]
	s_cselect_b64 s[4:5], -1, 0
	s_and_b64 s[20:21], s[4:5], vcc
	s_mov_b64 s[4:5], -1
                                        ; implicit-def: $sgpr42_sgpr43
                                        ; implicit-def: $sgpr40_sgpr41
	s_and_saveexec_b64 s[48:49], s[20:21]
	s_cbranch_execz .LBB183_412
; %bb.377:                              ;   in Loop: Header=BB183_12 Depth=1
	ds_read_b64 v[4:5], v19 offset:5120
	s_waitcnt lgkmcnt(0)
	s_barrier
	v_readfirstlane_b32 s10, v4
	v_readfirstlane_b32 s11, v5
	s_mov_b64 s[4:5], exec
	v_readlane_b32 s8, v46, 36
	v_readlane_b32 s9, v46, 37
	s_and_b64 s[8:9], s[4:5], s[8:9]
	s_mov_b64 exec, s[8:9]
; %bb.378:                              ;   in Loop: Header=BB183_12 Depth=1
	v_mov_b32_e32 v18, v19
	ds_write_b64 v37, v[18:19]
; %bb.379:                              ;   in Loop: Header=BB183_12 Depth=1
	s_or_b64 exec, exec, s[4:5]
	s_lshl_b64 s[4:5], 1, s63
	v_and_b32_e32 v2, s91, v23
	v_and_b32_e32 v4, s90, v22
	v_or_b32_e32 v23, s5, v2
	v_or_b32_e32 v22, s4, v4
	;; [unrolled: 1-line block ×4, first 2 shown]
	s_mov_b64 s[40:41], -1
	s_mov_b64 s[42:43], 0
	s_cmp_eq_u64 s[10:11], 0
	s_mov_b64 s[8:9], 0
	s_mov_b64 s[34:35], -1
	s_waitcnt lgkmcnt(0)
	s_barrier
                                        ; implicit-def: $vgpr6_vgpr7
	s_cbranch_scc1 .LBB183_396
; %bb.380:                              ;   in Loop: Header=BB183_12 Depth=1
	v_readlane_b32 s4, v46, 40
	s_add_u32 s34, s10, s4
	v_readlane_b32 s4, v46, 42
	s_addc_u32 s9, s11, s4
	s_mov_b32 s8, s53
	s_cmp_lg_u64 s[8:9], 0
	s_cbranch_scc0 .LBB183_429
; %bb.381:                              ;   in Loop: Header=BB183_12 Depth=1
	v_cvt_f32_u32_e32 v2, s55
	s_sub_u32 s8, 0, s55
	s_subb_u32 s12, 0, 0
	v_mac_f32_e32 v2, 0, v41
	v_rcp_f32_e32 v2, v2
	v_mul_f32_e32 v2, 0x5f7ffffc, v2
	v_mul_f32_e32 v4, 0x2f800000, v2
	v_trunc_f32_e32 v4, v4
	v_mac_f32_e32 v2, 0xcf800000, v4
	v_cvt_u32_f32_e32 v4, v4
	v_cvt_u32_f32_e32 v2, v2
	v_readfirstlane_b32 s13, v4
	v_readfirstlane_b32 s4, v2
	s_mul_i32 s5, s8, s13
	s_mul_hi_u32 s50, s8, s4
	s_mul_i32 s35, s12, s4
	s_add_i32 s5, s50, s5
	s_mul_i32 s51, s8, s4
	s_add_i32 s5, s5, s35
	s_mul_hi_u32 s50, s4, s51
	s_mul_i32 s52, s4, s5
	s_mul_hi_u32 s35, s4, s5
	s_add_u32 s50, s50, s52
	s_addc_u32 s35, 0, s35
	s_mul_hi_u32 s58, s13, s51
	s_mul_i32 s51, s13, s51
	s_add_u32 s50, s50, s51
	s_mul_hi_u32 s52, s13, s5
	s_addc_u32 s35, s35, s58
	s_addc_u32 s50, s52, 0
	s_mul_i32 s5, s13, s5
	s_add_u32 s5, s35, s5
	s_addc_u32 s35, 0, s50
	s_add_u32 s50, s4, s5
	s_cselect_b64 s[4:5], -1, 0
	s_cmp_lg_u64 s[4:5], 0
	s_addc_u32 s13, s13, s35
	s_mul_i32 s4, s8, s13
	s_mul_hi_u32 s5, s8, s50
	s_add_i32 s4, s5, s4
	s_mul_i32 s12, s12, s50
	s_add_i32 s4, s4, s12
	s_mul_i32 s8, s8, s50
	s_mul_hi_u32 s12, s13, s8
	s_mul_i32 s35, s13, s8
	s_mul_i32 s52, s50, s4
	s_mul_hi_u32 s8, s50, s8
	s_mul_hi_u32 s51, s50, s4
	s_add_u32 s8, s8, s52
	s_addc_u32 s51, 0, s51
	s_add_u32 s8, s8, s35
	s_mul_hi_u32 s5, s13, s4
	s_addc_u32 s8, s51, s12
	s_addc_u32 s5, s5, 0
	s_mul_i32 s4, s13, s4
	s_add_u32 s4, s8, s4
	s_addc_u32 s8, 0, s5
	s_add_u32 s12, s50, s4
	s_cselect_b64 s[4:5], -1, 0
	s_cmp_lg_u64 s[4:5], 0
	s_addc_u32 s4, s13, s8
	s_mul_i32 s8, s34, s4
	s_mul_hi_u32 s13, s34, s12
	s_mul_hi_u32 s5, s34, s4
	s_add_u32 s8, s13, s8
	s_addc_u32 s5, 0, s5
	s_mul_hi_u32 s35, s9, s12
	s_mul_i32 s12, s9, s12
	s_add_u32 s8, s8, s12
	s_mul_hi_u32 s13, s9, s4
	s_addc_u32 s5, s5, s35
	s_addc_u32 s8, s13, 0
	s_mul_i32 s4, s9, s4
	s_add_u32 s4, s5, s4
	s_addc_u32 s5, 0, s8
	s_mul_i32 s5, s55, s5
	s_mul_hi_u32 s8, s55, s4
	s_add_i32 s8, s8, s5
	s_mul_i32 s4, s55, s4
	s_sub_u32 s12, s34, s4
	s_cselect_b64 s[4:5], -1, 0
	s_cmp_lg_u64 s[4:5], 0
	s_subb_u32 s8, s9, s8
	s_sub_u32 s13, s12, s55
	s_cselect_b64 s[4:5], -1, 0
	s_cmp_lg_u64 s[4:5], 0
	s_subb_u32 s35, s8, 0
	;; [unrolled: 4-line block ×3, first 2 shown]
	s_cmp_ge_u32 s13, s55
	s_cselect_b32 s5, -1, 0
	s_cmp_eq_u32 s35, 0
	s_cselect_b32 s5, s5, -1
	s_cmp_lg_u32 s5, 0
	s_cselect_b32 s4, s4, s35
	s_cselect_b32 s13, s50, s13
	s_cmp_ge_u32 s12, s55
	s_cselect_b32 s5, -1, 0
	s_cmp_eq_u32 s8, 0
	s_cselect_b32 s5, s5, -1
	s_cmp_lg_u32 s5, 0
	s_cselect_b32 s5, s4, s8
	s_cselect_b32 s4, s13, s12
	s_cbranch_execnz .LBB183_383
.LBB183_382:                            ;   in Loop: Header=BB183_12 Depth=1
	v_cvt_f32_u32_e32 v2, s55
	s_sub_i32 s4, 0, s55
	v_rcp_iflag_f32_e32 v2, v2
	v_mul_f32_e32 v2, 0x4f7ffffe, v2
	v_cvt_u32_f32_e32 v2, v2
	v_readfirstlane_b32 s5, v2
	s_mul_i32 s4, s4, s5
	s_mul_hi_u32 s4, s5, s4
	s_add_i32 s5, s5, s4
	s_mul_hi_u32 s4, s34, s5
	s_mul_i32 s4, s4, s55
	s_sub_i32 s4, s34, s4
	s_sub_i32 s5, s4, s55
	s_cmp_ge_u32 s4, s55
	s_cselect_b32 s4, s5, s4
	s_sub_i32 s5, s4, s55
	s_cmp_ge_u32 s4, s55
	s_cselect_b32 s52, s5, s4
	s_mov_b64 s[4:5], s[52:53]
.LBB183_383:                            ;   in Loop: Header=BB183_12 Depth=1
	s_sub_u32 s58, s34, s4
	s_subb_u32 s59, s9, s5
	v_cmp_gt_u64_e32 vcc, s[58:59], v[0:1]
	s_mov_b64 s[34:35], 0
	s_mov_b64 s[8:9], 0
                                        ; implicit-def: $vgpr6_vgpr7
	s_and_saveexec_b64 s[50:51], vcc
	s_cbranch_execz .LBB183_395
; %bb.384:                              ;   in Loop: Header=BB183_12 Depth=1
	v_mov_b32_e32 v11, v1
	v_mov_b32_e32 v12, v36
	;; [unrolled: 1-line block ×3, first 2 shown]
                                        ; implicit-def: $sgpr12_sgpr13
	s_branch .LBB183_388
.LBB183_385:                            ;   in Loop: Header=BB183_388 Depth=2
	s_or_b64 exec, exec, s[4:5]
	s_waitcnt lgkmcnt(0)
	s_barrier
	ds_read_b128 v[4:7], v19 offset:3072
	s_waitcnt lgkmcnt(0)
	s_barrier
	v_cmp_neq_f64_e32 vcc, 0, v[4:5]
	s_cbranch_vccnz .LBB183_391
; %bb.386:                              ;   in Loop: Header=BB183_388 Depth=2
	v_add_co_u32_e32 v10, vcc, s55, v10
	v_addc_co_u32_e32 v11, vcc, 0, v11, vcc
	v_cmp_le_u64_e32 vcc, s[58:59], v[10:11]
	v_add_u32_e32 v12, s62, v12
	s_mov_b64 s[4:5], 0
	s_orn2_b64 s[64:65], vcc, exec
.LBB183_387:                            ;   in Loop: Header=BB183_388 Depth=2
	s_and_b64 s[64:65], exec, s[64:65]
	s_or_b64 s[8:9], s[64:65], s[8:9]
	s_andn2_b64 s[12:13], s[12:13], exec
	s_and_b64 s[4:5], s[4:5], exec
	s_or_b64 s[12:13], s[12:13], s[4:5]
	s_andn2_b64 exec, exec, s[8:9]
	s_cbranch_execz .LBB183_394
.LBB183_388:                            ;   Parent Loop BB183_12 Depth=1
                                        ; =>  This Inner Loop Header: Depth=2
	v_cmp_gt_u64_e32 vcc, s[10:11], v[10:11]
	s_and_saveexec_b64 s[4:5], vcc
	s_cbranch_execz .LBB183_385
; %bb.389:                              ;   in Loop: Header=BB183_388 Depth=2
	ds_read_b64 v[4:5], v12
	s_waitcnt lgkmcnt(0)
	v_cmp_o_f64_e32 vcc, v[4:5], v[4:5]
	v_ashrrev_i32_e32 v2, 31, v5
	v_or_b32_e32 v6, 0x80000000, v2
	v_xor_b32_e32 v6, v6, v5
	v_xor_b32_e32 v2, v2, v4
	v_cndmask_b32_e32 v6, -1, v6, vcc
	v_cndmask_b32_e32 v2, -1, v2, vcc
	v_and_b32_e32 v7, v6, v25
	v_and_b32_e32 v6, v2, v24
	v_cmp_eq_u64_e32 vcc, v[6:7], v[22:23]
	s_and_b64 exec, exec, vcc
	s_cbranch_execz .LBB183_385
; %bb.390:                              ;   in Loop: Header=BB183_388 Depth=2
	v_mov_b32_e32 v2, v19
	ds_write_b128 v19, v[2:5] offset:3072
	s_branch .LBB183_385
.LBB183_391:                            ;   in Loop: Header=BB183_388 Depth=2
	s_mov_b64 s[64:65], -1
                                        ; implicit-def: $vgpr10_vgpr11
                                        ; implicit-def: $vgpr12
	s_mov_b64 s[4:5], -1
	s_branch .LBB183_387
.LBB183_392:                            ;   in Loop: Header=BB183_12 Depth=1
                                        ; implicit-def: $sgpr4_sgpr5
	s_branch .LBB183_335
.LBB183_393:                            ;   in Loop: Header=BB183_12 Depth=1
	v_readlane_b32 s35, v46, 41
                                        ; implicit-def: $sgpr4_sgpr5
	s_branch .LBB183_352
.LBB183_394:                            ;   in Loop: Header=BB183_12 Depth=1
	s_or_b64 exec, exec, s[8:9]
	s_and_b64 s[8:9], s[12:13], exec
.LBB183_395:                            ;   in Loop: Header=BB183_12 Depth=1
	s_or_b64 exec, exec, s[50:51]
.LBB183_396:                            ;   in Loop: Header=BB183_12 Depth=1
	s_and_b64 vcc, exec, s[34:35]
	s_cbranch_vccz .LBB183_411
; %bb.397:                              ;   in Loop: Header=BB183_12 Depth=1
	s_mov_b32 s60, s53
	s_cmp_lg_u64 s[60:61], 0
	s_cbranch_scc0 .LBB183_430
; %bb.398:                              ;   in Loop: Header=BB183_12 Depth=1
	v_cvt_f32_u32_e32 v2, s55
	s_sub_u32 s10, 0, s55
	s_subb_u32 s11, 0, 0
	v_mac_f32_e32 v2, 0, v41
	v_rcp_f32_e32 v2, v2
	v_mul_f32_e32 v2, 0x5f7ffffc, v2
	v_mul_f32_e32 v4, 0x2f800000, v2
	v_trunc_f32_e32 v4, v4
	v_mac_f32_e32 v2, 0xcf800000, v4
	v_cvt_u32_f32_e32 v4, v4
	v_cvt_u32_f32_e32 v2, v2
	v_readfirstlane_b32 s12, v4
	v_readfirstlane_b32 s4, v2
	s_mul_i32 s5, s10, s12
	s_mul_hi_u32 s34, s10, s4
	s_mul_i32 s13, s11, s4
	s_add_i32 s5, s34, s5
	s_mul_i32 s35, s10, s4
	s_add_i32 s5, s5, s13
	s_mul_hi_u32 s34, s4, s35
	s_mul_i32 s40, s4, s5
	s_mul_hi_u32 s13, s4, s5
	s_add_u32 s34, s34, s40
	s_addc_u32 s13, 0, s13
	s_mul_hi_u32 s41, s12, s35
	s_mul_i32 s35, s12, s35
	s_add_u32 s34, s34, s35
	s_mul_hi_u32 s40, s12, s5
	s_addc_u32 s13, s13, s41
	s_addc_u32 s34, s40, 0
	s_mul_i32 s5, s12, s5
	s_add_u32 s5, s13, s5
	s_addc_u32 s13, 0, s34
	s_add_u32 s34, s4, s5
	s_cselect_b64 s[4:5], -1, 0
	s_cmp_lg_u64 s[4:5], 0
	s_addc_u32 s12, s12, s13
	s_mul_i32 s4, s10, s12
	s_mul_hi_u32 s5, s10, s34
	s_add_i32 s4, s5, s4
	s_mul_i32 s11, s11, s34
	s_add_i32 s4, s4, s11
	s_mul_i32 s10, s10, s34
	s_mul_hi_u32 s11, s12, s10
	s_mul_i32 s13, s12, s10
	s_mul_i32 s40, s34, s4
	s_mul_hi_u32 s10, s34, s10
	s_mul_hi_u32 s35, s34, s4
	s_add_u32 s10, s10, s40
	s_addc_u32 s35, 0, s35
	s_add_u32 s10, s10, s13
	s_mul_hi_u32 s5, s12, s4
	s_addc_u32 s10, s35, s11
	s_addc_u32 s5, s5, 0
	s_mul_i32 s4, s12, s4
	s_add_u32 s4, s10, s4
	s_addc_u32 s10, 0, s5
	s_add_u32 s11, s34, s4
	s_cselect_b64 s[4:5], -1, 0
	s_cmp_lg_u64 s[4:5], 0
	s_addc_u32 s4, s12, s10
	v_readlane_b32 s35, v46, 41
	s_mul_i32 s10, s35, s4
	s_mul_hi_u32 s12, s35, s11
	s_mul_hi_u32 s5, s35, s4
	s_add_u32 s10, s12, s10
	s_addc_u32 s5, 0, s5
	s_mul_hi_u32 s13, s61, s11
	s_mul_i32 s11, s61, s11
	s_add_u32 s10, s10, s11
	s_mul_hi_u32 s12, s61, s4
	s_addc_u32 s5, s5, s13
	s_addc_u32 s10, s12, 0
	s_mul_i32 s4, s61, s4
	s_add_u32 s4, s5, s4
	s_addc_u32 s5, 0, s10
	s_mul_i32 s5, s55, s5
	s_mul_hi_u32 s10, s55, s4
	s_add_i32 s10, s10, s5
	s_mul_i32 s4, s55, s4
	s_sub_u32 s11, s35, s4
	s_cselect_b64 s[4:5], -1, 0
	s_cmp_lg_u64 s[4:5], 0
	s_subb_u32 s10, s61, s10
	s_sub_u32 s12, s11, s55
	s_cselect_b64 s[4:5], -1, 0
	s_cmp_lg_u64 s[4:5], 0
	s_subb_u32 s13, s10, 0
	;; [unrolled: 4-line block ×3, first 2 shown]
	s_cmp_ge_u32 s12, s55
	s_cselect_b32 s5, -1, 0
	s_cmp_eq_u32 s13, 0
	s_cselect_b32 s5, s5, -1
	s_cmp_lg_u32 s5, 0
	s_cselect_b32 s4, s4, s13
	s_cselect_b32 s12, s34, s12
	s_cmp_ge_u32 s11, s55
	s_cselect_b32 s5, -1, 0
	s_cmp_eq_u32 s10, 0
	s_cselect_b32 s5, s5, -1
	s_cmp_lg_u32 s5, 0
	s_cselect_b32 s5, s4, s10
	s_cselect_b32 s4, s12, s11
	s_cbranch_execnz .LBB183_400
.LBB183_399:                            ;   in Loop: Header=BB183_12 Depth=1
	v_cvt_f32_u32_e32 v2, s55
	s_sub_i32 s4, 0, s55
	v_rcp_iflag_f32_e32 v2, v2
	v_mul_f32_e32 v2, 0x4f7ffffe, v2
	v_cvt_u32_f32_e32 v2, v2
	v_readfirstlane_b32 s5, v2
	s_mul_i32 s4, s4, s5
	s_mul_hi_u32 s4, s5, s4
	s_add_i32 s5, s5, s4
	s_mul_hi_u32 s4, s35, s5
	s_mul_i32 s4, s4, s55
	s_sub_i32 s4, s35, s4
	s_sub_i32 s5, s4, s55
	s_cmp_ge_u32 s4, s55
	s_cselect_b32 s4, s5, s4
	s_sub_i32 s5, s4, s55
	s_cmp_ge_u32 s4, s55
	s_cselect_b32 s52, s5, s4
	s_mov_b64 s[4:5], s[52:53]
.LBB183_400:                            ;   in Loop: Header=BB183_12 Depth=1
	s_sub_u32 s34, s35, s4
	s_subb_u32 s35, s61, s5
	v_cmp_gt_u64_e32 vcc, s[34:35], v[0:1]
                                        ; implicit-def: $vgpr6_vgpr7
	s_and_saveexec_b64 s[10:11], vcc
	s_cbranch_execz .LBB183_410
; %bb.401:                              ;   in Loop: Header=BB183_12 Depth=1
	v_mov_b32_e32 v11, v1
	s_mov_b64 s[12:13], 0
	v_mov_b32_e32 v10, v0
                                        ; implicit-def: $sgpr40_sgpr41
	s_branch .LBB183_405
.LBB183_402:                            ;   in Loop: Header=BB183_405 Depth=2
	s_or_b64 exec, exec, s[4:5]
	s_waitcnt lgkmcnt(0)
	s_barrier
	ds_read_b128 v[4:7], v19 offset:3072
	s_waitcnt lgkmcnt(0)
	s_barrier
	v_cmp_eq_f64_e32 vcc, 0, v[4:5]
	s_cbranch_vccz .LBB183_408
; %bb.403:                              ;   in Loop: Header=BB183_405 Depth=2
	v_add_co_u32_e32 v10, vcc, s55, v10
	v_addc_co_u32_e32 v11, vcc, 0, v11, vcc
	v_cmp_le_u64_e32 vcc, s[34:35], v[10:11]
	s_mov_b64 s[4:5], 0
	s_orn2_b64 s[42:43], vcc, exec
.LBB183_404:                            ;   in Loop: Header=BB183_405 Depth=2
	s_and_b64 s[42:43], exec, s[42:43]
	s_or_b64 s[12:13], s[42:43], s[12:13]
	s_andn2_b64 s[40:41], s[40:41], exec
	s_and_b64 s[4:5], s[4:5], exec
	s_or_b64 s[40:41], s[40:41], s[4:5]
	s_andn2_b64 exec, exec, s[12:13]
	s_cbranch_execz .LBB183_409
.LBB183_405:                            ;   Parent Loop BB183_12 Depth=1
                                        ; =>  This Inner Loop Header: Depth=2
	v_cmp_gt_u64_e32 vcc, s[24:25], v[10:11]
	s_and_saveexec_b64 s[4:5], vcc
	s_cbranch_execz .LBB183_402
; %bb.406:                              ;   in Loop: Header=BB183_405 Depth=2
	v_mul_lo_u32 v2, v11, s22
	v_mul_lo_u32 v6, v10, s23
	v_mad_u64_u32 v[4:5], s[42:43], v10, s22, 0
	v_add3_u32 v5, v5, v6, v2
	v_lshlrev_b64 v[4:5], 3, v[4:5]
	v_mov_b32_e32 v2, s54
	v_add_co_u32_e32 v4, vcc, s33, v4
	v_addc_co_u32_e32 v5, vcc, v2, v5, vcc
	global_load_dwordx2 v[4:5], v[4:5], off
	s_waitcnt vmcnt(0)
	v_cmp_o_f64_e32 vcc, v[4:5], v[4:5]
	v_ashrrev_i32_e32 v2, 31, v5
	v_or_b32_e32 v6, 0x80000000, v2
	v_xor_b32_e32 v6, v6, v5
	v_xor_b32_e32 v2, v2, v4
	v_cndmask_b32_e32 v6, -1, v6, vcc
	v_cndmask_b32_e32 v2, -1, v2, vcc
	v_and_b32_e32 v7, v6, v25
	v_and_b32_e32 v6, v2, v24
	v_cmp_eq_u64_e32 vcc, v[6:7], v[22:23]
	s_and_b64 exec, exec, vcc
	s_cbranch_execz .LBB183_402
; %bb.407:                              ;   in Loop: Header=BB183_405 Depth=2
	v_mov_b32_e32 v2, v19
	ds_write_b128 v19, v[2:5] offset:3072
	s_branch .LBB183_402
.LBB183_408:                            ;   in Loop: Header=BB183_405 Depth=2
	s_mov_b64 s[42:43], -1
                                        ; implicit-def: $vgpr10_vgpr11
	s_mov_b64 s[4:5], -1
	s_branch .LBB183_404
.LBB183_409:                            ;   in Loop: Header=BB183_12 Depth=1
	s_or_b64 exec, exec, s[12:13]
	s_andn2_b64 s[4:5], s[8:9], exec
	s_and_b64 s[8:9], s[40:41], exec
	s_or_b64 s[8:9], s[4:5], s[8:9]
.LBB183_410:                            ;   in Loop: Header=BB183_12 Depth=1
	s_or_b64 exec, exec, s[10:11]
	s_mov_b64 s[40:41], 0
	s_mov_b64 s[42:43], -1
.LBB183_411:                            ;   in Loop: Header=BB183_12 Depth=1
	s_orn2_b64 s[4:5], s[8:9], exec
.LBB183_412:                            ;   in Loop: Header=BB183_12 Depth=1
	s_or_b64 exec, exec, s[48:49]
	s_mov_b64 s[8:9], 0
	s_and_saveexec_b64 s[48:49], s[4:5]
	s_cbranch_execz .LBB183_476
; %bb.413:                              ;   in Loop: Header=BB183_12 Depth=1
	v_mov_b32_e32 v10, 1
	s_xor_b64 s[4:5], s[20:21], -1
	v_mov_b32_e32 v42, 1
	v_mov_b32_e32 v11, 0
	s_mov_b64 s[12:13], 0
	s_and_saveexec_b64 s[8:9], s[4:5]
	s_cbranch_execz .LBB183_422
; %bb.414:                              ;   in Loop: Header=BB183_12 Depth=1
	v_cmp_ge_u64_e32 vcc, s[94:95], v[8:9]
	s_and_saveexec_b64 s[4:5], vcc
	s_xor_b64 s[4:5], exec, s[4:5]
	s_cbranch_execz .LBB183_419
; %bb.415:                              ;   in Loop: Header=BB183_12 Depth=1
	s_lshl_b64 s[10:11], 1, s63
	v_and_b32_e32 v4, s90, v22
	v_or_b32_e32 v22, s10, v4
	ds_read_b64 v[4:5], v19 offset:5120
	v_and_b32_e32 v2, s91, v23
	v_or_b32_e32 v23, s11, v2
	v_or_b32_e32 v25, s19, v25
	;; [unrolled: 1-line block ×3, first 2 shown]
	s_waitcnt lgkmcnt(0)
	v_cmp_ne_u64_e32 vcc, 0, v[4:5]
	s_cbranch_vccnz .LBB183_419
; %bb.416:                              ;   in Loop: Header=BB183_12 Depth=1
	s_mov_b64 s[10:11], exec
	v_readlane_b32 s12, v46, 12
	v_readlane_b32 s13, v46, 13
	s_and_b64 s[12:13], s[10:11], s[12:13]
	s_mov_b64 exec, s[12:13]
; %bb.417:                              ;   in Loop: Header=BB183_12 Depth=1
	v_mov_b32_e32 v4, s94
	v_mov_b32_e32 v5, s95
	ds_write_b64 v19, v[4:5] offset:5128
; %bb.418:                              ;   in Loop: Header=BB183_12 Depth=1
	s_or_b64 exec, exec, s[10:11]
	s_waitcnt lgkmcnt(0)
	s_barrier
.LBB183_419:                            ;   in Loop: Header=BB183_12 Depth=1
	s_or_saveexec_b64 s[4:5], s[4:5]
	s_mov_b64 s[10:11], 0
	v_mov_b32_e32 v42, 5
	s_xor_b64 exec, exec, s[4:5]
; %bb.420:                              ;   in Loop: Header=BB183_12 Depth=1
	v_subrev_co_u32_e32 v8, vcc, s94, v8
	v_mov_b32_e32 v2, s95
	v_subb_co_u32_e32 v9, vcc, v9, v2, vcc
	v_mov_b32_e32 v42, 0
	s_mov_b64 s[10:11], exec
; %bb.421:                              ;   in Loop: Header=BB183_12 Depth=1
	s_or_b64 exec, exec, s[4:5]
	v_mov_b32_e32 v11, v9
	s_and_b64 s[12:13], s[10:11], exec
	v_mov_b32_e32 v10, v8
.LBB183_422:                            ;   in Loop: Header=BB183_12 Depth=1
	s_or_b64 exec, exec, s[8:9]
	s_mov_b64 s[4:5], -1
                                        ; implicit-def: $sgpr10_sgpr11
                                        ; implicit-def: $sgpr8_sgpr9
	s_and_saveexec_b64 s[50:51], s[12:13]
	s_cbranch_execz .LBB183_475
; %bb.423:                              ;   in Loop: Header=BB183_12 Depth=1
	s_cmp_eq_u64 s[16:17], 1
	v_cmp_eq_u64_e32 vcc, 1, v[10:11]
	s_cselect_b64 s[4:5], -1, 0
	s_and_b64 s[58:59], s[4:5], vcc
	s_mov_b64 s[4:5], -1
                                        ; implicit-def: $sgpr10_sgpr11
                                        ; implicit-def: $sgpr8_sgpr9
	s_and_saveexec_b64 s[64:65], s[58:59]
	s_cbranch_execz .LBB183_463
; %bb.424:                              ;   in Loop: Header=BB183_12 Depth=1
	ds_read_b64 v[4:5], v19 offset:5120
	s_waitcnt lgkmcnt(0)
	s_barrier
	v_readfirstlane_b32 s94, v4
	v_readfirstlane_b32 s95, v5
	s_mov_b64 s[4:5], exec
	v_readlane_b32 s8, v46, 36
	v_readlane_b32 s9, v46, 37
	s_and_b64 s[8:9], s[4:5], s[8:9]
	s_mov_b64 exec, s[8:9]
; %bb.425:                              ;   in Loop: Header=BB183_12 Depth=1
	v_mov_b32_e32 v18, v19
	ds_write_b64 v37, v[18:19]
; %bb.426:                              ;   in Loop: Header=BB183_12 Depth=1
	s_or_b64 exec, exec, s[4:5]
	v_and_b32_e32 v23, s91, v23
	v_and_b32_e32 v22, s90, v22
	v_or_b32_e32 v25, s19, v25
	v_or_b32_e32 v24, s18, v24
	s_mov_b64 s[8:9], -1
	s_mov_b64 s[10:11], 0
	s_cmp_eq_u64 s[94:95], 0
	s_mov_b64 s[66:67], 0
	s_mov_b64 s[34:35], -1
	s_waitcnt lgkmcnt(0)
	s_barrier
                                        ; implicit-def: $vgpr6_vgpr7
	s_cbranch_scc1 .LBB183_445
; %bb.427:                              ;   in Loop: Header=BB183_12 Depth=1
	v_writelane_b32 v46, s58, 50
	v_writelane_b32 v46, s59, 51
	v_readlane_b32 s4, v46, 40
	s_add_u32 s20, s94, s4
	v_readlane_b32 s4, v46, 42
	s_addc_u32 s35, s95, s4
	s_mov_b32 s34, s53
	s_cmp_lg_u64 s[34:35], 0
	s_cbranch_scc0 .LBB183_431
; %bb.428:                              ;   in Loop: Header=BB183_12 Depth=1
	v_cvt_f32_u32_e32 v2, s55
	s_sub_u32 s12, 0, s55
	s_subb_u32 s13, 0, 0
	v_mac_f32_e32 v2, 0, v41
	v_rcp_f32_e32 v2, v2
	v_mul_f32_e32 v2, 0x5f7ffffc, v2
	v_mul_f32_e32 v4, 0x2f800000, v2
	v_trunc_f32_e32 v4, v4
	v_mac_f32_e32 v2, 0xcf800000, v4
	v_cvt_u32_f32_e32 v4, v4
	v_cvt_u32_f32_e32 v2, v2
	v_readfirstlane_b32 s21, v4
	v_readfirstlane_b32 s4, v2
	s_mul_i32 s5, s12, s21
	s_mul_hi_u32 s52, s12, s4
	s_mul_i32 s34, s13, s4
	s_add_i32 s5, s52, s5
	s_mul_i32 s58, s12, s4
	s_add_i32 s5, s5, s34
	s_mul_hi_u32 s52, s4, s58
	s_mul_i32 s59, s4, s5
	s_mul_hi_u32 s34, s4, s5
	s_add_u32 s52, s52, s59
	s_addc_u32 s34, 0, s34
	s_mul_hi_u32 s60, s21, s58
	s_mul_i32 s58, s21, s58
	s_add_u32 s52, s52, s58
	s_mul_hi_u32 s59, s21, s5
	s_addc_u32 s34, s34, s60
	s_addc_u32 s52, s59, 0
	s_mul_i32 s5, s21, s5
	s_add_u32 s5, s34, s5
	s_addc_u32 s34, 0, s52
	s_add_u32 s52, s4, s5
	s_cselect_b64 s[4:5], -1, 0
	s_cmp_lg_u64 s[4:5], 0
	s_addc_u32 s21, s21, s34
	s_mul_i32 s4, s12, s21
	s_mul_hi_u32 s5, s12, s52
	s_add_i32 s4, s5, s4
	s_mul_i32 s13, s13, s52
	s_add_i32 s4, s4, s13
	s_mul_i32 s12, s12, s52
	s_mul_hi_u32 s13, s21, s12
	s_mul_i32 s34, s21, s12
	s_mul_i32 s59, s52, s4
	s_mul_hi_u32 s12, s52, s12
	s_mul_hi_u32 s58, s52, s4
	s_add_u32 s12, s12, s59
	s_addc_u32 s58, 0, s58
	s_add_u32 s12, s12, s34
	s_mul_hi_u32 s5, s21, s4
	s_addc_u32 s12, s58, s13
	s_addc_u32 s5, s5, 0
	s_mul_i32 s4, s21, s4
	s_add_u32 s4, s12, s4
	s_addc_u32 s12, 0, s5
	s_add_u32 s13, s52, s4
	s_cselect_b64 s[4:5], -1, 0
	s_cmp_lg_u64 s[4:5], 0
	s_addc_u32 s4, s21, s12
	s_mul_i32 s12, s20, s4
	s_mul_hi_u32 s21, s20, s13
	s_mul_hi_u32 s5, s20, s4
	s_add_u32 s12, s21, s12
	s_addc_u32 s5, 0, s5
	s_mul_hi_u32 s34, s35, s13
	s_mul_i32 s13, s35, s13
	s_add_u32 s12, s12, s13
	s_mul_hi_u32 s21, s35, s4
	s_addc_u32 s5, s5, s34
	s_addc_u32 s12, s21, 0
	s_mul_i32 s4, s35, s4
	s_add_u32 s4, s5, s4
	s_addc_u32 s5, 0, s12
	s_mul_i32 s5, s55, s5
	s_mul_hi_u32 s12, s55, s4
	s_add_i32 s12, s12, s5
	s_mul_i32 s4, s55, s4
	s_sub_u32 s13, s20, s4
	s_cselect_b64 s[4:5], -1, 0
	s_cmp_lg_u64 s[4:5], 0
	s_subb_u32 s12, s35, s12
	s_sub_u32 s21, s13, s55
	s_cselect_b64 s[4:5], -1, 0
	s_cmp_lg_u64 s[4:5], 0
	s_subb_u32 s34, s12, 0
	;; [unrolled: 4-line block ×3, first 2 shown]
	s_cmp_ge_u32 s21, s55
	s_cselect_b32 s5, -1, 0
	s_cmp_eq_u32 s34, 0
	s_cselect_b32 s5, s5, -1
	s_cmp_lg_u32 s5, 0
	s_cselect_b32 s4, s4, s34
	s_cselect_b32 s21, s52, s21
	s_cmp_ge_u32 s13, s55
	s_cselect_b32 s5, -1, 0
	s_cmp_eq_u32 s12, 0
	s_cselect_b32 s5, s5, -1
	s_cmp_lg_u32 s5, 0
	s_cselect_b32 s5, s4, s12
	s_cselect_b32 s4, s21, s13
	s_mov_b64 s[12:13], 0
	s_branch .LBB183_432
.LBB183_429:                            ;   in Loop: Header=BB183_12 Depth=1
                                        ; implicit-def: $sgpr4_sgpr5
	s_branch .LBB183_382
.LBB183_430:                            ;   in Loop: Header=BB183_12 Depth=1
	v_readlane_b32 s35, v46, 41
                                        ; implicit-def: $sgpr4_sgpr5
	s_branch .LBB183_399
.LBB183_431:                            ;   in Loop: Header=BB183_12 Depth=1
	s_mov_b64 s[12:13], -1
                                        ; implicit-def: $sgpr4_sgpr5
.LBB183_432:                            ;   in Loop: Header=BB183_12 Depth=1
	s_andn2_b64 vcc, exec, s[12:13]
	s_cbranch_vccnz .LBB183_434
; %bb.433:                              ;   in Loop: Header=BB183_12 Depth=1
	v_cvt_f32_u32_e32 v2, s55
	s_sub_i32 s4, 0, s55
	v_rcp_iflag_f32_e32 v2, v2
	v_mul_f32_e32 v2, 0x4f7ffffe, v2
	v_cvt_u32_f32_e32 v2, v2
	v_readfirstlane_b32 s5, v2
	s_mul_i32 s4, s4, s5
	s_mul_hi_u32 s4, s5, s4
	s_add_i32 s5, s5, s4
	s_mul_hi_u32 s4, s20, s5
	s_mul_i32 s4, s4, s55
	s_sub_i32 s4, s20, s4
	s_sub_i32 s5, s4, s55
	s_cmp_ge_u32 s4, s55
	s_cselect_b32 s4, s5, s4
	s_sub_i32 s5, s4, s55
	s_cmp_ge_u32 s4, s55
	s_cselect_b32 s52, s5, s4
	s_mov_b64 s[4:5], s[52:53]
.LBB183_434:                            ;   in Loop: Header=BB183_12 Depth=1
	s_sub_u32 s58, s20, s4
	s_subb_u32 s59, s35, s5
	v_cmp_gt_u64_e32 vcc, s[58:59], v[0:1]
	s_mov_b64 s[34:35], 0
                                        ; implicit-def: $vgpr6_vgpr7
	s_and_saveexec_b64 s[20:21], vcc
	s_cbranch_execz .LBB183_444
; %bb.435:                              ;   in Loop: Header=BB183_12 Depth=1
	v_mov_b32_e32 v9, v1
	s_mov_b64 s[12:13], 0
	v_mov_b32_e32 v12, v36
	v_mov_b32_e32 v8, v0
                                        ; implicit-def: $sgpr66_sgpr67
	s_branch .LBB183_439
.LBB183_436:                            ;   in Loop: Header=BB183_439 Depth=2
	s_or_b64 exec, exec, s[4:5]
	s_waitcnt lgkmcnt(0)
	s_barrier
	ds_read_b128 v[4:7], v19 offset:3072
	s_waitcnt lgkmcnt(0)
	s_barrier
	v_cmp_neq_f64_e32 vcc, 0, v[4:5]
	s_cbranch_vccnz .LBB183_442
; %bb.437:                              ;   in Loop: Header=BB183_439 Depth=2
	v_add_co_u32_e32 v8, vcc, s55, v8
	v_addc_co_u32_e32 v9, vcc, 0, v9, vcc
	v_cmp_le_u64_e32 vcc, s[58:59], v[8:9]
	v_add_u32_e32 v12, s62, v12
	s_mov_b64 s[4:5], 0
	s_orn2_b64 vcc, vcc, exec
.LBB183_438:                            ;   in Loop: Header=BB183_439 Depth=2
	s_and_b64 vcc, exec, vcc
	s_or_b64 s[12:13], vcc, s[12:13]
	s_andn2_b64 s[66:67], s[66:67], exec
	s_and_b64 s[4:5], s[4:5], exec
	s_or_b64 s[66:67], s[66:67], s[4:5]
	s_andn2_b64 exec, exec, s[12:13]
	s_cbranch_execz .LBB183_443
.LBB183_439:                            ;   Parent Loop BB183_12 Depth=1
                                        ; =>  This Inner Loop Header: Depth=2
	v_cmp_gt_u64_e32 vcc, s[94:95], v[8:9]
	s_and_saveexec_b64 s[4:5], vcc
	s_cbranch_execz .LBB183_436
; %bb.440:                              ;   in Loop: Header=BB183_439 Depth=2
	ds_read_b64 v[4:5], v12
	s_waitcnt lgkmcnt(0)
	v_cmp_o_f64_e32 vcc, v[4:5], v[4:5]
	v_ashrrev_i32_e32 v2, 31, v5
	v_or_b32_e32 v6, 0x80000000, v2
	v_xor_b32_e32 v6, v6, v5
	v_xor_b32_e32 v2, v2, v4
	v_cndmask_b32_e32 v6, -1, v6, vcc
	v_cndmask_b32_e32 v2, -1, v2, vcc
	v_and_b32_e32 v7, v6, v25
	v_and_b32_e32 v6, v2, v24
	v_cmp_eq_u64_e32 vcc, v[6:7], v[22:23]
	s_and_b64 exec, exec, vcc
	s_cbranch_execz .LBB183_436
; %bb.441:                              ;   in Loop: Header=BB183_439 Depth=2
	v_mov_b32_e32 v2, v19
	ds_write_b128 v19, v[2:5] offset:3072
	s_branch .LBB183_436
.LBB183_442:                            ;   in Loop: Header=BB183_439 Depth=2
	s_mov_b64 vcc, -1
                                        ; implicit-def: $vgpr8_vgpr9
                                        ; implicit-def: $vgpr12
	s_mov_b64 s[4:5], -1
	s_branch .LBB183_438
.LBB183_443:                            ;   in Loop: Header=BB183_12 Depth=1
	s_or_b64 exec, exec, s[12:13]
	s_and_b64 s[66:67], s[66:67], exec
.LBB183_444:                            ;   in Loop: Header=BB183_12 Depth=1
	s_or_b64 exec, exec, s[20:21]
	v_readlane_b32 s58, v46, 50
	v_readlane_b32 s59, v46, 51
.LBB183_445:                            ;   in Loop: Header=BB183_12 Depth=1
	s_and_b64 vcc, exec, s[34:35]
	s_cbranch_vccz .LBB183_462
; %bb.446:                              ;   in Loop: Header=BB183_12 Depth=1
	s_mov_b32 s60, s53
	s_cmp_lg_u64 s[60:61], 0
	s_cbranch_scc0 .LBB183_448
; %bb.447:                              ;   in Loop: Header=BB183_12 Depth=1
	v_cvt_f32_u32_e32 v2, s55
	s_sub_u32 s8, 0, s55
	s_subb_u32 s9, 0, 0
	v_mac_f32_e32 v2, 0, v41
	v_rcp_f32_e32 v2, v2
	v_mul_f32_e32 v2, 0x5f7ffffc, v2
	v_mul_f32_e32 v4, 0x2f800000, v2
	v_trunc_f32_e32 v4, v4
	v_mac_f32_e32 v2, 0xcf800000, v4
	v_cvt_u32_f32_e32 v4, v4
	v_cvt_u32_f32_e32 v2, v2
	v_readfirstlane_b32 s10, v4
	v_readfirstlane_b32 s4, v2
	s_mul_i32 s5, s8, s10
	s_mul_hi_u32 s12, s8, s4
	s_mul_i32 s11, s9, s4
	s_add_i32 s5, s12, s5
	s_mul_i32 s13, s8, s4
	s_add_i32 s5, s5, s11
	s_mul_hi_u32 s12, s4, s13
	s_mul_i32 s20, s4, s5
	s_mul_hi_u32 s11, s4, s5
	s_add_u32 s12, s12, s20
	s_addc_u32 s11, 0, s11
	s_mul_hi_u32 s21, s10, s13
	s_mul_i32 s13, s10, s13
	s_add_u32 s12, s12, s13
	s_mul_hi_u32 s20, s10, s5
	s_addc_u32 s11, s11, s21
	s_addc_u32 s12, s20, 0
	s_mul_i32 s5, s10, s5
	s_add_u32 s5, s11, s5
	s_addc_u32 s11, 0, s12
	s_add_u32 s12, s4, s5
	s_cselect_b64 s[4:5], -1, 0
	s_cmp_lg_u64 s[4:5], 0
	s_addc_u32 s10, s10, s11
	s_mul_i32 s4, s8, s10
	s_mul_hi_u32 s5, s8, s12
	s_add_i32 s4, s5, s4
	s_mul_i32 s9, s9, s12
	s_add_i32 s4, s4, s9
	s_mul_i32 s8, s8, s12
	s_mul_hi_u32 s9, s10, s8
	s_mul_i32 s11, s10, s8
	s_mul_i32 s20, s12, s4
	s_mul_hi_u32 s8, s12, s8
	s_mul_hi_u32 s13, s12, s4
	s_add_u32 s8, s8, s20
	s_addc_u32 s13, 0, s13
	s_add_u32 s8, s8, s11
	s_mul_hi_u32 s5, s10, s4
	s_addc_u32 s8, s13, s9
	s_addc_u32 s5, s5, 0
	s_mul_i32 s4, s10, s4
	s_add_u32 s4, s8, s4
	s_addc_u32 s8, 0, s5
	s_add_u32 s9, s12, s4
	s_cselect_b64 s[4:5], -1, 0
	s_cmp_lg_u64 s[4:5], 0
	s_addc_u32 s4, s10, s8
	v_readlane_b32 s13, v46, 41
	s_mul_i32 s8, s13, s4
	s_mul_hi_u32 s10, s13, s9
	s_mul_hi_u32 s5, s13, s4
	s_add_u32 s8, s10, s8
	s_addc_u32 s5, 0, s5
	s_mul_hi_u32 s11, s61, s9
	s_mul_i32 s9, s61, s9
	s_add_u32 s8, s8, s9
	s_mul_hi_u32 s10, s61, s4
	s_addc_u32 s5, s5, s11
	s_addc_u32 s8, s10, 0
	s_mul_i32 s4, s61, s4
	s_add_u32 s4, s5, s4
	s_addc_u32 s5, 0, s8
	s_mul_i32 s5, s55, s5
	s_mul_hi_u32 s8, s55, s4
	s_add_i32 s8, s8, s5
	s_mul_i32 s4, s55, s4
	s_sub_u32 s9, s13, s4
	s_cselect_b64 s[4:5], -1, 0
	s_cmp_lg_u64 s[4:5], 0
	s_subb_u32 s8, s61, s8
	s_sub_u32 s10, s9, s55
	s_cselect_b64 s[4:5], -1, 0
	s_cmp_lg_u64 s[4:5], 0
	s_subb_u32 s11, s8, 0
	;; [unrolled: 4-line block ×3, first 2 shown]
	s_cmp_ge_u32 s10, s55
	s_cselect_b32 s5, -1, 0
	s_cmp_eq_u32 s11, 0
	s_cselect_b32 s5, s5, -1
	s_cmp_lg_u32 s5, 0
	s_cselect_b32 s4, s4, s11
	s_cselect_b32 s10, s12, s10
	s_cmp_ge_u32 s9, s55
	s_cselect_b32 s5, -1, 0
	s_cmp_eq_u32 s8, 0
	s_cselect_b32 s5, s5, -1
	s_cmp_lg_u32 s5, 0
	s_cselect_b32 s5, s4, s8
	s_cselect_b32 s4, s10, s9
	s_mov_b64 s[8:9], 0
	s_branch .LBB183_449
.LBB183_448:                            ;   in Loop: Header=BB183_12 Depth=1
	s_mov_b64 s[8:9], -1
	v_readlane_b32 s13, v46, 41
                                        ; implicit-def: $sgpr4_sgpr5
.LBB183_449:                            ;   in Loop: Header=BB183_12 Depth=1
	s_andn2_b64 vcc, exec, s[8:9]
	s_cbranch_vccnz .LBB183_451
; %bb.450:                              ;   in Loop: Header=BB183_12 Depth=1
	v_cvt_f32_u32_e32 v2, s55
	s_sub_i32 s4, 0, s55
	v_rcp_iflag_f32_e32 v2, v2
	v_mul_f32_e32 v2, 0x4f7ffffe, v2
	v_cvt_u32_f32_e32 v2, v2
	v_readfirstlane_b32 s5, v2
	s_mul_i32 s4, s4, s5
	s_mul_hi_u32 s4, s5, s4
	s_add_i32 s5, s5, s4
	s_mul_hi_u32 s4, s13, s5
	s_mul_i32 s4, s4, s55
	s_sub_i32 s4, s13, s4
	s_sub_i32 s5, s4, s55
	s_cmp_ge_u32 s4, s55
	s_cselect_b32 s4, s5, s4
	s_sub_i32 s5, s4, s55
	s_cmp_ge_u32 s4, s55
	s_cselect_b32 s52, s5, s4
	s_mov_b64 s[4:5], s[52:53]
.LBB183_451:                            ;   in Loop: Header=BB183_12 Depth=1
	s_sub_u32 s10, s13, s4
	s_subb_u32 s11, s61, s5
	v_cmp_gt_u64_e32 vcc, s[10:11], v[0:1]
                                        ; implicit-def: $vgpr6_vgpr7
	s_and_saveexec_b64 s[8:9], vcc
	s_cbranch_execz .LBB183_461
; %bb.452:                              ;   in Loop: Header=BB183_12 Depth=1
	v_mov_b32_e32 v9, v1
	s_mov_b64 s[12:13], 0
	v_mov_b32_e32 v8, v0
                                        ; implicit-def: $sgpr20_sgpr21
	s_branch .LBB183_456
.LBB183_453:                            ;   in Loop: Header=BB183_456 Depth=2
	s_or_b64 exec, exec, s[4:5]
	s_waitcnt lgkmcnt(0)
	s_barrier
	ds_read_b128 v[4:7], v19 offset:3072
	s_waitcnt lgkmcnt(0)
	s_barrier
	v_cmp_eq_f64_e32 vcc, 0, v[4:5]
	s_cbranch_vccz .LBB183_459
; %bb.454:                              ;   in Loop: Header=BB183_456 Depth=2
	v_add_co_u32_e32 v8, vcc, s55, v8
	v_addc_co_u32_e32 v9, vcc, 0, v9, vcc
	v_cmp_le_u64_e32 vcc, s[10:11], v[8:9]
	s_mov_b64 s[4:5], 0
	s_orn2_b64 s[34:35], vcc, exec
.LBB183_455:                            ;   in Loop: Header=BB183_456 Depth=2
	s_and_b64 s[34:35], exec, s[34:35]
	s_or_b64 s[12:13], s[34:35], s[12:13]
	s_andn2_b64 s[20:21], s[20:21], exec
	s_and_b64 s[4:5], s[4:5], exec
	s_or_b64 s[20:21], s[20:21], s[4:5]
	s_andn2_b64 exec, exec, s[12:13]
	s_cbranch_execz .LBB183_460
.LBB183_456:                            ;   Parent Loop BB183_12 Depth=1
                                        ; =>  This Inner Loop Header: Depth=2
	v_cmp_gt_u64_e32 vcc, s[24:25], v[8:9]
	s_and_saveexec_b64 s[4:5], vcc
	s_cbranch_execz .LBB183_453
; %bb.457:                              ;   in Loop: Header=BB183_456 Depth=2
	v_mul_lo_u32 v2, v9, s22
	v_mul_lo_u32 v6, v8, s23
	v_mad_u64_u32 v[4:5], s[34:35], v8, s22, 0
	v_add3_u32 v5, v5, v6, v2
	v_lshlrev_b64 v[4:5], 3, v[4:5]
	v_mov_b32_e32 v2, s54
	v_add_co_u32_e32 v4, vcc, s33, v4
	v_addc_co_u32_e32 v5, vcc, v2, v5, vcc
	global_load_dwordx2 v[4:5], v[4:5], off
	s_waitcnt vmcnt(0)
	v_cmp_o_f64_e32 vcc, v[4:5], v[4:5]
	v_ashrrev_i32_e32 v2, 31, v5
	v_or_b32_e32 v6, 0x80000000, v2
	v_xor_b32_e32 v6, v6, v5
	v_xor_b32_e32 v2, v2, v4
	v_cndmask_b32_e32 v6, -1, v6, vcc
	v_cndmask_b32_e32 v2, -1, v2, vcc
	v_and_b32_e32 v7, v6, v25
	v_and_b32_e32 v6, v2, v24
	v_cmp_eq_u64_e32 vcc, v[6:7], v[22:23]
	s_and_b64 exec, exec, vcc
	s_cbranch_execz .LBB183_453
; %bb.458:                              ;   in Loop: Header=BB183_456 Depth=2
	v_mov_b32_e32 v2, v19
	ds_write_b128 v19, v[2:5] offset:3072
	s_branch .LBB183_453
.LBB183_459:                            ;   in Loop: Header=BB183_456 Depth=2
	s_mov_b64 s[34:35], -1
                                        ; implicit-def: $vgpr8_vgpr9
	s_mov_b64 s[4:5], -1
	s_branch .LBB183_455
.LBB183_460:                            ;   in Loop: Header=BB183_12 Depth=1
	s_or_b64 exec, exec, s[12:13]
	s_andn2_b64 s[4:5], s[66:67], exec
	s_and_b64 s[10:11], s[20:21], exec
	s_or_b64 s[66:67], s[4:5], s[10:11]
.LBB183_461:                            ;   in Loop: Header=BB183_12 Depth=1
	s_or_b64 exec, exec, s[8:9]
	s_mov_b64 s[8:9], 0
	s_mov_b64 s[10:11], -1
.LBB183_462:                            ;   in Loop: Header=BB183_12 Depth=1
	s_orn2_b64 s[4:5], s[66:67], exec
.LBB183_463:                            ;   in Loop: Header=BB183_12 Depth=1
	s_or_b64 exec, exec, s[64:65]
	s_mov_b64 s[12:13], 0
	s_and_saveexec_b64 s[20:21], s[4:5]
	s_cbranch_execz .LBB183_474
; %bb.464:                              ;   in Loop: Header=BB183_12 Depth=1
	v_mov_b32_e32 v4, 1
	s_xor_b64 s[12:13], s[58:59], -1
	v_mov_b32_e32 v5, 0
	v_mov_b32_e32 v42, 1
	s_and_saveexec_b64 s[4:5], s[12:13]
	s_cbranch_execz .LBB183_473
; %bb.465:                              ;   in Loop: Header=BB183_12 Depth=1
	v_cmp_ge_u64_e32 vcc, s[16:17], v[10:11]
	s_and_saveexec_b64 s[12:13], vcc
	s_xor_b64 s[12:13], exec, s[12:13]
	s_cbranch_execz .LBB183_470
; %bb.466:                              ;   in Loop: Header=BB183_12 Depth=1
	ds_read_b64 v[4:5], v19 offset:5120
	v_and_b32_e32 v23, s91, v23
	v_and_b32_e32 v22, s90, v22
	v_or_b32_e32 v25, s19, v25
	v_or_b32_e32 v24, s18, v24
	s_waitcnt lgkmcnt(0)
	v_cmp_ne_u64_e32 vcc, 0, v[4:5]
	s_cbranch_vccnz .LBB183_470
; %bb.467:                              ;   in Loop: Header=BB183_12 Depth=1
	s_mov_b64 s[18:19], exec
	v_readlane_b32 s34, v46, 12
	v_readlane_b32 s35, v46, 13
	s_and_b64 s[34:35], s[18:19], s[34:35]
	s_mov_b64 exec, s[34:35]
; %bb.468:                              ;   in Loop: Header=BB183_12 Depth=1
	v_mov_b32_e32 v4, s16
	v_mov_b32_e32 v5, s17
	ds_write_b64 v19, v[4:5] offset:5128
; %bb.469:                              ;   in Loop: Header=BB183_12 Depth=1
	s_or_b64 exec, exec, s[18:19]
	s_waitcnt lgkmcnt(0)
	s_barrier
.LBB183_470:                            ;   in Loop: Header=BB183_12 Depth=1
	s_andn2_saveexec_b64 s[12:13], s[12:13]
; %bb.471:                              ;   in Loop: Header=BB183_12 Depth=1
	v_mov_b32_e32 v2, s17
	v_subrev_co_u32_e32 v10, vcc, s16, v10
	v_subb_co_u32_e32 v11, vcc, v11, v2, vcc
; %bb.472:                              ;   in Loop: Header=BB183_12 Depth=1
	s_or_b64 exec, exec, s[12:13]
	v_mov_b32_e32 v4, v10
	v_mov_b32_e32 v42, 5
	;; [unrolled: 1-line block ×3, first 2 shown]
.LBB183_473:                            ;   in Loop: Header=BB183_12 Depth=1
	s_or_b64 exec, exec, s[4:5]
	v_mov_b32_e32 v11, v5
	s_mov_b64 s[12:13], exec
	v_mov_b32_e32 v10, v4
.LBB183_474:                            ;   in Loop: Header=BB183_12 Depth=1
	s_or_b64 exec, exec, s[20:21]
	s_orn2_b64 s[4:5], s[12:13], exec
.LBB183_475:                            ;   in Loop: Header=BB183_12 Depth=1
	s_or_b64 exec, exec, s[50:51]
	s_andn2_b64 s[12:13], s[42:43], exec
	s_and_b64 s[10:11], s[10:11], exec
	s_or_b64 s[42:43], s[12:13], s[10:11]
	s_andn2_b64 s[10:11], s[40:41], exec
	s_and_b64 s[8:9], s[8:9], exec
	v_mov_b32_e32 v8, v10
	s_or_b64 s[40:41], s[10:11], s[8:9]
	s_and_b64 s[8:9], s[4:5], exec
	v_mov_b32_e32 v9, v11
.LBB183_476:                            ;   in Loop: Header=BB183_12 Depth=1
	s_or_b64 exec, exec, s[48:49]
	s_orn2_b64 s[4:5], s[8:9], exec
.LBB183_477:                            ;   in Loop: Header=BB183_12 Depth=1
	s_or_b64 exec, exec, s[2:3]
	s_andn2_b64 s[2:3], s[44:45], exec
	s_and_b64 s[8:9], s[42:43], exec
	s_or_b64 s[44:45], s[2:3], s[8:9]
	s_andn2_b64 s[2:3], s[38:39], exec
	s_and_b64 s[8:9], s[40:41], exec
	v_mov_b32_e32 v29, v9
	s_or_b64 s[38:39], s[2:3], s[8:9]
	s_and_b64 s[8:9], s[4:5], exec
	v_mov_b32_e32 v28, v8
.LBB183_478:                            ;   in Loop: Header=BB183_12 Depth=1
	s_or_b64 exec, exec, s[46:47]
	s_orn2_b64 s[2:3], s[8:9], exec
.LBB183_479:                            ;   in Loop: Header=BB183_12 Depth=1
	s_or_b64 exec, exec, s[6:7]
	s_mov_b64 s[4:5], s[30:31]
	s_mov_b64 s[6:7], s[28:29]
	s_and_saveexec_b64 s[8:9], s[2:3]
; %bb.480:                              ;   in Loop: Header=BB183_12 Depth=1
	v_cmp_ne_u32_e64 s[6:7], 5, v42
	v_cmp_eq_u32_e32 vcc, 5, v42
	s_andn2_b64 s[2:3], s[28:29], exec
	s_and_b64 s[4:5], s[6:7], exec
	s_or_b64 s[6:7], s[2:3], s[4:5]
	s_andn2_b64 s[2:3], s[30:31], exec
	s_and_b64 s[4:5], vcc, exec
	s_or_b64 s[4:5], s[2:3], s[4:5]
; %bb.481:                              ;   in Loop: Header=BB183_12 Depth=1
	s_or_b64 exec, exec, s[8:9]
	s_andn2_b64 s[2:3], s[14:15], exec
	s_and_b64 s[8:9], s[44:45], exec
	s_or_b64 s[14:15], s[2:3], s[8:9]
	s_andn2_b64 s[2:3], s[92:93], exec
	s_and_b64 s[8:9], s[38:39], exec
	s_or_b64 s[92:93], s[2:3], s[8:9]
	;; [unrolled: 3-line block ×4, first 2 shown]
.LBB183_482:                            ;   in Loop: Header=BB183_12 Depth=1
	s_or_b64 exec, exec, s[36:37]
	s_mov_b64 s[36:37], 0
	s_mov_b64 s[38:39], 0
	s_and_saveexec_b64 s[2:3], s[30:31]
.LBB183_483:                            ;   in Loop: Header=BB183_12 Depth=1
	v_mov_b32_e32 v42, 0
	s_or_b64 s[28:29], s[28:29], exec
.LBB183_484:                            ;   in Loop: Header=BB183_12 Depth=1
	s_or_b64 exec, exec, s[2:3]
	s_andn2_b64 s[2:3], s[86:87], exec
	s_and_b64 s[6:7], s[14:15], exec
	s_or_b64 s[86:87], s[2:3], s[6:7]
	s_andn2_b64 s[2:3], s[84:85], exec
	s_and_b64 s[6:7], s[92:93], exec
	s_or_b64 s[84:85], s[2:3], s[6:7]
	;; [unrolled: 3-line block ×3, first 2 shown]
	s_andn2_b64 s[2:3], s[80:81], exec
	s_and_b64 s[6:7], s[36:37], exec
	v_mov_b32_e32 v26, v28
	s_mov_b64 s[4:5], -1
	s_andn2_b64 s[88:89], s[88:89], exec
	s_or_b64 s[80:81], s[2:3], s[6:7]
	v_mov_b32_e32 v27, v29
	s_and_saveexec_b64 s[2:3], s[28:29]
	s_xor_b64 s[2:3], exec, s[2:3]
	s_cbranch_execz .LBB183_11
; %bb.485:                              ;   in Loop: Header=BB183_12 Depth=1
	v_cmp_eq_u32_e32 vcc, 0, v42
	s_mov_b64 s[6:7], -1
	s_and_saveexec_b64 s[8:9], vcc
	s_cbranch_execz .LBB183_10
; %bb.486:                              ;   in Loop: Header=BB183_12 Depth=1
	s_xor_b32 s56, s56, 1
	s_add_i32 s10, s63, -2
	s_cmp_eq_u32 s63, 0
	s_cselect_b64 s[4:5], -1, 0
	s_xor_b64 s[6:7], exec, -1
	s_orn2_b64 s[4:5], s[4:5], exec
	s_mov_b32 s63, s10
	s_branch .LBB183_10
.LBB183_487:
	s_or_b64 exec, exec, s[68:69]
	s_xor_b64 s[4:5], s[78:79], -1
	s_xor_b64 s[8:9], s[76:77], -1
	;; [unrolled: 1-line block ×5, first 2 shown]
	s_mov_b64 s[6:7], 0
	s_and_saveexec_b64 s[14:15], s[10:11]
	s_xor_b64 s[10:11], exec, s[14:15]
	s_cbranch_execnz .LBB183_492
; %bb.488:
	s_andn2_saveexec_b64 s[0:1], s[10:11]
	s_cbranch_execnz .LBB183_511
.LBB183_489:
	s_or_b64 exec, exec, s[0:1]
	s_and_saveexec_b64 s[0:1], s[6:7]
.LBB183_490:
	; divergent unreachable
.LBB183_491:
	s_endpgm
.LBB183_492:
	s_and_saveexec_b64 s[14:15], s[12:13]
	s_xor_b64 s[12:13], exec, s[14:15]
	s_cbranch_execz .LBB183_509
; %bb.493:
	s_and_saveexec_b64 s[14:15], s[8:9]
	s_xor_b64 s[14:15], exec, s[14:15]
	s_cbranch_execz .LBB183_507
; %bb.494:
	;; [unrolled: 4-line block ×3, first 2 shown]
	s_and_saveexec_b64 s[4:5], s[2:3]
	s_xor_b64 s[2:3], exec, s[4:5]
; %bb.496:
	v_lshrrev_b32_e32 v2, 31, v23
	v_add_co_u32_e32 v2, vcc, -1, v2
	v_addc_co_u32_e64 v3, s[4:5], 0, -1, vcc
	v_or_b32_e32 v3, 0x80000000, v3
	v_xor_b32_e32 v7, v3, v23
	v_xor_b32_e32 v6, v2, v22
; %bb.497:
	s_or_b64 exec, exec, s[2:3]
	s_mov_b64 s[2:3], exec
	v_readlane_b32 s4, v46, 12
	v_readlane_b32 s5, v46, 13
	;; [unrolled: 1-line block ×3, first 2 shown]
	s_and_b64 s[4:5], s[2:3], s[4:5]
	v_readlane_b32 s51, v46, 27
	s_mov_b64 exec, s[4:5]
; %bb.498:
	v_mov_b32_e32 v2, 0
	v_mov_b32_e32 v3, v2
	ds_write_b64 v2, v[2:3] offset:5136
; %bb.499:
	s_or_b64 exec, exec, s[2:3]
	v_mov_b32_e32 v4, 0
	v_mov_b32_e32 v5, 0
	s_waitcnt lgkmcnt(0)
	s_barrier
	s_mov_b64 s[2:3], exec
	v_readlane_b32 s4, v46, 34
	v_readlane_b32 s5, v46, 35
	s_and_b64 s[4:5], s[2:3], s[4:5]
	s_mov_b64 exec, s[4:5]
	s_cbranch_execz .LBB183_501
; %bb.500:
	global_load_dwordx2 v[4:5], v[16:17], off
.LBB183_501:
	s_or_b64 exec, exec, s[2:3]
	v_readlane_b32 s4, v46, 0
	s_add_u32 s2, s24, 63
	v_readlane_b32 s5, v46, 1
	v_readlane_b32 s6, v46, 2
	s_mul_i32 s3, s6, s5
	s_addc_u32 s9, s25, 0
	s_and_b32 s8, s2, 0xffffffc0
	s_mul_hi_u32 s2, s6, s4
	s_add_i32 s2, s2, s3
	s_mul_i32 s3, s6, s4
	v_readlane_b32 s4, v46, 18
	v_readlane_b32 s28, v46, 20
	;; [unrolled: 1-line block ×3, first 2 shown]
	s_mov_b32 s18, s4
	s_sub_u32 s4, s4, s3
	v_readlane_b32 s30, v46, 22
	v_readlane_b32 s31, v46, 23
	s_subb_u32 s2, 0, s2
	s_mul_i32 s3, s4, s31
	s_mul_hi_u32 s5, s4, s30
	v_readlane_b32 s29, v46, 21
	s_add_i32 s3, s5, s3
	s_mul_i32 s2, s2, s30
	v_readlane_b32 s7, v46, 3
	s_add_i32 s3, s3, s2
	s_mul_i32 s2, s4, s30
	s_mul_i32 s4, s6, s29
	s_mul_hi_u32 s5, s6, s28
	s_add_i32 s5, s5, s4
	s_mul_i32 s4, s6, s28
	v_readlane_b32 s20, v46, 6
	v_readlane_b32 s6, v46, 4
	;; [unrolled: 1-line block ×4, first 2 shown]
	s_mov_b32 s28, s6
	s_mul_i32 s6, s6, s21
	s_mul_hi_u32 s7, s28, s20
	s_add_i32 s7, s7, s6
	s_mul_i32 s6, s28, s20
	v_readlane_b32 s36, v46, 14
	s_sub_u32 s6, s18, s6
	v_readlane_b32 s38, v46, 16
	v_readlane_b32 s39, v46, 17
	s_subb_u32 s7, 0, s7
	s_mul_i32 s18, s6, s39
	s_mul_hi_u32 s19, s6, s38
	v_readlane_b32 s37, v46, 15
	s_add_i32 s18, s19, s18
	s_mul_i32 s7, s7, s38
	s_add_i32 s7, s18, s7
	s_mul_i32 s18, s28, s37
	s_mul_hi_u32 s19, s28, s36
	s_add_i32 s19, s19, s18
	s_lshl_b64 s[4:5], s[4:5], 3
	v_readlane_b32 s20, v46, 10
	v_readlane_b32 s21, v46, 11
	s_add_u32 s4, s20, s4
	s_addc_u32 s5, s21, s5
	s_lshl_b64 s[2:3], s[2:3], 3
	s_mul_i32 s18, s28, s36
	s_add_u32 s44, s4, s2
	s_addc_u32 s45, s5, s3
	s_lshl_b64 s[2:3], s[18:19], 3
	v_readlane_b32 s4, v46, 8
	v_cmp_o_f64_e32 vcc, v[6:7], v[6:7]
	s_mul_i32 s6, s6, s38
	v_readlane_b32 s5, v46, 9
	s_add_u32 s4, s4, s2
	s_addc_u32 s5, s5, s3
	s_lshl_b64 s[2:3], s[6:7], 3
	s_add_u32 s46, s4, s2
	s_addc_u32 s47, s5, s3
	v_readlane_b32 s2, v46, 24
	v_readlane_b32 s3, v46, 25
	v_ashrrev_i32_e32 v2, 31, v7
	s_load_dwordx2 s[18:19], s[2:3], 0x368
	s_load_dwordx2 s[20:21], s[2:3], 0x510
	v_or_b32_e32 v3, 0x80000000, v2
	v_xor_b32_e32 v3, v3, v7
	v_xor_b32_e32 v2, v2, v6
	v_cndmask_b32_e32 v3, -1, v3, vcc
	v_cndmask_b32_e32 v2, -1, v2, vcc
	v_cmp_gt_u64_e32 vcc, s[8:9], v[0:1]
	s_mov_b64 s[30:31], -1
	s_mov_b64 s[2:3], 0
	s_mov_b64 s[4:5], 0
	s_and_saveexec_b64 s[28:29], vcc
	s_cbranch_execnz .LBB183_512
; %bb.502:
	s_or_b64 exec, exec, s[28:29]
	s_and_saveexec_b64 s[6:7], s[30:31]
	s_cbranch_execnz .LBB183_529
.LBB183_503:
	s_or_b64 exec, exec, s[6:7]
	s_and_saveexec_b64 s[0:1], s[4:5]
	s_xor_b64 s[0:1], exec, s[0:1]
	s_cbranch_execnz .LBB183_554
.LBB183_504:
	s_or_b64 exec, exec, s[0:1]
	s_and_b64 s[6:7], s[2:3], exec
.LBB183_505:
	s_andn2_saveexec_b64 s[0:1], s[16:17]
	s_cbranch_execnz .LBB183_556
.LBB183_506:
	s_or_b64 exec, exec, s[0:1]
	s_and_b64 s[6:7], s[6:7], exec
.LBB183_507:
	s_andn2_saveexec_b64 s[0:1], s[14:15]
	s_cbranch_execnz .LBB183_555
.LBB183_508:
	s_or_b64 exec, exec, s[0:1]
	s_and_b64 s[6:7], s[6:7], exec
.LBB183_509:
	s_andn2_saveexec_b64 s[0:1], s[12:13]
	s_cbranch_execnz .LBB183_550
.LBB183_510:
	s_or_b64 exec, exec, s[0:1]
	s_and_b64 s[6:7], s[6:7], exec
	s_andn2_saveexec_b64 s[0:1], s[10:11]
	s_cbranch_execz .LBB183_489
.LBB183_511:
	s_or_b64 s[6:7], s[6:7], exec
	s_trap 2
	s_or_b64 exec, exec, s[0:1]
	s_and_saveexec_b64 s[0:1], s[6:7]
	s_cbranch_execnz .LBB183_490
	s_branch .LBB183_491
.LBB183_512:
	v_mov_b32_e32 v15, v1
	s_mov_b64 s[30:31], 0
	v_mov_b32_e32 v7, 0
	v_mov_b32_e32 v14, v0
                                        ; implicit-def: $sgpr34_sgpr35
                                        ; implicit-def: $vgpr10_vgpr11
	s_branch .LBB183_514
.LBB183_513:                            ;   in Loop: Header=BB183_514 Depth=1
	s_or_b64 exec, exec, s[38:39]
	s_xor_b64 s[4:5], s[36:37], -1
	s_and_b64 s[6:7], exec, s[6:7]
	s_or_b64 s[30:31], s[6:7], s[30:31]
	s_andn2_b64 s[6:7], s[34:35], exec
	s_and_b64 s[4:5], s[4:5], exec
	s_waitcnt vmcnt(0)
	v_mov_b32_e32 v4, v12
	v_mov_b32_e32 v15, v9
	s_or_b64 s[34:35], s[6:7], s[4:5]
	v_mov_b32_e32 v5, v13
	v_mov_b32_e32 v14, v8
	s_andn2_b64 exec, exec, s[30:31]
	s_cbranch_execz .LBB183_528
.LBB183_514:                            ; =>This Inner Loop Header: Depth=1
	v_add_co_u32_e64 v8, s[4:5], s55, v14
	v_addc_co_u32_e64 v9, s[4:5], 0, v15, s[4:5]
	v_cmp_gt_u64_e64 s[4:5], s[24:25], v[8:9]
	v_mov_b32_e32 v12, 0
	v_mov_b32_e32 v13, 0
	s_and_saveexec_b64 s[6:7], s[4:5]
	s_cbranch_execz .LBB183_516
; %bb.515:                              ;   in Loop: Header=BB183_514 Depth=1
	v_mul_lo_u32 v6, v9, s22
	v_mul_lo_u32 v18, v8, s23
	v_mad_u64_u32 v[12:13], s[4:5], v8, s22, 0
	v_add3_u32 v13, v13, v18, v6
	v_lshlrev_b64 v[12:13], 3, v[12:13]
	v_mov_b32_e32 v6, s54
	v_add_co_u32_e64 v12, s[4:5], s33, v12
	v_addc_co_u32_e64 v13, s[4:5], v6, v13, s[4:5]
	global_load_dwordx2 v[12:13], v[12:13], off
.LBB183_516:                            ;   in Loop: Header=BB183_514 Depth=1
	s_or_b64 exec, exec, s[6:7]
	v_cmp_gt_u64_e64 s[4:5], s[24:25], v[14:15]
	s_mov_b64 s[36:37], 0
	s_and_saveexec_b64 s[6:7], s[4:5]
	s_cbranch_execz .LBB183_518
; %bb.517:                              ;   in Loop: Header=BB183_514 Depth=1
	s_waitcnt vmcnt(0)
	v_cmp_o_f64_e64 s[4:5], v[4:5], v[4:5]
	v_ashrrev_i32_e32 v6, 31, v5
	v_or_b32_e32 v18, 0x80000000, v6
	v_xor_b32_e32 v18, v18, v5
	v_xor_b32_e32 v6, v6, v4
	v_cndmask_b32_e64 v19, -1, v18, s[4:5]
	v_cndmask_b32_e64 v18, -1, v6, s[4:5]
	v_cmp_gt_u64_e64 s[4:5], v[18:19], v[2:3]
	v_cndmask_b32_e64 v6, 0, 1, s[4:5]
	v_cmp_lt_u64_e64 s[4:5], v[18:19], v[2:3]
	v_cndmask_b32_e64 v18, 0, 1, s[4:5]
	v_cndmask_b32_e64 v6, v18, v6, s[50:51]
	v_and_b32_e32 v6, 1, v6
	v_cmp_eq_u32_e64 s[4:5], 1, v6
	s_and_b64 s[36:37], s[4:5], exec
.LBB183_518:                            ;   in Loop: Header=BB183_514 Depth=1
	s_or_b64 exec, exec, s[6:7]
	v_cndmask_b32_e64 v6, 0, 1, s[36:37]
	v_cmp_ne_u32_e64 s[4:5], 0, v6
	s_cmp_lg_u64 s[4:5], 0
	s_cselect_b64 s[6:7], -1, 0
	s_and_b64 s[6:7], s[0:1], s[6:7]
	s_and_saveexec_b64 s[38:39], s[6:7]
	s_cbranch_execz .LBB183_522
; %bb.519:                              ;   in Loop: Header=BB183_514 Depth=1
	s_mov_b64 s[42:43], exec
	v_mbcnt_lo_u32_b32 v6, s42, 0
	v_mbcnt_hi_u32_b32 v18, s43, v6
	s_bcnt1_i32_b64 s48, s[4:5]
	v_cmp_eq_u32_e64 s[6:7], 0, v18
                                        ; implicit-def: $vgpr10_vgpr11
	s_and_saveexec_b64 s[40:41], s[6:7]
	s_cbranch_execz .LBB183_521
; %bb.520:                              ;   in Loop: Header=BB183_514 Depth=1
	s_bcnt1_i32_b64 s6, s[42:43]
	s_mul_i32 s6, s48, s6
	v_mov_b32_e32 v6, s6
	s_waitcnt lgkmcnt(0)
	ds_add_rtn_u64 v[10:11], v7, v[6:7] offset:5136
.LBB183_521:                            ;   in Loop: Header=BB183_514 Depth=1
	s_or_b64 exec, exec, s[40:41]
	s_waitcnt lgkmcnt(0)
	v_readfirstlane_b32 s6, v11
	v_readfirstlane_b32 s7, v10
	v_mov_b32_e32 v10, s7
	v_mov_b32_e32 v11, s6
	v_mad_u64_u32 v[10:11], s[6:7], s48, v18, v[10:11]
.LBB183_522:                            ;   in Loop: Header=BB183_514 Depth=1
	s_or_b64 exec, exec, s[38:39]
	s_waitcnt lgkmcnt(0)
	ds_bpermute_b32 v10, v32, v10
	ds_bpermute_b32 v11, v32, v11
	s_mov_b64 s[6:7], -1
	s_mov_b64 s[40:41], -1
	s_and_saveexec_b64 s[38:39], s[36:37]
	s_cbranch_execz .LBB183_526
; %bb.523:                              ;   in Loop: Header=BB183_514 Depth=1
	v_and_b32_e32 v18, s4, v34
	v_and_b32_e32 v6, s5, v33
	v_bcnt_u32_b32 v18, v18, 0
	v_bcnt_u32_b32 v6, v6, v18
	s_waitcnt lgkmcnt(0)
	v_add_co_u32_e64 v18, s[4:5], v10, v6
	v_addc_co_u32_e64 v19, s[4:5], 0, v11, s[4:5]
	v_cmp_gt_u64_e64 s[4:5], s[26:27], v[18:19]
	s_mov_b64 s[36:37], 0
	s_and_saveexec_b64 s[40:41], s[4:5]
	s_cbranch_execz .LBB183_525
; %bb.524:                              ;   in Loop: Header=BB183_514 Depth=1
	v_mul_lo_u32 v6, v19, s18
	v_mul_lo_u32 v22, v18, s19
	v_mad_u64_u32 v[20:21], s[4:5], v18, s18, 0
	v_mul_lo_u32 v23, v19, s20
	v_mul_lo_u32 v24, v18, s21
	v_mad_u64_u32 v[18:19], s[4:5], v18, s20, 0
	v_add3_u32 v21, v21, v22, v6
	v_lshlrev_b64 v[20:21], 3, v[20:21]
	v_mov_b32_e32 v6, s45
	v_add_co_u32_e64 v20, s[4:5], s44, v20
	v_add3_u32 v19, v19, v24, v23
	v_addc_co_u32_e64 v21, s[4:5], v6, v21, s[4:5]
	s_waitcnt vmcnt(0)
	global_store_dwordx2 v[20:21], v[4:5], off
	v_lshlrev_b64 v[4:5], 3, v[18:19]
	v_mov_b32_e32 v6, s47
	v_add_co_u32_e64 v4, s[4:5], s46, v4
	s_mov_b64 s[36:37], exec
	v_addc_co_u32_e64 v5, s[4:5], v6, v5, s[4:5]
	global_store_dwordx2 v[4:5], v[14:15], off
.LBB183_525:                            ;   in Loop: Header=BB183_514 Depth=1
	s_or_b64 exec, exec, s[40:41]
	s_orn2_b64 s[40:41], s[36:37], exec
.LBB183_526:                            ;   in Loop: Header=BB183_514 Depth=1
	s_or_b64 exec, exec, s[38:39]
	s_mov_b64 s[36:37], -1
	s_and_saveexec_b64 s[38:39], s[40:41]
	s_cbranch_execz .LBB183_513
; %bb.527:                              ;   in Loop: Header=BB183_514 Depth=1
	v_cmp_le_u64_e64 s[4:5], s[8:9], v[8:9]
	s_xor_b64 s[36:37], exec, -1
	s_orn2_b64 s[6:7], s[4:5], exec
	s_branch .LBB183_513
.LBB183_528:
	s_or_b64 exec, exec, s[30:31]
	s_mov_b64 s[4:5], exec
	s_orn2_b64 s[30:31], s[34:35], exec
	s_or_b64 exec, exec, s[28:29]
	s_and_saveexec_b64 s[6:7], s[30:31]
	s_cbranch_execz .LBB183_503
.LBB183_529:
	v_mov_b32_e32 v8, 0
	v_mov_b32_e32 v9, 0
	s_waitcnt vmcnt(0) lgkmcnt(0)
	s_barrier
	s_mov_b64 s[2:3], exec
	v_readlane_b32 s28, v46, 34
	v_readlane_b32 s29, v46, 35
	s_and_b64 s[28:29], s[2:3], s[28:29]
	s_mov_b64 exec, s[28:29]
	s_cbranch_execz .LBB183_531
; %bb.530:
	global_load_dwordx2 v[8:9], v[16:17], off
.LBB183_531:
	s_or_b64 exec, exec, s[2:3]
	s_mov_b64 s[2:3], 0
	s_and_saveexec_b64 s[28:29], vcc
	s_cbranch_execz .LBB183_553
; %bb.532:
	s_mov_b64 s[30:31], 0
	v_mov_b32_e32 v5, 0
                                        ; implicit-def: $sgpr34_sgpr35
                                        ; implicit-def: $vgpr10_vgpr11
	s_branch .LBB183_535
.LBB183_533:                            ;   in Loop: Header=BB183_535 Depth=1
	s_or_b64 exec, exec, s[38:39]
	s_orn2_b64 s[40:41], s[42:43], exec
	s_orn2_b64 s[38:39], s[36:37], exec
.LBB183_534:                            ;   in Loop: Header=BB183_535 Depth=1
	s_or_b64 exec, exec, s[2:3]
	s_xor_b64 s[2:3], s[40:41], -1
	s_and_b64 s[36:37], exec, s[38:39]
	s_or_b64 s[30:31], s[36:37], s[30:31]
	s_andn2_b64 s[34:35], s[34:35], exec
	s_and_b64 s[2:3], s[2:3], exec
	v_mov_b32_e32 v0, v6
	s_waitcnt vmcnt(0)
	v_mov_b32_e32 v8, v12
	s_or_b64 s[34:35], s[34:35], s[2:3]
	v_mov_b32_e32 v1, v7
	v_mov_b32_e32 v9, v13
	s_andn2_b64 exec, exec, s[30:31]
	s_cbranch_execz .LBB183_551
.LBB183_535:                            ; =>This Inner Loop Header: Depth=1
	v_add_co_u32_e32 v6, vcc, s55, v0
	v_addc_co_u32_e32 v7, vcc, 0, v1, vcc
	v_cmp_gt_u64_e32 vcc, s[24:25], v[6:7]
	v_mov_b32_e32 v12, 0
	v_mov_b32_e32 v13, 0
	s_and_saveexec_b64 s[2:3], vcc
	s_cbranch_execz .LBB183_537
; %bb.536:                              ;   in Loop: Header=BB183_535 Depth=1
	v_mul_lo_u32 v4, v7, s22
	v_mul_lo_u32 v14, v6, s23
	v_mad_u64_u32 v[12:13], s[36:37], v6, s22, 0
	v_add3_u32 v13, v13, v14, v4
	v_lshlrev_b64 v[12:13], 3, v[12:13]
	v_mov_b32_e32 v4, s54
	v_add_co_u32_e32 v12, vcc, s33, v12
	v_addc_co_u32_e32 v13, vcc, v4, v13, vcc
	global_load_dwordx2 v[12:13], v[12:13], off
.LBB183_537:                            ;   in Loop: Header=BB183_535 Depth=1
	s_or_b64 exec, exec, s[2:3]
	v_cmp_gt_u64_e32 vcc, s[24:25], v[0:1]
	s_mov_b64 s[36:37], 0
	s_and_saveexec_b64 s[2:3], vcc
	s_cbranch_execz .LBB183_539
; %bb.538:                              ;   in Loop: Header=BB183_535 Depth=1
	s_waitcnt vmcnt(0)
	v_cmp_o_f64_e32 vcc, v[8:9], v[8:9]
	v_ashrrev_i32_e32 v4, 31, v9
	v_or_b32_e32 v14, 0x80000000, v4
	v_xor_b32_e32 v14, v14, v9
	v_xor_b32_e32 v4, v4, v8
	v_cndmask_b32_e32 v15, -1, v14, vcc
	v_cndmask_b32_e32 v14, -1, v4, vcc
	v_cmp_eq_u64_e32 vcc, v[14:15], v[2:3]
	s_and_b64 s[36:37], vcc, exec
.LBB183_539:                            ;   in Loop: Header=BB183_535 Depth=1
	s_or_b64 exec, exec, s[2:3]
	v_cndmask_b32_e64 v4, 0, 1, s[36:37]
	v_cmp_ne_u32_e32 vcc, 0, v4
	s_cmp_lg_u64 vcc, 0
	s_cselect_b64 s[2:3], -1, 0
	s_and_b64 s[2:3], s[0:1], s[2:3]
	s_and_saveexec_b64 s[38:39], s[2:3]
	s_cbranch_execz .LBB183_543
; %bb.540:                              ;   in Loop: Header=BB183_535 Depth=1
	s_mov_b64 s[42:43], exec
	v_mbcnt_lo_u32_b32 v4, s42, 0
	v_mbcnt_hi_u32_b32 v14, s43, v4
	s_bcnt1_i32_b64 s48, vcc
	v_cmp_eq_u32_e64 s[2:3], 0, v14
                                        ; implicit-def: $vgpr10_vgpr11
	s_and_saveexec_b64 s[40:41], s[2:3]
; %bb.541:                              ;   in Loop: Header=BB183_535 Depth=1
	s_bcnt1_i32_b64 s2, s[42:43]
	s_mul_i32 s2, s48, s2
	v_mov_b32_e32 v4, s2
	ds_add_rtn_u64 v[10:11], v5, v[4:5] offset:5136
; %bb.542:                              ;   in Loop: Header=BB183_535 Depth=1
	s_or_b64 exec, exec, s[40:41]
	s_waitcnt lgkmcnt(0)
	v_readfirstlane_b32 s2, v11
	v_readfirstlane_b32 s3, v10
	v_mov_b32_e32 v10, s3
	v_mov_b32_e32 v11, s2
	v_mad_u64_u32 v[10:11], s[2:3], s48, v14, v[10:11]
.LBB183_543:                            ;   in Loop: Header=BB183_535 Depth=1
	s_or_b64 exec, exec, s[38:39]
	ds_bpermute_b32 v10, v32, v10
	ds_bpermute_b32 v11, v32, v11
	s_cmp_eq_u64 vcc, 0
	s_cselect_b64 s[40:41], -1, 0
	s_mov_b64 s[38:39], -1
	s_waitcnt lgkmcnt(0)
	v_cmp_gt_u64_e64 s[2:3], s[26:27], v[10:11]
	s_or_b64 s[42:43], s[40:41], s[2:3]
	s_mov_b64 s[40:41], -1
	s_and_saveexec_b64 s[2:3], s[42:43]
	s_cbranch_execz .LBB183_534
; %bb.544:                              ;   in Loop: Header=BB183_535 Depth=1
	v_and_b32_e32 v14, vcc_lo, v34
	v_and_b32_e32 v4, vcc_hi, v33
	v_bcnt_u32_b32 v14, v14, 0
	v_bcnt_u32_b32 v4, v4, v14
	v_mov_b32_e32 v15, s27
	v_sub_co_u32_e32 v14, vcc, s26, v10
	v_subb_co_u32_e32 v15, vcc, v15, v11, vcc
	v_cmp_gt_u64_e32 vcc, v[14:15], v[4:5]
	s_mov_b64 s[42:43], -1
	s_and_b64 s[48:49], s[36:37], vcc
	s_mov_b64 s[36:37], -1
	s_and_saveexec_b64 s[38:39], s[48:49]
	s_cbranch_execz .LBB183_548
; %bb.545:                              ;   in Loop: Header=BB183_535 Depth=1
	v_add_co_u32_e32 v14, vcc, v10, v4
	v_addc_co_u32_e32 v15, vcc, 0, v11, vcc
	v_cmp_gt_u64_e32 vcc, s[26:27], v[14:15]
	s_mov_b64 s[40:41], 0
	s_and_saveexec_b64 s[42:43], vcc
	s_cbranch_execz .LBB183_547
; %bb.546:                              ;   in Loop: Header=BB183_535 Depth=1
	v_mul_lo_u32 v4, v15, s18
	v_mul_lo_u32 v18, v14, s19
	v_mad_u64_u32 v[16:17], s[48:49], v14, s18, 0
	v_mul_lo_u32 v19, v15, s20
	v_mul_lo_u32 v20, v14, s21
	v_mad_u64_u32 v[14:15], s[48:49], v14, s20, 0
	v_add3_u32 v17, v17, v18, v4
	v_lshlrev_b64 v[16:17], 3, v[16:17]
	v_mov_b32_e32 v4, s45
	v_add_co_u32_e32 v16, vcc, s44, v16
	v_add3_u32 v15, v15, v20, v19
	v_addc_co_u32_e32 v17, vcc, v4, v17, vcc
	s_waitcnt vmcnt(0)
	global_store_dwordx2 v[16:17], v[8:9], off
	v_lshlrev_b64 v[8:9], 3, v[14:15]
	v_mov_b32_e32 v4, s47
	v_add_co_u32_e32 v8, vcc, s46, v8
	s_mov_b64 s[40:41], exec
	v_addc_co_u32_e32 v9, vcc, v4, v9, vcc
	global_store_dwordx2 v[8:9], v[0:1], off
.LBB183_547:                            ;   in Loop: Header=BB183_535 Depth=1
	s_or_b64 exec, exec, s[42:43]
	s_xor_b64 s[42:43], exec, -1
	s_orn2_b64 s[40:41], s[40:41], exec
.LBB183_548:                            ;   in Loop: Header=BB183_535 Depth=1
	s_or_b64 exec, exec, s[38:39]
	s_and_saveexec_b64 s[38:39], s[40:41]
	s_cbranch_execz .LBB183_533
; %bb.549:                              ;   in Loop: Header=BB183_535 Depth=1
	v_cmp_le_u64_e32 vcc, s[8:9], v[6:7]
	s_or_b64 s[42:43], s[42:43], exec
	s_orn2_b64 s[36:37], vcc, exec
	s_branch .LBB183_533
.LBB183_550:
	s_or_b64 s[6:7], s[6:7], exec
	s_trap 2
	s_branch .LBB183_510
.LBB183_551:
	s_or_b64 exec, exec, s[30:31]
	s_mov_b64 s[0:1], 0
	s_and_saveexec_b64 s[2:3], s[34:35]
	s_xor_b64 s[2:3], exec, s[2:3]
	s_cbranch_execnz .LBB183_557
.LBB183_552:
	s_or_b64 exec, exec, s[2:3]
	s_and_b64 s[2:3], s[0:1], exec
.LBB183_553:
	s_or_b64 exec, exec, s[28:29]
	s_and_b64 s[2:3], s[2:3], exec
	s_andn2_b64 s[4:5], s[4:5], exec
	s_or_b64 exec, exec, s[6:7]
	s_and_saveexec_b64 s[0:1], s[4:5]
	s_xor_b64 s[0:1], exec, s[0:1]
	s_cbranch_execz .LBB183_504
.LBB183_554:
	s_trap 2
	s_or_b64 s[2:3], s[2:3], exec
	s_branch .LBB183_504
.LBB183_555:
	s_or_b64 s[6:7], s[6:7], exec
	s_trap 2
	s_branch .LBB183_508
.LBB183_556:
	s_trap 2
	s_or_b64 s[6:7], s[6:7], exec
	s_branch .LBB183_506
.LBB183_557:
	s_mov_b64 s[0:1], exec
	s_trap 2
	s_branch .LBB183_552
	.section	.rodata,"a",@progbits
	.p2align	6, 0x0
	.amdhsa_kernel _ZN2at6native6sbtopk10gatherTopKIdmLi2ELb0EEEvNS_4cuda6detail10TensorInfoIKT_T0_EES8_S8_bS8_S8_NS5_IS6_S8_EES8_NS5_IlS8_EES8_PS6_
		.amdhsa_group_segment_fixed_size 5152
		.amdhsa_private_segment_fixed_size 0
		.amdhsa_kernarg_size 1568
		.amdhsa_user_sgpr_count 6
		.amdhsa_user_sgpr_private_segment_buffer 1
		.amdhsa_user_sgpr_dispatch_ptr 0
		.amdhsa_user_sgpr_queue_ptr 0
		.amdhsa_user_sgpr_kernarg_segment_ptr 1
		.amdhsa_user_sgpr_dispatch_id 0
		.amdhsa_user_sgpr_flat_scratch_init 0
		.amdhsa_user_sgpr_private_segment_size 0
		.amdhsa_uses_dynamic_stack 0
		.amdhsa_system_sgpr_private_segment_wavefront_offset 0
		.amdhsa_system_sgpr_workgroup_id_x 1
		.amdhsa_system_sgpr_workgroup_id_y 1
		.amdhsa_system_sgpr_workgroup_id_z 1
		.amdhsa_system_sgpr_workgroup_info 0
		.amdhsa_system_vgpr_workitem_id 0
		.amdhsa_next_free_vgpr 47
		.amdhsa_next_free_sgpr 96
		.amdhsa_reserve_vcc 1
		.amdhsa_reserve_flat_scratch 0
		.amdhsa_float_round_mode_32 0
		.amdhsa_float_round_mode_16_64 0
		.amdhsa_float_denorm_mode_32 3
		.amdhsa_float_denorm_mode_16_64 3
		.amdhsa_dx10_clamp 1
		.amdhsa_ieee_mode 1
		.amdhsa_fp16_overflow 0
		.amdhsa_exception_fp_ieee_invalid_op 0
		.amdhsa_exception_fp_denorm_src 0
		.amdhsa_exception_fp_ieee_div_zero 0
		.amdhsa_exception_fp_ieee_overflow 0
		.amdhsa_exception_fp_ieee_underflow 0
		.amdhsa_exception_fp_ieee_inexact 0
		.amdhsa_exception_int_div_zero 0
	.end_amdhsa_kernel
	.section	.text._ZN2at6native6sbtopk10gatherTopKIdmLi2ELb0EEEvNS_4cuda6detail10TensorInfoIKT_T0_EES8_S8_bS8_S8_NS5_IS6_S8_EES8_NS5_IlS8_EES8_PS6_,"axG",@progbits,_ZN2at6native6sbtopk10gatherTopKIdmLi2ELb0EEEvNS_4cuda6detail10TensorInfoIKT_T0_EES8_S8_bS8_S8_NS5_IS6_S8_EES8_NS5_IlS8_EES8_PS6_,comdat
.Lfunc_end183:
	.size	_ZN2at6native6sbtopk10gatherTopKIdmLi2ELb0EEEvNS_4cuda6detail10TensorInfoIKT_T0_EES8_S8_bS8_S8_NS5_IS6_S8_EES8_NS5_IlS8_EES8_PS6_, .Lfunc_end183-_ZN2at6native6sbtopk10gatherTopKIdmLi2ELb0EEEvNS_4cuda6detail10TensorInfoIKT_T0_EES8_S8_bS8_S8_NS5_IS6_S8_EES8_NS5_IlS8_EES8_PS6_
                                        ; -- End function
	.set _ZN2at6native6sbtopk10gatherTopKIdmLi2ELb0EEEvNS_4cuda6detail10TensorInfoIKT_T0_EES8_S8_bS8_S8_NS5_IS6_S8_EES8_NS5_IlS8_EES8_PS6_.num_vgpr, 47
	.set _ZN2at6native6sbtopk10gatherTopKIdmLi2ELb0EEEvNS_4cuda6detail10TensorInfoIKT_T0_EES8_S8_bS8_S8_NS5_IS6_S8_EES8_NS5_IlS8_EES8_PS6_.num_agpr, 0
	.set _ZN2at6native6sbtopk10gatherTopKIdmLi2ELb0EEEvNS_4cuda6detail10TensorInfoIKT_T0_EES8_S8_bS8_S8_NS5_IS6_S8_EES8_NS5_IlS8_EES8_PS6_.numbered_sgpr, 96
	.set _ZN2at6native6sbtopk10gatherTopKIdmLi2ELb0EEEvNS_4cuda6detail10TensorInfoIKT_T0_EES8_S8_bS8_S8_NS5_IS6_S8_EES8_NS5_IlS8_EES8_PS6_.num_named_barrier, 0
	.set _ZN2at6native6sbtopk10gatherTopKIdmLi2ELb0EEEvNS_4cuda6detail10TensorInfoIKT_T0_EES8_S8_bS8_S8_NS5_IS6_S8_EES8_NS5_IlS8_EES8_PS6_.private_seg_size, 0
	.set _ZN2at6native6sbtopk10gatherTopKIdmLi2ELb0EEEvNS_4cuda6detail10TensorInfoIKT_T0_EES8_S8_bS8_S8_NS5_IS6_S8_EES8_NS5_IlS8_EES8_PS6_.uses_vcc, 1
	.set _ZN2at6native6sbtopk10gatherTopKIdmLi2ELb0EEEvNS_4cuda6detail10TensorInfoIKT_T0_EES8_S8_bS8_S8_NS5_IS6_S8_EES8_NS5_IlS8_EES8_PS6_.uses_flat_scratch, 0
	.set _ZN2at6native6sbtopk10gatherTopKIdmLi2ELb0EEEvNS_4cuda6detail10TensorInfoIKT_T0_EES8_S8_bS8_S8_NS5_IS6_S8_EES8_NS5_IlS8_EES8_PS6_.has_dyn_sized_stack, 0
	.set _ZN2at6native6sbtopk10gatherTopKIdmLi2ELb0EEEvNS_4cuda6detail10TensorInfoIKT_T0_EES8_S8_bS8_S8_NS5_IS6_S8_EES8_NS5_IlS8_EES8_PS6_.has_recursion, 0
	.set _ZN2at6native6sbtopk10gatherTopKIdmLi2ELb0EEEvNS_4cuda6detail10TensorInfoIKT_T0_EES8_S8_bS8_S8_NS5_IS6_S8_EES8_NS5_IlS8_EES8_PS6_.has_indirect_call, 0
	.section	.AMDGPU.csdata,"",@progbits
; Kernel info:
; codeLenInByte = 26612
; TotalNumSgprs: 100
; NumVgprs: 47
; ScratchSize: 0
; MemoryBound: 0
; FloatMode: 240
; IeeeMode: 1
; LDSByteSize: 5152 bytes/workgroup (compile time only)
; SGPRBlocks: 12
; VGPRBlocks: 11
; NumSGPRsForWavesPerEU: 100
; NumVGPRsForWavesPerEU: 47
; Occupancy: 5
; WaveLimiterHint : 1
; COMPUTE_PGM_RSRC2:SCRATCH_EN: 0
; COMPUTE_PGM_RSRC2:USER_SGPR: 6
; COMPUTE_PGM_RSRC2:TRAP_HANDLER: 0
; COMPUTE_PGM_RSRC2:TGID_X_EN: 1
; COMPUTE_PGM_RSRC2:TGID_Y_EN: 1
; COMPUTE_PGM_RSRC2:TGID_Z_EN: 1
; COMPUTE_PGM_RSRC2:TIDIG_COMP_CNT: 0
	.section	.text._ZN2at6native6mbtopk23computeBlockDigitCountsIdmmLi3EEEvNS_4cuda6detail10TensorInfoIKT_T0_EEjPjjS8_iijT1_PSB_Ps,"axG",@progbits,_ZN2at6native6mbtopk23computeBlockDigitCountsIdmmLi3EEEvNS_4cuda6detail10TensorInfoIKT_T0_EEjPjjS8_iijT1_PSB_Ps,comdat
	.protected	_ZN2at6native6mbtopk23computeBlockDigitCountsIdmmLi3EEEvNS_4cuda6detail10TensorInfoIKT_T0_EEjPjjS8_iijT1_PSB_Ps ; -- Begin function _ZN2at6native6mbtopk23computeBlockDigitCountsIdmmLi3EEEvNS_4cuda6detail10TensorInfoIKT_T0_EEjPjjS8_iijT1_PSB_Ps
	.globl	_ZN2at6native6mbtopk23computeBlockDigitCountsIdmmLi3EEEvNS_4cuda6detail10TensorInfoIKT_T0_EEjPjjS8_iijT1_PSB_Ps
	.p2align	8
	.type	_ZN2at6native6mbtopk23computeBlockDigitCountsIdmmLi3EEEvNS_4cuda6detail10TensorInfoIKT_T0_EEjPjjS8_iijT1_PSB_Ps,@function
_ZN2at6native6mbtopk23computeBlockDigitCountsIdmmLi3EEEvNS_4cuda6detail10TensorInfoIKT_T0_EEjPjjS8_iijT1_PSB_Ps: ; @_ZN2at6native6mbtopk23computeBlockDigitCountsIdmmLi3EEEvNS_4cuda6detail10TensorInfoIKT_T0_EEjPjjS8_iijT1_PSB_Ps
; %bb.0:
	s_load_dwordx4 s[0:3], s[4:5], 0x1c0
	s_load_dwordx2 s[10:11], s[4:5], 0x1e8
	s_waitcnt lgkmcnt(0)
	s_load_dword s3, s[4:5], 0x1b0
	s_mov_b32 s23, 0
	v_cvt_f32_u32_e32 v1, s2
	s_mul_i32 s8, s11, s8
	s_add_i32 s7, s8, s7
	s_mul_i32 s26, s7, s10
	v_rcp_iflag_f32_e32 v1, v1
	s_sub_i32 s9, 0, s2
	s_add_i32 s26, s26, s6
	v_mul_f32_e32 v1, 0x4f7ffffe, v1
	v_cvt_u32_f32_e32 v1, v1
	v_readfirstlane_b32 s6, v1
	s_mul_i32 s9, s9, s6
	s_mul_hi_u32 s7, s6, s9
	s_add_i32 s6, s6, s7
	s_mul_hi_u32 s6, s26, s6
	s_mul_i32 s7, s6, s2
	s_sub_i32 s7, s26, s7
	s_add_i32 s8, s6, 1
	s_sub_i32 s9, s7, s2
	s_cmp_ge_u32 s7, s2
	s_cselect_b32 s6, s8, s6
	s_cselect_b32 s7, s9, s7
	s_add_i32 s8, s6, 1
	s_cmp_ge_u32 s7, s2
	s_cselect_b32 s22, s8, s6
	s_waitcnt lgkmcnt(0)
	s_cmp_ge_u32 s22, s3
	s_cbranch_scc1 .LBB184_25
; %bb.1:
	s_load_dwordx4 s[8:11], s[4:5], 0x1d0
	s_load_dwordx4 s[12:15], s[4:5], 0x10
	s_lshl_b64 s[6:7], s[22:23], 3
	s_mov_b64 s[20:21], 0
	s_waitcnt lgkmcnt(0)
	s_add_u32 s24, s10, s6
	v_mov_b32_e32 v1, s14
	v_mov_b32_e32 v2, s15
	v_cmp_lt_u64_e32 vcc, s[22:23], v[1:2]
	s_addc_u32 s25, s11, s7
	s_mov_b64 s[10:11], 0
	s_cbranch_vccnz .LBB184_3
; %bb.2:
	v_cvt_f32_u32_e32 v1, s14
	s_sub_i32 s3, 0, s14
	s_mov_b32 s11, 0
	v_rcp_iflag_f32_e32 v1, v1
	v_mul_f32_e32 v1, 0x4f7ffffe, v1
	v_cvt_u32_f32_e32 v1, v1
	v_readfirstlane_b32 s6, v1
	s_mul_i32 s3, s3, s6
	s_mul_hi_u32 s3, s6, s3
	s_add_i32 s6, s6, s3
	s_mul_hi_u32 s3, s22, s6
	s_mul_i32 s7, s3, s14
	s_sub_i32 s7, s22, s7
	s_add_i32 s6, s3, 1
	s_sub_i32 s10, s7, s14
	s_cmp_ge_u32 s7, s14
	s_cselect_b32 s3, s6, s3
	s_cselect_b32 s7, s10, s7
	s_add_i32 s6, s3, 1
	s_cmp_ge_u32 s7, s14
	s_cselect_b32 s10, s6, s3
.LBB184_3:
	s_load_dwordx2 s[6:7], s[4:5], 0x1e0
	v_mov_b32_e32 v1, s12
	v_mov_b32_e32 v2, s13
	v_cmp_lt_u64_e32 vcc, s[10:11], v[1:2]
	s_cbranch_vccnz .LBB184_5
; %bb.4:
	v_cvt_f32_u32_e32 v1, s12
	s_sub_i32 s3, 0, s12
	v_rcp_iflag_f32_e32 v1, v1
	v_mul_f32_e32 v1, 0x4f7ffffe, v1
	v_cvt_u32_f32_e32 v1, v1
	v_readfirstlane_b32 s16, v1
	s_mul_i32 s3, s3, s16
	s_mul_hi_u32 s3, s16, s3
	s_add_i32 s16, s16, s3
	s_mul_hi_u32 s3, s10, s16
	s_mul_i32 s17, s3, s12
	s_sub_i32 s17, s10, s17
	s_add_i32 s16, s3, 1
	s_sub_i32 s18, s17, s12
	s_cmp_ge_u32 s17, s12
	s_cselect_b32 s3, s16, s3
	s_cselect_b32 s17, s18, s17
	s_add_i32 s16, s3, 1
	s_cmp_ge_u32 s17, s12
	s_cselect_b32 s20, s16, s3
.LBB184_5:
	s_movk_i32 s3, 0x100
	v_cmp_gt_u32_e32 vcc, s3, v0
	v_lshlrev_b32_e32 v3, 2, v0
	s_and_saveexec_b64 s[16:17], vcc
; %bb.6:
	v_mov_b32_e32 v1, 0
	ds_write_b32 v3, v1
; %bb.7:
	s_or_b64 exec, exec, s[16:17]
	s_load_dword s21, s[4:5], 0x1a0
	s_mul_i32 s3, s22, s2
	s_sub_i32 s3, s26, s3
	s_add_i32 s18, s3, 1
	s_mul_i32 s3, s1, s3
	s_lshl_b32 s27, s3, 8
	s_waitcnt lgkmcnt(0)
	s_sub_i32 s3, s21, s27
	s_add_u32 s16, s3, 0xff
	s_addc_u32 s17, 0, 0
	s_lshr_b64 s[16:17], s[16:17], 8
	s_cmp_lt_u32 s18, s2
	s_cselect_b32 s23, s1, s16
	s_cmp_lt_i32 s23, 1
	s_mov_b32 s1, 0
	s_barrier
	s_cbranch_scc1 .LBB184_23
; %bb.8:
	s_load_dwordx2 s[28:29], s[4:5], 0xe0
	s_load_dwordx4 s[16:19], s[4:5], 0xd0
	s_load_dwordx2 s[30:31], s[4:5], 0x0
	s_load_dwordx2 s[2:3], s[24:25], 0x0
	s_mul_i32 s15, s10, s15
	s_mul_hi_u32 s24, s10, s14
	s_add_i32 s24, s24, s15
	s_mul_i32 s14, s10, s14
	s_sub_u32 s14, s22, s14
	s_subb_u32 s15, 0, s24
	s_waitcnt lgkmcnt(0)
	s_mul_i32 s22, s14, s29
	s_mul_hi_u32 s24, s14, s28
	s_add_i32 s22, s24, s22
	s_mul_i32 s15, s15, s28
	s_add_i32 s15, s22, s15
	s_mul_i32 s13, s20, s13
	s_mul_hi_u32 s22, s20, s12
	s_add_i32 s22, s22, s13
	s_mul_i32 s12, s20, s12
	s_sub_u32 s10, s10, s12
	s_subb_u32 s11, s11, s22
	s_mul_i32 s12, s10, s19
	s_mul_hi_u32 s13, s10, s18
	s_add_i32 s12, s13, s12
	s_mul_i32 s11, s11, s18
	s_add_i32 s11, s12, s11
	s_mul_i32 s12, s20, s17
	s_mul_hi_u32 s13, s20, s16
	s_add_i32 s13, s13, s12
	s_mul_i32 s12, s20, s16
	s_lshl_b64 s[12:13], s[12:13], 3
	s_mul_i32 s10, s10, s18
	s_add_u32 s12, s30, s12
	s_addc_u32 s13, s31, s13
	s_lshl_b64 s[10:11], s[10:11], 3
	s_load_dwordx2 s[4:5], s[4:5], 0x1b8
	s_mul_i32 s14, s14, s28
	s_add_u32 s12, s12, s10
	s_addc_u32 s16, s13, s11
	s_lshl_b64 s[10:11], s[14:15], 3
	s_add_u32 s13, s12, s10
	s_addc_u32 s14, s16, s11
	s_and_b32 s12, s0, 0xff
	s_cmp_eq_u32 s23, 1
	v_add_u32_e32 v4, s27, v0
	s_cbranch_scc1 .LBB184_18
; %bb.9:
	s_and_b32 s15, s23, 0x7ffffffe
	s_mov_b32 s16, 0
	v_mov_b32_e32 v5, 1
	v_mov_b32_e32 v6, 2
	;; [unrolled: 1-line block ×3, first 2 shown]
	s_branch .LBB184_11
.LBB184_10:                             ;   in Loop: Header=BB184_11 Depth=1
	s_or_b64 exec, exec, s[10:11]
	s_add_i32 s16, s16, 2
	s_cmp_eq_u32 s15, s16
	v_add_u32_e32 v7, 0x200, v7
	s_cbranch_scc1 .LBB184_17
.LBB184_11:                             ; =>This Inner Loop Header: Depth=1
	v_cmp_gt_u32_e64 s[0:1], s21, v7
	s_and_saveexec_b64 s[10:11], s[0:1]
	s_cbranch_execz .LBB184_14
; %bb.12:                               ;   in Loop: Header=BB184_11 Depth=1
	s_waitcnt lgkmcnt(0)
	v_mad_u64_u32 v[1:2], s[0:1], s4, v7, 0
	v_mad_u64_u32 v[8:9], s[0:1], s5, v7, v[2:3]
	v_mov_b32_e32 v9, s14
	v_mov_b32_e32 v2, v8
	v_lshlrev_b64 v[1:2], 3, v[1:2]
	v_add_co_u32_e64 v1, s[0:1], s13, v1
	v_addc_co_u32_e64 v2, s[0:1], v9, v2, s[0:1]
	global_load_dwordx2 v[1:2], v[1:2], off
	s_waitcnt vmcnt(0)
	v_cmp_o_f64_e64 s[0:1], v[1:2], v[1:2]
	v_ashrrev_i32_e32 v8, 31, v2
	v_or_b32_e32 v9, 0x80000000, v8
	v_xor_b32_e32 v9, v9, v2
	v_xor_b32_e32 v1, v8, v1
	v_cndmask_b32_e64 v2, -1, v9, s[0:1]
	v_cndmask_b32_e64 v1, -1, v1, s[0:1]
	v_xor_b32_e32 v8, s3, v2
	v_xor_b32_e32 v10, s2, v1
	v_and_b32_e32 v9, s9, v8
	v_and_b32_e32 v8, s8, v10
	v_cmp_eq_u64_e64 s[0:1], 0, v[8:9]
	s_and_b64 exec, exec, s[0:1]
; %bb.13:                               ;   in Loop: Header=BB184_11 Depth=1
	v_lshrrev_b64 v[1:2], s12, v[1:2]
	v_lshlrev_b32_sdwa v1, v6, v1 dst_sel:DWORD dst_unused:UNUSED_PAD src0_sel:DWORD src1_sel:BYTE_0
	ds_add_u32 v1, v5
.LBB184_14:                             ;   in Loop: Header=BB184_11 Depth=1
	s_or_b64 exec, exec, s[10:11]
	v_add_u32_e32 v1, 0x100, v7
	v_cmp_gt_u32_e64 s[0:1], s21, v1
	s_and_saveexec_b64 s[10:11], s[0:1]
	s_cbranch_execz .LBB184_10
; %bb.15:                               ;   in Loop: Header=BB184_11 Depth=1
	s_waitcnt lgkmcnt(0)
	v_mad_u64_u32 v[8:9], s[0:1], s4, v1, 0
	v_mov_b32_e32 v10, s14
	v_mov_b32_e32 v2, v9
	v_mad_u64_u32 v[1:2], s[0:1], s5, v1, v[2:3]
	v_mov_b32_e32 v9, v1
	v_lshlrev_b64 v[1:2], 3, v[8:9]
	v_add_co_u32_e64 v1, s[0:1], s13, v1
	v_addc_co_u32_e64 v2, s[0:1], v10, v2, s[0:1]
	global_load_dwordx2 v[1:2], v[1:2], off
	s_waitcnt vmcnt(0)
	v_cmp_o_f64_e64 s[0:1], v[1:2], v[1:2]
	v_ashrrev_i32_e32 v8, 31, v2
	v_or_b32_e32 v9, 0x80000000, v8
	v_xor_b32_e32 v9, v9, v2
	v_xor_b32_e32 v1, v8, v1
	v_cndmask_b32_e64 v2, -1, v9, s[0:1]
	v_cndmask_b32_e64 v1, -1, v1, s[0:1]
	v_xor_b32_e32 v8, s3, v2
	v_xor_b32_e32 v10, s2, v1
	v_and_b32_e32 v9, s9, v8
	v_and_b32_e32 v8, s8, v10
	v_cmp_eq_u64_e64 s[0:1], 0, v[8:9]
	s_and_b64 exec, exec, s[0:1]
	s_cbranch_execz .LBB184_10
; %bb.16:                               ;   in Loop: Header=BB184_11 Depth=1
	v_lshrrev_b64 v[1:2], s12, v[1:2]
	v_lshlrev_b32_sdwa v1, v6, v1 dst_sel:DWORD dst_unused:UNUSED_PAD src0_sel:DWORD src1_sel:BYTE_0
	ds_add_u32 v1, v5
	s_branch .LBB184_10
.LBB184_17:
	s_lshl_b32 s1, s15, 8
.LBB184_18:
	s_bitcmp0_b32 s23, 0
	s_cbranch_scc1 .LBB184_23
; %bb.19:
	v_add_u32_e32 v1, s1, v4
	v_cmp_gt_u32_e64 s[0:1], s21, v1
	s_and_saveexec_b64 s[10:11], s[0:1]
	s_cbranch_execz .LBB184_22
; %bb.20:
	s_waitcnt lgkmcnt(0)
	v_mad_u64_u32 v[4:5], s[0:1], s4, v1, 0
	v_mov_b32_e32 v6, s14
	v_mov_b32_e32 v2, v5
	v_mad_u64_u32 v[1:2], s[0:1], s5, v1, v[2:3]
	v_mov_b32_e32 v5, v1
	v_lshlrev_b64 v[1:2], 3, v[4:5]
	v_add_co_u32_e64 v1, s[0:1], s13, v1
	v_addc_co_u32_e64 v2, s[0:1], v6, v2, s[0:1]
	global_load_dwordx2 v[1:2], v[1:2], off
	s_waitcnt vmcnt(0)
	v_cmp_o_f64_e64 s[0:1], v[1:2], v[1:2]
	v_ashrrev_i32_e32 v4, 31, v2
	v_or_b32_e32 v5, 0x80000000, v4
	v_xor_b32_e32 v5, v5, v2
	v_xor_b32_e32 v1, v4, v1
	v_cndmask_b32_e64 v2, -1, v5, s[0:1]
	v_cndmask_b32_e64 v1, -1, v1, s[0:1]
	v_xor_b32_e32 v4, s3, v2
	v_xor_b32_e32 v6, s2, v1
	v_and_b32_e32 v5, s9, v4
	v_and_b32_e32 v4, s8, v6
	v_cmp_eq_u64_e64 s[0:1], 0, v[4:5]
	s_and_b64 exec, exec, s[0:1]
	s_cbranch_execz .LBB184_22
; %bb.21:
	v_lshrrev_b64 v[1:2], s12, v[1:2]
	v_mov_b32_e32 v2, 2
	v_lshlrev_b32_sdwa v1, v2, v1 dst_sel:DWORD dst_unused:UNUSED_PAD src0_sel:DWORD src1_sel:BYTE_0
	v_mov_b32_e32 v2, 1
	ds_add_u32 v1, v2
.LBB184_22:
	s_or_b64 exec, exec, s[10:11]
.LBB184_23:
	s_waitcnt lgkmcnt(0)
	s_barrier
	s_and_saveexec_b64 s[0:1], vcc
	s_cbranch_execz .LBB184_25
; %bb.24:
	v_lshl_or_b32 v0, s26, 8, v0
	v_mov_b32_e32 v1, 0
	ds_read_b32 v3, v3
	v_lshlrev_b64 v[0:1], 1, v[0:1]
	v_mov_b32_e32 v2, s7
	v_add_co_u32_e32 v0, vcc, s6, v0
	v_addc_co_u32_e32 v1, vcc, v2, v1, vcc
	s_waitcnt lgkmcnt(0)
	global_store_short v[0:1], v3, off
.LBB184_25:
	s_endpgm
	.section	.rodata,"a",@progbits
	.p2align	6, 0x0
	.amdhsa_kernel _ZN2at6native6mbtopk23computeBlockDigitCountsIdmmLi3EEEvNS_4cuda6detail10TensorInfoIKT_T0_EEjPjjS8_iijT1_PSB_Ps
		.amdhsa_group_segment_fixed_size 1024
		.amdhsa_private_segment_fixed_size 0
		.amdhsa_kernarg_size 744
		.amdhsa_user_sgpr_count 6
		.amdhsa_user_sgpr_private_segment_buffer 1
		.amdhsa_user_sgpr_dispatch_ptr 0
		.amdhsa_user_sgpr_queue_ptr 0
		.amdhsa_user_sgpr_kernarg_segment_ptr 1
		.amdhsa_user_sgpr_dispatch_id 0
		.amdhsa_user_sgpr_flat_scratch_init 0
		.amdhsa_user_sgpr_private_segment_size 0
		.amdhsa_uses_dynamic_stack 0
		.amdhsa_system_sgpr_private_segment_wavefront_offset 0
		.amdhsa_system_sgpr_workgroup_id_x 1
		.amdhsa_system_sgpr_workgroup_id_y 1
		.amdhsa_system_sgpr_workgroup_id_z 1
		.amdhsa_system_sgpr_workgroup_info 0
		.amdhsa_system_vgpr_workitem_id 0
		.amdhsa_next_free_vgpr 11
		.amdhsa_next_free_sgpr 32
		.amdhsa_reserve_vcc 1
		.amdhsa_reserve_flat_scratch 0
		.amdhsa_float_round_mode_32 0
		.amdhsa_float_round_mode_16_64 0
		.amdhsa_float_denorm_mode_32 3
		.amdhsa_float_denorm_mode_16_64 3
		.amdhsa_dx10_clamp 1
		.amdhsa_ieee_mode 1
		.amdhsa_fp16_overflow 0
		.amdhsa_exception_fp_ieee_invalid_op 0
		.amdhsa_exception_fp_denorm_src 0
		.amdhsa_exception_fp_ieee_div_zero 0
		.amdhsa_exception_fp_ieee_overflow 0
		.amdhsa_exception_fp_ieee_underflow 0
		.amdhsa_exception_fp_ieee_inexact 0
		.amdhsa_exception_int_div_zero 0
	.end_amdhsa_kernel
	.section	.text._ZN2at6native6mbtopk23computeBlockDigitCountsIdmmLi3EEEvNS_4cuda6detail10TensorInfoIKT_T0_EEjPjjS8_iijT1_PSB_Ps,"axG",@progbits,_ZN2at6native6mbtopk23computeBlockDigitCountsIdmmLi3EEEvNS_4cuda6detail10TensorInfoIKT_T0_EEjPjjS8_iijT1_PSB_Ps,comdat
.Lfunc_end184:
	.size	_ZN2at6native6mbtopk23computeBlockDigitCountsIdmmLi3EEEvNS_4cuda6detail10TensorInfoIKT_T0_EEjPjjS8_iijT1_PSB_Ps, .Lfunc_end184-_ZN2at6native6mbtopk23computeBlockDigitCountsIdmmLi3EEEvNS_4cuda6detail10TensorInfoIKT_T0_EEjPjjS8_iijT1_PSB_Ps
                                        ; -- End function
	.set _ZN2at6native6mbtopk23computeBlockDigitCountsIdmmLi3EEEvNS_4cuda6detail10TensorInfoIKT_T0_EEjPjjS8_iijT1_PSB_Ps.num_vgpr, 11
	.set _ZN2at6native6mbtopk23computeBlockDigitCountsIdmmLi3EEEvNS_4cuda6detail10TensorInfoIKT_T0_EEjPjjS8_iijT1_PSB_Ps.num_agpr, 0
	.set _ZN2at6native6mbtopk23computeBlockDigitCountsIdmmLi3EEEvNS_4cuda6detail10TensorInfoIKT_T0_EEjPjjS8_iijT1_PSB_Ps.numbered_sgpr, 32
	.set _ZN2at6native6mbtopk23computeBlockDigitCountsIdmmLi3EEEvNS_4cuda6detail10TensorInfoIKT_T0_EEjPjjS8_iijT1_PSB_Ps.num_named_barrier, 0
	.set _ZN2at6native6mbtopk23computeBlockDigitCountsIdmmLi3EEEvNS_4cuda6detail10TensorInfoIKT_T0_EEjPjjS8_iijT1_PSB_Ps.private_seg_size, 0
	.set _ZN2at6native6mbtopk23computeBlockDigitCountsIdmmLi3EEEvNS_4cuda6detail10TensorInfoIKT_T0_EEjPjjS8_iijT1_PSB_Ps.uses_vcc, 1
	.set _ZN2at6native6mbtopk23computeBlockDigitCountsIdmmLi3EEEvNS_4cuda6detail10TensorInfoIKT_T0_EEjPjjS8_iijT1_PSB_Ps.uses_flat_scratch, 0
	.set _ZN2at6native6mbtopk23computeBlockDigitCountsIdmmLi3EEEvNS_4cuda6detail10TensorInfoIKT_T0_EEjPjjS8_iijT1_PSB_Ps.has_dyn_sized_stack, 0
	.set _ZN2at6native6mbtopk23computeBlockDigitCountsIdmmLi3EEEvNS_4cuda6detail10TensorInfoIKT_T0_EEjPjjS8_iijT1_PSB_Ps.has_recursion, 0
	.set _ZN2at6native6mbtopk23computeBlockDigitCountsIdmmLi3EEEvNS_4cuda6detail10TensorInfoIKT_T0_EEjPjjS8_iijT1_PSB_Ps.has_indirect_call, 0
	.section	.AMDGPU.csdata,"",@progbits
; Kernel info:
; codeLenInByte = 1428
; TotalNumSgprs: 36
; NumVgprs: 11
; ScratchSize: 0
; MemoryBound: 0
; FloatMode: 240
; IeeeMode: 1
; LDSByteSize: 1024 bytes/workgroup (compile time only)
; SGPRBlocks: 4
; VGPRBlocks: 2
; NumSGPRsForWavesPerEU: 36
; NumVGPRsForWavesPerEU: 11
; Occupancy: 10
; WaveLimiterHint : 1
; COMPUTE_PGM_RSRC2:SCRATCH_EN: 0
; COMPUTE_PGM_RSRC2:USER_SGPR: 6
; COMPUTE_PGM_RSRC2:TRAP_HANDLER: 0
; COMPUTE_PGM_RSRC2:TGID_X_EN: 1
; COMPUTE_PGM_RSRC2:TGID_Y_EN: 1
; COMPUTE_PGM_RSRC2:TGID_Z_EN: 1
; COMPUTE_PGM_RSRC2:TIDIG_COMP_CNT: 0
	.section	.text._ZN2at6native6mbtopk10gatherTopKIdmLi3EEEvNS_4cuda6detail10TensorInfoIKT_T0_EES8_S8_bjS8_NS5_IS6_S8_EES8_NS5_IlS8_EES8_jjPS6_PjSD_j,"axG",@progbits,_ZN2at6native6mbtopk10gatherTopKIdmLi3EEEvNS_4cuda6detail10TensorInfoIKT_T0_EES8_S8_bjS8_NS5_IS6_S8_EES8_NS5_IlS8_EES8_jjPS6_PjSD_j,comdat
	.protected	_ZN2at6native6mbtopk10gatherTopKIdmLi3EEEvNS_4cuda6detail10TensorInfoIKT_T0_EES8_S8_bjS8_NS5_IS6_S8_EES8_NS5_IlS8_EES8_jjPS6_PjSD_j ; -- Begin function _ZN2at6native6mbtopk10gatherTopKIdmLi3EEEvNS_4cuda6detail10TensorInfoIKT_T0_EES8_S8_bjS8_NS5_IS6_S8_EES8_NS5_IlS8_EES8_jjPS6_PjSD_j
	.globl	_ZN2at6native6mbtopk10gatherTopKIdmLi3EEEvNS_4cuda6detail10TensorInfoIKT_T0_EES8_S8_bjS8_NS5_IS6_S8_EES8_NS5_IlS8_EES8_jjPS6_PjSD_j
	.p2align	8
	.type	_ZN2at6native6mbtopk10gatherTopKIdmLi3EEEvNS_4cuda6detail10TensorInfoIKT_T0_EES8_S8_bjS8_NS5_IS6_S8_EES8_NS5_IlS8_EES8_jjPS6_PjSD_j,@function
_ZN2at6native6mbtopk10gatherTopKIdmLi3EEEvNS_4cuda6detail10TensorInfoIKT_T0_EES8_S8_bjS8_NS5_IS6_S8_EES8_NS5_IlS8_EES8_jjPS6_PjSD_j: ; @_ZN2at6native6mbtopk10gatherTopKIdmLi3EEEvNS_4cuda6detail10TensorInfoIKT_T0_EES8_S8_bjS8_NS5_IS6_S8_EES8_NS5_IlS8_EES8_jjPS6_PjSD_j
; %bb.0:
	s_load_dwordx2 s[0:1], s[4:5], 0x538
	s_load_dword s2, s[4:5], 0x530
	s_waitcnt lgkmcnt(0)
	s_mul_i32 s1, s1, s8
	s_add_i32 s1, s1, s7
	s_mul_i32 s0, s1, s0
	s_add_i32 s0, s0, s6
	s_cmp_ge_u32 s0, s2
	s_cbranch_scc1 .LBB185_54
; %bb.1:
	s_load_dwordx2 s[34:35], s[4:5], 0x510
	s_load_dwordx4 s[8:11], s[4:5], 0x1a0
	s_load_dwordx4 s[12:15], s[4:5], 0x10
	s_mov_b32 s7, 0
	s_waitcnt lgkmcnt(0)
	v_cvt_f32_u32_e32 v1, s35
	s_sub_i32 s2, 0, s35
	s_lshl_b32 s1, s34, 8
	v_rcp_iflag_f32_e32 v1, v1
	v_mul_f32_e32 v1, 0x4f7ffffe, v1
	v_cvt_u32_f32_e32 v1, v1
	v_readfirstlane_b32 s3, v1
	s_mul_i32 s2, s2, s3
	s_mul_hi_u32 s2, s3, s2
	s_add_i32 s3, s3, s2
	s_mul_hi_u32 s2, s0, s3
	s_mul_i32 s3, s2, s35
	s_sub_i32 s3, s0, s3
	s_add_i32 s6, s2, 1
	s_sub_i32 s16, s3, s35
	s_cmp_ge_u32 s3, s35
	s_cselect_b32 s2, s6, s2
	s_cselect_b32 s3, s16, s3
	s_add_i32 s6, s2, 1
	s_cmp_ge_u32 s3, s35
	s_cselect_b32 s6, s6, s2
	s_mul_i32 s52, s6, s35
	s_sub_i32 s78, s0, s52
	s_add_i32 s0, s78, 1
	s_cmp_lt_u32 s0, s35
	s_mul_i32 s33, s78, s1
	s_cbranch_scc1 .LBB185_3
; %bb.2:
	s_sub_u32 s0, s8, s33
	s_subb_u32 s1, s9, 0
	s_add_u32 s0, s0, 0xff
	s_addc_u32 s1, s1, 0
	s_ashr_i32 s2, s1, 31
	s_lshr_b32 s2, s2, 24
	s_add_u32 s0, s0, s2
	s_addc_u32 s1, s1, 0
	s_lshr_b64 s[0:1], s[0:1], 8
	s_mov_b32 s34, s0
.LBB185_3:
	v_mov_b32_e32 v1, s14
	v_mov_b32_e32 v2, s15
	v_cmp_lt_u64_e32 vcc, s[6:7], v[1:2]
	s_mov_b64 s[50:51], 0
	s_mov_b64 s[48:49], 0
	s_cbranch_vccnz .LBB185_5
; %bb.4:
	v_cvt_f32_u32_e32 v1, s14
	s_sub_i32 s0, 0, s14
	s_mov_b32 s49, 0
	v_rcp_iflag_f32_e32 v1, v1
	v_mul_f32_e32 v1, 0x4f7ffffe, v1
	v_cvt_u32_f32_e32 v1, v1
	v_readfirstlane_b32 s1, v1
	s_mul_i32 s0, s0, s1
	s_mul_hi_u32 s0, s1, s0
	s_add_i32 s1, s1, s0
	s_mul_hi_u32 s0, s6, s1
	s_mul_i32 s2, s0, s14
	s_sub_i32 s2, s6, s2
	s_add_i32 s1, s0, 1
	s_sub_i32 s3, s2, s14
	s_cmp_ge_u32 s2, s14
	s_cselect_b32 s0, s1, s0
	s_cselect_b32 s2, s3, s2
	s_add_i32 s1, s0, 1
	s_cmp_ge_u32 s2, s14
	s_cselect_b32 s48, s1, s0
.LBB185_5:
	s_load_dwordx4 s[24:27], s[4:5], 0x1d0
	v_mov_b32_e32 v1, s12
	v_mov_b32_e32 v2, s13
	v_cmp_lt_u64_e32 vcc, s[48:49], v[1:2]
	s_cbranch_vccnz .LBB185_7
; %bb.6:
	v_cvt_f32_u32_e32 v1, s12
	s_sub_i32 s0, 0, s12
	v_rcp_iflag_f32_e32 v1, v1
	v_mul_f32_e32 v1, 0x4f7ffffe, v1
	v_cvt_u32_f32_e32 v1, v1
	v_readfirstlane_b32 s1, v1
	s_mul_i32 s0, s0, s1
	s_mul_hi_u32 s0, s1, s0
	s_add_i32 s1, s1, s0
	s_mul_hi_u32 s0, s48, s1
	s_mul_i32 s2, s0, s12
	s_sub_i32 s2, s48, s2
	s_add_i32 s1, s0, 1
	s_sub_i32 s3, s2, s12
	s_cmp_ge_u32 s2, s12
	s_cselect_b32 s0, s1, s0
	s_cselect_b32 s2, s3, s2
	s_add_i32 s1, s0, 1
	s_cmp_ge_u32 s2, s12
	s_cselect_b32 s50, s1, s0
.LBB185_7:
	s_waitcnt lgkmcnt(0)
	v_mov_b32_e32 v1, s26
	v_mov_b32_e32 v2, s27
	v_cmp_lt_u64_e32 vcc, s[6:7], v[1:2]
	s_mov_b64 s[56:57], 0
	s_mov_b64 s[54:55], 0
	s_cbranch_vccnz .LBB185_9
; %bb.8:
	v_cvt_f32_u32_e32 v1, s26
	s_sub_i32 s0, 0, s26
	s_mov_b32 s55, 0
	v_rcp_iflag_f32_e32 v1, v1
	v_mul_f32_e32 v1, 0x4f7ffffe, v1
	v_cvt_u32_f32_e32 v1, v1
	v_readfirstlane_b32 s1, v1
	s_mul_i32 s0, s0, s1
	s_mul_hi_u32 s0, s1, s0
	s_add_i32 s1, s1, s0
	s_mul_hi_u32 s0, s6, s1
	s_mul_i32 s2, s0, s26
	s_sub_i32 s2, s6, s2
	s_add_i32 s1, s0, 1
	s_sub_i32 s3, s2, s26
	s_cmp_ge_u32 s2, s26
	s_cselect_b32 s0, s1, s0
	s_cselect_b32 s2, s3, s2
	s_add_i32 s1, s0, 1
	s_cmp_ge_u32 s2, s26
	s_cselect_b32 s54, s1, s0
.LBB185_9:
	s_load_dwordx4 s[28:31], s[4:5], 0x378
	v_mov_b32_e32 v1, s24
	v_mov_b32_e32 v2, s25
	v_cmp_lt_u64_e32 vcc, s[54:55], v[1:2]
	s_cbranch_vccnz .LBB185_11
; %bb.10:
	v_cvt_f32_u32_e32 v1, s24
	s_sub_i32 s0, 0, s24
	v_rcp_iflag_f32_e32 v1, v1
	v_mul_f32_e32 v1, 0x4f7ffffe, v1
	v_cvt_u32_f32_e32 v1, v1
	v_readfirstlane_b32 s1, v1
	s_mul_i32 s0, s0, s1
	s_mul_hi_u32 s0, s1, s0
	s_add_i32 s1, s1, s0
	s_mul_hi_u32 s0, s54, s1
	s_mul_i32 s2, s0, s24
	s_sub_i32 s2, s54, s2
	s_add_i32 s1, s0, 1
	s_sub_i32 s3, s2, s24
	s_cmp_ge_u32 s2, s24
	s_cselect_b32 s0, s1, s0
	s_cselect_b32 s2, s3, s2
	s_add_i32 s1, s0, 1
	s_cmp_ge_u32 s2, s24
	s_cselect_b32 s56, s1, s0
.LBB185_11:
	s_waitcnt lgkmcnt(0)
	v_mov_b32_e32 v1, s30
	v_mov_b32_e32 v2, s31
	v_cmp_lt_u64_e32 vcc, s[6:7], v[1:2]
	s_mov_b64 s[58:59], 0
	s_mov_b64 s[60:61], 0
	s_cbranch_vccnz .LBB185_13
; %bb.12:
	v_cvt_f32_u32_e32 v1, s30
	s_sub_i32 s0, 0, s30
	s_mov_b32 s61, 0
	v_rcp_iflag_f32_e32 v1, v1
	v_mul_f32_e32 v1, 0x4f7ffffe, v1
	v_cvt_u32_f32_e32 v1, v1
	v_readfirstlane_b32 s1, v1
	s_mul_i32 s0, s0, s1
	s_mul_hi_u32 s0, s1, s0
	s_add_i32 s1, s1, s0
	s_mul_hi_u32 s0, s6, s1
	s_mul_i32 s2, s0, s30
	s_sub_i32 s2, s6, s2
	s_add_i32 s1, s0, 1
	s_sub_i32 s3, s2, s30
	s_cmp_ge_u32 s2, s30
	s_cselect_b32 s0, s1, s0
	s_cselect_b32 s2, s3, s2
	s_add_i32 s1, s0, 1
	s_cmp_ge_u32 s2, s30
	s_cselect_b32 s60, s1, s0
.LBB185_13:
	s_load_dwordx2 s[64:65], s[4:5], 0xe0
	s_load_dwordx4 s[40:43], s[4:5], 0xd0
	s_load_dwordx2 s[68:69], s[4:5], 0x2a0
	s_load_dwordx4 s[44:47], s[4:5], 0x290
	;; [unrolled: 2-line block ×3, first 2 shown]
	v_mov_b32_e32 v1, s28
	v_mov_b32_e32 v2, s29
	v_cmp_lt_u64_e32 vcc, s[60:61], v[1:2]
	s_cbranch_vccnz .LBB185_15
; %bb.14:
	v_cvt_f32_u32_e32 v1, s28
	s_sub_i32 s0, 0, s28
	v_rcp_iflag_f32_e32 v1, v1
	v_mul_f32_e32 v1, 0x4f7ffffe, v1
	v_cvt_u32_f32_e32 v1, v1
	v_readfirstlane_b32 s1, v1
	s_mul_i32 s0, s0, s1
	s_mul_hi_u32 s0, s1, s0
	s_add_i32 s1, s1, s0
	s_mul_hi_u32 s0, s60, s1
	s_mul_i32 s2, s0, s28
	s_sub_i32 s2, s60, s2
	s_add_i32 s1, s0, 1
	s_sub_i32 s3, s2, s28
	s_cmp_ge_u32 s2, s28
	s_cselect_b32 s0, s1, s0
	s_cselect_b32 s2, s3, s2
	s_add_i32 s1, s0, 1
	s_cmp_ge_u32 s2, s28
	s_cselect_b32 s58, s1, s0
.LBB185_15:
	s_load_dwordx4 s[16:19], s[4:5], 0x518
	s_load_dwordx2 s[66:67], s[4:5], 0x0
	s_lshl_b64 s[0:1], s[6:7], 3
	s_mov_b32 s53, 0
	v_cmp_eq_u32_e64 s[2:3], 0, v0
	s_waitcnt lgkmcnt(0)
	s_add_u32 s0, s16, s0
	s_addc_u32 s1, s17, s1
	s_load_dwordx2 s[62:63], s[0:1], 0x0
	v_cmp_ne_u32_e64 s[0:1], 0, v0
	s_and_saveexec_b64 s[16:17], s[2:3]
	s_cbranch_execz .LBB185_31
; %bb.16:
	s_load_dwordx2 s[72:73], s[4:5], 0x528
	s_lshl_b64 s[74:75], s[52:53], 2
	s_add_u32 s20, s18, s74
	s_addc_u32 s21, s19, s75
	s_mov_b32 s51, 0
	s_waitcnt lgkmcnt(0)
	s_add_u32 s22, s72, s74
	s_addc_u32 s23, s73, s75
	s_cmp_lt_u32 s35, 4
	s_cbranch_scc1 .LBB185_28
; %bb.17:
	s_mov_b32 s52, 0
.LBB185_18:                             ; =>This Inner Loop Header: Depth=1
	s_add_u32 s76, s18, s74
	s_addc_u32 s77, s19, s75
	s_load_dwordx4 s[20:23], s[76:77], 0x0
	s_add_u32 s76, s72, s74
	s_addc_u32 s77, s73, s75
	s_cmp_ge_u32 s52, s78
	s_cbranch_scc0 .LBB185_25
; %bb.19:                               ;   in Loop: Header=BB185_18 Depth=1
	s_add_i32 s57, s52, 1
	s_cmp_ge_u32 s57, s78
	s_cbranch_scc0 .LBB185_26
.LBB185_20:                             ;   in Loop: Header=BB185_18 Depth=1
	s_add_i32 s57, s57, 1
	s_cmp_ge_u32 s57, s78
	s_cbranch_scc0 .LBB185_27
.LBB185_21:                             ;   in Loop: Header=BB185_18 Depth=1
	s_add_i32 s57, s57, 1
	s_cmp_ge_u32 s57, s78
	s_cbranch_scc1 .LBB185_23
.LBB185_22:                             ;   in Loop: Header=BB185_18 Depth=1
	s_load_dword s59, s[76:77], 0xc
	s_waitcnt lgkmcnt(0)
	s_add_i32 s53, s53, s23
	s_add_i32 s7, s59, s7
.LBB185_23:                             ;   in Loop: Header=BB185_18 Depth=1
	s_waitcnt lgkmcnt(0)
	s_add_i32 s20, s20, s51
	s_add_i32 s20, s20, s21
	;; [unrolled: 1-line block ×4, first 2 shown]
	s_add_u32 s18, s18, 16
	s_addc_u32 s19, s19, 0
	s_add_u32 s72, s72, 16
	s_addc_u32 s73, s73, 0
	s_add_i32 s59, s57, 4
	s_add_u32 s22, s72, s74
	s_addc_u32 s23, s73, s75
	s_add_u32 s20, s18, s74
	s_addc_u32 s21, s19, s75
	s_add_i32 s57, s57, 1
	s_cmp_ge_u32 s59, s35
	s_cbranch_scc1 .LBB185_29
; %bb.24:                               ;   in Loop: Header=BB185_18 Depth=1
	s_mov_b32 s52, s57
	s_branch .LBB185_18
.LBB185_25:                             ;   in Loop: Header=BB185_18 Depth=1
	s_load_dword s57, s[76:77], 0x0
	s_waitcnt lgkmcnt(0)
	s_add_i32 s53, s20, s53
	s_add_i32 s7, s57, s7
	;; [unrolled: 1-line block ×3, first 2 shown]
	s_cmp_ge_u32 s57, s78
	s_cbranch_scc1 .LBB185_20
.LBB185_26:                             ;   in Loop: Header=BB185_18 Depth=1
	s_load_dword s59, s[76:77], 0x4
	s_waitcnt lgkmcnt(0)
	s_add_i32 s53, s53, s21
	s_add_i32 s7, s59, s7
	;; [unrolled: 1-line block ×3, first 2 shown]
	s_cmp_ge_u32 s57, s78
	s_cbranch_scc1 .LBB185_21
.LBB185_27:                             ;   in Loop: Header=BB185_18 Depth=1
	s_load_dword s59, s[76:77], 0x8
	s_waitcnt lgkmcnt(0)
	s_add_i32 s53, s53, s22
	s_add_i32 s7, s59, s7
	;; [unrolled: 1-line block ×3, first 2 shown]
	s_cmp_ge_u32 s57, s78
	s_cbranch_scc0 .LBB185_22
	s_branch .LBB185_23
.LBB185_28:
	s_mov_b32 s18, 0
	s_cmp_ge_u32 s18, s35
	s_cbranch_scc0 .LBB185_52
	s_branch .LBB185_30
.LBB185_29:
	s_add_i32 s18, s52, 4
	s_cmp_ge_u32 s18, s35
	s_cbranch_scc0 .LBB185_52
.LBB185_30:
	v_mov_b32_e32 v1, s7
	v_mov_b32_e32 v2, s51
	;; [unrolled: 1-line block ×4, first 2 shown]
	ds_write_b96 v4, v[1:3] offset:1056
.LBB185_31:
	s_or_b64 exec, exec, s[16:17]
	s_load_dwordx4 s[16:19], s[4:5], 0x1b8
	s_load_dwordx4 s[20:23], s[4:5], 0x360
	s_cmp_eq_u32 s34, 0
	s_waitcnt lgkmcnt(0)
	s_barrier
	s_cbranch_scc1 .LBB185_54
; %bb.32:
	s_mul_i32 s7, s60, s31
	s_mul_hi_u32 s31, s60, s30
	s_add_i32 s31, s31, s7
	s_mul_i32 s7, s60, s30
	s_sub_u32 s7, s6, s7
	s_subb_u32 s30, 0, s31
	s_mul_i32 s31, s7, s71
	s_mul_hi_u32 s35, s7, s70
	s_add_i32 s31, s35, s31
	s_mul_i32 s35, s30, s70
	s_mul_i32 s30, s7, s70
	;; [unrolled: 1-line block ×3, first 2 shown]
	s_mul_hi_u32 s25, s56, s24
	s_add_i32 s31, s31, s35
	s_add_i32 s25, s25, s7
	s_mul_i32 s7, s56, s24
	s_sub_u32 s7, s54, s7
	s_subb_u32 s24, s55, s25
	s_mul_i32 s25, s56, s45
	s_mul_i32 s45, s7, s47
	s_mul_hi_u32 s47, s7, s46
	s_mul_i32 s24, s24, s46
	s_mul_i32 s46, s7, s46
	s_add_i32 s7, s47, s45
	s_mul_hi_u32 s35, s56, s44
	s_add_i32 s47, s7, s24
	s_mul_i32 s7, s54, s27
	s_mul_hi_u32 s24, s54, s26
	s_add_i32 s45, s35, s25
	s_add_i32 s24, s24, s7
	s_mul_i32 s7, s54, s26
	s_sub_u32 s7, s6, s7
	s_subb_u32 s24, 0, s24
	s_mul_i32 s25, s7, s69
	s_mul_hi_u32 s26, s7, s68
	s_add_i32 s25, s26, s25
	s_mul_i32 s24, s24, s68
	s_mul_i32 s26, s7, s68
	;; [unrolled: 1-line block ×3, first 2 shown]
	s_mul_hi_u32 s13, s50, s12
	s_add_i32 s27, s25, s24
	s_add_i32 s13, s13, s7
	s_mul_i32 s7, s50, s12
	s_sub_u32 s7, s48, s7
	s_subb_u32 s12, s49, s13
	s_mul_i32 s13, s7, s43
	s_mul_hi_u32 s24, s7, s42
	s_add_i32 s13, s24, s13
	s_mul_i32 s12, s12, s42
	s_add_i32 s13, s13, s12
	s_mul_i32 s12, s7, s42
	s_mul_i32 s7, s50, s41
	s_mul_hi_u32 s24, s50, s40
	s_add_i32 s25, s24, s7
	s_mul_i32 s7, s48, s15
	s_mul_hi_u32 s15, s48, s14
	s_add_i32 s15, s15, s7
	s_mul_i32 s7, s48, s14
	s_sub_u32 s6, s6, s7
	s_subb_u32 s7, 0, s15
	s_mul_i32 s14, s6, s65
	s_mul_hi_u32 s15, s6, s64
	s_add_i32 s14, s15, s14
	s_mul_i32 s7, s7, s64
	s_add_i32 s7, s14, s7
	s_mul_i32 s14, s58, s29
	s_mul_hi_u32 s15, s58, s28
	s_add_i32 s15, s15, s14
	s_mul_i32 s14, s58, s28
	s_sub_u32 s14, s60, s14
	s_subb_u32 s15, s61, s15
	s_mul_i32 s28, s14, s39
	s_mul_hi_u32 s29, s14, s38
	s_add_i32 s28, s29, s28
	s_mul_i32 s15, s15, s38
	s_mul_i32 s24, s50, s40
	s_add_i32 s15, s28, s15
	s_mul_i32 s28, s58, s37
	s_mul_hi_u32 s29, s58, s36
	s_add_i32 s29, s29, s28
	s_lshl_b64 s[24:25], s[24:25], 3
	s_add_u32 s24, s66, s24
	s_addc_u32 s25, s67, s25
	s_lshl_b64 s[12:13], s[12:13], 3
	s_mul_i32 s6, s6, s64
	s_add_u32 s12, s24, s12
	s_addc_u32 s13, s25, s13
	s_lshl_b64 s[6:7], s[6:7], 3
	s_mul_i32 s44, s56, s44
	s_add_u32 s24, s12, s6
	s_addc_u32 s25, s13, s7
	s_lshl_b64 s[6:7], s[44:45], 3
	s_add_u32 s12, s18, s6
	s_addc_u32 s13, s19, s7
	s_lshl_b64 s[6:7], s[46:47], 3
	;; [unrolled: 3-line block ×3, first 2 shown]
	s_mul_i32 s28, s58, s36
	s_add_u32 s26, s12, s6
	s_addc_u32 s27, s13, s7
	s_lshl_b64 s[6:7], s[28:29], 3
	s_mul_i32 s14, s14, s38
	s_add_u32 s12, s22, s6
	s_addc_u32 s18, s23, s7
	s_lshl_b64 s[6:7], s[14:15], 3
	s_add_u32 s14, s12, s6
	v_cmp_o_f64_e64 s[12:13], s[62:63], s[62:63]
	v_mov_b32_e32 v5, 0
	s_addc_u32 s15, s18, s7
	s_lshl_b64 s[6:7], s[30:31], 3
	ds_read_b96 v[1:3], v5 offset:1056
	s_add_u32 s22, s14, s6
	s_addc_u32 s23, s15, s7
	s_ashr_i32 s6, s63, 31
	s_or_b32 s7, s6, 0x80000000
	s_xor_b64 s[6:7], s[6:7], s[62:63]
	s_and_b64 s[12:13], s[12:13], exec
	s_waitcnt lgkmcnt(0)
	v_add_u32_e32 v1, v1, v2
	v_lshrrev_b32_e32 v2, 3, v0
	s_cselect_b32 s13, s7, -1
	s_load_dword s7, s[4:5], 0x1b0
	s_load_dwordx2 s[14:15], s[4:5], 0x508
	v_and_b32_e32 v2, 28, v2
	v_lshl_add_u32 v10, v0, 2, v2
	v_lshrrev_b32_e32 v2, 1, v0
	v_and_b32_e32 v11, 0x7c, v2
	v_add_u32_e32 v2, -1, v0
	v_lshrrev_b32_e32 v4, 3, v2
	v_and_b32_e32 v4, 0x1ffffffc, v4
	s_cselect_b32 s12, s6, -1
	s_waitcnt lgkmcnt(0)
	s_bitcmp1_b32 s7, 0
	v_cmp_gt_u32_e64 s[6:7], 64, v0
	v_lshlrev_b32_e32 v12, 4, v0
	v_lshl_add_u32 v13, v2, 2, v4
	v_add_u32_e32 v4, s33, v0
	v_mbcnt_lo_u32_b32 v0, -1, 0
	s_cselect_b64 s[4:5], -1, 0
	v_mbcnt_hi_u32_b32 v0, -1, v0
                                        ; implicit-def: $vgpr6_vgpr7
	s_branch .LBB185_35
.LBB185_33:                             ;   in Loop: Header=BB185_35 Depth=1
	s_or_b64 exec, exec, s[18:19]
	v_add_u32_e32 v1, v2, v1
.LBB185_34:                             ;   in Loop: Header=BB185_35 Depth=1
	s_add_i32 s34, s34, -1
	v_add_u32_e32 v3, v14, v3
	s_cmp_lg_u32 s34, 0
	v_add_u32_e32 v4, 0x100, v4
	s_cbranch_scc0 .LBB185_54
.LBB185_35:                             ; =>This Inner Loop Header: Depth=1
	v_cmp_gt_u64_e32 vcc, s[8:9], v[4:5]
	v_mov_b32_e32 v2, v5
	v_mov_b32_e32 v8, v5
	s_and_saveexec_b64 s[18:19], vcc
	s_cbranch_execz .LBB185_37
; %bb.36:                               ;   in Loop: Header=BB185_35 Depth=1
	v_mad_u64_u32 v[6:7], s[28:29], s16, v4, 0
	v_mov_b32_e32 v2, v7
	v_mad_u64_u32 v[7:8], s[28:29], s17, v4, v[2:3]
	v_mov_b32_e32 v2, s25
	v_lshlrev_b64 v[6:7], 3, v[6:7]
	v_add_co_u32_e32 v6, vcc, s24, v6
	v_addc_co_u32_e32 v7, vcc, v2, v7, vcc
	global_load_dwordx2 v[6:7], v[6:7], off
	s_waitcnt vmcnt(0)
	v_cmp_o_f64_e32 vcc, v[6:7], v[6:7]
	v_ashrrev_i32_e32 v2, 31, v7
	v_or_b32_e32 v8, 0x80000000, v2
	v_xor_b32_e32 v8, v8, v7
	v_xor_b32_e32 v2, v2, v6
	v_cndmask_b32_e32 v9, -1, v8, vcc
	v_cndmask_b32_e32 v8, -1, v2, vcc
	v_cmp_lt_u64_e32 vcc, s[12:13], v[8:9]
	v_cndmask_b32_e64 v2, 0, 1, vcc
	v_cmp_gt_u64_e32 vcc, s[12:13], v[8:9]
	v_cndmask_b32_e64 v14, 0, 1, vcc
	v_cmp_eq_u64_e32 vcc, s[12:13], v[8:9]
	v_cndmask_b32_e64 v2, v14, v2, s[4:5]
	v_and_b32_e32 v2, 1, v2
	v_cndmask_b32_e64 v8, 0, 1, vcc
.LBB185_37:                             ;   in Loop: Header=BB185_35 Depth=1
	s_or_b64 exec, exec, s[18:19]
	ds_write_b32 v10, v2
	s_waitcnt vmcnt(0) lgkmcnt(0)
	s_barrier
	s_and_saveexec_b64 s[18:19], s[6:7]
	s_cbranch_execz .LBB185_39
; %bb.38:                               ;   in Loop: Header=BB185_35 Depth=1
	v_add_u32_e32 v9, v11, v12
	ds_read2_b32 v[14:15], v9 offset1:1
	ds_read2_b32 v[16:17], v9 offset0:2 offset1:3
	v_and_b32_e32 v18, 15, v0
	v_cmp_ne_u32_e32 vcc, 0, v18
	s_waitcnt lgkmcnt(1)
	v_add_u32_e32 v15, v15, v14
	s_waitcnt lgkmcnt(0)
	v_add3_u32 v15, v15, v16, v17
	v_bfe_i32 v17, v0, 4, 1
	; wave barrier
	s_nop 0
	v_mov_b32_dpp v16, v15 row_shr:1 row_mask:0xf bank_mask:0xf
	v_cndmask_b32_e32 v16, 0, v16, vcc
	v_add_u32_e32 v15, v16, v15
	v_cmp_lt_u32_e32 vcc, 1, v18
	s_nop 0
	v_mov_b32_dpp v16, v15 row_shr:2 row_mask:0xf bank_mask:0xf
	v_cndmask_b32_e32 v16, 0, v16, vcc
	v_add_u32_e32 v15, v15, v16
	v_cmp_lt_u32_e32 vcc, 3, v18
	;; [unrolled: 5-line block ×4, first 2 shown]
	s_nop 0
	v_mov_b32_dpp v16, v15 row_bcast:15 row_mask:0xf bank_mask:0xf
	v_and_b32_e32 v16, v17, v16
	v_add_u32_e32 v15, v15, v16
	v_and_b32_e32 v17, 64, v0
	s_nop 0
	v_mov_b32_dpp v16, v15 row_bcast:31 row_mask:0xf bank_mask:0xf
	v_cndmask_b32_e32 v16, 0, v16, vcc
	v_add_u32_e32 v15, v15, v16
	v_add_u32_e32 v16, -1, v0
	v_cmp_lt_i32_e32 vcc, v16, v17
	v_cndmask_b32_e32 v16, v16, v0, vcc
	v_lshlrev_b32_e32 v16, 2, v16
	ds_bpermute_b32 v15, v16, v15
	s_waitcnt lgkmcnt(0)
	v_add_u32_e32 v14, v15, v14
	v_cndmask_b32_e64 v16, v14, v2, s[2:3]
	ds_write_b32 v9, v16
	; wave barrier
	ds_read2_b32 v[14:15], v9 offset0:1 offset1:2
	ds_read_b32 v17, v9 offset:12
	s_waitcnt lgkmcnt(1)
	v_add_u32_e32 v14, v14, v16
	v_add_u32_e32 v15, v15, v14
	ds_write2_b32 v9, v14, v15 offset0:1 offset1:2
	s_waitcnt lgkmcnt(1)
	v_add_u32_e32 v14, v17, v15
	ds_write_b32 v9, v14 offset:12
.LBB185_39:                             ;   in Loop: Header=BB185_35 Depth=1
	s_or_b64 exec, exec, s[18:19]
	v_mov_b32_e32 v9, 0
	s_waitcnt lgkmcnt(0)
	s_barrier
	s_and_saveexec_b64 s[18:19], s[0:1]
; %bb.40:                               ;   in Loop: Header=BB185_35 Depth=1
	ds_read_b32 v9, v13
; %bb.41:                               ;   in Loop: Header=BB185_35 Depth=1
	s_or_b64 exec, exec, s[18:19]
	ds_read_b32 v14, v5 offset:1048
	v_cmp_ne_u32_e32 vcc, 0, v2
	s_waitcnt lgkmcnt(0)
	s_barrier
	s_and_saveexec_b64 s[18:19], vcc
	s_cbranch_execz .LBB185_43
; %bb.42:                               ;   in Loop: Header=BB185_35 Depth=1
	v_add_u32_e32 v9, v9, v3
	v_mad_u64_u32 v[15:16], s[28:29], s20, v9, 0
	v_mad_u64_u32 v[17:18], s[28:29], s14, v9, 0
	v_mov_b32_e32 v2, v16
	v_mad_u64_u32 v[19:20], s[28:29], s21, v9, v[2:3]
	v_mov_b32_e32 v2, v18
	v_mov_b32_e32 v20, s27
	;; [unrolled: 1-line block ×3, first 2 shown]
	v_lshlrev_b64 v[15:16], 3, v[15:16]
	v_mad_u64_u32 v[18:19], s[28:29], s15, v9, v[2:3]
	v_add_co_u32_e32 v15, vcc, s26, v15
	v_addc_co_u32_e32 v16, vcc, v20, v16, vcc
	global_store_dwordx2 v[15:16], v[6:7], off
	v_lshlrev_b64 v[15:16], 3, v[17:18]
	v_mov_b32_e32 v2, s23
	v_add_co_u32_e32 v15, vcc, s22, v15
	v_addc_co_u32_e32 v16, vcc, v2, v16, vcc
	global_store_dwordx2 v[15:16], v[4:5], off
.LBB185_43:                             ;   in Loop: Header=BB185_35 Depth=1
	s_or_b64 exec, exec, s[18:19]
	v_mov_b32_e32 v2, v5
	v_cmp_le_u64_e32 vcc, s[10:11], v[1:2]
	s_cbranch_vccnz .LBB185_34
; %bb.44:                               ;   in Loop: Header=BB185_35 Depth=1
	ds_write_b32 v10, v8
	s_waitcnt vmcnt(0) lgkmcnt(0)
	s_barrier
	s_and_saveexec_b64 s[18:19], s[6:7]
	s_cbranch_execz .LBB185_46
; %bb.45:                               ;   in Loop: Header=BB185_35 Depth=1
	v_add_u32_e32 v2, v11, v12
	ds_read2_b32 v[15:16], v2 offset1:1
	ds_read2_b32 v[17:18], v2 offset0:2 offset1:3
	v_and_b32_e32 v9, 15, v0
	v_cmp_ne_u32_e32 vcc, 0, v9
	s_waitcnt lgkmcnt(1)
	v_add_u32_e32 v16, v16, v15
	s_waitcnt lgkmcnt(0)
	v_add3_u32 v16, v16, v17, v18
	; wave barrier
	s_nop 1
	v_mov_b32_dpp v17, v16 row_shr:1 row_mask:0xf bank_mask:0xf
	v_cndmask_b32_e32 v17, 0, v17, vcc
	v_add_u32_e32 v16, v17, v16
	v_cmp_lt_u32_e32 vcc, 1, v9
	s_nop 0
	v_mov_b32_dpp v17, v16 row_shr:2 row_mask:0xf bank_mask:0xf
	v_cndmask_b32_e32 v17, 0, v17, vcc
	v_add_u32_e32 v16, v16, v17
	v_cmp_lt_u32_e32 vcc, 3, v9
	;; [unrolled: 5-line block ×3, first 2 shown]
	s_nop 0
	v_mov_b32_dpp v17, v16 row_shr:8 row_mask:0xf bank_mask:0xf
	v_cndmask_b32_e32 v9, 0, v17, vcc
	v_add_u32_e32 v9, v16, v9
	v_bfe_i32 v17, v0, 4, 1
	v_cmp_lt_u32_e32 vcc, 31, v0
	v_mov_b32_dpp v16, v9 row_bcast:15 row_mask:0xf bank_mask:0xf
	v_and_b32_e32 v16, v17, v16
	v_add_u32_e32 v9, v9, v16
	v_and_b32_e32 v17, 64, v0
	s_nop 0
	v_mov_b32_dpp v16, v9 row_bcast:31 row_mask:0xf bank_mask:0xf
	v_cndmask_b32_e32 v16, 0, v16, vcc
	v_add_u32_e32 v9, v9, v16
	v_add_u32_e32 v16, -1, v0
	v_cmp_lt_i32_e32 vcc, v16, v17
	v_cndmask_b32_e32 v16, v16, v0, vcc
	v_lshlrev_b32_e32 v16, 2, v16
	ds_bpermute_b32 v9, v16, v9
	s_waitcnt lgkmcnt(0)
	v_add_u32_e32 v9, v9, v15
	v_cndmask_b32_e64 v9, v9, v8, s[2:3]
	ds_write_b32 v2, v9
	; wave barrier
	ds_read2_b32 v[15:16], v2 offset0:1 offset1:2
	ds_read_b32 v17, v2 offset:12
	s_waitcnt lgkmcnt(1)
	v_add_u32_e32 v9, v15, v9
	v_add_u32_e32 v15, v16, v9
	ds_write2_b32 v2, v9, v15 offset0:1 offset1:2
	s_waitcnt lgkmcnt(1)
	v_add_u32_e32 v9, v17, v15
	ds_write_b32 v2, v9 offset:12
.LBB185_46:                             ;   in Loop: Header=BB185_35 Depth=1
	s_or_b64 exec, exec, s[18:19]
	v_mov_b32_e32 v9, 0
	s_waitcnt lgkmcnt(0)
	s_barrier
	s_and_saveexec_b64 s[18:19], s[0:1]
; %bb.47:                               ;   in Loop: Header=BB185_35 Depth=1
	ds_read_b32 v9, v13
; %bb.48:                               ;   in Loop: Header=BB185_35 Depth=1
	s_or_b64 exec, exec, s[18:19]
	ds_read_b32 v2, v5 offset:1048
	v_cmp_ne_u32_e32 vcc, 0, v8
	s_waitcnt lgkmcnt(0)
	s_barrier
	s_and_saveexec_b64 s[18:19], vcc
	s_cbranch_execz .LBB185_33
; %bb.49:                               ;   in Loop: Header=BB185_35 Depth=1
	v_add_u32_e32 v8, v9, v1
	v_mov_b32_e32 v9, v5
	v_cmp_gt_u64_e32 vcc, s[10:11], v[8:9]
	s_and_b64 exec, exec, vcc
	s_cbranch_execz .LBB185_33
; %bb.50:                               ;   in Loop: Header=BB185_35 Depth=1
	v_mad_u64_u32 v[15:16], s[28:29], s20, v8, 0
	v_mad_u64_u32 v[17:18], s[28:29], s14, v8, 0
	v_mov_b32_e32 v9, v16
	v_mad_u64_u32 v[19:20], s[28:29], s21, v8, v[9:10]
	v_mov_b32_e32 v9, v18
	;; [unrolled: 2-line block ×3, first 2 shown]
	v_lshlrev_b64 v[15:16], 3, v[15:16]
	v_mov_b32_e32 v18, v8
	v_mov_b32_e32 v20, s27
	v_add_co_u32_e32 v15, vcc, s26, v15
	v_lshlrev_b64 v[8:9], 3, v[17:18]
	v_addc_co_u32_e32 v16, vcc, v20, v16, vcc
	global_store_dwordx2 v[15:16], v[6:7], off
	v_mov_b32_e32 v15, s23
	v_add_co_u32_e32 v8, vcc, s22, v8
	v_addc_co_u32_e32 v9, vcc, v15, v9, vcc
	global_store_dwordx2 v[8:9], v[4:5], off
	s_branch .LBB185_33
.LBB185_51:                             ;   in Loop: Header=BB185_52 Depth=1
	s_add_u32 s20, s20, 4
	s_addc_u32 s21, s21, 0
	s_waitcnt lgkmcnt(0)
	s_add_i32 s51, s19, s51
	s_add_u32 s22, s22, 4
	s_addc_u32 s23, s23, 0
	s_add_i32 s18, s18, 1
	s_cmp_lt_u32 s18, s35
	s_cbranch_scc0 .LBB185_30
.LBB185_52:                             ; =>This Inner Loop Header: Depth=1
	s_load_dword s19, s[20:21], 0x0
	s_cmp_ge_u32 s18, s78
	s_cbranch_scc1 .LBB185_51
; %bb.53:                               ;   in Loop: Header=BB185_52 Depth=1
	s_load_dword s52, s[22:23], 0x0
	s_waitcnt lgkmcnt(0)
	s_add_i32 s53, s19, s53
	s_add_i32 s7, s52, s7
	s_branch .LBB185_51
.LBB185_54:
	s_endpgm
	.section	.rodata,"a",@progbits
	.p2align	6, 0x0
	.amdhsa_kernel _ZN2at6native6mbtopk10gatherTopKIdmLi3EEEvNS_4cuda6detail10TensorInfoIKT_T0_EES8_S8_bjS8_NS5_IS6_S8_EES8_NS5_IlS8_EES8_jjPS6_PjSD_j
		.amdhsa_group_segment_fixed_size 1068
		.amdhsa_private_segment_fixed_size 0
		.amdhsa_kernarg_size 1592
		.amdhsa_user_sgpr_count 6
		.amdhsa_user_sgpr_private_segment_buffer 1
		.amdhsa_user_sgpr_dispatch_ptr 0
		.amdhsa_user_sgpr_queue_ptr 0
		.amdhsa_user_sgpr_kernarg_segment_ptr 1
		.amdhsa_user_sgpr_dispatch_id 0
		.amdhsa_user_sgpr_flat_scratch_init 0
		.amdhsa_user_sgpr_private_segment_size 0
		.amdhsa_uses_dynamic_stack 0
		.amdhsa_system_sgpr_private_segment_wavefront_offset 0
		.amdhsa_system_sgpr_workgroup_id_x 1
		.amdhsa_system_sgpr_workgroup_id_y 1
		.amdhsa_system_sgpr_workgroup_id_z 1
		.amdhsa_system_sgpr_workgroup_info 0
		.amdhsa_system_vgpr_workitem_id 0
		.amdhsa_next_free_vgpr 21
		.amdhsa_next_free_sgpr 79
		.amdhsa_reserve_vcc 1
		.amdhsa_reserve_flat_scratch 0
		.amdhsa_float_round_mode_32 0
		.amdhsa_float_round_mode_16_64 0
		.amdhsa_float_denorm_mode_32 3
		.amdhsa_float_denorm_mode_16_64 3
		.amdhsa_dx10_clamp 1
		.amdhsa_ieee_mode 1
		.amdhsa_fp16_overflow 0
		.amdhsa_exception_fp_ieee_invalid_op 0
		.amdhsa_exception_fp_denorm_src 0
		.amdhsa_exception_fp_ieee_div_zero 0
		.amdhsa_exception_fp_ieee_overflow 0
		.amdhsa_exception_fp_ieee_underflow 0
		.amdhsa_exception_fp_ieee_inexact 0
		.amdhsa_exception_int_div_zero 0
	.end_amdhsa_kernel
	.section	.text._ZN2at6native6mbtopk10gatherTopKIdmLi3EEEvNS_4cuda6detail10TensorInfoIKT_T0_EES8_S8_bjS8_NS5_IS6_S8_EES8_NS5_IlS8_EES8_jjPS6_PjSD_j,"axG",@progbits,_ZN2at6native6mbtopk10gatherTopKIdmLi3EEEvNS_4cuda6detail10TensorInfoIKT_T0_EES8_S8_bjS8_NS5_IS6_S8_EES8_NS5_IlS8_EES8_jjPS6_PjSD_j,comdat
.Lfunc_end185:
	.size	_ZN2at6native6mbtopk10gatherTopKIdmLi3EEEvNS_4cuda6detail10TensorInfoIKT_T0_EES8_S8_bjS8_NS5_IS6_S8_EES8_NS5_IlS8_EES8_jjPS6_PjSD_j, .Lfunc_end185-_ZN2at6native6mbtopk10gatherTopKIdmLi3EEEvNS_4cuda6detail10TensorInfoIKT_T0_EES8_S8_bjS8_NS5_IS6_S8_EES8_NS5_IlS8_EES8_jjPS6_PjSD_j
                                        ; -- End function
	.set _ZN2at6native6mbtopk10gatherTopKIdmLi3EEEvNS_4cuda6detail10TensorInfoIKT_T0_EES8_S8_bjS8_NS5_IS6_S8_EES8_NS5_IlS8_EES8_jjPS6_PjSD_j.num_vgpr, 21
	.set _ZN2at6native6mbtopk10gatherTopKIdmLi3EEEvNS_4cuda6detail10TensorInfoIKT_T0_EES8_S8_bjS8_NS5_IS6_S8_EES8_NS5_IlS8_EES8_jjPS6_PjSD_j.num_agpr, 0
	.set _ZN2at6native6mbtopk10gatherTopKIdmLi3EEEvNS_4cuda6detail10TensorInfoIKT_T0_EES8_S8_bjS8_NS5_IS6_S8_EES8_NS5_IlS8_EES8_jjPS6_PjSD_j.numbered_sgpr, 79
	.set _ZN2at6native6mbtopk10gatherTopKIdmLi3EEEvNS_4cuda6detail10TensorInfoIKT_T0_EES8_S8_bjS8_NS5_IS6_S8_EES8_NS5_IlS8_EES8_jjPS6_PjSD_j.num_named_barrier, 0
	.set _ZN2at6native6mbtopk10gatherTopKIdmLi3EEEvNS_4cuda6detail10TensorInfoIKT_T0_EES8_S8_bjS8_NS5_IS6_S8_EES8_NS5_IlS8_EES8_jjPS6_PjSD_j.private_seg_size, 0
	.set _ZN2at6native6mbtopk10gatherTopKIdmLi3EEEvNS_4cuda6detail10TensorInfoIKT_T0_EES8_S8_bjS8_NS5_IS6_S8_EES8_NS5_IlS8_EES8_jjPS6_PjSD_j.uses_vcc, 1
	.set _ZN2at6native6mbtopk10gatherTopKIdmLi3EEEvNS_4cuda6detail10TensorInfoIKT_T0_EES8_S8_bjS8_NS5_IS6_S8_EES8_NS5_IlS8_EES8_jjPS6_PjSD_j.uses_flat_scratch, 0
	.set _ZN2at6native6mbtopk10gatherTopKIdmLi3EEEvNS_4cuda6detail10TensorInfoIKT_T0_EES8_S8_bjS8_NS5_IS6_S8_EES8_NS5_IlS8_EES8_jjPS6_PjSD_j.has_dyn_sized_stack, 0
	.set _ZN2at6native6mbtopk10gatherTopKIdmLi3EEEvNS_4cuda6detail10TensorInfoIKT_T0_EES8_S8_bjS8_NS5_IS6_S8_EES8_NS5_IlS8_EES8_jjPS6_PjSD_j.has_recursion, 0
	.set _ZN2at6native6mbtopk10gatherTopKIdmLi3EEEvNS_4cuda6detail10TensorInfoIKT_T0_EES8_S8_bjS8_NS5_IS6_S8_EES8_NS5_IlS8_EES8_jjPS6_PjSD_j.has_indirect_call, 0
	.section	.AMDGPU.csdata,"",@progbits
; Kernel info:
; codeLenInByte = 3296
; TotalNumSgprs: 83
; NumVgprs: 21
; ScratchSize: 0
; MemoryBound: 0
; FloatMode: 240
; IeeeMode: 1
; LDSByteSize: 1068 bytes/workgroup (compile time only)
; SGPRBlocks: 10
; VGPRBlocks: 5
; NumSGPRsForWavesPerEU: 83
; NumVGPRsForWavesPerEU: 21
; Occupancy: 9
; WaveLimiterHint : 1
; COMPUTE_PGM_RSRC2:SCRATCH_EN: 0
; COMPUTE_PGM_RSRC2:USER_SGPR: 6
; COMPUTE_PGM_RSRC2:TRAP_HANDLER: 0
; COMPUTE_PGM_RSRC2:TGID_X_EN: 1
; COMPUTE_PGM_RSRC2:TGID_Y_EN: 1
; COMPUTE_PGM_RSRC2:TGID_Z_EN: 1
; COMPUTE_PGM_RSRC2:TIDIG_COMP_CNT: 0
	.section	.text._ZN2at6native6sbtopk10gatherTopKIdmLi3ELb0EEEvNS_4cuda6detail10TensorInfoIKT_T0_EES8_S8_bS8_S8_NS5_IS6_S8_EES8_NS5_IlS8_EES8_PS6_,"axG",@progbits,_ZN2at6native6sbtopk10gatherTopKIdmLi3ELb0EEEvNS_4cuda6detail10TensorInfoIKT_T0_EES8_S8_bS8_S8_NS5_IS6_S8_EES8_NS5_IlS8_EES8_PS6_,comdat
	.protected	_ZN2at6native6sbtopk10gatherTopKIdmLi3ELb0EEEvNS_4cuda6detail10TensorInfoIKT_T0_EES8_S8_bS8_S8_NS5_IS6_S8_EES8_NS5_IlS8_EES8_PS6_ ; -- Begin function _ZN2at6native6sbtopk10gatherTopKIdmLi3ELb0EEEvNS_4cuda6detail10TensorInfoIKT_T0_EES8_S8_bS8_S8_NS5_IS6_S8_EES8_NS5_IlS8_EES8_PS6_
	.globl	_ZN2at6native6sbtopk10gatherTopKIdmLi3ELb0EEEvNS_4cuda6detail10TensorInfoIKT_T0_EES8_S8_bS8_S8_NS5_IS6_S8_EES8_NS5_IlS8_EES8_PS6_
	.p2align	8
	.type	_ZN2at6native6sbtopk10gatherTopKIdmLi3ELb0EEEvNS_4cuda6detail10TensorInfoIKT_T0_EES8_S8_bS8_S8_NS5_IS6_S8_EES8_NS5_IlS8_EES8_PS6_,@function
_ZN2at6native6sbtopk10gatherTopKIdmLi3ELb0EEEvNS_4cuda6detail10TensorInfoIKT_T0_EES8_S8_bS8_S8_NS5_IS6_S8_EES8_NS5_IlS8_EES8_PS6_: ; @_ZN2at6native6sbtopk10gatherTopKIdmLi3ELb0EEEvNS_4cuda6detail10TensorInfoIKT_T0_EES8_S8_bS8_S8_NS5_IS6_S8_EES8_NS5_IlS8_EES8_PS6_
; %bb.0:
	s_load_dwordx2 s[18:19], s[4:5], 0x520
	s_load_dwordx4 s[20:23], s[4:5], 0x1b8
	s_mov_b64 s[34:35], s[4:5]
	s_add_u32 s16, s34, 0x520
	s_addc_u32 s17, s35, 0
	s_waitcnt lgkmcnt(0)
	s_mul_i32 s0, s19, s8
	s_add_i32 s0, s0, s7
	s_mul_i32 s0, s0, s18
	s_add_i32 s36, s0, s6
	s_mov_b32 s37, 0
	v_mov_b32_e32 v1, s36
	v_mov_b32_e32 v2, s37
	v_cmp_le_u64_e32 vcc, s[20:21], v[1:2]
	s_cbranch_vccnz .LBB186_498
; %bb.1:
	s_load_dwordx4 s[0:3], s[34:35], 0x10
	s_mov_b64 s[10:11], 0
	s_mov_b64 s[8:9], 0
	s_waitcnt lgkmcnt(0)
	v_mov_b32_e32 v1, s2
	v_mov_b32_e32 v2, s3
	v_cmp_lt_u64_e32 vcc, s[36:37], v[1:2]
	s_cbranch_vccnz .LBB186_3
; %bb.2:
	v_cvt_f32_u32_e32 v1, s2
	s_sub_i32 s4, 0, s2
	s_mov_b32 s9, 0
	v_rcp_iflag_f32_e32 v1, v1
	v_mul_f32_e32 v1, 0x4f7ffffe, v1
	v_cvt_u32_f32_e32 v1, v1
	v_readfirstlane_b32 s5, v1
	s_mul_i32 s4, s4, s5
	s_mul_hi_u32 s4, s5, s4
	s_add_i32 s5, s5, s4
	s_mul_hi_u32 s4, s36, s5
	s_mul_i32 s7, s4, s2
	s_sub_i32 s7, s36, s7
	s_add_i32 s5, s4, 1
	s_sub_i32 s8, s7, s2
	s_cmp_ge_u32 s7, s2
	s_cselect_b32 s4, s5, s4
	s_cselect_b32 s7, s8, s7
	s_add_i32 s5, s4, 1
	s_cmp_ge_u32 s7, s2
	s_cselect_b32 s8, s5, s4
.LBB186_3:
	s_load_dwordx4 s[12:15], s[34:35], 0x1d8
	v_mov_b32_e32 v2, s1
	v_mov_b32_e32 v1, s0
	v_cmp_lt_u64_e32 vcc, s[8:9], v[1:2]
	s_cbranch_vccnz .LBB186_5
; %bb.4:
	v_cvt_f32_u32_e32 v1, s0
	s_sub_i32 s4, 0, s0
	v_rcp_iflag_f32_e32 v1, v1
	v_mul_f32_e32 v1, 0x4f7ffffe, v1
	v_cvt_u32_f32_e32 v1, v1
	v_readfirstlane_b32 s5, v1
	s_mul_i32 s4, s4, s5
	s_mul_hi_u32 s4, s5, s4
	s_add_i32 s5, s5, s4
	s_mul_hi_u32 s4, s8, s5
	s_mul_i32 s7, s4, s0
	s_sub_i32 s7, s8, s7
	s_add_i32 s5, s4, 1
	s_sub_i32 s10, s7, s0
	s_cmp_ge_u32 s7, s0
	s_cselect_b32 s4, s5, s4
	s_cselect_b32 s7, s10, s7
	s_add_i32 s5, s4, 1
	s_cmp_ge_u32 s7, s0
	s_cselect_b32 s10, s5, s4
.LBB186_5:
	s_waitcnt lgkmcnt(0)
	v_mov_b32_e32 v1, s14
	v_mov_b32_e32 v2, s15
	v_cmp_lt_u64_e32 vcc, s[36:37], v[1:2]
	s_mov_b64 s[4:5], 0
                                        ; implicit-def: $vgpr45 : SGPR spill to VGPR lane
	v_writelane_b32 v45, s4, 0
	s_mov_b64 s[20:21], 0
	v_writelane_b32 v45, s5, 1
	s_cbranch_vccnz .LBB186_7
; %bb.6:
	v_cvt_f32_u32_e32 v1, s14
	s_sub_i32 s4, 0, s14
	s_mov_b32 s21, 0
	v_rcp_iflag_f32_e32 v1, v1
	v_mul_f32_e32 v1, 0x4f7ffffe, v1
	v_cvt_u32_f32_e32 v1, v1
	v_readfirstlane_b32 s5, v1
	s_mul_i32 s4, s4, s5
	s_mul_hi_u32 s4, s5, s4
	s_add_i32 s5, s5, s4
	s_mul_hi_u32 s4, s36, s5
	s_mul_i32 s7, s4, s14
	s_sub_i32 s7, s36, s7
	s_add_i32 s5, s4, 1
	s_sub_i32 s11, s7, s14
	s_cmp_ge_u32 s7, s14
	s_cselect_b32 s4, s5, s4
	s_cselect_b32 s7, s11, s7
	s_add_i32 s5, s4, 1
	s_cmp_ge_u32 s7, s14
	s_cselect_b32 s20, s5, s4
.LBB186_7:
	s_load_dwordx4 s[28:31], s[34:35], 0x380
	v_mov_b32_e32 v1, s12
	v_mov_b32_e32 v2, s13
	v_cmp_lt_u64_e32 vcc, s[20:21], v[1:2]
	s_cbranch_vccnz .LBB186_9
; %bb.8:
	v_cvt_f32_u32_e32 v1, s12
	s_sub_i32 s4, 0, s12
	v_rcp_iflag_f32_e32 v1, v1
	v_mul_f32_e32 v1, 0x4f7ffffe, v1
	v_cvt_u32_f32_e32 v1, v1
	v_readfirstlane_b32 s5, v1
	s_mul_i32 s4, s4, s5
	s_mul_hi_u32 s4, s5, s4
	s_add_i32 s5, s5, s4
	s_mul_hi_u32 s4, s20, s5
	s_mul_i32 s7, s4, s12
	s_sub_i32 s7, s20, s7
	s_add_i32 s5, s4, 1
	s_sub_i32 s11, s7, s12
	s_cmp_ge_u32 s7, s12
	s_cselect_b32 s4, s5, s4
	s_cselect_b32 s7, s11, s7
	s_add_i32 s5, s4, 1
	s_cmp_ge_u32 s7, s12
	s_cselect_b32 s4, s5, s4
	v_writelane_b32 v45, s4, 0
	v_writelane_b32 v45, s5, 1
.LBB186_9:
	v_writelane_b32 v45, s20, 2
	v_writelane_b32 v45, s21, 3
	;; [unrolled: 1-line block ×6, first 2 shown]
	s_load_dwordx2 s[20:21], s[34:35], 0xe0
	s_load_dwordx4 s[12:15], s[34:35], 0xd0
	s_waitcnt lgkmcnt(0)
	v_mov_b32_e32 v1, s30
	v_mov_b32_e32 v2, s31
	v_cmp_lt_u64_e32 vcc, s[36:37], v[1:2]
	s_mov_b64 s[4:5], 0
	v_writelane_b32 v45, s4, 8
	s_mov_b64 s[24:25], 0
	v_writelane_b32 v45, s5, 9
	s_cbranch_vccnz .LBB186_11
; %bb.10:
	v_cvt_f32_u32_e32 v1, s30
	s_sub_i32 s4, 0, s30
	s_mov_b32 s25, 0
	v_rcp_iflag_f32_e32 v1, v1
	v_mul_f32_e32 v1, 0x4f7ffffe, v1
	v_cvt_u32_f32_e32 v1, v1
	v_readfirstlane_b32 s5, v1
	s_mul_i32 s4, s4, s5
	s_mul_hi_u32 s4, s5, s4
	s_add_i32 s5, s5, s4
	s_mul_hi_u32 s4, s36, s5
	s_mul_i32 s7, s4, s30
	s_sub_i32 s7, s36, s7
	s_add_i32 s5, s4, 1
	s_sub_i32 s11, s7, s30
	s_cmp_ge_u32 s7, s30
	s_cselect_b32 s4, s5, s4
	s_cselect_b32 s7, s11, s7
	s_add_i32 s5, s4, 1
	s_cmp_ge_u32 s7, s30
	s_cselect_b32 s24, s5, s4
.LBB186_11:
	s_load_dwordx2 s[4:5], s[34:35], 0x450
	s_load_dwordx4 s[40:43], s[34:35], 0x440
	v_mov_b32_e32 v1, s28
	v_mov_b32_e32 v2, s29
	s_waitcnt lgkmcnt(0)
	v_writelane_b32 v45, s4, 10
	v_writelane_b32 v45, s5, 11
	s_load_dwordx2 s[4:5], s[34:35], 0x2a8
	v_writelane_b32 v45, s40, 12
	v_writelane_b32 v45, s41, 13
	;; [unrolled: 1-line block ×4, first 2 shown]
	s_load_dwordx4 s[40:43], s[34:35], 0x298
	s_waitcnt lgkmcnt(0)
	v_writelane_b32 v45, s4, 16
	v_writelane_b32 v45, s5, 17
	s_load_dwordx2 s[4:5], s[34:35], 0x0
	v_writelane_b32 v45, s40, 18
	v_writelane_b32 v45, s41, 19
	;; [unrolled: 1-line block ×5, first 2 shown]
	v_cmp_lt_u64_e32 vcc, s[24:25], v[1:2]
	v_writelane_b32 v45, s25, 23
	s_cbranch_vccnz .LBB186_13
; %bb.12:
	v_cvt_f32_u32_e32 v1, s28
	s_sub_i32 s7, 0, s28
	v_readlane_b32 s24, v45, 22
	v_readlane_b32 s25, v45, 23
	v_rcp_iflag_f32_e32 v1, v1
	v_mul_f32_e32 v1, 0x4f7ffffe, v1
	v_cvt_u32_f32_e32 v1, v1
	v_readfirstlane_b32 s11, v1
	s_mul_i32 s7, s7, s11
	s_mul_hi_u32 s7, s11, s7
	s_add_i32 s11, s11, s7
	s_mul_hi_u32 s7, s24, s11
	s_mul_i32 s19, s7, s28
	s_sub_i32 s19, s24, s19
	s_add_i32 s11, s7, 1
	s_sub_i32 s24, s19, s28
	s_cmp_ge_u32 s19, s28
	s_cselect_b32 s7, s11, s7
	s_cselect_b32 s19, s24, s19
	s_add_i32 s11, s7, 1
	s_cmp_ge_u32 s19, s28
	s_cselect_b32 s24, s11, s7
	v_writelane_b32 v45, s24, 8
	v_writelane_b32 v45, s25, 9
.LBB186_13:
	s_load_dwordx2 s[24:25], s[34:35], 0x370
	v_writelane_b32 v45, s28, 24
	v_writelane_b32 v45, s29, 25
	;; [unrolled: 1-line block ×4, first 2 shown]
	s_waitcnt lgkmcnt(0)
	v_writelane_b32 v45, s24, 28
	v_writelane_b32 v45, s25, 29
	s_load_dwordx2 s[24:25], s[34:35], 0x1c8
	s_mov_b32 s65, 0
	v_cmp_eq_u32_e64 s[30:31], 0, v0
	s_waitcnt lgkmcnt(0)
	v_writelane_b32 v45, s24, 30
	v_writelane_b32 v45, s25, 31
	s_load_dwordx4 s[24:27], s[34:35], 0x1a0
	s_mov_b64 s[28:29], exec
	v_writelane_b32 v45, s30, 32
	v_writelane_b32 v45, s31, 33
	s_and_b64 s[30:31], s[28:29], s[30:31]
	s_mov_b64 exec, s[30:31]
	s_cbranch_execz .LBB186_15
; %bb.14:
	v_mov_b32_e32 v1, 0
	s_waitcnt lgkmcnt(0)
	v_mov_b32_e32 v3, s24
	v_mov_b32_e32 v4, s25
	;; [unrolled: 1-line block ×3, first 2 shown]
	ds_write_b32 v1, v1 offset:5144
	ds_write_b128 v1, v[1:4] offset:5120
.LBB186_15:
	s_or_b64 exec, exec, s[28:29]
	s_mul_i32 s1, s10, s1
	s_mul_hi_u32 s7, s10, s0
	s_add_i32 s7, s7, s1
	s_mul_i32 s0, s10, s0
	s_sub_u32 s0, s8, s0
	s_subb_u32 s1, s9, s7
	s_mul_i32 s7, s0, s15
	s_mul_hi_u32 s9, s0, s14
	s_add_i32 s7, s9, s7
	s_mul_i32 s1, s1, s14
	s_add_i32 s1, s7, s1
	s_mul_i32 s7, s10, s13
	s_mul_hi_u32 s9, s10, s12
	s_add_i32 s11, s9, s7
	s_mul_i32 s3, s8, s3
	s_mul_hi_u32 s7, s8, s2
	s_add_i32 s7, s7, s3
	s_mul_i32 s2, s8, s2
	s_mov_b32 s8, s36
	v_writelane_b32 v45, s8, 34
	s_sub_u32 s2, s36, s2
	v_writelane_b32 v45, s9, 35
	s_subb_u32 s3, 0, s7
	s_mul_i32 s7, s2, s21
	s_mul_hi_u32 s8, s2, s20
	s_mul_i32 s10, s10, s12
	s_add_i32 s7, s8, s7
	s_mul_i32 s3, s3, s20
	s_add_i32 s3, s7, s3
	s_lshl_b64 s[8:9], s[10:11], 3
	s_mul_i32 s0, s0, s14
	s_add_u32 s4, s4, s8
	s_addc_u32 s5, s5, s9
	s_lshl_b64 s[0:1], s[0:1], 3
	v_writelane_b32 v45, s34, 36
	s_load_dword s7, s[34:35], 0x1b0
	s_mul_i32 s2, s2, s20
	s_add_u32 s4, s4, s0
	s_addc_u32 s5, s5, s1
	s_lshl_b64 s[0:1], s[2:3], 3
	s_add_u32 s33, s4, s0
	s_addc_u32 s66, s5, s1
	s_waitcnt lgkmcnt(0)
	s_bitcmp1_b32 s7, 0
	v_writelane_b32 v45, s35, 37
	s_cselect_b64 s[0:1], -1, 0
	v_writelane_b32 v45, s0, 38
	v_mbcnt_lo_u32_b32 v1, -1, 0
	v_writelane_b32 v45, s1, 39
	s_xor_b64 s[0:1], s[0:1], -1
	v_mbcnt_hi_u32_b32 v35, -1, v1
	v_writelane_b32 v45, s0, 40
	v_cmp_gt_u32_e32 vcc, 64, v0
	v_cmp_gt_i32_e64 s[10:11], 4, v35
	v_mad_u64_u32 v[2:3], s[2:3], s22, v0, 0
	v_writelane_b32 v45, s1, 41
	v_mov_b32_e32 v4, 0x180
	s_and_b64 s[2:3], vcc, s[10:11]
	v_mov_b32_e32 v5, 0
	v_writelane_b32 v45, s2, 42
	v_writelane_b32 v45, s3, 43
	v_cmp_gt_u64_e64 s[2:3], s[24:25], v[4:5]
	v_mov_b32_e32 v1, v3
	v_writelane_b32 v45, s2, 44
	v_mov_b32_e32 v19, 0
	v_writelane_b32 v45, s3, 45
	v_mad_u64_u32 v[3:4], s[2:3], s23, v0, v[1:2]
	v_mov_b32_e32 v1, v19
	v_cmp_gt_u64_e64 s[2:3], s[24:25], v[0:1]
	v_writelane_b32 v45, s2, 46
	v_writelane_b32 v45, s3, 47
	v_cmp_gt_u32_e64 s[2:3], 2, v0
	v_writelane_b32 v45, s2, 48
	s_barrier
	v_writelane_b32 v45, s3, 49
	s_load_dword s2, s[16:17], 0xc
	v_lshlrev_b64 v[2:3], 3, v[2:3]
	v_mov_b32_e32 v4, s66
	v_add_co_u32_e32 v16, vcc, s33, v2
	s_waitcnt lgkmcnt(0)
	s_and_b32 s67, s2, 0xffff
	s_bfe_u32 s2, s2, 0xa0006
	s_cmp_gt_u32 s67, 63
	s_cselect_b64 s[4:5], -1, 0
	v_writelane_b32 v45, s4, 50
	s_add_u32 s3, s67, -1
	v_writelane_b32 v45, s5, 51
	s_addc_u32 s4, 0, -1
	v_writelane_b32 v45, s3, 52
	s_add_u32 s3, s3, s24
	s_addc_u32 s73, s4, s25
	s_cmp_lt_u32 s6, s18
	v_writelane_b32 v45, s3, 53
	s_cselect_b32 s3, 12, 18
	v_writelane_b32 v45, s4, 54
	s_add_u32 s4, s16, s3
	s_addc_u32 s5, s17, 0
	v_writelane_b32 v45, s4, 55
	s_add_i32 s3, s2, -1
	v_writelane_b32 v45, s5, 56
	s_bfe_u32 s4, s67, 0x30006
	s_and_b32 s3, s3, 0xffff
	v_addc_co_u32_e32 v17, vcc, v4, v3, vcc
	v_lshlrev_b64 v[2:3], v35, -1
	s_cmp_gt_u32 s3, 6
	s_cselect_b64 s[6:7], -1, 0
	v_not_b32_e32 v34, v2
	v_lshrrev_b32_e32 v2, 1, v0
	v_writelane_b32 v45, s6, 57
	s_and_b32 s69, s2, 0x3f8
	v_and_b32_e32 v2, 0x1e0, v2
	v_writelane_b32 v45, s7, 58
	s_cmp_lg_u32 s4, 0
	v_lshlrev_b32_e32 v36, 3, v0
	v_lshlrev_b32_e32 v4, 2, v35
	v_or_b32_e32 v38, 0xc00, v2
	v_writelane_b32 v45, s4, 59
	s_cselect_b64 s[2:3], -1, 0
	v_mov_b32_e32 v2, 0xc00
	v_mov_b32_e32 v6, 0
	;; [unrolled: 1-line block ×5, first 2 shown]
	v_cmp_eq_u32_e64 s[0:1], 0, v35
	v_lshlrev_b32_e32 v20, 2, v0
	v_mov_b32_e32 v21, v19
	v_add_u32_e32 v37, 0xc00, v36
	v_and_b32_e32 v32, 0x100, v4
	v_not_b32_e32 v33, v3
	v_writelane_b32 v45, s2, 60
	v_lshlrev_b32_e32 v39, 5, v0
	v_lshl_or_b32 v40, v35, 3, v2
	s_lshl_b32 s74, s67, 3
	s_mov_b32 s75, 62
	v_mov_b32_e32 v7, 0
	s_mov_b64 s[80:81], 0
	v_mov_b32_e32 v27, s27
	v_mov_b32_e32 v23, 0
	;; [unrolled: 1-line block ×4, first 2 shown]
	s_mov_b32 s68, 0
	v_mov_b32_e32 v3, 0x3ff00000
	v_writelane_b32 v45, s3, 61
                                        ; implicit-def: $sgpr82_sgpr83
                                        ; implicit-def: $sgpr84_sgpr85
                                        ; implicit-def: $sgpr88_sgpr89
                                        ; implicit-def: $sgpr90_sgpr91
                                        ; implicit-def: $sgpr86_sgpr87
                                        ; implicit-def: $sgpr92_sgpr93
                                        ; implicit-def: $sgpr94_sgpr95
                                        ; implicit-def: $sgpr58_sgpr59
                                        ; implicit-def: $sgpr60_sgpr61
                                        ; implicit-def: $sgpr56_sgpr57
	s_branch .LBB186_18
.LBB186_16:                             ;   in Loop: Header=BB186_18 Depth=1
	s_or_b64 exec, exec, s[8:9]
	s_andn2_b64 s[8:9], s[56:57], exec
	s_and_b64 s[6:7], s[6:7], exec
	v_mov_b32_e32 v26, v28
	s_or_b64 s[56:57], s[8:9], s[6:7]
	s_andn2_b64 s[60:61], s[60:61], exec
	s_andn2_b64 s[58:59], s[58:59], exec
	;; [unrolled: 1-line block ×4, first 2 shown]
	s_orn2_b64 s[4:5], s[4:5], exec
	v_mov_b32_e32 v27, v29
.LBB186_17:                             ;   in Loop: Header=BB186_18 Depth=1
	s_or_b64 exec, exec, s[2:3]
	s_and_b64 s[2:3], exec, s[4:5]
	s_or_b64 s[80:81], s[2:3], s[80:81]
	s_andn2_b64 s[2:3], s[86:87], exec
	s_and_b64 s[4:5], s[56:57], exec
	s_or_b64 s[86:87], s[2:3], s[4:5]
	s_andn2_b64 s[2:3], s[90:91], exec
	s_and_b64 s[4:5], s[60:61], exec
	;; [unrolled: 3-line block ×5, first 2 shown]
	s_or_b64 s[82:83], s[2:3], s[4:5]
	s_andn2_b64 exec, exec, s[80:81]
	s_cbranch_execz .LBB186_494
.LBB186_18:                             ; =>This Loop Header: Depth=1
                                        ;     Child Loop BB186_24 Depth 2
                                        ;     Child Loop BB186_37 Depth 2
	;; [unrolled: 1-line block ×24, first 2 shown]
	ds_read_b128 v[8:11], v19 offset:5120
	s_waitcnt lgkmcnt(0)
	v_readfirstlane_b32 s41, v9
	v_readfirstlane_b32 s40, v8
	s_cmp_lg_u64 s[40:41], 0
	s_cbranch_scc1 .LBB186_45
; %bb.19:                               ;   in Loop: Header=BB186_18 Depth=1
	v_readlane_b32 s2, v45, 44
	v_readlane_b32 s3, v45, 45
	s_and_b64 vcc, exec, s[2:3]
	s_cbranch_vccz .LBB186_32
; %bb.20:                               ;   in Loop: Header=BB186_18 Depth=1
	s_mov_b64 s[2:3], 0x181
	v_cmp_gt_u64_e32 vcc, s[2:3], v[10:11]
	s_mov_b64 s[2:3], 0
	s_mov_b64 s[4:5], 0
	s_cbranch_vccz .LBB186_33
; %bb.21:                               ;   in Loop: Header=BB186_18 Depth=1
	s_mov_b64 s[8:9], exec
	v_readlane_b32 s4, v45, 46
	v_readlane_b32 s5, v45, 47
	s_and_b64 s[4:5], s[8:9], s[4:5]
	s_mov_b64 exec, s[4:5]
	s_cbranch_execz .LBB186_101
; %bb.22:                               ;   in Loop: Header=BB186_18 Depth=1
	v_readlane_b32 s4, v45, 55
	v_readlane_b32 s5, v45, 56
	global_load_dwordx2 v[4:5], v[16:17], off
	v_mov_b32_e32 v9, v1
	s_mov_b64 s[10:11], 0
	v_mov_b32_e32 v8, v0
	s_nop 0
	global_load_ushort v2, v19, s[4:5]
	s_branch .LBB186_24
.LBB186_23:                             ;   in Loop: Header=BB186_24 Depth=2
	s_or_b64 exec, exec, s[4:5]
	s_waitcnt vmcnt(0)
	v_mov_b32_e32 v4, v10
	v_mov_b32_e32 v5, v11
	s_andn2_b64 exec, exec, s[10:11]
	s_cbranch_execz .LBB186_101
.LBB186_24:                             ;   Parent Loop BB186_18 Depth=1
                                        ; =>  This Inner Loop Header: Depth=2
	s_waitcnt vmcnt(0)
	v_add_co_u32_sdwa v8, vcc, v8, v2 dst_sel:DWORD dst_unused:UNUSED_PAD src0_sel:DWORD src1_sel:WORD_0
	v_addc_co_u32_e32 v9, vcc, 0, v9, vcc
	v_cmp_gt_u64_e64 s[6:7], s[24:25], v[8:9]
	v_cmp_le_u64_e32 vcc, s[24:25], v[8:9]
	v_mov_b32_e32 v10, 0
	v_mov_b32_e32 v11, 0
	s_and_saveexec_b64 s[4:5], s[6:7]
	s_cbranch_execz .LBB186_26
; %bb.25:                               ;   in Loop: Header=BB186_24 Depth=2
	s_waitcnt lgkmcnt(0)
	v_mul_lo_u32 v12, v9, s22
	v_mul_lo_u32 v13, v8, s23
	v_mad_u64_u32 v[10:11], s[6:7], v8, s22, 0
	v_add3_u32 v11, v11, v13, v12
	v_lshlrev_b64 v[10:11], 3, v[10:11]
	v_mov_b32_e32 v12, s66
	v_add_co_u32_e64 v10, s[6:7], s33, v10
	v_addc_co_u32_e64 v11, s[6:7], v12, v11, s[6:7]
	global_load_dwordx2 v[10:11], v[10:11], off
.LBB186_26:                             ;   in Loop: Header=BB186_24 Depth=2
	s_or_b64 exec, exec, s[4:5]
	v_cmp_o_f64_e64 s[6:7], v[4:5], v[4:5]
	s_waitcnt lgkmcnt(0)
	v_ashrrev_i32_e32 v12, 31, v5
	v_or_b32_e32 v13, 0x80000000, v12
	v_xor_b32_e32 v13, v13, v5
	v_xor_b32_e32 v12, v12, v4
	v_cndmask_b32_e64 v13, -1, v13, s[6:7]
	v_cndmask_b32_e64 v12, -1, v12, s[6:7]
	v_and_b32_e32 v13, v13, v25
	v_and_b32_e32 v12, v12, v24
	v_cmp_eq_u64_e64 s[14:15], v[12:13], v[22:23]
	v_mov_b32_e32 v12, 0
	s_cmp_lg_u64 s[14:15], 0
	s_cselect_b64 s[4:5], -1, 0
	s_and_b64 s[6:7], s[0:1], s[4:5]
	s_and_saveexec_b64 s[4:5], s[6:7]
	s_cbranch_execz .LBB186_30
; %bb.27:                               ;   in Loop: Header=BB186_24 Depth=2
	s_mov_b64 s[16:17], exec
	v_mbcnt_lo_u32_b32 v12, s16, 0
	v_mbcnt_hi_u32_b32 v12, s17, v12
	s_bcnt1_i32_b64 s18, s[14:15]
	v_cmp_eq_u32_e64 s[6:7], 0, v12
                                        ; implicit-def: $vgpr13
	s_and_saveexec_b64 s[12:13], s[6:7]
; %bb.28:                               ;   in Loop: Header=BB186_24 Depth=2
	s_bcnt1_i32_b64 s6, s[16:17]
	s_mul_i32 s6, s18, s6
	v_mov_b32_e32 v13, s6
	ds_add_rtn_u32 v13, v19, v13 offset:5144
; %bb.29:                               ;   in Loop: Header=BB186_24 Depth=2
	s_or_b64 exec, exec, s[12:13]
	s_waitcnt lgkmcnt(0)
	v_readfirstlane_b32 s6, v13
	v_mov_b32_e32 v13, s6
	v_mad_u32_u24 v12, s18, v12, v13
.LBB186_30:                             ;   in Loop: Header=BB186_24 Depth=2
	s_or_b64 exec, exec, s[4:5]
	ds_bpermute_b32 v12, v32, v12
	s_and_b64 s[4:5], exec, vcc
	s_or_b64 s[10:11], s[4:5], s[10:11]
	s_and_saveexec_b64 s[4:5], s[14:15]
	s_cbranch_execz .LBB186_23
; %bb.31:                               ;   in Loop: Header=BB186_24 Depth=2
	v_and_b32_e32 v14, s14, v34
	v_and_b32_e32 v13, s15, v33
	v_bcnt_u32_b32 v14, v14, 0
	v_bcnt_u32_b32 v13, v13, v14
	v_lshlrev_b32_e32 v13, 3, v13
	s_waitcnt lgkmcnt(0)
	v_lshl_add_u32 v12, v12, 3, v13
	ds_write_b64 v12, v[4:5]
	s_branch .LBB186_23
.LBB186_32:                             ;   in Loop: Header=BB186_18 Depth=1
	s_mov_b64 s[2:3], -1
	s_mov_b64 s[4:5], 0
.LBB186_33:                             ;   in Loop: Header=BB186_18 Depth=1
	s_and_b64 vcc, exec, s[2:3]
	s_cbranch_vccz .LBB186_43
.LBB186_34:                             ;   in Loop: Header=BB186_18 Depth=1
	s_mov_b64 s[2:3], exec
	v_readlane_b32 s4, v45, 46
	v_readlane_b32 s5, v45, 47
	s_and_b64 s[4:5], s[2:3], s[4:5]
	s_mov_b64 exec, s[4:5]
	s_cbranch_execz .LBB186_40
; %bb.35:                               ;   in Loop: Header=BB186_18 Depth=1
	v_readlane_b32 s4, v45, 55
	v_readlane_b32 s5, v45, 56
	s_nop 4
	global_load_ushort v2, v19, s[4:5]
	global_load_dwordx2 v[4:5], v[16:17], off
	v_mov_b32_e32 v8, v0
	s_waitcnt vmcnt(1)
	v_and_b32_e32 v2, 0xffff, v2
	v_add_u32_e32 v18, v2, v0
	v_cmp_gt_u64_e32 vcc, s[24:25], v[18:19]
	s_and_saveexec_b64 s[4:5], vcc
	s_cbranch_execz .LBB186_39
; %bb.36:                               ;   in Loop: Header=BB186_18 Depth=1
	v_mov_b32_e32 v12, v18
	v_mov_b32_e32 v9, v1
	s_mov_b64 s[6:7], 0
	v_mov_b32_e32 v13, v19
	v_mov_b32_e32 v8, v0
.LBB186_37:                             ;   Parent Loop BB186_18 Depth=1
                                        ; =>  This Inner Loop Header: Depth=2
	v_mov_b32_e32 v15, v13
	v_mov_b32_e32 v14, v12
	v_mul_lo_u32 v11, v15, s22
	v_mul_lo_u32 v12, v14, s23
	v_mad_u64_u32 v[9:10], s[8:9], v14, s22, 0
	v_mov_b32_e32 v13, s66
	v_lshlrev_b32_e32 v8, 3, v8
	v_add3_u32 v10, v10, v12, v11
	v_lshlrev_b64 v[9:10], 3, v[9:10]
	s_waitcnt vmcnt(0)
	ds_write_b64 v8, v[4:5]
	v_add_co_u32_e32 v9, vcc, s33, v9
	v_addc_co_u32_e32 v10, vcc, v13, v10, vcc
	global_load_dwordx2 v[10:11], v[9:10], off
	v_add_co_u32_e32 v12, vcc, v14, v2
	v_addc_co_u32_e32 v13, vcc, 0, v15, vcc
	v_cmp_le_u64_e32 vcc, s[24:25], v[12:13]
	v_mov_b32_e32 v8, v14
	s_or_b64 s[6:7], vcc, s[6:7]
	v_mov_b32_e32 v9, v15
	s_waitcnt vmcnt(0)
	v_mov_b32_e32 v4, v10
	v_mov_b32_e32 v5, v11
	s_andn2_b64 exec, exec, s[6:7]
	s_cbranch_execnz .LBB186_37
; %bb.38:                               ;   in Loop: Header=BB186_18 Depth=1
	s_or_b64 exec, exec, s[6:7]
	v_mov_b32_e32 v4, v10
	v_sub_u32_e32 v8, v12, v2
	v_mov_b32_e32 v5, v11
.LBB186_39:                             ;   in Loop: Header=BB186_18 Depth=1
	s_or_b64 exec, exec, s[4:5]
	v_lshlrev_b32_e32 v2, 3, v8
	s_waitcnt vmcnt(0)
	ds_write_b64 v2, v[4:5]
.LBB186_40:                             ;   in Loop: Header=BB186_18 Depth=1
	s_or_b64 exec, exec, s[2:3]
	s_waitcnt lgkmcnt(0)
	s_barrier
	s_mov_b64 s[2:3], exec
	v_readlane_b32 s4, v45, 32
	v_readlane_b32 s5, v45, 33
	s_and_b64 s[4:5], s[2:3], s[4:5]
	s_mov_b64 exec, s[4:5]
; %bb.41:                               ;   in Loop: Header=BB186_18 Depth=1
	v_mov_b32_e32 v4, s24
	v_mov_b32_e32 v5, s25
	ds_write_b64 v19, v[4:5] offset:5120
; %bb.42:                               ;   in Loop: Header=BB186_18 Depth=1
	s_or_b64 exec, exec, s[2:3]
	s_mov_b64 s[4:5], -1
	s_waitcnt lgkmcnt(0)
	s_barrier
.LBB186_43:                             ;   in Loop: Header=BB186_18 Depth=1
	s_mov_b64 s[40:41], 0
	s_and_b64 vcc, exec, s[4:5]
	s_cbranch_vccz .LBB186_45
; %bb.44:                               ;   in Loop: Header=BB186_18 Depth=1
	ds_read_b64 v[4:5], v19 offset:5120
	s_waitcnt lgkmcnt(0)
	v_readfirstlane_b32 s40, v4
.LBB186_45:                             ;   in Loop: Header=BB186_18 Depth=1
	s_cmp_lt_i32 s40, 1
	s_mov_b64 s[2:3], -1
                                        ; implicit-def: $vgpr8_vgpr9
                                        ; implicit-def: $vgpr12_vgpr13
	s_cbranch_scc1 .LBB186_55
; %bb.46:                               ;   in Loop: Header=BB186_18 Depth=1
	s_and_b64 vcc, exec, s[2:3]
	s_cbranch_vccnz .LBB186_69
.LBB186_47:                             ;   in Loop: Header=BB186_18 Depth=1
	s_lshl_b32 s4, s68, 6
	s_and_saveexec_b64 s[2:3], s[0:1]
	s_cbranch_execz .LBB186_49
.LBB186_48:                             ;   in Loop: Header=BB186_18 Depth=1
	v_lshl_add_u32 v2, s4, 3, v38
	ds_write_b128 v2, v[8:11]
	ds_write_b128 v2, v[12:15] offset:16
.LBB186_49:                             ;   in Loop: Header=BB186_18 Depth=1
	s_or_b64 exec, exec, s[2:3]
	s_waitcnt lgkmcnt(0)
	s_barrier
	s_mov_b64 s[2:3], exec
	v_readlane_b32 s6, v45, 42
	v_readlane_b32 s7, v45, 43
	s_and_b64 s[6:7], s[2:3], s[6:7]
	s_mov_b64 exec, s[6:7]
	s_cbranch_execz .LBB186_84
; %bb.50:                               ;   in Loop: Header=BB186_18 Depth=1
	v_readlane_b32 s6, v45, 50
	v_mov_b32_e32 v4, 0
	v_readlane_b32 s7, v45, 51
	v_mov_b32_e32 v5, 0
	s_andn2_b64 vcc, exec, s[6:7]
	s_cbranch_vccnz .LBB186_83
; %bb.51:                               ;   in Loop: Header=BB186_18 Depth=1
	v_readlane_b32 s6, v45, 57
	v_readlane_b32 s7, v45, 58
	s_andn2_b64 vcc, exec, s[6:7]
	s_cbranch_vccnz .LBB186_79
; %bb.52:                               ;   in Loop: Header=BB186_18 Depth=1
	v_mov_b32_e32 v4, 0
	v_lshl_add_u32 v2, s68, 9, v40
	v_mov_b32_e32 v5, 0
	s_mov_b32 s5, 0
.LBB186_53:                             ;   Parent Loop BB186_18 Depth=1
                                        ; =>  This Inner Loop Header: Depth=2
	ds_read2_b64 v[8:11], v2 offset1:4
	s_add_i32 s5, s5, 8
	s_cmp_eq_u32 s69, s5
	s_waitcnt lgkmcnt(0)
	v_add_co_u32_e32 v4, vcc, v8, v4
	v_addc_co_u32_e32 v5, vcc, v9, v5, vcc
	v_add_co_u32_e32 v4, vcc, v10, v4
	v_addc_co_u32_e32 v5, vcc, v11, v5, vcc
	ds_read2_b64 v[8:11], v2 offset0:8 offset1:12
	s_waitcnt lgkmcnt(0)
	v_add_co_u32_e32 v4, vcc, v8, v4
	v_addc_co_u32_e32 v5, vcc, v9, v5, vcc
	v_add_co_u32_e32 v4, vcc, v10, v4
	v_addc_co_u32_e32 v5, vcc, v11, v5, vcc
	ds_read2_b64 v[8:11], v2 offset0:16 offset1:20
	;; [unrolled: 6-line block ×3, first 2 shown]
	v_add_u32_e32 v2, 0x100, v2
	s_waitcnt lgkmcnt(0)
	v_add_co_u32_e32 v4, vcc, v8, v4
	v_addc_co_u32_e32 v5, vcc, v9, v5, vcc
	v_add_co_u32_e32 v4, vcc, v10, v4
	v_addc_co_u32_e32 v5, vcc, v11, v5, vcc
	s_cbranch_scc0 .LBB186_53
; %bb.54:                               ;   in Loop: Header=BB186_18 Depth=1
	s_mov_b32 s5, s69
	s_branch .LBB186_80
.LBB186_55:                             ;   in Loop: Header=BB186_18 Depth=1
	v_readlane_b32 s2, v45, 55
	v_readlane_b32 s3, v45, 56
	s_nop 4
	global_load_ushort v2, v19, s[2:3]
	s_mov_b32 s2, s65
	s_waitcnt vmcnt(0)
	v_readfirstlane_b32 s3, v2
	s_and_b32 s3, 0xffff, s3
	s_lshl_b32 s8, s3, 2
	s_mov_b32 s3, s25
	s_cmp_lg_u64 s[2:3], 0
	s_cbranch_scc0 .LBB186_78
; %bb.56:                               ;   in Loop: Header=BB186_18 Depth=1
	v_cvt_f32_u32_e32 v4, s8
	s_sub_u32 s4, 0, s8
	s_subb_u32 s5, 0, 0
	v_mac_f32_e32 v4, 0, v41
	v_rcp_f32_e32 v4, v4
	v_mul_f32_e32 v4, 0x5f7ffffc, v4
	v_mul_f32_e32 v5, 0x2f800000, v4
	v_trunc_f32_e32 v5, v5
	v_mac_f32_e32 v4, 0xcf800000, v5
	v_cvt_u32_f32_e32 v5, v5
	v_cvt_u32_f32_e32 v4, v4
	v_readfirstlane_b32 s6, v5
	v_readfirstlane_b32 s2, v4
	s_mul_i32 s3, s4, s6
	s_mul_hi_u32 s9, s4, s2
	s_mul_i32 s7, s5, s2
	s_add_i32 s3, s9, s3
	s_mul_i32 s10, s4, s2
	s_add_i32 s3, s3, s7
	s_mul_hi_u32 s9, s2, s10
	s_mul_i32 s11, s2, s3
	s_mul_hi_u32 s7, s2, s3
	s_add_u32 s9, s9, s11
	s_addc_u32 s7, 0, s7
	s_mul_hi_u32 s12, s6, s10
	s_mul_i32 s10, s6, s10
	s_add_u32 s9, s9, s10
	s_mul_hi_u32 s11, s6, s3
	s_addc_u32 s7, s7, s12
	s_addc_u32 s9, s11, 0
	s_mul_i32 s3, s6, s3
	s_add_u32 s3, s7, s3
	s_addc_u32 s7, 0, s9
	s_add_u32 s9, s2, s3
	s_cselect_b64 s[2:3], -1, 0
	s_cmp_lg_u64 s[2:3], 0
	s_addc_u32 s6, s6, s7
	s_mul_i32 s2, s4, s6
	s_mul_hi_u32 s3, s4, s9
	s_add_i32 s2, s3, s2
	s_mul_i32 s5, s5, s9
	s_add_i32 s2, s2, s5
	s_mul_i32 s4, s4, s9
	s_mul_hi_u32 s5, s6, s4
	s_mul_i32 s7, s6, s4
	s_mul_i32 s11, s9, s2
	s_mul_hi_u32 s4, s9, s4
	s_mul_hi_u32 s10, s9, s2
	s_add_u32 s4, s4, s11
	s_addc_u32 s10, 0, s10
	s_add_u32 s4, s4, s7
	s_mul_hi_u32 s3, s6, s2
	s_addc_u32 s4, s10, s5
	s_addc_u32 s3, s3, 0
	s_mul_i32 s2, s6, s2
	s_add_u32 s2, s4, s2
	s_addc_u32 s4, 0, s3
	s_add_u32 s5, s9, s2
	s_cselect_b64 s[2:3], -1, 0
	s_cmp_lg_u64 s[2:3], 0
	s_addc_u32 s2, s6, s4
	s_mul_i32 s4, s24, s2
	s_mul_hi_u32 s6, s24, s5
	s_mul_hi_u32 s3, s24, s2
	s_add_u32 s4, s6, s4
	s_addc_u32 s3, 0, s3
	s_mul_hi_u32 s7, s25, s5
	s_mul_i32 s5, s25, s5
	s_add_u32 s4, s4, s5
	s_mul_hi_u32 s6, s25, s2
	s_addc_u32 s3, s3, s7
	s_addc_u32 s4, s6, 0
	s_mul_i32 s2, s25, s2
	s_add_u32 s2, s3, s2
	s_addc_u32 s3, 0, s4
	s_mul_i32 s3, s8, s3
	s_mul_hi_u32 s4, s8, s2
	s_add_i32 s4, s4, s3
	s_mul_i32 s2, s8, s2
	s_sub_u32 s5, s24, s2
	s_cselect_b64 s[2:3], -1, 0
	s_cmp_lg_u64 s[2:3], 0
	s_subb_u32 s4, s25, s4
	s_sub_u32 s6, s5, s8
	s_cselect_b64 s[2:3], -1, 0
	s_cmp_lg_u64 s[2:3], 0
	s_subb_u32 s7, s4, 0
	;; [unrolled: 4-line block ×3, first 2 shown]
	s_cmp_ge_u32 s6, s8
	s_cselect_b32 s3, -1, 0
	s_cmp_eq_u32 s7, 0
	s_cselect_b32 s3, s3, -1
	s_cmp_lg_u32 s3, 0
	s_cselect_b32 s2, s2, s7
	s_cselect_b32 s6, s9, s6
	s_cmp_ge_u32 s5, s8
	s_cselect_b32 s3, -1, 0
	s_cmp_eq_u32 s4, 0
	s_cselect_b32 s3, s3, -1
	s_cmp_lg_u32 s3, 0
	s_cselect_b32 s3, s2, s4
	s_cselect_b32 s2, s6, s5
	s_cbranch_execnz .LBB186_58
.LBB186_57:                             ;   in Loop: Header=BB186_18 Depth=1
	v_cvt_f32_u32_e32 v4, s8
	s_sub_i32 s2, 0, s8
	v_rcp_iflag_f32_e32 v4, v4
	v_mul_f32_e32 v4, 0x4f7ffffe, v4
	v_cvt_u32_f32_e32 v4, v4
	v_readfirstlane_b32 s3, v4
	s_mul_i32 s2, s2, s3
	s_mul_hi_u32 s2, s3, s2
	s_add_i32 s3, s3, s2
	s_mul_hi_u32 s2, s24, s3
	s_mul_i32 s2, s2, s8
	s_sub_i32 s2, s24, s2
	s_sub_i32 s3, s2, s8
	s_cmp_ge_u32 s2, s8
	s_cselect_b32 s2, s3, s2
	s_sub_i32 s3, s2, s8
	s_cmp_ge_u32 s2, s8
	s_cselect_b32 s64, s3, s2
	s_mov_b64 s[2:3], s[64:65]
.LBB186_58:                             ;   in Loop: Header=BB186_18 Depth=1
	s_sub_u32 s2, s24, s2
	s_subb_u32 s3, s25, s3
	v_cmp_gt_u64_e32 vcc, s[2:3], v[20:21]
	v_mov_b32_e32 v8, 0
	v_mov_b32_e32 v10, 0
	;; [unrolled: 1-line block ×8, first 2 shown]
	s_and_saveexec_b64 s[28:29], vcc
	s_cbranch_execz .LBB186_62
; %bb.59:                               ;   in Loop: Header=BB186_18 Depth=1
	v_mov_b32_e32 v4, v20
	s_mov_b64 s[30:31], 0
	s_mov_b64 s[36:37], 0
	;; [unrolled: 1-line block ×5, first 2 shown]
	v_mov_b32_e32 v5, v21
.LBB186_60:                             ;   Parent Loop BB186_18 Depth=1
                                        ; =>  This Inner Loop Header: Depth=2
	v_mul_lo_u32 v10, v5, s22
	v_mul_lo_u32 v11, v4, s23
	v_mad_u64_u32 v[8:9], s[4:5], v4, s22, 0
	s_lshl_b64 s[4:5], s[22:23], 3
	v_mov_b32_e32 v18, s5
	v_add3_u32 v9, v9, v11, v10
	v_lshlrev_b64 v[8:9], 3, v[8:9]
	v_mov_b32_e32 v10, s66
	v_add_co_u32_e32 v8, vcc, s33, v8
	v_addc_co_u32_e32 v9, vcc, v10, v9, vcc
	global_load_dwordx2 v[10:11], v[8:9], off
	v_add_co_u32_e32 v8, vcc, s4, v8
	v_addc_co_u32_e32 v9, vcc, v9, v18, vcc
	global_load_dwordx2 v[12:13], v[8:9], off
	;; [unrolled: 3-line block ×4, first 2 shown]
	s_waitcnt vmcnt(3)
	v_cmp_o_f64_e32 vcc, v[10:11], v[10:11]
	v_ashrrev_i32_e32 v18, 31, v11
	v_or_b32_e32 v28, 0x80000000, v18
	v_xor_b32_e32 v11, v28, v11
	v_xor_b32_e32 v10, v18, v10
	v_cndmask_b32_e32 v29, -1, v11, vcc
	v_cndmask_b32_e32 v28, -1, v10, vcc
	s_waitcnt vmcnt(2)
	v_cmp_o_f64_e32 vcc, v[12:13], v[12:13]
	v_ashrrev_i32_e32 v10, 31, v13
	v_or_b32_e32 v11, 0x80000000, v10
	v_xor_b32_e32 v11, v11, v13
	v_xor_b32_e32 v10, v10, v12
	v_cndmask_b32_e32 v31, -1, v11, vcc
	v_cndmask_b32_e32 v30, -1, v10, vcc
	s_waitcnt vmcnt(1)
	v_cmp_o_f64_e32 vcc, v[14:15], v[14:15]
	v_ashrrev_i32_e32 v10, 31, v15
	v_or_b32_e32 v11, 0x80000000, v10
	v_xor_b32_e32 v11, v11, v15
	v_xor_b32_e32 v10, v10, v14
	v_cndmask_b32_e32 v13, -1, v11, vcc
	v_cndmask_b32_e32 v12, -1, v10, vcc
	s_waitcnt vmcnt(0)
	v_cmp_o_f64_e32 vcc, v[8:9], v[8:9]
	v_ashrrev_i32_e32 v10, 31, v9
	v_or_b32_e32 v11, 0x80000000, v10
	v_xor_b32_e32 v9, v11, v9
	v_xor_b32_e32 v8, v10, v8
	v_cndmask_b32_e32 v11, -1, v9, vcc
	v_cndmask_b32_e32 v10, -1, v8, vcc
	v_and_b32_e32 v9, v29, v25
	v_and_b32_e32 v8, v28, v24
	v_cmp_eq_u64_e32 vcc, v[8:9], v[22:23]
	v_and_b32_e32 v9, v31, v25
	v_and_b32_e32 v8, v30, v24
	v_cmp_eq_u64_e64 s[14:15], v[8:9], v[22:23]
	v_and_b32_e32 v9, v13, v25
	v_and_b32_e32 v8, v12, v24
	v_cmp_eq_u64_e64 s[16:17], v[8:9], v[22:23]
	;; [unrolled: 3-line block ×3, first 2 shown]
	v_lshrrev_b64 v[8:9], s75, v[28:29]
	v_lshrrev_b64 v[12:13], s75, v[12:13]
	v_and_b32_e32 v18, 3, v8
	v_lshrrev_b64 v[8:9], s75, v[30:31]
	v_cmp_eq_u64_e64 s[6:7], 0, v[18:19]
	v_and_b32_e32 v8, 3, v8
	v_mov_b32_e32 v9, v19
	s_and_b64 s[4:5], vcc, s[6:7]
	v_cmp_eq_u64_e64 s[6:7], 0, v[8:9]
	v_and_b32_e32 v12, 3, v12
	v_mov_b32_e32 v13, v19
	v_lshrrev_b64 v[10:11], s75, v[10:11]
	s_and_b64 s[10:11], s[14:15], s[6:7]
	v_cmp_eq_u64_e64 s[6:7], 0, v[12:13]
	v_and_b32_e32 v10, 3, v10
	v_mov_b32_e32 v11, v19
	s_and_b64 s[12:13], s[16:17], s[6:7]
	v_cmp_eq_u64_e64 s[6:7], 0, v[10:11]
	v_cndmask_b32_e64 v14, 0, 1, s[4:5]
	s_and_b64 s[20:21], s[18:19], s[6:7]
	v_cmp_ne_u32_e64 s[6:7], 0, v14
	v_cndmask_b32_e64 v14, 0, 1, s[10:11]
	s_bcnt1_i32_b64 s4, s[6:7]
	v_cmp_ne_u32_e64 s[6:7], 0, v14
	v_cndmask_b32_e64 v14, 0, 1, s[12:13]
	s_bcnt1_i32_b64 s5, s[6:7]
	;; [unrolled: 3-line block ×3, first 2 shown]
	v_cmp_ne_u32_e64 s[6:7], 0, v14
	s_bcnt1_i32_b64 s6, s[6:7]
	s_add_u32 s4, s4, s44
	s_addc_u32 s7, 0, s45
	s_add_u32 s4, s4, s5
	s_addc_u32 s5, s7, 0
	;; [unrolled: 2-line block ×3, first 2 shown]
	s_add_u32 s44, s4, s6
	v_cmp_eq_u64_e64 s[6:7], 1, v[18:19]
	s_addc_u32 s45, s5, 0
	s_and_b64 s[4:5], vcc, s[6:7]
	v_cmp_eq_u64_e64 s[6:7], 1, v[8:9]
	v_cndmask_b32_e64 v14, 0, 1, s[4:5]
	s_and_b64 s[10:11], s[14:15], s[6:7]
	v_cmp_eq_u64_e64 s[6:7], 1, v[12:13]
	s_and_b64 s[12:13], s[16:17], s[6:7]
	v_cmp_eq_u64_e64 s[6:7], 1, v[10:11]
	s_and_b64 s[20:21], s[18:19], s[6:7]
	v_cmp_ne_u32_e64 s[6:7], 0, v14
	v_cndmask_b32_e64 v14, 0, 1, s[10:11]
	s_bcnt1_i32_b64 s4, s[6:7]
	v_cmp_ne_u32_e64 s[6:7], 0, v14
	v_cndmask_b32_e64 v14, 0, 1, s[12:13]
	s_bcnt1_i32_b64 s5, s[6:7]
	;; [unrolled: 3-line block ×3, first 2 shown]
	v_cmp_ne_u32_e64 s[6:7], 0, v14
	s_bcnt1_i32_b64 s6, s[6:7]
	s_add_u32 s4, s4, s42
	s_addc_u32 s7, 0, s43
	s_add_u32 s4, s4, s5
	s_addc_u32 s5, s7, 0
	;; [unrolled: 2-line block ×3, first 2 shown]
	s_add_u32 s42, s4, s6
	v_cmp_eq_u64_e64 s[6:7], 2, v[18:19]
	s_addc_u32 s43, s5, 0
	s_and_b64 s[4:5], vcc, s[6:7]
	v_cmp_eq_u64_e64 s[6:7], 2, v[8:9]
	v_cndmask_b32_e64 v14, 0, 1, s[4:5]
	s_and_b64 s[10:11], s[14:15], s[6:7]
	v_cmp_eq_u64_e64 s[6:7], 2, v[12:13]
	s_and_b64 s[12:13], s[16:17], s[6:7]
	v_cmp_eq_u64_e64 s[6:7], 2, v[10:11]
	s_and_b64 s[20:21], s[18:19], s[6:7]
	v_cmp_ne_u32_e64 s[6:7], 0, v14
	v_cndmask_b32_e64 v14, 0, 1, s[10:11]
	s_bcnt1_i32_b64 s4, s[6:7]
	v_cmp_ne_u32_e64 s[6:7], 0, v14
	v_cndmask_b32_e64 v14, 0, 1, s[12:13]
	s_bcnt1_i32_b64 s5, s[6:7]
	v_cmp_ne_u32_e64 s[6:7], 0, v14
	v_cndmask_b32_e64 v14, 0, 1, s[20:21]
	s_bcnt1_i32_b64 s9, s[6:7]
	v_cmp_ne_u32_e64 s[6:7], 0, v14
	s_bcnt1_i32_b64 s6, s[6:7]
	s_add_u32 s4, s4, s38
	s_addc_u32 s7, 0, s39
	s_add_u32 s4, s4, s5
	s_addc_u32 s5, s7, 0
	;; [unrolled: 2-line block ×3, first 2 shown]
	s_add_u32 s38, s4, s6
	v_cmp_eq_u64_e64 s[6:7], 3, v[18:19]
	s_addc_u32 s39, s5, 0
	s_and_b64 s[4:5], vcc, s[6:7]
	v_cmp_eq_u64_e32 vcc, 3, v[8:9]
	v_cndmask_b32_e64 v8, 0, 1, s[4:5]
	s_and_b64 s[6:7], s[14:15], vcc
	v_cmp_eq_u64_e32 vcc, 3, v[12:13]
	v_mov_b32_e32 v12, s38
	s_and_b64 s[10:11], s[16:17], vcc
	v_cmp_eq_u64_e32 vcc, 3, v[10:11]
	v_mov_b32_e32 v10, s42
	s_and_b64 s[12:13], s[18:19], vcc
	v_cmp_ne_u32_e32 vcc, 0, v8
	v_cndmask_b32_e64 v8, 0, 1, s[6:7]
	s_bcnt1_i32_b64 s4, vcc
	v_cmp_ne_u32_e32 vcc, 0, v8
	v_cndmask_b32_e64 v8, 0, 1, s[10:11]
	s_bcnt1_i32_b64 s5, vcc
	;; [unrolled: 3-line block ×3, first 2 shown]
	v_cmp_ne_u32_e32 vcc, 0, v8
	s_bcnt1_i32_b64 s7, vcc
	s_add_u32 s4, s4, s36
	s_addc_u32 s9, 0, s37
	s_add_u32 s4, s4, s5
	s_addc_u32 s5, s9, 0
	s_add_u32 s4, s4, s6
	v_add_co_u32_e32 v4, vcc, s8, v4
	s_addc_u32 s5, s5, 0
	v_addc_co_u32_e32 v5, vcc, 0, v5, vcc
	s_add_u32 s36, s4, s7
	v_cmp_le_u64_e32 vcc, s[2:3], v[4:5]
	s_addc_u32 s37, s5, 0
	v_mov_b32_e32 v8, s44
	v_mov_b32_e32 v14, s36
	s_or_b64 s[30:31], vcc, s[30:31]
	v_mov_b32_e32 v9, s45
	v_mov_b32_e32 v11, s43
	;; [unrolled: 1-line block ×4, first 2 shown]
	s_andn2_b64 exec, exec, s[30:31]
	s_cbranch_execnz .LBB186_60
; %bb.61:                               ;   in Loop: Header=BB186_18 Depth=1
	s_or_b64 exec, exec, s[30:31]
.LBB186_62:                             ;   in Loop: Header=BB186_18 Depth=1
	s_or_b64 exec, exec, s[28:29]
	v_mov_b32_e32 v5, s3
	v_add_co_u32_e32 v4, vcc, s2, v0
	v_addc_co_u32_e32 v5, vcc, 0, v5, vcc
	v_cmp_gt_u64_e32 vcc, s[24:25], v[4:5]
	s_and_saveexec_b64 s[2:3], vcc
	s_cbranch_execz .LBB186_68
; %bb.63:                               ;   in Loop: Header=BB186_18 Depth=1
	v_mul_lo_u32 v18, v5, s22
	v_mul_lo_u32 v30, v4, s23
	v_mad_u64_u32 v[28:29], s[4:5], v4, s22, 0
	s_mov_b64 s[8:9], 0
	v_add3_u32 v29, v29, v30, v18
	v_lshlrev_b64 v[28:29], 3, v[28:29]
	v_mov_b32_e32 v18, s66
	v_add_co_u32_e32 v28, vcc, s33, v28
	v_addc_co_u32_e32 v29, vcc, v18, v29, vcc
	global_load_dwordx2 v[30:31], v[28:29], off
	s_branch .LBB186_65
.LBB186_64:                             ;   in Loop: Header=BB186_65 Depth=2
	s_or_b64 exec, exec, s[4:5]
	s_and_b64 s[4:5], exec, vcc
	s_waitcnt vmcnt(0)
	v_cmp_o_f64_e32 vcc, v[30:31], v[30:31]
	v_ashrrev_i32_e32 v18, 31, v31
	v_or_b32_e32 v42, 0x80000000, v18
	v_xor_b32_e32 v31, v42, v31
	v_xor_b32_e32 v18, v18, v30
	s_or_b64 s[8:9], s[4:5], s[8:9]
	v_cndmask_b32_e32 v31, -1, v31, vcc
	v_cndmask_b32_e32 v30, -1, v18, vcc
	v_and_b32_e32 v43, v31, v25
	v_and_b32_e32 v42, v30, v24
	v_lshrrev_b64 v[30:31], s75, v[30:31]
	v_cmp_eq_u64_e32 vcc, v[42:43], v[22:23]
	v_and_b32_e32 v18, 3, v30
	v_cmp_eq_u64_e64 s[6:7], 0, v[18:19]
	s_and_b64 s[4:5], vcc, s[6:7]
	v_cndmask_b32_e64 v30, 0, 1, s[4:5]
	v_cmp_ne_u32_e64 s[6:7], 0, v30
	s_bcnt1_i32_b64 s4, s[6:7]
	v_add_co_u32_e64 v8, s[6:7], s4, v8
	v_addc_co_u32_e64 v9, s[6:7], 0, v9, s[6:7]
	v_cmp_eq_u64_e64 s[6:7], 1, v[18:19]
	s_and_b64 s[4:5], vcc, s[6:7]
	v_cndmask_b32_e64 v30, 0, 1, s[4:5]
	v_cmp_ne_u32_e64 s[6:7], 0, v30
	s_bcnt1_i32_b64 s4, s[6:7]
	v_add_co_u32_e64 v10, s[6:7], s4, v10
	v_addc_co_u32_e64 v11, s[6:7], 0, v11, s[6:7]
	;; [unrolled: 7-line block ×3, first 2 shown]
	v_cmp_eq_u64_e64 s[6:7], 3, v[18:19]
	v_mov_b32_e32 v31, v29
	s_and_b64 s[4:5], vcc, s[6:7]
	v_cndmask_b32_e64 v18, 0, 1, s[4:5]
	v_cmp_ne_u32_e32 vcc, 0, v18
	s_bcnt1_i32_b64 s4, vcc
	v_add_co_u32_e32 v14, vcc, s4, v14
	v_addc_co_u32_e32 v15, vcc, 0, v15, vcc
	v_mov_b32_e32 v30, v28
	s_andn2_b64 exec, exec, s[8:9]
	s_cbranch_execz .LBB186_67
.LBB186_65:                             ;   Parent Loop BB186_18 Depth=1
                                        ; =>  This Inner Loop Header: Depth=2
	v_add_co_u32_sdwa v4, vcc, v4, v2 dst_sel:DWORD dst_unused:UNUSED_PAD src0_sel:DWORD src1_sel:WORD_0
	v_addc_co_u32_e32 v5, vcc, 0, v5, vcc
	v_cmp_gt_u64_e64 s[6:7], s[24:25], v[4:5]
	v_cmp_le_u64_e32 vcc, s[24:25], v[4:5]
	v_mov_b32_e32 v28, 0
	v_mov_b32_e32 v29, 0
	s_and_saveexec_b64 s[4:5], s[6:7]
	s_cbranch_execz .LBB186_64
; %bb.66:                               ;   in Loop: Header=BB186_65 Depth=2
	v_mul_lo_u32 v18, v5, s22
	v_mul_lo_u32 v42, v4, s23
	v_mad_u64_u32 v[28:29], s[6:7], v4, s22, 0
	v_add3_u32 v29, v29, v42, v18
	v_lshlrev_b64 v[28:29], 3, v[28:29]
	v_mov_b32_e32 v18, s66
	v_add_co_u32_e64 v28, s[6:7], s33, v28
	v_addc_co_u32_e64 v29, s[6:7], v18, v29, s[6:7]
	global_load_dwordx2 v[28:29], v[28:29], off
	s_branch .LBB186_64
.LBB186_67:                             ;   in Loop: Header=BB186_18 Depth=1
	s_or_b64 exec, exec, s[8:9]
.LBB186_68:                             ;   in Loop: Header=BB186_18 Depth=1
	s_or_b64 exec, exec, s[2:3]
	s_branch .LBB186_47
.LBB186_69:                             ;   in Loop: Header=BB186_18 Depth=1
	v_readlane_b32 s2, v45, 55
	v_readlane_b32 s3, v45, 56
	v_mov_b32_e32 v8, 0
	v_mov_b32_e32 v10, 0
	;; [unrolled: 1-line block ×5, first 2 shown]
	global_load_ushort v2, v19, s[2:3]
	v_mov_b32_e32 v11, 0
	v_mov_b32_e32 v13, 0
	v_mov_b32_e32 v15, 0
	s_waitcnt vmcnt(0)
	v_readfirstlane_b32 s2, v2
	s_and_b32 s4, 0xffff, s2
	s_lshl_b32 s5, s4, 2
	v_cvt_f32_u32_e32 v4, s5
	s_sub_i32 s2, 0, s5
	v_rcp_iflag_f32_e32 v4, v4
	v_mul_f32_e32 v4, 0x4f7ffffe, v4
	v_cvt_u32_f32_e32 v4, v4
	v_readfirstlane_b32 s3, v4
	s_mul_i32 s2, s2, s3
	s_mul_hi_u32 s2, s3, s2
	s_add_i32 s3, s3, s2
	s_mul_hi_u32 s2, s40, s3
	s_mul_i32 s3, s2, s5
	s_sub_i32 s3, s40, s3
	s_add_i32 s6, s2, 1
	s_sub_i32 s7, s3, s5
	s_cmp_ge_u32 s3, s5
	s_cselect_b32 s2, s6, s2
	s_cselect_b32 s3, s7, s3
	s_add_i32 s6, s2, 1
	s_cmp_ge_u32 s3, s5
	s_cselect_b32 s2, s6, s2
	s_mul_hi_u32 s3, s4, s2
	s_mul_i32 s2, s4, s2
	s_lshl_b64 s[28:29], s[2:3], 2
	v_cmp_gt_u64_e32 vcc, s[28:29], v[20:21]
	s_and_saveexec_b64 s[30:31], vcc
	s_cbranch_execz .LBB186_73
; %bb.70:                               ;   in Loop: Header=BB186_18 Depth=1
	v_mov_b32_e32 v4, v20
	s_lshl_b32 s3, s4, 5
	s_mov_b64 s[36:37], 0
	v_mov_b32_e32 v28, v39
	s_mov_b64 s[38:39], 0
	s_mov_b64 s[42:43], 0
	;; [unrolled: 1-line block ×4, first 2 shown]
	v_mov_b32_e32 v5, v21
.LBB186_71:                             ;   Parent Loop BB186_18 Depth=1
                                        ; =>  This Inner Loop Header: Depth=2
	ds_read_b128 v[8:11], v28
	ds_read_b128 v[12:15], v28 offset:16
	v_add_u32_e32 v28, s3, v28
	s_waitcnt lgkmcnt(1)
	v_cmp_o_f64_e32 vcc, v[8:9], v[8:9]
	v_ashrrev_i32_e32 v18, 31, v9
	v_or_b32_e32 v29, 0x80000000, v18
	v_xor_b32_e32 v9, v29, v9
	v_xor_b32_e32 v8, v18, v8
	v_ashrrev_i32_e32 v18, 31, v11
	v_or_b32_e32 v29, 0x80000000, v18
	v_cndmask_b32_e32 v9, -1, v9, vcc
	v_cndmask_b32_e32 v8, -1, v8, vcc
	v_cmp_o_f64_e32 vcc, v[10:11], v[10:11]
	v_xor_b32_e32 v11, v29, v11
	v_xor_b32_e32 v10, v18, v10
	v_cndmask_b32_e32 v30, -1, v11, vcc
	v_cndmask_b32_e32 v29, -1, v10, vcc
	s_waitcnt lgkmcnt(0)
	v_cmp_o_f64_e32 vcc, v[12:13], v[12:13]
	v_ashrrev_i32_e32 v10, 31, v13
	v_or_b32_e32 v11, 0x80000000, v10
	v_xor_b32_e32 v11, v11, v13
	v_xor_b32_e32 v10, v10, v12
	v_cndmask_b32_e32 v13, -1, v11, vcc
	v_cndmask_b32_e32 v12, -1, v10, vcc
	v_cmp_o_f64_e32 vcc, v[14:15], v[14:15]
	v_ashrrev_i32_e32 v10, 31, v15
	v_or_b32_e32 v11, 0x80000000, v10
	v_xor_b32_e32 v11, v11, v15
	v_xor_b32_e32 v10, v10, v14
	v_and_b32_e32 v15, v9, v25
	v_and_b32_e32 v14, v8, v24
	v_lshrrev_b64 v[8:9], s75, v[8:9]
	v_cndmask_b32_e32 v11, -1, v11, vcc
	v_and_b32_e32 v18, 3, v8
	v_lshrrev_b64 v[8:9], s75, v[29:30]
	v_cndmask_b32_e32 v10, -1, v10, vcc
	v_cmp_eq_u64_e32 vcc, v[14:15], v[22:23]
	v_and_b32_e32 v15, v30, v25
	v_and_b32_e32 v14, v29, v24
	v_cmp_eq_u64_e64 s[6:7], 0, v[18:19]
	v_cmp_eq_u64_e64 s[14:15], v[14:15], v[22:23]
	v_and_b32_e32 v15, v13, v25
	v_and_b32_e32 v14, v12, v24
	v_and_b32_e32 v8, 3, v8
	v_mov_b32_e32 v9, v19
	v_lshrrev_b64 v[12:13], s75, v[12:13]
	s_and_b64 s[8:9], vcc, s[6:7]
	v_cmp_eq_u64_e64 s[6:7], 0, v[8:9]
	v_cmp_eq_u64_e64 s[16:17], v[14:15], v[22:23]
	v_and_b32_e32 v15, v11, v25
	v_and_b32_e32 v14, v10, v24
	;; [unrolled: 1-line block ×3, first 2 shown]
	v_mov_b32_e32 v13, v19
	v_lshrrev_b64 v[10:11], s75, v[10:11]
	s_and_b64 s[10:11], s[14:15], s[6:7]
	v_cmp_eq_u64_e64 s[6:7], 0, v[12:13]
	v_and_b32_e32 v10, 3, v10
	v_mov_b32_e32 v11, v19
	v_cmp_eq_u64_e64 s[18:19], v[14:15], v[22:23]
	s_and_b64 s[12:13], s[16:17], s[6:7]
	v_cmp_eq_u64_e64 s[6:7], 0, v[10:11]
	v_cndmask_b32_e64 v14, 0, 1, s[8:9]
	s_and_b64 s[20:21], s[18:19], s[6:7]
	v_cmp_ne_u32_e64 s[6:7], 0, v14
	v_cndmask_b32_e64 v14, 0, 1, s[10:11]
	s_bcnt1_i32_b64 s8, s[6:7]
	v_cmp_ne_u32_e64 s[6:7], 0, v14
	v_cndmask_b32_e64 v14, 0, 1, s[12:13]
	s_bcnt1_i32_b64 s9, s[6:7]
	;; [unrolled: 3-line block ×3, first 2 shown]
	v_cmp_ne_u32_e64 s[6:7], 0, v14
	s_bcnt1_i32_b64 s6, s[6:7]
	s_add_u32 s7, s8, s46
	s_addc_u32 s8, 0, s47
	s_add_u32 s7, s7, s9
	s_addc_u32 s8, s8, 0
	;; [unrolled: 2-line block ×3, first 2 shown]
	s_add_u32 s46, s7, s6
	v_cmp_eq_u64_e64 s[6:7], 1, v[18:19]
	s_addc_u32 s47, s8, 0
	s_and_b64 s[8:9], vcc, s[6:7]
	v_cmp_eq_u64_e64 s[6:7], 1, v[8:9]
	v_cndmask_b32_e64 v14, 0, 1, s[8:9]
	s_and_b64 s[10:11], s[14:15], s[6:7]
	v_cmp_eq_u64_e64 s[6:7], 1, v[12:13]
	s_and_b64 s[12:13], s[16:17], s[6:7]
	v_cmp_eq_u64_e64 s[6:7], 1, v[10:11]
	s_and_b64 s[20:21], s[18:19], s[6:7]
	v_cmp_ne_u32_e64 s[6:7], 0, v14
	v_cndmask_b32_e64 v14, 0, 1, s[10:11]
	s_bcnt1_i32_b64 s8, s[6:7]
	v_cmp_ne_u32_e64 s[6:7], 0, v14
	v_cndmask_b32_e64 v14, 0, 1, s[12:13]
	s_bcnt1_i32_b64 s9, s[6:7]
	;; [unrolled: 3-line block ×3, first 2 shown]
	v_cmp_ne_u32_e64 s[6:7], 0, v14
	s_bcnt1_i32_b64 s6, s[6:7]
	s_add_u32 s7, s8, s44
	s_addc_u32 s8, 0, s45
	s_add_u32 s7, s7, s9
	s_addc_u32 s8, s8, 0
	;; [unrolled: 2-line block ×3, first 2 shown]
	s_add_u32 s44, s7, s6
	v_cmp_eq_u64_e64 s[6:7], 2, v[18:19]
	s_addc_u32 s45, s8, 0
	s_and_b64 s[8:9], vcc, s[6:7]
	v_cmp_eq_u64_e64 s[6:7], 2, v[8:9]
	v_cndmask_b32_e64 v14, 0, 1, s[8:9]
	s_and_b64 s[10:11], s[14:15], s[6:7]
	v_cmp_eq_u64_e64 s[6:7], 2, v[12:13]
	s_and_b64 s[12:13], s[16:17], s[6:7]
	v_cmp_eq_u64_e64 s[6:7], 2, v[10:11]
	s_and_b64 s[20:21], s[18:19], s[6:7]
	v_cmp_ne_u32_e64 s[6:7], 0, v14
	v_cndmask_b32_e64 v14, 0, 1, s[10:11]
	s_bcnt1_i32_b64 s8, s[6:7]
	v_cmp_ne_u32_e64 s[6:7], 0, v14
	v_cndmask_b32_e64 v14, 0, 1, s[12:13]
	s_bcnt1_i32_b64 s9, s[6:7]
	;; [unrolled: 3-line block ×3, first 2 shown]
	v_cmp_ne_u32_e64 s[6:7], 0, v14
	s_bcnt1_i32_b64 s6, s[6:7]
	s_add_u32 s7, s8, s42
	s_addc_u32 s8, 0, s43
	s_add_u32 s7, s7, s9
	s_addc_u32 s8, s8, 0
	;; [unrolled: 2-line block ×3, first 2 shown]
	s_add_u32 s42, s7, s6
	v_cmp_eq_u64_e64 s[6:7], 3, v[18:19]
	s_addc_u32 s43, s8, 0
	s_and_b64 s[6:7], vcc, s[6:7]
	v_cmp_eq_u64_e32 vcc, 3, v[8:9]
	v_cndmask_b32_e64 v8, 0, 1, s[6:7]
	s_and_b64 s[8:9], s[14:15], vcc
	v_cmp_eq_u64_e32 vcc, 3, v[12:13]
	v_mov_b32_e32 v12, s42
	s_and_b64 s[10:11], s[16:17], vcc
	v_cmp_eq_u64_e32 vcc, 3, v[10:11]
	v_mov_b32_e32 v10, s44
	s_and_b64 s[12:13], s[18:19], vcc
	v_cmp_ne_u32_e32 vcc, 0, v8
	v_cndmask_b32_e64 v8, 0, 1, s[8:9]
	s_bcnt1_i32_b64 s6, vcc
	v_cmp_ne_u32_e32 vcc, 0, v8
	v_cndmask_b32_e64 v8, 0, 1, s[10:11]
	s_bcnt1_i32_b64 s7, vcc
	;; [unrolled: 3-line block ×3, first 2 shown]
	v_cmp_ne_u32_e32 vcc, 0, v8
	s_bcnt1_i32_b64 s9, vcc
	s_add_u32 s6, s6, s38
	s_addc_u32 s10, 0, s39
	s_add_u32 s6, s6, s7
	s_addc_u32 s7, s10, 0
	s_add_u32 s6, s6, s8
	v_add_co_u32_e32 v4, vcc, s5, v4
	s_addc_u32 s7, s7, 0
	v_addc_co_u32_e32 v5, vcc, 0, v5, vcc
	s_add_u32 s38, s6, s9
	v_cmp_le_u64_e32 vcc, s[28:29], v[4:5]
	s_addc_u32 s39, s7, 0
	v_mov_b32_e32 v8, s46
	v_mov_b32_e32 v14, s38
	s_or_b64 s[36:37], vcc, s[36:37]
	v_mov_b32_e32 v9, s47
	v_mov_b32_e32 v11, s45
	;; [unrolled: 1-line block ×4, first 2 shown]
	s_andn2_b64 exec, exec, s[36:37]
	s_cbranch_execnz .LBB186_71
; %bb.72:                               ;   in Loop: Header=BB186_18 Depth=1
	s_or_b64 exec, exec, s[36:37]
.LBB186_73:                             ;   in Loop: Header=BB186_18 Depth=1
	s_or_b64 exec, exec, s[30:31]
	v_mov_b32_e32 v5, s29
	v_add_co_u32_e32 v4, vcc, s28, v0
	s_and_b32 s64, s40, 0x7fffffff
	v_addc_co_u32_e32 v5, vcc, 0, v5, vcc
	v_cmp_gt_u64_e32 vcc, s[64:65], v[4:5]
	s_and_saveexec_b64 s[8:9], vcc
	s_cbranch_execz .LBB186_77
; %bb.74:                               ;   in Loop: Header=BB186_18 Depth=1
	v_lshl_add_u32 v28, s2, 5, v36
	s_lshl_b32 s4, s4, 3
	s_mov_b64 s[2:3], 0
.LBB186_75:                             ;   Parent Loop BB186_18 Depth=1
                                        ; =>  This Inner Loop Header: Depth=2
	ds_read_b64 v[29:30], v28
	v_add_u32_e32 v28, s4, v28
	s_waitcnt lgkmcnt(0)
	v_cmp_o_f64_e32 vcc, v[29:30], v[29:30]
	v_ashrrev_i32_e32 v18, 31, v30
	v_or_b32_e32 v31, 0x80000000, v18
	v_xor_b32_e32 v30, v31, v30
	v_xor_b32_e32 v18, v18, v29
	v_cndmask_b32_e32 v30, -1, v30, vcc
	v_cndmask_b32_e32 v29, -1, v18, vcc
	v_and_b32_e32 v43, v30, v25
	v_and_b32_e32 v42, v29, v24
	v_lshrrev_b64 v[29:30], s75, v[29:30]
	v_cmp_eq_u64_e32 vcc, v[42:43], v[22:23]
	v_and_b32_e32 v18, 3, v29
	v_cmp_eq_u64_e64 s[6:7], 0, v[18:19]
	s_and_b64 s[6:7], vcc, s[6:7]
	v_cndmask_b32_e64 v29, 0, 1, s[6:7]
	v_cmp_ne_u32_e64 s[6:7], 0, v29
	s_bcnt1_i32_b64 s5, s[6:7]
	v_add_co_u32_e64 v8, s[6:7], s5, v8
	v_addc_co_u32_e64 v9, s[6:7], 0, v9, s[6:7]
	v_cmp_eq_u64_e64 s[6:7], 1, v[18:19]
	s_and_b64 s[6:7], vcc, s[6:7]
	v_cndmask_b32_e64 v29, 0, 1, s[6:7]
	v_cmp_ne_u32_e64 s[6:7], 0, v29
	s_bcnt1_i32_b64 s5, s[6:7]
	v_add_co_u32_e64 v10, s[6:7], s5, v10
	v_addc_co_u32_e64 v11, s[6:7], 0, v11, s[6:7]
	;; [unrolled: 7-line block ×3, first 2 shown]
	v_cmp_eq_u64_e64 s[6:7], 3, v[18:19]
	s_and_b64 s[6:7], vcc, s[6:7]
	v_cndmask_b32_e64 v18, 0, 1, s[6:7]
	v_cmp_ne_u32_e32 vcc, 0, v18
	s_bcnt1_i32_b64 s5, vcc
	v_add_co_u32_e32 v14, vcc, s5, v14
	v_addc_co_u32_e32 v15, vcc, 0, v15, vcc
	v_add_co_u32_sdwa v4, vcc, v4, v2 dst_sel:DWORD dst_unused:UNUSED_PAD src0_sel:DWORD src1_sel:WORD_0
	v_addc_co_u32_e32 v5, vcc, 0, v5, vcc
	v_cmp_le_u64_e32 vcc, s[64:65], v[4:5]
	s_or_b64 s[2:3], vcc, s[2:3]
	s_andn2_b64 exec, exec, s[2:3]
	s_cbranch_execnz .LBB186_75
; %bb.76:                               ;   in Loop: Header=BB186_18 Depth=1
	s_or_b64 exec, exec, s[2:3]
.LBB186_77:                             ;   in Loop: Header=BB186_18 Depth=1
	s_or_b64 exec, exec, s[8:9]
	s_lshl_b32 s4, s68, 6
	s_and_saveexec_b64 s[2:3], s[0:1]
	s_cbranch_execnz .LBB186_48
	s_branch .LBB186_49
.LBB186_78:                             ;   in Loop: Header=BB186_18 Depth=1
                                        ; implicit-def: $sgpr2_sgpr3
	s_branch .LBB186_57
.LBB186_79:                             ;   in Loop: Header=BB186_18 Depth=1
	v_mov_b32_e32 v4, 0
	v_mov_b32_e32 v5, 0
	s_mov_b32 s5, 0
.LBB186_80:                             ;   in Loop: Header=BB186_18 Depth=1
	v_readlane_b32 s6, v45, 60
	v_readlane_b32 s7, v45, 61
	s_andn2_b64 vcc, exec, s[6:7]
	s_cbranch_vccnz .LBB186_83
; %bb.81:                               ;   in Loop: Header=BB186_18 Depth=1
	s_lshl_b32 s6, s68, 9
	s_lshl_b32 s5, s5, 5
	s_add_i32 s6, s6, s5
	v_add_u32_e32 v2, s6, v40
	v_readlane_b32 s5, v45, 59
.LBB186_82:                             ;   Parent Loop BB186_18 Depth=1
                                        ; =>  This Inner Loop Header: Depth=2
	ds_read_b64 v[8:9], v2
	s_add_i32 s5, s5, -1
	v_add_u32_e32 v2, 32, v2
	s_cmp_lg_u32 s5, 0
	s_waitcnt lgkmcnt(0)
	v_add_co_u32_e32 v4, vcc, v8, v4
	v_addc_co_u32_e32 v5, vcc, v9, v5, vcc
	s_cbranch_scc1 .LBB186_82
.LBB186_83:                             ;   in Loop: Header=BB186_18 Depth=1
	v_add_lshl_u32 v2, s4, v35, 3
	ds_write_b64 v2, v[4:5] offset:3072
.LBB186_84:                             ;   in Loop: Header=BB186_18 Depth=1
	s_or_b64 exec, exec, s[2:3]
	s_lshl_b32 s2, s4, 3
	v_mov_b32_e32 v2, s2
	s_waitcnt lgkmcnt(0)
	s_barrier
	ds_read_b128 v[8:11], v2 offset:3072
	ds_read_b128 v[12:15], v2 offset:3088
	v_readlane_b32 s2, v45, 40
	s_lshl_b64 s[18:19], 3, s75
	v_cmp_eq_u64_e64 s[14:15], 1, v[26:27]
	v_readlane_b32 s3, v45, 41
	s_waitcnt lgkmcnt(1)
	v_readfirstlane_b32 s17, v9
	v_readfirstlane_b32 s16, v8
	;; [unrolled: 1-line block ×4, first 2 shown]
	s_waitcnt lgkmcnt(0)
	v_readfirstlane_b32 s45, v13
	v_readfirstlane_b32 s44, v12
	;; [unrolled: 1-line block ×4, first 2 shown]
	s_not_b64 s[62:63], s[18:19]
	s_mov_b64 s[30:31], -1
	s_mov_b64 s[40:41], 0
	s_andn2_b64 vcc, exec, s[2:3]
	s_mov_b64 s[52:53], 0
	s_mov_b64 s[50:51], 0
                                        ; implicit-def: $sgpr2_sgpr3
                                        ; implicit-def: $sgpr28_sgpr29
                                        ; implicit-def: $vgpr28_vgpr29
                                        ; implicit-def: $vgpr42
                                        ; implicit-def: $vgpr12_vgpr13
                                        ; implicit-def: $vgpr14_vgpr15
                                        ; implicit-def: $vgpr10_vgpr11
	s_cbranch_vccnz .LBB186_289
; %bb.85:                               ;   in Loop: Header=BB186_18 Depth=1
	s_cmp_eq_u64 s[16:17], 1
	s_cselect_b64 s[2:3], -1, 0
	v_mov_b32_e32 v12, v22
	v_mov_b32_e32 v14, v24
	v_mov_b32_e32 v11, v7
	s_and_b64 s[6:7], s[2:3], s[14:15]
	s_mov_b64 s[4:5], -1
	v_mov_b32_e32 v13, v23
	v_mov_b32_e32 v15, v25
	;; [unrolled: 1-line block ×3, first 2 shown]
                                        ; implicit-def: $sgpr28_sgpr29
                                        ; implicit-def: $sgpr2_sgpr3
	s_and_saveexec_b64 s[20:21], s[6:7]
	s_cbranch_execz .LBB186_122
; %bb.86:                               ;   in Loop: Header=BB186_18 Depth=1
	ds_read_b64 v[4:5], v19 offset:5120
	s_waitcnt lgkmcnt(0)
	s_barrier
	v_readfirstlane_b32 s10, v4
	v_readfirstlane_b32 s11, v5
	s_mov_b64 s[2:3], exec
	v_readlane_b32 s4, v45, 48
	v_readlane_b32 s5, v45, 49
	s_and_b64 s[4:5], s[2:3], s[4:5]
	s_mov_b64 exec, s[4:5]
; %bb.87:                               ;   in Loop: Header=BB186_18 Depth=1
	v_mov_b32_e32 v18, v19
	ds_write_b64 v37, v[18:19]
; %bb.88:                               ;   in Loop: Header=BB186_18 Depth=1
	s_or_b64 exec, exec, s[2:3]
	v_and_b32_e32 v13, s63, v23
	v_and_b32_e32 v12, s62, v22
	v_or_b32_e32 v15, s19, v25
	v_or_b32_e32 v14, s18, v24
	s_mov_b64 s[2:3], -1
	s_mov_b64 s[28:29], 0
	s_cmp_eq_u64 s[10:11], 0
	s_mov_b64 s[8:9], 0
	s_waitcnt lgkmcnt(0)
	s_barrier
                                        ; implicit-def: $vgpr10_vgpr11
	s_cbranch_scc1 .LBB186_106
; %bb.89:                               ;   in Loop: Header=BB186_18 Depth=1
	v_readlane_b32 s4, v45, 52
	s_add_u32 s30, s10, s4
	v_readlane_b32 s4, v45, 54
	s_addc_u32 s9, s11, s4
	s_mov_b32 s8, s65
	s_cmp_lg_u64 s[8:9], 0
	s_cbranch_scc0 .LBB186_149
; %bb.90:                               ;   in Loop: Header=BB186_18 Depth=1
	v_cvt_f32_u32_e32 v2, s67
	s_sub_u32 s8, 0, s67
	s_subb_u32 s12, 0, 0
	v_mac_f32_e32 v2, 0, v41
	v_rcp_f32_e32 v2, v2
	v_mul_f32_e32 v2, 0x5f7ffffc, v2
	v_mul_f32_e32 v4, 0x2f800000, v2
	v_trunc_f32_e32 v4, v4
	v_mac_f32_e32 v2, 0xcf800000, v4
	v_cvt_u32_f32_e32 v4, v4
	v_cvt_u32_f32_e32 v2, v2
	v_readfirstlane_b32 s13, v4
	v_readfirstlane_b32 s4, v2
	s_mul_i32 s5, s8, s13
	s_mul_hi_u32 s34, s8, s4
	s_mul_i32 s31, s12, s4
	s_add_i32 s5, s34, s5
	s_mul_i32 s35, s8, s4
	s_add_i32 s5, s5, s31
	s_mul_hi_u32 s34, s4, s35
	s_mul_i32 s36, s4, s5
	s_mul_hi_u32 s31, s4, s5
	s_add_u32 s34, s34, s36
	s_addc_u32 s31, 0, s31
	s_mul_hi_u32 s37, s13, s35
	s_mul_i32 s35, s13, s35
	s_add_u32 s34, s34, s35
	s_mul_hi_u32 s36, s13, s5
	s_addc_u32 s31, s31, s37
	s_addc_u32 s34, s36, 0
	s_mul_i32 s5, s13, s5
	s_add_u32 s5, s31, s5
	s_addc_u32 s31, 0, s34
	s_add_u32 s34, s4, s5
	s_cselect_b64 s[4:5], -1, 0
	s_cmp_lg_u64 s[4:5], 0
	s_addc_u32 s13, s13, s31
	s_mul_i32 s4, s8, s13
	s_mul_hi_u32 s5, s8, s34
	s_add_i32 s4, s5, s4
	s_mul_i32 s12, s12, s34
	s_add_i32 s4, s4, s12
	s_mul_i32 s8, s8, s34
	s_mul_hi_u32 s12, s13, s8
	s_mul_i32 s31, s13, s8
	s_mul_i32 s36, s34, s4
	s_mul_hi_u32 s8, s34, s8
	s_mul_hi_u32 s35, s34, s4
	s_add_u32 s8, s8, s36
	s_addc_u32 s35, 0, s35
	s_add_u32 s8, s8, s31
	s_mul_hi_u32 s5, s13, s4
	s_addc_u32 s8, s35, s12
	s_addc_u32 s5, s5, 0
	s_mul_i32 s4, s13, s4
	s_add_u32 s4, s8, s4
	s_addc_u32 s8, 0, s5
	s_add_u32 s12, s34, s4
	s_cselect_b64 s[4:5], -1, 0
	s_cmp_lg_u64 s[4:5], 0
	s_addc_u32 s4, s13, s8
	s_mul_i32 s8, s30, s4
	s_mul_hi_u32 s13, s30, s12
	s_mul_hi_u32 s5, s30, s4
	s_add_u32 s8, s13, s8
	s_addc_u32 s5, 0, s5
	s_mul_hi_u32 s31, s9, s12
	s_mul_i32 s12, s9, s12
	s_add_u32 s8, s8, s12
	s_mul_hi_u32 s13, s9, s4
	s_addc_u32 s5, s5, s31
	s_addc_u32 s8, s13, 0
	s_mul_i32 s4, s9, s4
	s_add_u32 s4, s5, s4
	s_addc_u32 s5, 0, s8
	s_mul_i32 s5, s67, s5
	s_mul_hi_u32 s8, s67, s4
	s_add_i32 s8, s8, s5
	s_mul_i32 s4, s67, s4
	s_sub_u32 s12, s30, s4
	s_cselect_b64 s[4:5], -1, 0
	s_cmp_lg_u64 s[4:5], 0
	s_subb_u32 s8, s9, s8
	s_sub_u32 s13, s12, s67
	s_cselect_b64 s[4:5], -1, 0
	s_cmp_lg_u64 s[4:5], 0
	s_subb_u32 s31, s8, 0
	;; [unrolled: 4-line block ×3, first 2 shown]
	s_cmp_ge_u32 s13, s67
	s_cselect_b32 s5, -1, 0
	s_cmp_eq_u32 s31, 0
	s_cselect_b32 s5, s5, -1
	s_cmp_lg_u32 s5, 0
	s_cselect_b32 s4, s4, s31
	s_cselect_b32 s13, s34, s13
	s_cmp_ge_u32 s12, s67
	s_cselect_b32 s5, -1, 0
	s_cmp_eq_u32 s8, 0
	s_cselect_b32 s5, s5, -1
	s_cmp_lg_u32 s5, 0
	s_cselect_b32 s5, s4, s8
	s_cselect_b32 s4, s13, s12
	s_cbranch_execnz .LBB186_92
.LBB186_91:                             ;   in Loop: Header=BB186_18 Depth=1
	v_cvt_f32_u32_e32 v2, s67
	s_sub_i32 s4, 0, s67
	v_rcp_iflag_f32_e32 v2, v2
	v_mul_f32_e32 v2, 0x4f7ffffe, v2
	v_cvt_u32_f32_e32 v2, v2
	v_readfirstlane_b32 s5, v2
	s_mul_i32 s4, s4, s5
	s_mul_hi_u32 s4, s5, s4
	s_add_i32 s5, s5, s4
	s_mul_hi_u32 s4, s30, s5
	s_mul_i32 s4, s4, s67
	s_sub_i32 s4, s30, s4
	s_sub_i32 s5, s4, s67
	s_cmp_ge_u32 s4, s67
	s_cselect_b32 s4, s5, s4
	s_sub_i32 s5, s4, s67
	s_cmp_ge_u32 s4, s67
	s_cselect_b32 s64, s5, s4
	s_mov_b64 s[4:5], s[64:65]
.LBB186_92:                             ;   in Loop: Header=BB186_18 Depth=1
	s_sub_u32 s12, s30, s4
	s_subb_u32 s13, s9, s5
	v_cmp_gt_u64_e32 vcc, s[12:13], v[0:1]
	s_mov_b64 s[30:31], 0
	s_mov_b64 s[8:9], 0
                                        ; implicit-def: $vgpr10_vgpr11
	s_and_saveexec_b64 s[34:35], vcc
	s_cbranch_execz .LBB186_105
; %bb.93:                               ;   in Loop: Header=BB186_18 Depth=1
	v_mov_b32_e32 v29, v1
	v_mov_b32_e32 v18, v36
	;; [unrolled: 1-line block ×3, first 2 shown]
                                        ; implicit-def: $sgpr4_sgpr5
	s_branch .LBB186_97
.LBB186_94:                             ;   in Loop: Header=BB186_97 Depth=2
	s_or_b64 exec, exec, s[36:37]
	s_waitcnt lgkmcnt(0)
	s_barrier
	ds_read_b128 v[8:11], v19 offset:3072
	s_waitcnt lgkmcnt(0)
	s_barrier
	v_cmp_neq_f64_e32 vcc, 0, v[8:9]
	s_cbranch_vccnz .LBB186_100
; %bb.95:                               ;   in Loop: Header=BB186_97 Depth=2
	v_add_co_u32_e32 v28, vcc, s67, v28
	v_addc_co_u32_e32 v29, vcc, 0, v29, vcc
	v_cmp_le_u64_e32 vcc, s[12:13], v[28:29]
	v_add_u32_e32 v18, s74, v18
	s_mov_b64 s[36:37], 0
	s_orn2_b64 s[38:39], vcc, exec
.LBB186_96:                             ;   in Loop: Header=BB186_97 Depth=2
	s_and_b64 s[38:39], exec, s[38:39]
	s_or_b64 s[8:9], s[38:39], s[8:9]
	s_andn2_b64 s[4:5], s[4:5], exec
	s_and_b64 s[36:37], s[36:37], exec
	s_or_b64 s[4:5], s[4:5], s[36:37]
	s_andn2_b64 exec, exec, s[8:9]
	s_cbranch_execz .LBB186_104
.LBB186_97:                             ;   Parent Loop BB186_18 Depth=1
                                        ; =>  This Inner Loop Header: Depth=2
	v_cmp_gt_u64_e32 vcc, s[10:11], v[28:29]
	s_and_saveexec_b64 s[36:37], vcc
	s_cbranch_execz .LBB186_94
; %bb.98:                               ;   in Loop: Header=BB186_97 Depth=2
	ds_read_b64 v[4:5], v18
	s_waitcnt lgkmcnt(0)
	v_cmp_o_f64_e32 vcc, v[4:5], v[4:5]
	v_ashrrev_i32_e32 v2, 31, v5
	v_or_b32_e32 v8, 0x80000000, v2
	v_xor_b32_e32 v8, v8, v5
	v_xor_b32_e32 v2, v2, v4
	v_cndmask_b32_e32 v8, -1, v8, vcc
	v_cndmask_b32_e32 v2, -1, v2, vcc
	v_and_b32_e32 v9, v8, v15
	v_and_b32_e32 v8, v2, v14
	v_cmp_eq_u64_e32 vcc, v[8:9], v[12:13]
	s_and_b64 exec, exec, vcc
	s_cbranch_execz .LBB186_94
; %bb.99:                               ;   in Loop: Header=BB186_97 Depth=2
	v_mov_b32_e32 v2, v19
	ds_write_b128 v19, v[2:5] offset:3072
	s_branch .LBB186_94
.LBB186_100:                            ;   in Loop: Header=BB186_97 Depth=2
	s_mov_b64 s[38:39], -1
                                        ; implicit-def: $vgpr28_vgpr29
                                        ; implicit-def: $vgpr18
	s_mov_b64 s[36:37], -1
	s_branch .LBB186_96
.LBB186_101:                            ;   in Loop: Header=BB186_18 Depth=1
	s_or_b64 exec, exec, s[8:9]
	s_waitcnt lgkmcnt(0)
	s_barrier
	s_mov_b64 s[4:5], exec
	v_readlane_b32 s6, v45, 32
	v_readlane_b32 s7, v45, 33
	s_and_b64 s[6:7], s[4:5], s[6:7]
	s_mov_b64 exec, s[6:7]
	s_cbranch_execz .LBB186_103
; %bb.102:                              ;   in Loop: Header=BB186_18 Depth=1
	ds_read_b32 v4, v19 offset:5144
	s_waitcnt lgkmcnt(0)
	v_ashrrev_i32_e32 v5, 31, v4
	ds_write_b64 v19, v[4:5] offset:5120
.LBB186_103:                            ;   in Loop: Header=BB186_18 Depth=1
	s_or_b64 exec, exec, s[4:5]
	s_waitcnt lgkmcnt(0)
	s_barrier
	s_mov_b64 s[4:5], -1
	s_and_b64 vcc, exec, s[2:3]
	s_cbranch_vccnz .LBB186_34
	s_branch .LBB186_43
.LBB186_104:                            ;   in Loop: Header=BB186_18 Depth=1
	s_or_b64 exec, exec, s[8:9]
	s_and_b64 s[8:9], s[4:5], exec
.LBB186_105:                            ;   in Loop: Header=BB186_18 Depth=1
	s_or_b64 exec, exec, s[34:35]
.LBB186_106:                            ;   in Loop: Header=BB186_18 Depth=1
	s_and_b64 vcc, exec, s[30:31]
	s_cbranch_vccz .LBB186_121
; %bb.107:                              ;   in Loop: Header=BB186_18 Depth=1
	s_mov_b32 s72, s65
	s_cmp_lg_u64 s[72:73], 0
	s_cbranch_scc0 .LBB186_150
; %bb.108:                              ;   in Loop: Header=BB186_18 Depth=1
	v_cvt_f32_u32_e32 v2, s67
	s_sub_u32 s4, 0, s67
	s_subb_u32 s5, 0, 0
	v_mac_f32_e32 v2, 0, v41
	v_rcp_f32_e32 v2, v2
	v_mul_f32_e32 v2, 0x5f7ffffc, v2
	v_mul_f32_e32 v4, 0x2f800000, v2
	v_trunc_f32_e32 v4, v4
	v_mac_f32_e32 v2, 0xcf800000, v4
	v_cvt_u32_f32_e32 v4, v4
	v_cvt_u32_f32_e32 v2, v2
	v_readfirstlane_b32 s10, v4
	v_readfirstlane_b32 s2, v2
	s_mul_i32 s3, s4, s10
	s_mul_hi_u32 s12, s4, s2
	s_mul_i32 s11, s5, s2
	s_add_i32 s3, s12, s3
	s_mul_i32 s13, s4, s2
	s_add_i32 s3, s3, s11
	s_mul_hi_u32 s12, s2, s13
	s_mul_i32 s28, s2, s3
	s_mul_hi_u32 s11, s2, s3
	s_add_u32 s12, s12, s28
	s_addc_u32 s11, 0, s11
	s_mul_hi_u32 s29, s10, s13
	s_mul_i32 s13, s10, s13
	s_add_u32 s12, s12, s13
	s_mul_hi_u32 s28, s10, s3
	s_addc_u32 s11, s11, s29
	s_addc_u32 s12, s28, 0
	s_mul_i32 s3, s10, s3
	s_add_u32 s3, s11, s3
	s_addc_u32 s11, 0, s12
	s_add_u32 s12, s2, s3
	s_cselect_b64 s[2:3], -1, 0
	s_cmp_lg_u64 s[2:3], 0
	s_addc_u32 s10, s10, s11
	s_mul_i32 s2, s4, s10
	s_mul_hi_u32 s3, s4, s12
	s_add_i32 s2, s3, s2
	s_mul_i32 s5, s5, s12
	s_add_i32 s2, s2, s5
	s_mul_i32 s4, s4, s12
	s_mul_hi_u32 s5, s10, s4
	s_mul_i32 s11, s10, s4
	s_mul_i32 s28, s12, s2
	s_mul_hi_u32 s4, s12, s4
	s_mul_hi_u32 s13, s12, s2
	s_add_u32 s4, s4, s28
	s_addc_u32 s13, 0, s13
	s_add_u32 s4, s4, s11
	s_mul_hi_u32 s3, s10, s2
	s_addc_u32 s4, s13, s5
	s_addc_u32 s3, s3, 0
	s_mul_i32 s2, s10, s2
	s_add_u32 s2, s4, s2
	s_addc_u32 s4, 0, s3
	s_add_u32 s5, s12, s2
	s_cselect_b64 s[2:3], -1, 0
	s_cmp_lg_u64 s[2:3], 0
	s_addc_u32 s2, s10, s4
	v_readlane_b32 s13, v45, 53
	s_mul_i32 s4, s13, s2
	s_mul_hi_u32 s10, s13, s5
	s_mul_hi_u32 s3, s13, s2
	s_add_u32 s4, s10, s4
	s_addc_u32 s3, 0, s3
	s_mul_hi_u32 s11, s73, s5
	s_mul_i32 s5, s73, s5
	s_add_u32 s4, s4, s5
	s_mul_hi_u32 s10, s73, s2
	s_addc_u32 s3, s3, s11
	s_addc_u32 s4, s10, 0
	s_mul_i32 s2, s73, s2
	s_add_u32 s2, s3, s2
	s_addc_u32 s3, 0, s4
	s_mul_i32 s3, s67, s3
	s_mul_hi_u32 s4, s67, s2
	s_add_i32 s4, s4, s3
	s_mul_i32 s2, s67, s2
	s_sub_u32 s5, s13, s2
	s_cselect_b64 s[2:3], -1, 0
	s_cmp_lg_u64 s[2:3], 0
	s_subb_u32 s4, s73, s4
	s_sub_u32 s10, s5, s67
	s_cselect_b64 s[2:3], -1, 0
	s_cmp_lg_u64 s[2:3], 0
	s_subb_u32 s11, s4, 0
	;; [unrolled: 4-line block ×3, first 2 shown]
	s_cmp_ge_u32 s10, s67
	s_cselect_b32 s3, -1, 0
	s_cmp_eq_u32 s11, 0
	s_cselect_b32 s3, s3, -1
	s_cmp_lg_u32 s3, 0
	s_cselect_b32 s2, s2, s11
	s_cselect_b32 s10, s12, s10
	s_cmp_ge_u32 s5, s67
	s_cselect_b32 s3, -1, 0
	s_cmp_eq_u32 s4, 0
	s_cselect_b32 s3, s3, -1
	s_cmp_lg_u32 s3, 0
	s_cselect_b32 s3, s2, s4
	s_cselect_b32 s2, s10, s5
	s_cbranch_execnz .LBB186_110
.LBB186_109:                            ;   in Loop: Header=BB186_18 Depth=1
	v_cvt_f32_u32_e32 v2, s67
	s_sub_i32 s2, 0, s67
	v_rcp_iflag_f32_e32 v2, v2
	v_mul_f32_e32 v2, 0x4f7ffffe, v2
	v_cvt_u32_f32_e32 v2, v2
	v_readfirstlane_b32 s3, v2
	s_mul_i32 s2, s2, s3
	s_mul_hi_u32 s2, s3, s2
	s_add_i32 s3, s3, s2
	s_mul_hi_u32 s2, s13, s3
	s_mul_i32 s2, s2, s67
	s_sub_i32 s2, s13, s2
	s_sub_i32 s3, s2, s67
	s_cmp_ge_u32 s2, s67
	s_cselect_b32 s2, s3, s2
	s_sub_i32 s3, s2, s67
	s_cmp_ge_u32 s2, s67
	s_cselect_b32 s64, s3, s2
	s_mov_b64 s[2:3], s[64:65]
.LBB186_110:                            ;   in Loop: Header=BB186_18 Depth=1
	s_sub_u32 s10, s13, s2
	s_subb_u32 s11, s73, s3
	v_cmp_gt_u64_e32 vcc, s[10:11], v[0:1]
                                        ; implicit-def: $vgpr10_vgpr11
	s_and_saveexec_b64 s[2:3], vcc
	s_cbranch_execz .LBB186_120
; %bb.111:                              ;   in Loop: Header=BB186_18 Depth=1
	v_mov_b32_e32 v29, v1
	s_mov_b64 s[28:29], 0
	v_mov_b32_e32 v28, v0
                                        ; implicit-def: $sgpr12_sgpr13
	s_branch .LBB186_115
.LBB186_112:                            ;   in Loop: Header=BB186_115 Depth=2
	s_or_b64 exec, exec, s[4:5]
	s_waitcnt lgkmcnt(0)
	s_barrier
	ds_read_b128 v[8:11], v19 offset:3072
	s_waitcnt lgkmcnt(0)
	s_barrier
	v_cmp_neq_f64_e32 vcc, 0, v[8:9]
	s_cbranch_vccnz .LBB186_118
; %bb.113:                              ;   in Loop: Header=BB186_115 Depth=2
	v_add_co_u32_e32 v28, vcc, s67, v28
	v_addc_co_u32_e32 v29, vcc, 0, v29, vcc
	v_cmp_le_u64_e32 vcc, s[10:11], v[28:29]
	s_mov_b64 s[4:5], 0
	s_orn2_b64 s[30:31], vcc, exec
.LBB186_114:                            ;   in Loop: Header=BB186_115 Depth=2
	s_and_b64 s[30:31], exec, s[30:31]
	s_or_b64 s[28:29], s[30:31], s[28:29]
	s_andn2_b64 s[12:13], s[12:13], exec
	s_and_b64 s[4:5], s[4:5], exec
	s_or_b64 s[12:13], s[12:13], s[4:5]
	s_andn2_b64 exec, exec, s[28:29]
	s_cbranch_execz .LBB186_119
.LBB186_115:                            ;   Parent Loop BB186_18 Depth=1
                                        ; =>  This Inner Loop Header: Depth=2
	v_cmp_gt_u64_e32 vcc, s[24:25], v[28:29]
	s_and_saveexec_b64 s[4:5], vcc
	s_cbranch_execz .LBB186_112
; %bb.116:                              ;   in Loop: Header=BB186_115 Depth=2
	v_mul_lo_u32 v2, v29, s22
	v_mul_lo_u32 v8, v28, s23
	v_mad_u64_u32 v[4:5], s[30:31], v28, s22, 0
	v_add3_u32 v5, v5, v8, v2
	v_lshlrev_b64 v[4:5], 3, v[4:5]
	v_mov_b32_e32 v2, s66
	v_add_co_u32_e32 v4, vcc, s33, v4
	v_addc_co_u32_e32 v5, vcc, v2, v5, vcc
	global_load_dwordx2 v[4:5], v[4:5], off
	s_waitcnt vmcnt(0)
	v_cmp_o_f64_e32 vcc, v[4:5], v[4:5]
	v_ashrrev_i32_e32 v2, 31, v5
	v_or_b32_e32 v8, 0x80000000, v2
	v_xor_b32_e32 v8, v8, v5
	v_xor_b32_e32 v2, v2, v4
	v_cndmask_b32_e32 v8, -1, v8, vcc
	v_cndmask_b32_e32 v2, -1, v2, vcc
	v_and_b32_e32 v9, v8, v15
	v_and_b32_e32 v8, v2, v14
	v_cmp_eq_u64_e32 vcc, v[8:9], v[12:13]
	s_and_b64 exec, exec, vcc
	s_cbranch_execz .LBB186_112
; %bb.117:                              ;   in Loop: Header=BB186_115 Depth=2
	v_mov_b32_e32 v2, v19
	ds_write_b128 v19, v[2:5] offset:3072
	s_branch .LBB186_112
.LBB186_118:                            ;   in Loop: Header=BB186_115 Depth=2
	s_mov_b64 s[30:31], -1
                                        ; implicit-def: $vgpr28_vgpr29
	s_mov_b64 s[4:5], -1
	s_branch .LBB186_114
.LBB186_119:                            ;   in Loop: Header=BB186_18 Depth=1
	s_or_b64 exec, exec, s[28:29]
	s_andn2_b64 s[4:5], s[8:9], exec
	s_and_b64 s[8:9], s[12:13], exec
	s_or_b64 s[8:9], s[4:5], s[8:9]
.LBB186_120:                            ;   in Loop: Header=BB186_18 Depth=1
	s_or_b64 exec, exec, s[2:3]
	s_mov_b64 s[2:3], 0
	s_mov_b64 s[28:29], -1
.LBB186_121:                            ;   in Loop: Header=BB186_18 Depth=1
	s_orn2_b64 s[4:5], s[8:9], exec
.LBB186_122:                            ;   in Loop: Header=BB186_18 Depth=1
	s_or_b64 exec, exec, s[20:21]
	s_mov_b64 s[30:31], 0
	s_mov_b64 s[52:53], 0
	s_mov_b64 s[50:51], 0
                                        ; implicit-def: $vgpr28_vgpr29
                                        ; implicit-def: $vgpr42
	s_and_saveexec_b64 s[36:37], s[4:5]
	s_cbranch_execz .LBB186_288
; %bb.123:                              ;   in Loop: Header=BB186_18 Depth=1
	v_mov_b32_e32 v28, 1
	s_xor_b64 s[4:5], s[6:7], -1
	v_mov_b32_e32 v42, 1
	v_mov_b32_e32 v29, 0
	s_mov_b64 s[8:9], 0
	s_and_saveexec_b64 s[6:7], s[4:5]
	s_cbranch_execz .LBB186_132
; %bb.124:                              ;   in Loop: Header=BB186_18 Depth=1
	v_cmp_ge_u64_e32 vcc, s[16:17], v[26:27]
	s_and_saveexec_b64 s[4:5], vcc
	s_xor_b64 s[4:5], exec, s[4:5]
	s_cbranch_execz .LBB186_129
; %bb.125:                              ;   in Loop: Header=BB186_18 Depth=1
	ds_read_b64 v[4:5], v19 offset:5120
	v_and_b32_e32 v13, s63, v13
	v_and_b32_e32 v12, s62, v12
	v_or_b32_e32 v15, s19, v15
	v_or_b32_e32 v14, s18, v14
	s_waitcnt lgkmcnt(0)
	v_cmp_ne_u64_e32 vcc, 0, v[4:5]
	s_cbranch_vccnz .LBB186_129
; %bb.126:                              ;   in Loop: Header=BB186_18 Depth=1
	s_mov_b64 s[8:9], exec
	v_readlane_b32 s10, v45, 32
	v_readlane_b32 s11, v45, 33
	s_and_b64 s[10:11], s[8:9], s[10:11]
	s_mov_b64 exec, s[10:11]
; %bb.127:                              ;   in Loop: Header=BB186_18 Depth=1
	v_mov_b32_e32 v4, s16
	v_mov_b32_e32 v5, s17
	ds_write_b64 v19, v[4:5] offset:5128
; %bb.128:                              ;   in Loop: Header=BB186_18 Depth=1
	s_or_b64 exec, exec, s[8:9]
	s_waitcnt lgkmcnt(0)
	s_barrier
.LBB186_129:                            ;   in Loop: Header=BB186_18 Depth=1
	s_or_saveexec_b64 s[4:5], s[4:5]
	v_mov_b32_e32 v29, v27
	s_mov_b64 s[8:9], 0
	v_mov_b32_e32 v42, 8
	v_mov_b32_e32 v28, v26
	s_xor_b64 exec, exec, s[4:5]
; %bb.130:                              ;   in Loop: Header=BB186_18 Depth=1
	v_subrev_co_u32_e32 v28, vcc, s16, v26
	v_mov_b32_e32 v2, s17
	v_subb_co_u32_e32 v29, vcc, v27, v2, vcc
	v_mov_b32_e32 v42, 0
	s_mov_b64 s[8:9], exec
; %bb.131:                              ;   in Loop: Header=BB186_18 Depth=1
	s_or_b64 exec, exec, s[4:5]
	s_and_b64 s[8:9], s[8:9], exec
.LBB186_132:                            ;   in Loop: Header=BB186_18 Depth=1
	s_or_b64 exec, exec, s[6:7]
	s_mov_b64 s[4:5], -1
                                        ; implicit-def: $sgpr38_sgpr39
                                        ; implicit-def: $sgpr50_sgpr51
	s_and_saveexec_b64 s[6:7], s[8:9]
	s_xor_b64 s[6:7], exec, s[6:7]
	s_cbranch_execz .LBB186_285
; %bb.133:                              ;   in Loop: Header=BB186_18 Depth=1
	s_cmp_eq_u64 s[42:43], 1
	v_cmp_eq_u64_e32 vcc, 1, v[28:29]
	s_cselect_b64 s[4:5], -1, 0
	s_and_b64 s[20:21], s[4:5], vcc
	s_mov_b64 s[4:5], -1
                                        ; implicit-def: $sgpr50_sgpr51
                                        ; implicit-def: $sgpr38_sgpr39
	s_and_saveexec_b64 s[48:49], s[20:21]
	s_cbranch_execz .LBB186_169
; %bb.134:                              ;   in Loop: Header=BB186_18 Depth=1
	ds_read_b64 v[4:5], v19 offset:5120
	s_waitcnt lgkmcnt(0)
	s_barrier
	v_readfirstlane_b32 s10, v4
	v_readfirstlane_b32 s11, v5
	s_mov_b64 s[4:5], exec
	v_readlane_b32 s8, v45, 48
	v_readlane_b32 s9, v45, 49
	s_and_b64 s[8:9], s[4:5], s[8:9]
	s_mov_b64 exec, s[8:9]
; %bb.135:                              ;   in Loop: Header=BB186_18 Depth=1
	v_mov_b32_e32 v18, v19
	ds_write_b64 v37, v[18:19]
; %bb.136:                              ;   in Loop: Header=BB186_18 Depth=1
	s_or_b64 exec, exec, s[4:5]
	s_lshl_b64 s[4:5], 1, s75
	v_and_b32_e32 v2, s63, v13
	v_and_b32_e32 v4, s62, v12
	v_or_b32_e32 v13, s5, v2
	v_or_b32_e32 v12, s4, v4
	;; [unrolled: 1-line block ×4, first 2 shown]
	s_mov_b64 s[38:39], -1
	s_mov_b64 s[50:51], 0
	s_cmp_eq_u64 s[10:11], 0
	s_mov_b64 s[8:9], 0
	s_mov_b64 s[34:35], -1
	s_waitcnt lgkmcnt(0)
	s_barrier
                                        ; implicit-def: $vgpr10_vgpr11
	s_cbranch_scc1 .LBB186_153
; %bb.137:                              ;   in Loop: Header=BB186_18 Depth=1
	v_readlane_b32 s4, v45, 52
	s_add_u32 s34, s10, s4
	v_readlane_b32 s4, v45, 54
	s_addc_u32 s9, s11, s4
	s_mov_b32 s8, s65
	s_cmp_lg_u64 s[8:9], 0
	s_cbranch_scc0 .LBB186_196
; %bb.138:                              ;   in Loop: Header=BB186_18 Depth=1
	v_cvt_f32_u32_e32 v2, s67
	s_sub_u32 s8, 0, s67
	s_subb_u32 s12, 0, 0
	v_mac_f32_e32 v2, 0, v41
	v_rcp_f32_e32 v2, v2
	v_mul_f32_e32 v2, 0x5f7ffffc, v2
	v_mul_f32_e32 v4, 0x2f800000, v2
	v_trunc_f32_e32 v4, v4
	v_mac_f32_e32 v2, 0xcf800000, v4
	v_cvt_u32_f32_e32 v4, v4
	v_cvt_u32_f32_e32 v2, v2
	v_readfirstlane_b32 s13, v4
	v_readfirstlane_b32 s4, v2
	s_mul_i32 s5, s8, s13
	s_mul_hi_u32 s52, s8, s4
	s_mul_i32 s35, s12, s4
	s_add_i32 s5, s52, s5
	s_mul_i32 s53, s8, s4
	s_add_i32 s5, s5, s35
	s_mul_hi_u32 s52, s4, s53
	s_mul_i32 s54, s4, s5
	s_mul_hi_u32 s35, s4, s5
	s_add_u32 s52, s52, s54
	s_addc_u32 s35, 0, s35
	s_mul_hi_u32 s55, s13, s53
	s_mul_i32 s53, s13, s53
	s_add_u32 s52, s52, s53
	s_mul_hi_u32 s54, s13, s5
	s_addc_u32 s35, s35, s55
	s_addc_u32 s52, s54, 0
	s_mul_i32 s5, s13, s5
	s_add_u32 s5, s35, s5
	s_addc_u32 s35, 0, s52
	s_add_u32 s52, s4, s5
	s_cselect_b64 s[4:5], -1, 0
	s_cmp_lg_u64 s[4:5], 0
	s_addc_u32 s13, s13, s35
	s_mul_i32 s4, s8, s13
	s_mul_hi_u32 s5, s8, s52
	s_add_i32 s4, s5, s4
	s_mul_i32 s12, s12, s52
	s_add_i32 s4, s4, s12
	s_mul_i32 s8, s8, s52
	s_mul_hi_u32 s12, s13, s8
	s_mul_i32 s35, s13, s8
	s_mul_i32 s54, s52, s4
	s_mul_hi_u32 s8, s52, s8
	s_mul_hi_u32 s53, s52, s4
	s_add_u32 s8, s8, s54
	s_addc_u32 s53, 0, s53
	s_add_u32 s8, s8, s35
	s_mul_hi_u32 s5, s13, s4
	s_addc_u32 s8, s53, s12
	s_addc_u32 s5, s5, 0
	s_mul_i32 s4, s13, s4
	s_add_u32 s4, s8, s4
	s_addc_u32 s8, 0, s5
	s_add_u32 s12, s52, s4
	s_cselect_b64 s[4:5], -1, 0
	s_cmp_lg_u64 s[4:5], 0
	s_addc_u32 s4, s13, s8
	s_mul_i32 s8, s34, s4
	s_mul_hi_u32 s13, s34, s12
	s_mul_hi_u32 s5, s34, s4
	s_add_u32 s8, s13, s8
	s_addc_u32 s5, 0, s5
	s_mul_hi_u32 s35, s9, s12
	s_mul_i32 s12, s9, s12
	s_add_u32 s8, s8, s12
	s_mul_hi_u32 s13, s9, s4
	s_addc_u32 s5, s5, s35
	s_addc_u32 s8, s13, 0
	s_mul_i32 s4, s9, s4
	s_add_u32 s4, s5, s4
	s_addc_u32 s5, 0, s8
	s_mul_i32 s5, s67, s5
	s_mul_hi_u32 s8, s67, s4
	s_add_i32 s8, s8, s5
	s_mul_i32 s4, s67, s4
	s_sub_u32 s12, s34, s4
	s_cselect_b64 s[4:5], -1, 0
	s_cmp_lg_u64 s[4:5], 0
	s_subb_u32 s8, s9, s8
	s_sub_u32 s13, s12, s67
	s_cselect_b64 s[4:5], -1, 0
	s_cmp_lg_u64 s[4:5], 0
	s_subb_u32 s35, s8, 0
	;; [unrolled: 4-line block ×3, first 2 shown]
	s_cmp_ge_u32 s13, s67
	s_cselect_b32 s5, -1, 0
	s_cmp_eq_u32 s35, 0
	s_cselect_b32 s5, s5, -1
	s_cmp_lg_u32 s5, 0
	s_cselect_b32 s4, s4, s35
	s_cselect_b32 s13, s52, s13
	s_cmp_ge_u32 s12, s67
	s_cselect_b32 s5, -1, 0
	s_cmp_eq_u32 s8, 0
	s_cselect_b32 s5, s5, -1
	s_cmp_lg_u32 s5, 0
	s_cselect_b32 s5, s4, s8
	s_cselect_b32 s4, s13, s12
	s_cbranch_execnz .LBB186_140
.LBB186_139:                            ;   in Loop: Header=BB186_18 Depth=1
	v_cvt_f32_u32_e32 v2, s67
	s_sub_i32 s4, 0, s67
	v_rcp_iflag_f32_e32 v2, v2
	v_mul_f32_e32 v2, 0x4f7ffffe, v2
	v_cvt_u32_f32_e32 v2, v2
	v_readfirstlane_b32 s5, v2
	s_mul_i32 s4, s4, s5
	s_mul_hi_u32 s4, s5, s4
	s_add_i32 s5, s5, s4
	s_mul_hi_u32 s4, s34, s5
	s_mul_i32 s4, s4, s67
	s_sub_i32 s4, s34, s4
	s_sub_i32 s5, s4, s67
	s_cmp_ge_u32 s4, s67
	s_cselect_b32 s4, s5, s4
	s_sub_i32 s5, s4, s67
	s_cmp_ge_u32 s4, s67
	s_cselect_b32 s64, s5, s4
	s_mov_b64 s[4:5], s[64:65]
.LBB186_140:                            ;   in Loop: Header=BB186_18 Depth=1
	s_sub_u32 s54, s34, s4
	s_subb_u32 s55, s9, s5
	v_cmp_gt_u64_e32 vcc, s[54:55], v[0:1]
	s_mov_b64 s[34:35], 0
	s_mov_b64 s[8:9], 0
                                        ; implicit-def: $vgpr10_vgpr11
	s_and_saveexec_b64 s[52:53], vcc
	s_cbranch_execz .LBB186_152
; %bb.141:                              ;   in Loop: Header=BB186_18 Depth=1
	v_mov_b32_e32 v31, v1
	v_mov_b32_e32 v18, v36
	;; [unrolled: 1-line block ×3, first 2 shown]
                                        ; implicit-def: $sgpr12_sgpr13
	s_branch .LBB186_145
.LBB186_142:                            ;   in Loop: Header=BB186_145 Depth=2
	s_or_b64 exec, exec, s[4:5]
	s_waitcnt lgkmcnt(0)
	s_barrier
	ds_read_b128 v[8:11], v19 offset:3072
	s_waitcnt lgkmcnt(0)
	s_barrier
	v_cmp_neq_f64_e32 vcc, 0, v[8:9]
	s_cbranch_vccnz .LBB186_148
; %bb.143:                              ;   in Loop: Header=BB186_145 Depth=2
	v_add_co_u32_e32 v30, vcc, s67, v30
	v_addc_co_u32_e32 v31, vcc, 0, v31, vcc
	v_cmp_le_u64_e32 vcc, s[54:55], v[30:31]
	v_add_u32_e32 v18, s74, v18
	s_mov_b64 s[4:5], 0
	s_orn2_b64 s[70:71], vcc, exec
.LBB186_144:                            ;   in Loop: Header=BB186_145 Depth=2
	s_and_b64 s[70:71], exec, s[70:71]
	s_or_b64 s[8:9], s[70:71], s[8:9]
	s_andn2_b64 s[12:13], s[12:13], exec
	s_and_b64 s[4:5], s[4:5], exec
	s_or_b64 s[12:13], s[12:13], s[4:5]
	s_andn2_b64 exec, exec, s[8:9]
	s_cbranch_execz .LBB186_151
.LBB186_145:                            ;   Parent Loop BB186_18 Depth=1
                                        ; =>  This Inner Loop Header: Depth=2
	v_cmp_gt_u64_e32 vcc, s[10:11], v[30:31]
	s_and_saveexec_b64 s[4:5], vcc
	s_cbranch_execz .LBB186_142
; %bb.146:                              ;   in Loop: Header=BB186_145 Depth=2
	ds_read_b64 v[4:5], v18
	s_waitcnt lgkmcnt(0)
	v_cmp_o_f64_e32 vcc, v[4:5], v[4:5]
	v_ashrrev_i32_e32 v2, 31, v5
	v_or_b32_e32 v8, 0x80000000, v2
	v_xor_b32_e32 v8, v8, v5
	v_xor_b32_e32 v2, v2, v4
	v_cndmask_b32_e32 v8, -1, v8, vcc
	v_cndmask_b32_e32 v2, -1, v2, vcc
	v_and_b32_e32 v9, v8, v15
	v_and_b32_e32 v8, v2, v14
	v_cmp_eq_u64_e32 vcc, v[8:9], v[12:13]
	s_and_b64 exec, exec, vcc
	s_cbranch_execz .LBB186_142
; %bb.147:                              ;   in Loop: Header=BB186_145 Depth=2
	v_mov_b32_e32 v2, v19
	ds_write_b128 v19, v[2:5] offset:3072
	s_branch .LBB186_142
.LBB186_148:                            ;   in Loop: Header=BB186_145 Depth=2
	s_mov_b64 s[70:71], -1
                                        ; implicit-def: $vgpr30_vgpr31
                                        ; implicit-def: $vgpr18
	s_mov_b64 s[4:5], -1
	s_branch .LBB186_144
.LBB186_149:                            ;   in Loop: Header=BB186_18 Depth=1
                                        ; implicit-def: $sgpr4_sgpr5
	s_branch .LBB186_91
.LBB186_150:                            ;   in Loop: Header=BB186_18 Depth=1
	v_readlane_b32 s13, v45, 53
                                        ; implicit-def: $sgpr2_sgpr3
	s_branch .LBB186_109
.LBB186_151:                            ;   in Loop: Header=BB186_18 Depth=1
	s_or_b64 exec, exec, s[8:9]
	s_and_b64 s[8:9], s[12:13], exec
.LBB186_152:                            ;   in Loop: Header=BB186_18 Depth=1
	s_or_b64 exec, exec, s[52:53]
.LBB186_153:                            ;   in Loop: Header=BB186_18 Depth=1
	s_and_b64 vcc, exec, s[34:35]
	s_cbranch_vccz .LBB186_168
; %bb.154:                              ;   in Loop: Header=BB186_18 Depth=1
	s_mov_b32 s72, s65
	s_cmp_lg_u64 s[72:73], 0
	s_cbranch_scc0 .LBB186_197
; %bb.155:                              ;   in Loop: Header=BB186_18 Depth=1
	v_cvt_f32_u32_e32 v2, s67
	s_sub_u32 s10, 0, s67
	s_subb_u32 s11, 0, 0
	v_mac_f32_e32 v2, 0, v41
	v_rcp_f32_e32 v2, v2
	v_mul_f32_e32 v2, 0x5f7ffffc, v2
	v_mul_f32_e32 v4, 0x2f800000, v2
	v_trunc_f32_e32 v4, v4
	v_mac_f32_e32 v2, 0xcf800000, v4
	v_cvt_u32_f32_e32 v4, v4
	v_cvt_u32_f32_e32 v2, v2
	v_readfirstlane_b32 s12, v4
	v_readfirstlane_b32 s4, v2
	s_mul_i32 s5, s10, s12
	s_mul_hi_u32 s34, s10, s4
	s_mul_i32 s13, s11, s4
	s_add_i32 s5, s34, s5
	s_mul_i32 s35, s10, s4
	s_add_i32 s5, s5, s13
	s_mul_hi_u32 s34, s4, s35
	s_mul_i32 s38, s4, s5
	s_mul_hi_u32 s13, s4, s5
	s_add_u32 s34, s34, s38
	s_addc_u32 s13, 0, s13
	s_mul_hi_u32 s39, s12, s35
	s_mul_i32 s35, s12, s35
	s_add_u32 s34, s34, s35
	s_mul_hi_u32 s38, s12, s5
	s_addc_u32 s13, s13, s39
	s_addc_u32 s34, s38, 0
	s_mul_i32 s5, s12, s5
	s_add_u32 s5, s13, s5
	s_addc_u32 s13, 0, s34
	s_add_u32 s34, s4, s5
	s_cselect_b64 s[4:5], -1, 0
	s_cmp_lg_u64 s[4:5], 0
	s_addc_u32 s12, s12, s13
	s_mul_i32 s4, s10, s12
	s_mul_hi_u32 s5, s10, s34
	s_add_i32 s4, s5, s4
	s_mul_i32 s11, s11, s34
	s_add_i32 s4, s4, s11
	s_mul_i32 s10, s10, s34
	s_mul_hi_u32 s11, s12, s10
	s_mul_i32 s13, s12, s10
	s_mul_i32 s38, s34, s4
	s_mul_hi_u32 s10, s34, s10
	s_mul_hi_u32 s35, s34, s4
	s_add_u32 s10, s10, s38
	s_addc_u32 s35, 0, s35
	s_add_u32 s10, s10, s13
	s_mul_hi_u32 s5, s12, s4
	s_addc_u32 s10, s35, s11
	s_addc_u32 s5, s5, 0
	s_mul_i32 s4, s12, s4
	s_add_u32 s4, s10, s4
	s_addc_u32 s10, 0, s5
	s_add_u32 s11, s34, s4
	s_cselect_b64 s[4:5], -1, 0
	s_cmp_lg_u64 s[4:5], 0
	s_addc_u32 s4, s12, s10
	v_readlane_b32 s35, v45, 53
	s_mul_i32 s10, s35, s4
	s_mul_hi_u32 s12, s35, s11
	s_mul_hi_u32 s5, s35, s4
	s_add_u32 s10, s12, s10
	s_addc_u32 s5, 0, s5
	s_mul_hi_u32 s13, s73, s11
	s_mul_i32 s11, s73, s11
	s_add_u32 s10, s10, s11
	s_mul_hi_u32 s12, s73, s4
	s_addc_u32 s5, s5, s13
	s_addc_u32 s10, s12, 0
	s_mul_i32 s4, s73, s4
	s_add_u32 s4, s5, s4
	s_addc_u32 s5, 0, s10
	s_mul_i32 s5, s67, s5
	s_mul_hi_u32 s10, s67, s4
	s_add_i32 s10, s10, s5
	s_mul_i32 s4, s67, s4
	s_sub_u32 s11, s35, s4
	s_cselect_b64 s[4:5], -1, 0
	s_cmp_lg_u64 s[4:5], 0
	s_subb_u32 s10, s73, s10
	s_sub_u32 s12, s11, s67
	s_cselect_b64 s[4:5], -1, 0
	s_cmp_lg_u64 s[4:5], 0
	s_subb_u32 s13, s10, 0
	;; [unrolled: 4-line block ×3, first 2 shown]
	s_cmp_ge_u32 s12, s67
	s_cselect_b32 s5, -1, 0
	s_cmp_eq_u32 s13, 0
	s_cselect_b32 s5, s5, -1
	s_cmp_lg_u32 s5, 0
	s_cselect_b32 s4, s4, s13
	s_cselect_b32 s12, s34, s12
	s_cmp_ge_u32 s11, s67
	s_cselect_b32 s5, -1, 0
	s_cmp_eq_u32 s10, 0
	s_cselect_b32 s5, s5, -1
	s_cmp_lg_u32 s5, 0
	s_cselect_b32 s5, s4, s10
	s_cselect_b32 s4, s12, s11
	s_cbranch_execnz .LBB186_157
.LBB186_156:                            ;   in Loop: Header=BB186_18 Depth=1
	v_cvt_f32_u32_e32 v2, s67
	s_sub_i32 s4, 0, s67
	v_rcp_iflag_f32_e32 v2, v2
	v_mul_f32_e32 v2, 0x4f7ffffe, v2
	v_cvt_u32_f32_e32 v2, v2
	v_readfirstlane_b32 s5, v2
	s_mul_i32 s4, s4, s5
	s_mul_hi_u32 s4, s5, s4
	s_add_i32 s5, s5, s4
	s_mul_hi_u32 s4, s35, s5
	s_mul_i32 s4, s4, s67
	s_sub_i32 s4, s35, s4
	s_sub_i32 s5, s4, s67
	s_cmp_ge_u32 s4, s67
	s_cselect_b32 s4, s5, s4
	s_sub_i32 s5, s4, s67
	s_cmp_ge_u32 s4, s67
	s_cselect_b32 s64, s5, s4
	s_mov_b64 s[4:5], s[64:65]
.LBB186_157:                            ;   in Loop: Header=BB186_18 Depth=1
	s_sub_u32 s34, s35, s4
	s_subb_u32 s35, s73, s5
	v_cmp_gt_u64_e32 vcc, s[34:35], v[0:1]
                                        ; implicit-def: $vgpr10_vgpr11
	s_and_saveexec_b64 s[10:11], vcc
	s_cbranch_execz .LBB186_167
; %bb.158:                              ;   in Loop: Header=BB186_18 Depth=1
	v_mov_b32_e32 v31, v1
	s_mov_b64 s[12:13], 0
	v_mov_b32_e32 v30, v0
                                        ; implicit-def: $sgpr38_sgpr39
	s_branch .LBB186_162
.LBB186_159:                            ;   in Loop: Header=BB186_162 Depth=2
	s_or_b64 exec, exec, s[4:5]
	s_waitcnt lgkmcnt(0)
	s_barrier
	ds_read_b128 v[8:11], v19 offset:3072
	s_waitcnt lgkmcnt(0)
	s_barrier
	v_cmp_eq_f64_e32 vcc, 0, v[8:9]
	s_cbranch_vccz .LBB186_165
; %bb.160:                              ;   in Loop: Header=BB186_162 Depth=2
	v_add_co_u32_e32 v30, vcc, s67, v30
	v_addc_co_u32_e32 v31, vcc, 0, v31, vcc
	v_cmp_le_u64_e32 vcc, s[34:35], v[30:31]
	s_mov_b64 s[4:5], 0
	s_orn2_b64 s[50:51], vcc, exec
.LBB186_161:                            ;   in Loop: Header=BB186_162 Depth=2
	s_and_b64 s[50:51], exec, s[50:51]
	s_or_b64 s[12:13], s[50:51], s[12:13]
	s_andn2_b64 s[38:39], s[38:39], exec
	s_and_b64 s[4:5], s[4:5], exec
	s_or_b64 s[38:39], s[38:39], s[4:5]
	s_andn2_b64 exec, exec, s[12:13]
	s_cbranch_execz .LBB186_166
.LBB186_162:                            ;   Parent Loop BB186_18 Depth=1
                                        ; =>  This Inner Loop Header: Depth=2
	v_cmp_gt_u64_e32 vcc, s[24:25], v[30:31]
	s_and_saveexec_b64 s[4:5], vcc
	s_cbranch_execz .LBB186_159
; %bb.163:                              ;   in Loop: Header=BB186_162 Depth=2
	v_mul_lo_u32 v2, v31, s22
	v_mul_lo_u32 v8, v30, s23
	v_mad_u64_u32 v[4:5], s[50:51], v30, s22, 0
	v_add3_u32 v5, v5, v8, v2
	v_lshlrev_b64 v[4:5], 3, v[4:5]
	v_mov_b32_e32 v2, s66
	v_add_co_u32_e32 v4, vcc, s33, v4
	v_addc_co_u32_e32 v5, vcc, v2, v5, vcc
	global_load_dwordx2 v[4:5], v[4:5], off
	s_waitcnt vmcnt(0)
	v_cmp_o_f64_e32 vcc, v[4:5], v[4:5]
	v_ashrrev_i32_e32 v2, 31, v5
	v_or_b32_e32 v8, 0x80000000, v2
	v_xor_b32_e32 v8, v8, v5
	v_xor_b32_e32 v2, v2, v4
	v_cndmask_b32_e32 v8, -1, v8, vcc
	v_cndmask_b32_e32 v2, -1, v2, vcc
	v_and_b32_e32 v9, v8, v15
	v_and_b32_e32 v8, v2, v14
	v_cmp_eq_u64_e32 vcc, v[8:9], v[12:13]
	s_and_b64 exec, exec, vcc
	s_cbranch_execz .LBB186_159
; %bb.164:                              ;   in Loop: Header=BB186_162 Depth=2
	v_mov_b32_e32 v2, v19
	ds_write_b128 v19, v[2:5] offset:3072
	s_branch .LBB186_159
.LBB186_165:                            ;   in Loop: Header=BB186_162 Depth=2
	s_mov_b64 s[50:51], -1
                                        ; implicit-def: $vgpr30_vgpr31
	s_mov_b64 s[4:5], -1
	s_branch .LBB186_161
.LBB186_166:                            ;   in Loop: Header=BB186_18 Depth=1
	s_or_b64 exec, exec, s[12:13]
	s_andn2_b64 s[4:5], s[8:9], exec
	s_and_b64 s[8:9], s[38:39], exec
	s_or_b64 s[8:9], s[4:5], s[8:9]
.LBB186_167:                            ;   in Loop: Header=BB186_18 Depth=1
	s_or_b64 exec, exec, s[10:11]
	s_mov_b64 s[38:39], 0
	s_mov_b64 s[50:51], -1
.LBB186_168:                            ;   in Loop: Header=BB186_18 Depth=1
	s_orn2_b64 s[4:5], s[8:9], exec
.LBB186_169:                            ;   in Loop: Header=BB186_18 Depth=1
	s_or_b64 exec, exec, s[48:49]
	s_mov_b64 s[8:9], 0
	s_and_saveexec_b64 s[52:53], s[4:5]
	s_cbranch_execz .LBB186_284
; %bb.170:                              ;   in Loop: Header=BB186_18 Depth=1
	v_mov_b32_e32 v30, 1
	s_xor_b64 s[10:11], s[20:21], -1
	v_mov_b32_e32 v42, 1
	v_mov_b32_e32 v31, 0
	s_mov_b64 s[4:5], 0
	s_and_saveexec_b64 s[8:9], s[10:11]
	s_cbranch_execz .LBB186_179
; %bb.171:                              ;   in Loop: Header=BB186_18 Depth=1
	v_cmp_ge_u64_e32 vcc, s[42:43], v[28:29]
	s_and_saveexec_b64 s[4:5], vcc
	s_xor_b64 s[4:5], exec, s[4:5]
	s_cbranch_execz .LBB186_176
; %bb.172:                              ;   in Loop: Header=BB186_18 Depth=1
	s_lshl_b64 s[10:11], 1, s75
	v_and_b32_e32 v4, s62, v12
	v_or_b32_e32 v12, s10, v4
	ds_read_b64 v[4:5], v19 offset:5120
	v_and_b32_e32 v2, s63, v13
	v_or_b32_e32 v13, s11, v2
	v_or_b32_e32 v15, s19, v15
	;; [unrolled: 1-line block ×3, first 2 shown]
	s_waitcnt lgkmcnt(0)
	v_cmp_ne_u64_e32 vcc, 0, v[4:5]
	s_cbranch_vccnz .LBB186_176
; %bb.173:                              ;   in Loop: Header=BB186_18 Depth=1
	s_mov_b64 s[10:11], exec
	v_readlane_b32 s12, v45, 32
	v_readlane_b32 s13, v45, 33
	s_and_b64 s[12:13], s[10:11], s[12:13]
	s_mov_b64 exec, s[12:13]
; %bb.174:                              ;   in Loop: Header=BB186_18 Depth=1
	v_mov_b32_e32 v4, s42
	v_mov_b32_e32 v5, s43
	ds_write_b64 v19, v[4:5] offset:5128
; %bb.175:                              ;   in Loop: Header=BB186_18 Depth=1
	s_or_b64 exec, exec, s[10:11]
	s_waitcnt lgkmcnt(0)
	s_barrier
.LBB186_176:                            ;   in Loop: Header=BB186_18 Depth=1
	s_or_saveexec_b64 s[4:5], s[4:5]
	s_mov_b64 s[10:11], 0
	v_mov_b32_e32 v42, 8
	s_xor_b64 exec, exec, s[4:5]
; %bb.177:                              ;   in Loop: Header=BB186_18 Depth=1
	v_subrev_co_u32_e32 v28, vcc, s42, v28
	v_mov_b32_e32 v2, s43
	v_subb_co_u32_e32 v29, vcc, v29, v2, vcc
	v_mov_b32_e32 v42, 0
	s_mov_b64 s[10:11], exec
; %bb.178:                              ;   in Loop: Header=BB186_18 Depth=1
	s_or_b64 exec, exec, s[4:5]
	v_mov_b32_e32 v31, v29
	s_and_b64 s[4:5], s[10:11], exec
	v_mov_b32_e32 v30, v28
.LBB186_179:                            ;   in Loop: Header=BB186_18 Depth=1
	s_or_b64 exec, exec, s[8:9]
	s_mov_b64 s[8:9], -1
                                        ; implicit-def: $sgpr12_sgpr13
                                        ; implicit-def: $sgpr76_sgpr77
	s_and_saveexec_b64 s[48:49], s[4:5]
	s_cbranch_execz .LBB186_283
; %bb.180:                              ;   in Loop: Header=BB186_18 Depth=1
	s_cmp_eq_u64 s[44:45], 1
	v_cmp_eq_u64_e32 vcc, 1, v[30:31]
	s_cselect_b64 s[4:5], -1, 0
	s_and_b64 s[20:21], s[4:5], vcc
	s_mov_b64 s[4:5], -1
                                        ; implicit-def: $sgpr76_sgpr77
                                        ; implicit-def: $sgpr12_sgpr13
	s_and_saveexec_b64 s[78:79], s[20:21]
	s_cbranch_execz .LBB186_217
; %bb.181:                              ;   in Loop: Header=BB186_18 Depth=1
	ds_read_b64 v[4:5], v19 offset:5120
	s_waitcnt lgkmcnt(0)
	s_barrier
	v_readfirstlane_b32 s10, v4
	v_readfirstlane_b32 s11, v5
	s_mov_b64 s[4:5], exec
	v_readlane_b32 s8, v45, 48
	v_readlane_b32 s9, v45, 49
	s_and_b64 s[8:9], s[4:5], s[8:9]
	s_mov_b64 exec, s[8:9]
; %bb.182:                              ;   in Loop: Header=BB186_18 Depth=1
	v_mov_b32_e32 v18, v19
	ds_write_b64 v37, v[18:19]
; %bb.183:                              ;   in Loop: Header=BB186_18 Depth=1
	s_or_b64 exec, exec, s[4:5]
	s_lshl_b64 s[4:5], 2, s75
	v_and_b32_e32 v2, s63, v13
	v_and_b32_e32 v4, s62, v12
	v_or_b32_e32 v13, s5, v2
	v_or_b32_e32 v12, s4, v4
	;; [unrolled: 1-line block ×4, first 2 shown]
	s_mov_b64 s[76:77], 0
	s_cmp_eq_u64 s[10:11], 0
	s_mov_b64 s[8:9], 0
	s_mov_b64 s[34:35], -1
	s_waitcnt lgkmcnt(0)
	s_barrier
                                        ; implicit-def: $vgpr10_vgpr11
	s_cbranch_scc1 .LBB186_200
; %bb.184:                              ;   in Loop: Header=BB186_18 Depth=1
	v_readlane_b32 s4, v45, 52
	s_add_u32 s34, s10, s4
	v_readlane_b32 s4, v45, 54
	s_addc_u32 s9, s11, s4
	s_mov_b32 s8, s65
	s_cmp_lg_u64 s[8:9], 0
	s_cbranch_scc0 .LBB186_234
; %bb.185:                              ;   in Loop: Header=BB186_18 Depth=1
	v_cvt_f32_u32_e32 v2, s67
	s_sub_u32 s8, 0, s67
	s_subb_u32 s12, 0, 0
	v_mac_f32_e32 v2, 0, v41
	v_rcp_f32_e32 v2, v2
	v_mul_f32_e32 v2, 0x5f7ffffc, v2
	v_mul_f32_e32 v4, 0x2f800000, v2
	v_trunc_f32_e32 v4, v4
	v_mac_f32_e32 v2, 0xcf800000, v4
	v_cvt_u32_f32_e32 v4, v4
	v_cvt_u32_f32_e32 v2, v2
	v_readfirstlane_b32 s13, v4
	v_readfirstlane_b32 s4, v2
	s_mul_i32 s5, s8, s13
	s_mul_hi_u32 s54, s8, s4
	s_mul_i32 s35, s12, s4
	s_add_i32 s5, s54, s5
	s_mul_i32 s55, s8, s4
	s_add_i32 s5, s5, s35
	s_mul_hi_u32 s54, s4, s55
	s_mul_i32 s64, s4, s5
	s_mul_hi_u32 s35, s4, s5
	s_add_u32 s54, s54, s64
	s_addc_u32 s35, 0, s35
	s_mul_hi_u32 s70, s13, s55
	s_mul_i32 s55, s13, s55
	s_add_u32 s54, s54, s55
	s_mul_hi_u32 s64, s13, s5
	s_addc_u32 s35, s35, s70
	s_addc_u32 s54, s64, 0
	s_mul_i32 s5, s13, s5
	s_add_u32 s5, s35, s5
	s_addc_u32 s35, 0, s54
	s_add_u32 s54, s4, s5
	s_cselect_b64 s[4:5], -1, 0
	s_cmp_lg_u64 s[4:5], 0
	s_addc_u32 s13, s13, s35
	s_mul_i32 s4, s8, s13
	s_mul_hi_u32 s5, s8, s54
	s_add_i32 s4, s5, s4
	s_mul_i32 s12, s12, s54
	s_add_i32 s4, s4, s12
	s_mul_i32 s8, s8, s54
	s_mul_hi_u32 s12, s13, s8
	s_mul_i32 s35, s13, s8
	s_mul_i32 s64, s54, s4
	s_mul_hi_u32 s8, s54, s8
	s_mul_hi_u32 s55, s54, s4
	s_add_u32 s8, s8, s64
	s_addc_u32 s55, 0, s55
	s_add_u32 s8, s8, s35
	s_mul_hi_u32 s5, s13, s4
	s_addc_u32 s8, s55, s12
	s_addc_u32 s5, s5, 0
	s_mul_i32 s4, s13, s4
	s_add_u32 s4, s8, s4
	s_addc_u32 s8, 0, s5
	s_add_u32 s12, s54, s4
	s_cselect_b64 s[4:5], -1, 0
	s_cmp_lg_u64 s[4:5], 0
	s_addc_u32 s4, s13, s8
	s_mul_i32 s8, s34, s4
	s_mul_hi_u32 s13, s34, s12
	s_mul_hi_u32 s5, s34, s4
	s_add_u32 s8, s13, s8
	s_addc_u32 s5, 0, s5
	s_mul_hi_u32 s35, s9, s12
	s_mul_i32 s12, s9, s12
	s_add_u32 s8, s8, s12
	s_mul_hi_u32 s13, s9, s4
	s_addc_u32 s5, s5, s35
	s_addc_u32 s8, s13, 0
	s_mul_i32 s4, s9, s4
	s_add_u32 s4, s5, s4
	s_addc_u32 s5, 0, s8
	s_mul_i32 s5, s67, s5
	s_mul_hi_u32 s8, s67, s4
	s_add_i32 s8, s8, s5
	s_mul_i32 s4, s67, s4
	s_sub_u32 s12, s34, s4
	s_cselect_b64 s[4:5], -1, 0
	s_cmp_lg_u64 s[4:5], 0
	s_subb_u32 s8, s9, s8
	s_sub_u32 s13, s12, s67
	s_cselect_b64 s[4:5], -1, 0
	s_cmp_lg_u64 s[4:5], 0
	s_subb_u32 s35, s8, 0
	;; [unrolled: 4-line block ×3, first 2 shown]
	s_cmp_ge_u32 s13, s67
	s_cselect_b32 s5, -1, 0
	s_cmp_eq_u32 s35, 0
	s_cselect_b32 s5, s5, -1
	s_cmp_lg_u32 s5, 0
	s_cselect_b32 s4, s4, s35
	s_cselect_b32 s13, s54, s13
	s_cmp_ge_u32 s12, s67
	s_cselect_b32 s5, -1, 0
	s_cmp_eq_u32 s8, 0
	s_cselect_b32 s5, s5, -1
	s_cmp_lg_u32 s5, 0
	s_cselect_b32 s5, s4, s8
	s_cselect_b32 s4, s13, s12
	s_cbranch_execnz .LBB186_187
.LBB186_186:                            ;   in Loop: Header=BB186_18 Depth=1
	v_cvt_f32_u32_e32 v2, s67
	s_sub_i32 s4, 0, s67
	v_rcp_iflag_f32_e32 v2, v2
	v_mul_f32_e32 v2, 0x4f7ffffe, v2
	v_cvt_u32_f32_e32 v2, v2
	v_readfirstlane_b32 s5, v2
	s_mul_i32 s4, s4, s5
	s_mul_hi_u32 s4, s5, s4
	s_add_i32 s5, s5, s4
	s_mul_hi_u32 s4, s34, s5
	s_mul_i32 s4, s4, s67
	s_sub_i32 s4, s34, s4
	s_sub_i32 s5, s4, s67
	s_cmp_ge_u32 s4, s67
	s_cselect_b32 s4, s5, s4
	s_sub_i32 s5, s4, s67
	s_cmp_ge_u32 s4, s67
	s_cselect_b32 s64, s5, s4
	s_mov_b64 s[4:5], s[64:65]
.LBB186_187:                            ;   in Loop: Header=BB186_18 Depth=1
	s_sub_u32 s12, s34, s4
	s_subb_u32 s13, s9, s5
	v_cmp_gt_u64_e32 vcc, s[12:13], v[0:1]
	s_mov_b64 s[34:35], 0
	s_mov_b64 s[8:9], 0
                                        ; implicit-def: $vgpr10_vgpr11
	s_and_saveexec_b64 s[70:71], vcc
	s_cbranch_execz .LBB186_199
; %bb.188:                              ;   in Loop: Header=BB186_18 Depth=1
	v_mov_b32_e32 v29, v1
	v_mov_b32_e32 v18, v36
	;; [unrolled: 1-line block ×3, first 2 shown]
                                        ; implicit-def: $sgpr54_sgpr55
	s_branch .LBB186_192
.LBB186_189:                            ;   in Loop: Header=BB186_192 Depth=2
	s_or_b64 exec, exec, s[4:5]
	s_waitcnt lgkmcnt(0)
	s_barrier
	ds_read_b128 v[8:11], v19 offset:3072
	s_waitcnt lgkmcnt(0)
	s_barrier
	v_cmp_neq_f64_e32 vcc, 0, v[8:9]
	s_cbranch_vccnz .LBB186_195
; %bb.190:                              ;   in Loop: Header=BB186_192 Depth=2
	v_add_co_u32_e32 v28, vcc, s67, v28
	v_addc_co_u32_e32 v29, vcc, 0, v29, vcc
	v_cmp_le_u64_e32 vcc, s[12:13], v[28:29]
	v_add_u32_e32 v18, s74, v18
	s_mov_b64 s[4:5], 0
	s_orn2_b64 vcc, vcc, exec
.LBB186_191:                            ;   in Loop: Header=BB186_192 Depth=2
	s_and_b64 vcc, exec, vcc
	s_or_b64 s[8:9], vcc, s[8:9]
	s_andn2_b64 s[54:55], s[54:55], exec
	s_and_b64 s[4:5], s[4:5], exec
	s_or_b64 s[54:55], s[54:55], s[4:5]
	s_andn2_b64 exec, exec, s[8:9]
	s_cbranch_execz .LBB186_198
.LBB186_192:                            ;   Parent Loop BB186_18 Depth=1
                                        ; =>  This Inner Loop Header: Depth=2
	v_cmp_gt_u64_e32 vcc, s[10:11], v[28:29]
	s_and_saveexec_b64 s[4:5], vcc
	s_cbranch_execz .LBB186_189
; %bb.193:                              ;   in Loop: Header=BB186_192 Depth=2
	ds_read_b64 v[4:5], v18
	s_waitcnt lgkmcnt(0)
	v_cmp_o_f64_e32 vcc, v[4:5], v[4:5]
	v_ashrrev_i32_e32 v2, 31, v5
	v_or_b32_e32 v8, 0x80000000, v2
	v_xor_b32_e32 v8, v8, v5
	v_xor_b32_e32 v2, v2, v4
	v_cndmask_b32_e32 v8, -1, v8, vcc
	v_cndmask_b32_e32 v2, -1, v2, vcc
	v_and_b32_e32 v9, v8, v15
	v_and_b32_e32 v8, v2, v14
	v_cmp_eq_u64_e32 vcc, v[8:9], v[12:13]
	s_and_b64 exec, exec, vcc
	s_cbranch_execz .LBB186_189
; %bb.194:                              ;   in Loop: Header=BB186_192 Depth=2
	v_mov_b32_e32 v2, v19
	ds_write_b128 v19, v[2:5] offset:3072
	s_branch .LBB186_189
.LBB186_195:                            ;   in Loop: Header=BB186_192 Depth=2
	s_mov_b64 vcc, -1
                                        ; implicit-def: $vgpr28_vgpr29
                                        ; implicit-def: $vgpr18
	s_mov_b64 s[4:5], -1
	s_branch .LBB186_191
.LBB186_196:                            ;   in Loop: Header=BB186_18 Depth=1
                                        ; implicit-def: $sgpr4_sgpr5
	s_branch .LBB186_139
.LBB186_197:                            ;   in Loop: Header=BB186_18 Depth=1
	v_readlane_b32 s35, v45, 53
                                        ; implicit-def: $sgpr4_sgpr5
	s_branch .LBB186_156
.LBB186_198:                            ;   in Loop: Header=BB186_18 Depth=1
	s_or_b64 exec, exec, s[8:9]
	s_and_b64 s[8:9], s[54:55], exec
.LBB186_199:                            ;   in Loop: Header=BB186_18 Depth=1
	s_or_b64 exec, exec, s[70:71]
.LBB186_200:                            ;   in Loop: Header=BB186_18 Depth=1
	s_and_b64 vcc, exec, s[34:35]
	s_cbranch_vccz .LBB186_213
; %bb.201:                              ;   in Loop: Header=BB186_18 Depth=1
	s_mov_b32 s72, s65
	s_cmp_lg_u64 s[72:73], 0
	s_cbranch_scc0 .LBB186_235
; %bb.202:                              ;   in Loop: Header=BB186_18 Depth=1
	v_cvt_f32_u32_e32 v2, s67
	s_sub_u32 s10, 0, s67
	s_subb_u32 s11, 0, 0
	v_mac_f32_e32 v2, 0, v41
	v_rcp_f32_e32 v2, v2
	v_mul_f32_e32 v2, 0x5f7ffffc, v2
	v_mul_f32_e32 v4, 0x2f800000, v2
	v_trunc_f32_e32 v4, v4
	v_mac_f32_e32 v2, 0xcf800000, v4
	v_cvt_u32_f32_e32 v4, v4
	v_cvt_u32_f32_e32 v2, v2
	v_readfirstlane_b32 s12, v4
	v_readfirstlane_b32 s4, v2
	s_mul_i32 s5, s10, s12
	s_mul_hi_u32 s34, s10, s4
	s_mul_i32 s13, s11, s4
	s_add_i32 s5, s34, s5
	s_mul_i32 s35, s10, s4
	s_add_i32 s5, s5, s13
	s_mul_hi_u32 s34, s4, s35
	s_mul_i32 s54, s4, s5
	s_mul_hi_u32 s13, s4, s5
	s_add_u32 s34, s34, s54
	s_addc_u32 s13, 0, s13
	s_mul_hi_u32 s55, s12, s35
	s_mul_i32 s35, s12, s35
	s_add_u32 s34, s34, s35
	s_mul_hi_u32 s54, s12, s5
	s_addc_u32 s13, s13, s55
	s_addc_u32 s34, s54, 0
	s_mul_i32 s5, s12, s5
	s_add_u32 s5, s13, s5
	s_addc_u32 s13, 0, s34
	s_add_u32 s34, s4, s5
	s_cselect_b64 s[4:5], -1, 0
	s_cmp_lg_u64 s[4:5], 0
	s_addc_u32 s12, s12, s13
	s_mul_i32 s4, s10, s12
	s_mul_hi_u32 s5, s10, s34
	s_add_i32 s4, s5, s4
	s_mul_i32 s11, s11, s34
	s_add_i32 s4, s4, s11
	s_mul_i32 s10, s10, s34
	s_mul_hi_u32 s11, s12, s10
	s_mul_i32 s13, s12, s10
	s_mul_i32 s54, s34, s4
	s_mul_hi_u32 s10, s34, s10
	s_mul_hi_u32 s35, s34, s4
	s_add_u32 s10, s10, s54
	s_addc_u32 s35, 0, s35
	s_add_u32 s10, s10, s13
	s_mul_hi_u32 s5, s12, s4
	s_addc_u32 s10, s35, s11
	s_addc_u32 s5, s5, 0
	s_mul_i32 s4, s12, s4
	s_add_u32 s4, s10, s4
	s_addc_u32 s10, 0, s5
	s_add_u32 s11, s34, s4
	s_cselect_b64 s[4:5], -1, 0
	s_cmp_lg_u64 s[4:5], 0
	s_addc_u32 s4, s12, s10
	v_readlane_b32 s35, v45, 53
	s_mul_i32 s10, s35, s4
	s_mul_hi_u32 s12, s35, s11
	s_mul_hi_u32 s5, s35, s4
	s_add_u32 s10, s12, s10
	s_addc_u32 s5, 0, s5
	s_mul_hi_u32 s13, s73, s11
	s_mul_i32 s11, s73, s11
	s_add_u32 s10, s10, s11
	s_mul_hi_u32 s12, s73, s4
	s_addc_u32 s5, s5, s13
	s_addc_u32 s10, s12, 0
	s_mul_i32 s4, s73, s4
	s_add_u32 s4, s5, s4
	s_addc_u32 s5, 0, s10
	s_mul_i32 s5, s67, s5
	s_mul_hi_u32 s10, s67, s4
	s_add_i32 s10, s10, s5
	s_mul_i32 s4, s67, s4
	s_sub_u32 s11, s35, s4
	s_cselect_b64 s[4:5], -1, 0
	s_cmp_lg_u64 s[4:5], 0
	s_subb_u32 s10, s73, s10
	s_sub_u32 s12, s11, s67
	s_cselect_b64 s[4:5], -1, 0
	s_cmp_lg_u64 s[4:5], 0
	s_subb_u32 s13, s10, 0
	;; [unrolled: 4-line block ×3, first 2 shown]
	s_cmp_ge_u32 s12, s67
	s_cselect_b32 s5, -1, 0
	s_cmp_eq_u32 s13, 0
	s_cselect_b32 s5, s5, -1
	s_cmp_lg_u32 s5, 0
	s_cselect_b32 s4, s4, s13
	s_cselect_b32 s12, s34, s12
	s_cmp_ge_u32 s11, s67
	s_cselect_b32 s5, -1, 0
	s_cmp_eq_u32 s10, 0
	s_cselect_b32 s5, s5, -1
	s_cmp_lg_u32 s5, 0
	s_cselect_b32 s5, s4, s10
	s_cselect_b32 s4, s12, s11
	s_cbranch_execnz .LBB186_204
.LBB186_203:                            ;   in Loop: Header=BB186_18 Depth=1
	v_cvt_f32_u32_e32 v2, s67
	s_sub_i32 s4, 0, s67
	v_rcp_iflag_f32_e32 v2, v2
	v_mul_f32_e32 v2, 0x4f7ffffe, v2
	v_cvt_u32_f32_e32 v2, v2
	v_readfirstlane_b32 s5, v2
	s_mul_i32 s4, s4, s5
	s_mul_hi_u32 s4, s5, s4
	s_add_i32 s5, s5, s4
	s_mul_hi_u32 s4, s35, s5
	s_mul_i32 s4, s4, s67
	s_sub_i32 s4, s35, s4
	s_sub_i32 s5, s4, s67
	s_cmp_ge_u32 s4, s67
	s_cselect_b32 s4, s5, s4
	s_sub_i32 s5, s4, s67
	s_cmp_ge_u32 s4, s67
	s_cselect_b32 s64, s5, s4
	s_mov_b64 s[4:5], s[64:65]
.LBB186_204:                            ;   in Loop: Header=BB186_18 Depth=1
	s_sub_u32 s34, s35, s4
	s_subb_u32 s35, s73, s5
	v_cmp_gt_u64_e32 vcc, s[34:35], v[0:1]
                                        ; implicit-def: $vgpr10_vgpr11
	s_and_saveexec_b64 s[10:11], vcc
	s_cbranch_execz .LBB186_215
; %bb.205:                              ;   in Loop: Header=BB186_18 Depth=1
	v_mov_b32_e32 v29, v1
	s_mov_b64 s[12:13], 0
	v_mov_b32_e32 v28, v0
                                        ; implicit-def: $sgpr54_sgpr55
	s_branch .LBB186_209
.LBB186_206:                            ;   in Loop: Header=BB186_209 Depth=2
	s_or_b64 exec, exec, s[4:5]
	s_waitcnt lgkmcnt(0)
	s_barrier
	ds_read_b128 v[8:11], v19 offset:3072
	s_waitcnt lgkmcnt(0)
	s_barrier
	v_cmp_eq_f64_e32 vcc, 0, v[8:9]
	s_cbranch_vccz .LBB186_212
; %bb.207:                              ;   in Loop: Header=BB186_209 Depth=2
	v_add_co_u32_e32 v28, vcc, s67, v28
	v_addc_co_u32_e32 v29, vcc, 0, v29, vcc
	v_cmp_le_u64_e32 vcc, s[34:35], v[28:29]
	s_mov_b64 s[4:5], 0
	s_orn2_b64 s[70:71], vcc, exec
.LBB186_208:                            ;   in Loop: Header=BB186_209 Depth=2
	s_and_b64 s[70:71], exec, s[70:71]
	s_or_b64 s[12:13], s[70:71], s[12:13]
	s_andn2_b64 s[54:55], s[54:55], exec
	s_and_b64 s[4:5], s[4:5], exec
	s_or_b64 s[54:55], s[54:55], s[4:5]
	s_andn2_b64 exec, exec, s[12:13]
	s_cbranch_execz .LBB186_214
.LBB186_209:                            ;   Parent Loop BB186_18 Depth=1
                                        ; =>  This Inner Loop Header: Depth=2
	v_cmp_gt_u64_e32 vcc, s[24:25], v[28:29]
	s_and_saveexec_b64 s[4:5], vcc
	s_cbranch_execz .LBB186_206
; %bb.210:                              ;   in Loop: Header=BB186_209 Depth=2
	v_mul_lo_u32 v2, v29, s22
	v_mul_lo_u32 v8, v28, s23
	v_mad_u64_u32 v[4:5], s[70:71], v28, s22, 0
	v_add3_u32 v5, v5, v8, v2
	v_lshlrev_b64 v[4:5], 3, v[4:5]
	v_mov_b32_e32 v2, s66
	v_add_co_u32_e32 v4, vcc, s33, v4
	v_addc_co_u32_e32 v5, vcc, v2, v5, vcc
	global_load_dwordx2 v[4:5], v[4:5], off
	s_waitcnt vmcnt(0)
	v_cmp_o_f64_e32 vcc, v[4:5], v[4:5]
	v_ashrrev_i32_e32 v2, 31, v5
	v_or_b32_e32 v8, 0x80000000, v2
	v_xor_b32_e32 v8, v8, v5
	v_xor_b32_e32 v2, v2, v4
	v_cndmask_b32_e32 v8, -1, v8, vcc
	v_cndmask_b32_e32 v2, -1, v2, vcc
	v_and_b32_e32 v9, v8, v15
	v_and_b32_e32 v8, v2, v14
	v_cmp_eq_u64_e32 vcc, v[8:9], v[12:13]
	s_and_b64 exec, exec, vcc
	s_cbranch_execz .LBB186_206
; %bb.211:                              ;   in Loop: Header=BB186_209 Depth=2
	v_mov_b32_e32 v2, v19
	ds_write_b128 v19, v[2:5] offset:3072
	s_branch .LBB186_206
.LBB186_212:                            ;   in Loop: Header=BB186_209 Depth=2
	s_mov_b64 s[70:71], -1
                                        ; implicit-def: $vgpr28_vgpr29
	s_mov_b64 s[4:5], -1
	s_branch .LBB186_208
.LBB186_213:                            ;   in Loop: Header=BB186_18 Depth=1
	s_mov_b64 s[12:13], -1
	s_branch .LBB186_216
.LBB186_214:                            ;   in Loop: Header=BB186_18 Depth=1
	s_or_b64 exec, exec, s[12:13]
	s_andn2_b64 s[4:5], s[8:9], exec
	s_and_b64 s[8:9], s[54:55], exec
	s_or_b64 s[8:9], s[4:5], s[8:9]
.LBB186_215:                            ;   in Loop: Header=BB186_18 Depth=1
	s_or_b64 exec, exec, s[10:11]
	s_mov_b64 s[12:13], 0
	s_mov_b64 s[76:77], -1
.LBB186_216:                            ;   in Loop: Header=BB186_18 Depth=1
	s_orn2_b64 s[4:5], s[8:9], exec
.LBB186_217:                            ;   in Loop: Header=BB186_18 Depth=1
	s_or_b64 exec, exec, s[78:79]
	s_mov_b64 s[8:9], 0
	s_and_saveexec_b64 s[78:79], s[4:5]
	s_cbranch_execz .LBB186_282
; %bb.218:                              ;   in Loop: Header=BB186_18 Depth=1
	v_mov_b32_e32 v28, 1
	s_xor_b64 s[10:11], s[20:21], -1
	v_mov_b32_e32 v42, 1
	v_mov_b32_e32 v29, 0
	s_mov_b64 s[4:5], 0
	s_and_saveexec_b64 s[8:9], s[10:11]
	s_cbranch_execz .LBB186_227
; %bb.219:                              ;   in Loop: Header=BB186_18 Depth=1
	v_cmp_ge_u64_e32 vcc, s[44:45], v[30:31]
	s_mov_b64 s[20:21], s[12:13]
	s_and_saveexec_b64 s[4:5], vcc
	s_xor_b64 s[10:11], exec, s[4:5]
	s_cbranch_execz .LBB186_224
; %bb.220:                              ;   in Loop: Header=BB186_18 Depth=1
	s_lshl_b64 s[4:5], 2, s75
	v_and_b32_e32 v4, s62, v12
	v_or_b32_e32 v12, s4, v4
	ds_read_b64 v[4:5], v19 offset:5120
	v_and_b32_e32 v2, s63, v13
	v_or_b32_e32 v13, s5, v2
	v_or_b32_e32 v15, s19, v15
	;; [unrolled: 1-line block ×3, first 2 shown]
	s_waitcnt lgkmcnt(0)
	v_cmp_ne_u64_e32 vcc, 0, v[4:5]
	s_cbranch_vccnz .LBB186_224
; %bb.221:                              ;   in Loop: Header=BB186_18 Depth=1
	s_mov_b64 s[4:5], exec
	v_readlane_b32 s12, v45, 32
	v_readlane_b32 s13, v45, 33
	s_and_b64 s[12:13], s[4:5], s[12:13]
	s_mov_b64 exec, s[12:13]
; %bb.222:                              ;   in Loop: Header=BB186_18 Depth=1
	v_mov_b32_e32 v4, s44
	v_mov_b32_e32 v5, s45
	ds_write_b64 v19, v[4:5] offset:5128
; %bb.223:                              ;   in Loop: Header=BB186_18 Depth=1
	s_or_b64 exec, exec, s[4:5]
	s_waitcnt lgkmcnt(0)
	s_barrier
.LBB186_224:                            ;   in Loop: Header=BB186_18 Depth=1
	s_or_saveexec_b64 s[10:11], s[10:11]
	s_mov_b64 s[12:13], 0
	v_mov_b32_e32 v42, 8
	s_xor_b64 exec, exec, s[10:11]
; %bb.225:                              ;   in Loop: Header=BB186_18 Depth=1
	v_subrev_co_u32_e32 v30, vcc, s44, v30
	v_mov_b32_e32 v2, s45
	v_subb_co_u32_e32 v31, vcc, v31, v2, vcc
	v_mov_b32_e32 v42, 0
	s_mov_b64 s[12:13], exec
; %bb.226:                              ;   in Loop: Header=BB186_18 Depth=1
	s_or_b64 exec, exec, s[10:11]
	v_mov_b32_e32 v28, v30
	s_and_b64 s[4:5], s[12:13], exec
	v_mov_b32_e32 v29, v31
	s_mov_b64 s[12:13], s[20:21]
.LBB186_227:                            ;   in Loop: Header=BB186_18 Depth=1
	s_or_b64 exec, exec, s[8:9]
	s_mov_b64 s[8:9], -1
                                        ; implicit-def: $sgpr54_sgpr55
                                        ; implicit-def: $sgpr34_sgpr35
	s_and_saveexec_b64 s[20:21], s[4:5]
	s_cbranch_execz .LBB186_281
; %bb.228:                              ;   in Loop: Header=BB186_18 Depth=1
	s_cmp_eq_u64 s[46:47], 1
	v_cmp_eq_u64_e32 vcc, 1, v[28:29]
	s_cselect_b64 s[4:5], -1, 0
	v_writelane_b32 v45, s12, 62
	s_and_b64 s[8:9], s[4:5], vcc
	s_mov_b64 s[4:5], -1
	v_writelane_b32 v45, s13, 63
                                        ; implicit-def: $sgpr54_sgpr55
                                        ; implicit-def: $sgpr34_sgpr35
	s_mov_b64 s[10:11], exec
                                        ; implicit-def: $vgpr44 : SGPR spill to VGPR lane
	v_writelane_b32 v44, s8, 0
	v_writelane_b32 v44, s9, 1
	v_writelane_b32 v44, s10, 2
	s_and_b64 s[8:9], s[10:11], s[8:9]
	v_writelane_b32 v44, s11, 3
	s_mov_b64 exec, s[8:9]
	s_cbranch_execz .LBB186_269
; %bb.229:                              ;   in Loop: Header=BB186_18 Depth=1
	ds_read_b64 v[4:5], v19 offset:5120
	s_waitcnt lgkmcnt(0)
	s_barrier
	v_readfirstlane_b32 s34, v4
	v_readfirstlane_b32 s35, v5
	s_mov_b64 s[4:5], exec
	v_readlane_b32 s8, v45, 48
	v_readlane_b32 s9, v45, 49
	s_and_b64 s[8:9], s[4:5], s[8:9]
	s_mov_b64 exec, s[8:9]
; %bb.230:                              ;   in Loop: Header=BB186_18 Depth=1
	v_mov_b32_e32 v18, v19
	ds_write_b64 v37, v[18:19]
; %bb.231:                              ;   in Loop: Header=BB186_18 Depth=1
	s_or_b64 exec, exec, s[4:5]
	v_or_b32_e32 v13, s19, v13
	v_or_b32_e32 v12, s18, v12
	;; [unrolled: 1-line block ×4, first 2 shown]
	s_cmp_eq_u64 s[34:35], 0
	s_mov_b64 s[70:71], 0
	s_mov_b64 s[10:11], -1
	s_waitcnt lgkmcnt(0)
	s_barrier
                                        ; implicit-def: $vgpr10_vgpr11
	s_cbranch_scc1 .LBB186_250
; %bb.232:                              ;   in Loop: Header=BB186_18 Depth=1
	v_readlane_b32 s4, v45, 52
	s_add_u32 s12, s34, s4
	v_readlane_b32 s4, v45, 54
	s_addc_u32 s11, s35, s4
	s_mov_b32 s10, s65
	s_cmp_lg_u64 s[10:11], 0
	s_cbranch_scc0 .LBB186_236
; %bb.233:                              ;   in Loop: Header=BB186_18 Depth=1
	v_cvt_f32_u32_e32 v2, s67
	s_sub_u32 s8, 0, s67
	s_subb_u32 s9, 0, 0
	v_mac_f32_e32 v2, 0, v41
	v_rcp_f32_e32 v2, v2
	v_mul_f32_e32 v2, 0x5f7ffffc, v2
	v_mul_f32_e32 v4, 0x2f800000, v2
	v_trunc_f32_e32 v4, v4
	v_mac_f32_e32 v2, 0xcf800000, v4
	v_cvt_u32_f32_e32 v4, v4
	v_cvt_u32_f32_e32 v2, v2
	v_readfirstlane_b32 s10, v4
	v_readfirstlane_b32 s4, v2
	s_mul_i32 s5, s8, s10
	s_mul_hi_u32 s54, s8, s4
	s_mul_i32 s13, s9, s4
	s_add_i32 s5, s54, s5
	s_mul_i32 s55, s8, s4
	s_add_i32 s5, s5, s13
	s_mul_hi_u32 s54, s4, s55
	s_mul_i32 s64, s4, s5
	s_mul_hi_u32 s13, s4, s5
	s_add_u32 s54, s54, s64
	s_addc_u32 s13, 0, s13
	s_mul_hi_u32 s70, s10, s55
	s_mul_i32 s55, s10, s55
	s_add_u32 s54, s54, s55
	s_mul_hi_u32 s64, s10, s5
	s_addc_u32 s13, s13, s70
	s_addc_u32 s54, s64, 0
	s_mul_i32 s5, s10, s5
	s_add_u32 s5, s13, s5
	s_addc_u32 s13, 0, s54
	s_add_u32 s54, s4, s5
	s_cselect_b64 s[4:5], -1, 0
	s_cmp_lg_u64 s[4:5], 0
	s_addc_u32 s10, s10, s13
	s_mul_i32 s4, s8, s10
	s_mul_hi_u32 s5, s8, s54
	s_add_i32 s4, s5, s4
	s_mul_i32 s9, s9, s54
	s_add_i32 s4, s4, s9
	s_mul_i32 s8, s8, s54
	s_mul_hi_u32 s9, s10, s8
	s_mul_i32 s13, s10, s8
	s_mul_i32 s64, s54, s4
	s_mul_hi_u32 s8, s54, s8
	s_mul_hi_u32 s55, s54, s4
	s_add_u32 s8, s8, s64
	s_addc_u32 s55, 0, s55
	s_add_u32 s8, s8, s13
	s_mul_hi_u32 s5, s10, s4
	s_addc_u32 s8, s55, s9
	s_addc_u32 s5, s5, 0
	s_mul_i32 s4, s10, s4
	s_add_u32 s4, s8, s4
	s_addc_u32 s8, 0, s5
	s_add_u32 s9, s54, s4
	s_cselect_b64 s[4:5], -1, 0
	s_cmp_lg_u64 s[4:5], 0
	s_addc_u32 s4, s10, s8
	s_mul_i32 s8, s12, s4
	s_mul_hi_u32 s10, s12, s9
	s_mul_hi_u32 s5, s12, s4
	s_add_u32 s8, s10, s8
	s_addc_u32 s5, 0, s5
	s_mul_hi_u32 s13, s11, s9
	s_mul_i32 s9, s11, s9
	s_add_u32 s8, s8, s9
	s_mul_hi_u32 s10, s11, s4
	s_addc_u32 s5, s5, s13
	s_addc_u32 s8, s10, 0
	s_mul_i32 s4, s11, s4
	s_add_u32 s4, s5, s4
	s_addc_u32 s5, 0, s8
	s_mul_i32 s5, s67, s5
	s_mul_hi_u32 s8, s67, s4
	s_add_i32 s8, s8, s5
	s_mul_i32 s4, s67, s4
	s_sub_u32 s9, s12, s4
	s_cselect_b64 s[4:5], -1, 0
	s_cmp_lg_u64 s[4:5], 0
	s_subb_u32 s8, s11, s8
	s_sub_u32 s10, s9, s67
	s_cselect_b64 s[4:5], -1, 0
	s_cmp_lg_u64 s[4:5], 0
	s_subb_u32 s13, s8, 0
	;; [unrolled: 4-line block ×3, first 2 shown]
	s_cmp_ge_u32 s10, s67
	s_cselect_b32 s5, -1, 0
	s_cmp_eq_u32 s13, 0
	s_cselect_b32 s5, s5, -1
	s_cmp_lg_u32 s5, 0
	s_cselect_b32 s4, s4, s13
	s_cselect_b32 s10, s54, s10
	s_cmp_ge_u32 s9, s67
	s_cselect_b32 s5, -1, 0
	s_cmp_eq_u32 s8, 0
	s_cselect_b32 s5, s5, -1
	s_cmp_lg_u32 s5, 0
	s_cselect_b32 s5, s4, s8
	s_cselect_b32 s4, s10, s9
	s_mov_b64 s[8:9], 0
	s_branch .LBB186_237
.LBB186_234:                            ;   in Loop: Header=BB186_18 Depth=1
                                        ; implicit-def: $sgpr4_sgpr5
	s_branch .LBB186_186
.LBB186_235:                            ;   in Loop: Header=BB186_18 Depth=1
	v_readlane_b32 s35, v45, 53
                                        ; implicit-def: $sgpr4_sgpr5
	s_branch .LBB186_203
.LBB186_236:                            ;   in Loop: Header=BB186_18 Depth=1
	s_mov_b64 s[8:9], -1
                                        ; implicit-def: $sgpr4_sgpr5
.LBB186_237:                            ;   in Loop: Header=BB186_18 Depth=1
	s_andn2_b64 vcc, exec, s[8:9]
	s_cbranch_vccnz .LBB186_239
; %bb.238:                              ;   in Loop: Header=BB186_18 Depth=1
	v_cvt_f32_u32_e32 v2, s67
	s_sub_i32 s4, 0, s67
	v_rcp_iflag_f32_e32 v2, v2
	v_mul_f32_e32 v2, 0x4f7ffffe, v2
	v_cvt_u32_f32_e32 v2, v2
	v_readfirstlane_b32 s5, v2
	s_mul_i32 s4, s4, s5
	s_mul_hi_u32 s4, s5, s4
	s_add_i32 s5, s5, s4
	s_mul_hi_u32 s4, s12, s5
	s_mul_i32 s4, s4, s67
	s_sub_i32 s4, s12, s4
	s_sub_i32 s5, s4, s67
	s_cmp_ge_u32 s4, s67
	s_cselect_b32 s4, s5, s4
	s_sub_i32 s5, s4, s67
	s_cmp_ge_u32 s4, s67
	s_cselect_b32 s64, s5, s4
	s_mov_b64 s[4:5], s[64:65]
.LBB186_239:                            ;   in Loop: Header=BB186_18 Depth=1
	s_sub_u32 s12, s12, s4
	s_subb_u32 s13, s11, s5
	v_cmp_gt_u64_e32 vcc, s[12:13], v[0:1]
	s_mov_b64 s[10:11], 0
	s_mov_b64 s[8:9], 0
                                        ; implicit-def: $vgpr10_vgpr11
	s_and_saveexec_b64 s[70:71], vcc
	s_cbranch_execz .LBB186_249
; %bb.240:                              ;   in Loop: Header=BB186_18 Depth=1
	v_mov_b32_e32 v31, v1
	v_mov_b32_e32 v18, v36
	;; [unrolled: 1-line block ×3, first 2 shown]
                                        ; implicit-def: $sgpr54_sgpr55
	s_branch .LBB186_244
.LBB186_241:                            ;   in Loop: Header=BB186_244 Depth=2
	s_or_b64 exec, exec, s[4:5]
	s_waitcnt lgkmcnt(0)
	s_barrier
	ds_read_b128 v[8:11], v19 offset:3072
	s_waitcnt lgkmcnt(0)
	s_barrier
	v_cmp_neq_f64_e32 vcc, 0, v[8:9]
	s_cbranch_vccnz .LBB186_247
; %bb.242:                              ;   in Loop: Header=BB186_244 Depth=2
	v_add_co_u32_e32 v30, vcc, s67, v30
	v_addc_co_u32_e32 v31, vcc, 0, v31, vcc
	v_cmp_le_u64_e32 vcc, s[12:13], v[30:31]
	v_add_u32_e32 v18, s74, v18
	s_mov_b64 s[4:5], 0
	s_orn2_b64 vcc, vcc, exec
.LBB186_243:                            ;   in Loop: Header=BB186_244 Depth=2
	s_and_b64 vcc, exec, vcc
	s_or_b64 s[8:9], vcc, s[8:9]
	s_andn2_b64 s[54:55], s[54:55], exec
	s_and_b64 s[4:5], s[4:5], exec
	s_or_b64 s[54:55], s[54:55], s[4:5]
	s_andn2_b64 exec, exec, s[8:9]
	s_cbranch_execz .LBB186_248
.LBB186_244:                            ;   Parent Loop BB186_18 Depth=1
                                        ; =>  This Inner Loop Header: Depth=2
	v_cmp_gt_u64_e32 vcc, s[34:35], v[30:31]
	s_and_saveexec_b64 s[4:5], vcc
	s_cbranch_execz .LBB186_241
; %bb.245:                              ;   in Loop: Header=BB186_244 Depth=2
	ds_read_b64 v[4:5], v18
	s_waitcnt lgkmcnt(0)
	v_cmp_o_f64_e32 vcc, v[4:5], v[4:5]
	v_ashrrev_i32_e32 v2, 31, v5
	v_or_b32_e32 v8, 0x80000000, v2
	v_xor_b32_e32 v8, v8, v5
	v_xor_b32_e32 v2, v2, v4
	v_cndmask_b32_e32 v8, -1, v8, vcc
	v_cndmask_b32_e32 v2, -1, v2, vcc
	v_and_b32_e32 v9, v8, v15
	v_and_b32_e32 v8, v2, v14
	v_cmp_eq_u64_e32 vcc, v[8:9], v[12:13]
	s_and_b64 exec, exec, vcc
	s_cbranch_execz .LBB186_241
; %bb.246:                              ;   in Loop: Header=BB186_244 Depth=2
	v_mov_b32_e32 v2, v19
	ds_write_b128 v19, v[2:5] offset:3072
	s_branch .LBB186_241
.LBB186_247:                            ;   in Loop: Header=BB186_244 Depth=2
	s_mov_b64 vcc, -1
                                        ; implicit-def: $vgpr30_vgpr31
                                        ; implicit-def: $vgpr18
	s_mov_b64 s[4:5], -1
	s_branch .LBB186_243
.LBB186_248:                            ;   in Loop: Header=BB186_18 Depth=1
	s_or_b64 exec, exec, s[8:9]
	s_and_b64 s[8:9], s[54:55], exec
.LBB186_249:                            ;   in Loop: Header=BB186_18 Depth=1
	s_or_b64 exec, exec, s[70:71]
	s_mov_b64 s[70:71], s[8:9]
.LBB186_250:                            ;   in Loop: Header=BB186_18 Depth=1
	s_and_b64 vcc, exec, s[10:11]
	s_cbranch_vccz .LBB186_253
; %bb.251:                              ;   in Loop: Header=BB186_18 Depth=1
	s_mov_b32 s72, s65
	s_cmp_lg_u64 s[72:73], 0
	s_cbranch_scc0 .LBB186_254
; %bb.252:                              ;   in Loop: Header=BB186_18 Depth=1
	v_cvt_f32_u32_e32 v2, s67
	s_sub_u32 s8, 0, s67
	s_subb_u32 s9, 0, 0
	v_mac_f32_e32 v2, 0, v41
	v_rcp_f32_e32 v2, v2
	v_mul_f32_e32 v2, 0x5f7ffffc, v2
	v_mul_f32_e32 v4, 0x2f800000, v2
	v_trunc_f32_e32 v4, v4
	v_mac_f32_e32 v2, 0xcf800000, v4
	v_cvt_u32_f32_e32 v4, v4
	v_cvt_u32_f32_e32 v2, v2
	v_readfirstlane_b32 s10, v4
	v_readfirstlane_b32 s4, v2
	s_mul_i32 s5, s8, s10
	s_mul_hi_u32 s12, s8, s4
	s_mul_i32 s11, s9, s4
	s_add_i32 s5, s12, s5
	s_mul_i32 s13, s8, s4
	s_add_i32 s5, s5, s11
	s_mul_hi_u32 s12, s4, s13
	s_mul_i32 s34, s4, s5
	s_mul_hi_u32 s11, s4, s5
	s_add_u32 s12, s12, s34
	s_addc_u32 s11, 0, s11
	s_mul_hi_u32 s35, s10, s13
	s_mul_i32 s13, s10, s13
	s_add_u32 s12, s12, s13
	s_mul_hi_u32 s34, s10, s5
	s_addc_u32 s11, s11, s35
	s_addc_u32 s12, s34, 0
	s_mul_i32 s5, s10, s5
	s_add_u32 s5, s11, s5
	s_addc_u32 s11, 0, s12
	s_add_u32 s12, s4, s5
	s_cselect_b64 s[4:5], -1, 0
	s_cmp_lg_u64 s[4:5], 0
	s_addc_u32 s10, s10, s11
	s_mul_i32 s4, s8, s10
	s_mul_hi_u32 s5, s8, s12
	s_add_i32 s4, s5, s4
	s_mul_i32 s9, s9, s12
	s_add_i32 s4, s4, s9
	s_mul_i32 s8, s8, s12
	s_mul_hi_u32 s9, s10, s8
	s_mul_i32 s11, s10, s8
	s_mul_i32 s34, s12, s4
	s_mul_hi_u32 s8, s12, s8
	s_mul_hi_u32 s13, s12, s4
	s_add_u32 s8, s8, s34
	s_addc_u32 s13, 0, s13
	s_add_u32 s8, s8, s11
	s_mul_hi_u32 s5, s10, s4
	s_addc_u32 s8, s13, s9
	s_addc_u32 s5, s5, 0
	s_mul_i32 s4, s10, s4
	s_add_u32 s4, s8, s4
	s_addc_u32 s8, 0, s5
	s_add_u32 s9, s12, s4
	s_cselect_b64 s[4:5], -1, 0
	s_cmp_lg_u64 s[4:5], 0
	s_addc_u32 s4, s10, s8
	v_readlane_b32 s13, v45, 53
	s_mul_i32 s8, s13, s4
	s_mul_hi_u32 s10, s13, s9
	s_mul_hi_u32 s5, s13, s4
	s_add_u32 s8, s10, s8
	s_addc_u32 s5, 0, s5
	s_mul_hi_u32 s11, s73, s9
	s_mul_i32 s9, s73, s9
	s_add_u32 s8, s8, s9
	s_mul_hi_u32 s10, s73, s4
	s_addc_u32 s5, s5, s11
	s_addc_u32 s8, s10, 0
	s_mul_i32 s4, s73, s4
	s_add_u32 s4, s5, s4
	s_addc_u32 s5, 0, s8
	s_mul_i32 s5, s67, s5
	s_mul_hi_u32 s8, s67, s4
	s_add_i32 s8, s8, s5
	s_mul_i32 s4, s67, s4
	s_sub_u32 s9, s13, s4
	s_cselect_b64 s[4:5], -1, 0
	s_cmp_lg_u64 s[4:5], 0
	s_subb_u32 s8, s73, s8
	s_sub_u32 s10, s9, s67
	s_cselect_b64 s[4:5], -1, 0
	s_cmp_lg_u64 s[4:5], 0
	s_subb_u32 s11, s8, 0
	;; [unrolled: 4-line block ×3, first 2 shown]
	s_cmp_ge_u32 s10, s67
	s_cselect_b32 s5, -1, 0
	s_cmp_eq_u32 s11, 0
	s_cselect_b32 s5, s5, -1
	s_cmp_lg_u32 s5, 0
	s_cselect_b32 s4, s4, s11
	s_cselect_b32 s10, s12, s10
	s_cmp_ge_u32 s9, s67
	s_cselect_b32 s5, -1, 0
	s_cmp_eq_u32 s8, 0
	s_cselect_b32 s5, s5, -1
	s_cmp_lg_u32 s5, 0
	s_cselect_b32 s5, s4, s8
	s_cselect_b32 s4, s10, s9
	s_mov_b64 s[8:9], 0
	s_branch .LBB186_255
.LBB186_253:                            ;   in Loop: Header=BB186_18 Depth=1
	s_mov_b64 s[34:35], -1
	s_mov_b64 s[54:55], 0
	s_branch .LBB186_268
.LBB186_254:                            ;   in Loop: Header=BB186_18 Depth=1
	s_mov_b64 s[8:9], -1
	v_readlane_b32 s13, v45, 53
                                        ; implicit-def: $sgpr4_sgpr5
.LBB186_255:                            ;   in Loop: Header=BB186_18 Depth=1
	s_andn2_b64 vcc, exec, s[8:9]
	s_cbranch_vccnz .LBB186_257
; %bb.256:                              ;   in Loop: Header=BB186_18 Depth=1
	v_cvt_f32_u32_e32 v2, s67
	s_sub_i32 s4, 0, s67
	v_rcp_iflag_f32_e32 v2, v2
	v_mul_f32_e32 v2, 0x4f7ffffe, v2
	v_cvt_u32_f32_e32 v2, v2
	v_readfirstlane_b32 s5, v2
	s_mul_i32 s4, s4, s5
	s_mul_hi_u32 s4, s5, s4
	s_add_i32 s5, s5, s4
	s_mul_hi_u32 s4, s13, s5
	s_mul_i32 s4, s4, s67
	s_sub_i32 s4, s13, s4
	s_sub_i32 s5, s4, s67
	s_cmp_ge_u32 s4, s67
	s_cselect_b32 s4, s5, s4
	s_sub_i32 s5, s4, s67
	s_cmp_ge_u32 s4, s67
	s_cselect_b32 s64, s5, s4
	s_mov_b64 s[4:5], s[64:65]
.LBB186_257:                            ;   in Loop: Header=BB186_18 Depth=1
	s_sub_u32 s10, s13, s4
	s_subb_u32 s11, s73, s5
	v_cmp_gt_u64_e32 vcc, s[10:11], v[0:1]
                                        ; implicit-def: $vgpr10_vgpr11
	s_and_saveexec_b64 s[8:9], vcc
	s_cbranch_execz .LBB186_267
; %bb.258:                              ;   in Loop: Header=BB186_18 Depth=1
	v_mov_b32_e32 v31, v1
	s_mov_b64 s[12:13], 0
	v_mov_b32_e32 v30, v0
                                        ; implicit-def: $sgpr34_sgpr35
	s_branch .LBB186_262
.LBB186_259:                            ;   in Loop: Header=BB186_262 Depth=2
	s_or_b64 exec, exec, s[54:55]
	s_waitcnt lgkmcnt(0)
	s_barrier
	ds_read_b128 v[8:11], v19 offset:3072
	s_waitcnt lgkmcnt(0)
	s_barrier
	v_cmp_eq_f64_e32 vcc, 0, v[8:9]
	s_cbranch_vccz .LBB186_265
; %bb.260:                              ;   in Loop: Header=BB186_262 Depth=2
	v_add_co_u32_e32 v30, vcc, s67, v30
	v_addc_co_u32_e32 v31, vcc, 0, v31, vcc
	v_cmp_le_u64_e32 vcc, s[10:11], v[30:31]
	s_mov_b64 s[4:5], 0
	s_orn2_b64 s[54:55], vcc, exec
.LBB186_261:                            ;   in Loop: Header=BB186_262 Depth=2
	s_and_b64 s[54:55], exec, s[54:55]
	s_or_b64 s[12:13], s[54:55], s[12:13]
	s_andn2_b64 s[34:35], s[34:35], exec
	s_and_b64 s[4:5], s[4:5], exec
	s_or_b64 s[34:35], s[34:35], s[4:5]
	s_andn2_b64 exec, exec, s[12:13]
	s_cbranch_execz .LBB186_266
.LBB186_262:                            ;   Parent Loop BB186_18 Depth=1
                                        ; =>  This Inner Loop Header: Depth=2
	v_cmp_gt_u64_e32 vcc, s[24:25], v[30:31]
	s_and_saveexec_b64 s[54:55], vcc
	s_cbranch_execz .LBB186_259
; %bb.263:                              ;   in Loop: Header=BB186_262 Depth=2
	v_mul_lo_u32 v2, v31, s22
	v_mul_lo_u32 v8, v30, s23
	v_mad_u64_u32 v[4:5], s[4:5], v30, s22, 0
	v_add3_u32 v5, v5, v8, v2
	v_lshlrev_b64 v[4:5], 3, v[4:5]
	v_mov_b32_e32 v2, s66
	v_add_co_u32_e32 v4, vcc, s33, v4
	v_addc_co_u32_e32 v5, vcc, v2, v5, vcc
	global_load_dwordx2 v[4:5], v[4:5], off
	s_waitcnt vmcnt(0)
	v_cmp_o_f64_e32 vcc, v[4:5], v[4:5]
	v_ashrrev_i32_e32 v2, 31, v5
	v_or_b32_e32 v8, 0x80000000, v2
	v_xor_b32_e32 v8, v8, v5
	v_xor_b32_e32 v2, v2, v4
	v_cndmask_b32_e32 v8, -1, v8, vcc
	v_cndmask_b32_e32 v2, -1, v2, vcc
	v_and_b32_e32 v9, v8, v15
	v_and_b32_e32 v8, v2, v14
	v_cmp_eq_u64_e32 vcc, v[8:9], v[12:13]
	s_and_b64 exec, exec, vcc
	s_cbranch_execz .LBB186_259
; %bb.264:                              ;   in Loop: Header=BB186_262 Depth=2
	v_mov_b32_e32 v2, v19
	ds_write_b128 v19, v[2:5] offset:3072
	s_branch .LBB186_259
.LBB186_265:                            ;   in Loop: Header=BB186_262 Depth=2
	s_mov_b64 s[54:55], -1
                                        ; implicit-def: $vgpr30_vgpr31
	s_mov_b64 s[4:5], -1
	s_branch .LBB186_261
.LBB186_266:                            ;   in Loop: Header=BB186_18 Depth=1
	s_or_b64 exec, exec, s[12:13]
	s_andn2_b64 s[4:5], s[70:71], exec
	s_and_b64 s[10:11], s[34:35], exec
	s_or_b64 s[70:71], s[4:5], s[10:11]
.LBB186_267:                            ;   in Loop: Header=BB186_18 Depth=1
	s_or_b64 exec, exec, s[8:9]
	s_mov_b64 s[34:35], 0
	s_mov_b64 s[54:55], -1
.LBB186_268:                            ;   in Loop: Header=BB186_18 Depth=1
	s_orn2_b64 s[4:5], s[70:71], exec
.LBB186_269:                            ;   in Loop: Header=BB186_18 Depth=1
	v_readlane_b32 s8, v44, 2
	v_readlane_b32 s9, v44, 3
	s_or_b64 exec, exec, s[8:9]
	s_mov_b64 s[8:9], 0
	s_and_saveexec_b64 s[10:11], s[4:5]
	v_readlane_b32 s12, v45, 62
	v_readlane_b32 s13, v45, 63
	s_cbranch_execz .LBB186_280
; %bb.270:                              ;   in Loop: Header=BB186_18 Depth=1
	v_readlane_b32 s4, v44, 0
	v_readlane_b32 s5, v44, 1
	v_mov_b32_e32 v4, 1
	s_xor_b64 s[4:5], s[4:5], -1
	v_mov_b32_e32 v5, 0
	v_mov_b32_e32 v42, 1
	s_and_saveexec_b64 s[8:9], s[4:5]
	s_cbranch_execz .LBB186_279
; %bb.271:                              ;   in Loop: Header=BB186_18 Depth=1
	v_cmp_ge_u64_e32 vcc, s[46:47], v[28:29]
	s_mov_b64 s[70:71], s[54:55]
	s_mov_b64 s[54:55], s[34:35]
	s_and_saveexec_b64 s[4:5], vcc
	s_xor_b64 s[12:13], exec, s[4:5]
	s_cbranch_execz .LBB186_276
; %bb.272:                              ;   in Loop: Header=BB186_18 Depth=1
	ds_read_b64 v[4:5], v19 offset:5120
	v_or_b32_e32 v13, s19, v13
	v_or_b32_e32 v12, s18, v12
	;; [unrolled: 1-line block ×4, first 2 shown]
	s_waitcnt lgkmcnt(0)
	v_cmp_ne_u64_e32 vcc, 0, v[4:5]
	s_cbranch_vccnz .LBB186_276
; %bb.273:                              ;   in Loop: Header=BB186_18 Depth=1
	s_mov_b64 s[4:5], exec
	v_readlane_b32 s34, v45, 32
	v_readlane_b32 s35, v45, 33
	s_and_b64 s[34:35], s[4:5], s[34:35]
	s_mov_b64 exec, s[34:35]
; %bb.274:                              ;   in Loop: Header=BB186_18 Depth=1
	v_mov_b32_e32 v4, s46
	v_mov_b32_e32 v5, s47
	ds_write_b64 v19, v[4:5] offset:5128
; %bb.275:                              ;   in Loop: Header=BB186_18 Depth=1
	s_or_b64 exec, exec, s[4:5]
	s_waitcnt lgkmcnt(0)
	s_barrier
.LBB186_276:                            ;   in Loop: Header=BB186_18 Depth=1
	s_andn2_saveexec_b64 s[4:5], s[12:13]
; %bb.277:                              ;   in Loop: Header=BB186_18 Depth=1
	v_mov_b32_e32 v2, s47
	v_subrev_co_u32_e32 v28, vcc, s46, v28
	v_subb_co_u32_e32 v29, vcc, v29, v2, vcc
; %bb.278:                              ;   in Loop: Header=BB186_18 Depth=1
	s_or_b64 exec, exec, s[4:5]
	v_mov_b32_e32 v4, v28
	v_readlane_b32 s12, v45, 62
	v_mov_b32_e32 v42, 8
	v_mov_b32_e32 v5, v29
	v_readlane_b32 s13, v45, 63
	s_mov_b64 s[34:35], s[54:55]
	s_mov_b64 s[54:55], s[70:71]
.LBB186_279:                            ;   in Loop: Header=BB186_18 Depth=1
	s_or_b64 exec, exec, s[8:9]
	v_mov_b32_e32 v29, v5
	s_mov_b64 s[8:9], exec
	v_mov_b32_e32 v28, v4
.LBB186_280:                            ;   in Loop: Header=BB186_18 Depth=1
	s_or_b64 exec, exec, s[10:11]
	s_orn2_b64 s[8:9], s[8:9], exec
.LBB186_281:                            ;   in Loop: Header=BB186_18 Depth=1
	s_or_b64 exec, exec, s[20:21]
	s_andn2_b64 s[4:5], s[76:77], exec
	s_and_b64 s[10:11], s[54:55], exec
	s_or_b64 s[76:77], s[4:5], s[10:11]
	s_andn2_b64 s[4:5], s[12:13], exec
	s_and_b64 s[10:11], s[34:35], exec
	v_mov_b32_e32 v31, v29
	s_or_b64 s[12:13], s[4:5], s[10:11]
	s_and_b64 s[8:9], s[8:9], exec
	v_mov_b32_e32 v30, v28
.LBB186_282:                            ;   in Loop: Header=BB186_18 Depth=1
	s_or_b64 exec, exec, s[78:79]
	s_orn2_b64 s[8:9], s[8:9], exec
.LBB186_283:                            ;   in Loop: Header=BB186_18 Depth=1
	s_or_b64 exec, exec, s[48:49]
	s_andn2_b64 s[4:5], s[50:51], exec
	s_and_b64 s[10:11], s[76:77], exec
	s_or_b64 s[50:51], s[4:5], s[10:11]
	s_andn2_b64 s[4:5], s[38:39], exec
	s_and_b64 s[10:11], s[12:13], exec
	v_mov_b32_e32 v28, v30
	s_or_b64 s[38:39], s[4:5], s[10:11]
	s_and_b64 s[8:9], s[8:9], exec
	v_mov_b32_e32 v29, v31
.LBB186_284:                            ;   in Loop: Header=BB186_18 Depth=1
	s_or_b64 exec, exec, s[52:53]
	s_orn2_b64 s[4:5], s[8:9], exec
.LBB186_285:                            ;   in Loop: Header=BB186_18 Depth=1
	s_or_b64 exec, exec, s[6:7]
	s_mov_b64 s[6:7], 0
	s_mov_b64 s[8:9], 0
	s_and_saveexec_b64 s[10:11], s[4:5]
	s_xor_b64 s[4:5], exec, s[10:11]
; %bb.286:                              ;   in Loop: Header=BB186_18 Depth=1
	v_cmp_eq_u32_e32 vcc, 8, v42
	v_cmp_ne_u32_e64 s[6:7], 8, v42
	s_and_b64 s[8:9], s[6:7], exec
	s_and_b64 s[6:7], vcc, exec
; %bb.287:                              ;   in Loop: Header=BB186_18 Depth=1
	s_or_b64 exec, exec, s[4:5]
	s_andn2_b64 s[4:5], s[28:29], exec
	s_and_b64 s[10:11], s[50:51], exec
	s_or_b64 s[28:29], s[4:5], s[10:11]
	s_andn2_b64 s[2:3], s[2:3], exec
	s_and_b64 s[4:5], s[38:39], exec
	s_or_b64 s[2:3], s[2:3], s[4:5]
	s_and_b64 s[50:51], s[8:9], exec
	s_and_b64 s[52:53], s[6:7], exec
.LBB186_288:                            ;   in Loop: Header=BB186_18 Depth=1
	s_or_b64 exec, exec, s[36:37]
.LBB186_289:                            ;   in Loop: Header=BB186_18 Depth=1
	s_and_b64 vcc, exec, s[30:31]
	s_cbranch_vccz .LBB186_306
; %bb.290:                              ;   in Loop: Header=BB186_18 Depth=1
	s_cmp_eq_u64 s[46:47], 1
	s_cselect_b64 s[2:3], -1, 0
	s_and_b64 s[6:7], s[2:3], s[14:15]
	s_mov_b64 s[4:5], -1
                                        ; implicit-def: $sgpr14_sgpr15
                                        ; implicit-def: $sgpr40_sgpr41
	s_and_saveexec_b64 s[2:3], s[6:7]
	s_cbranch_execz .LBB186_325
; %bb.291:                              ;   in Loop: Header=BB186_18 Depth=1
	ds_read_b64 v[4:5], v19 offset:5120
	s_waitcnt lgkmcnt(0)
	s_barrier
	v_readfirstlane_b32 s10, v4
	v_readfirstlane_b32 s11, v5
	s_mov_b64 s[4:5], exec
	v_readlane_b32 s8, v45, 48
	v_readlane_b32 s9, v45, 49
	s_and_b64 s[8:9], s[4:5], s[8:9]
	s_mov_b64 exec, s[8:9]
; %bb.292:                              ;   in Loop: Header=BB186_18 Depth=1
	v_mov_b32_e32 v18, v19
	ds_write_b64 v37, v[18:19]
; %bb.293:                              ;   in Loop: Header=BB186_18 Depth=1
	s_or_b64 exec, exec, s[4:5]
	v_or_b32_e32 v23, s19, v23
	v_or_b32_e32 v22, s18, v22
	;; [unrolled: 1-line block ×4, first 2 shown]
	s_mov_b64 s[40:41], -1
	s_mov_b64 s[14:15], 0
	s_cmp_eq_u64 s[10:11], 0
	s_mov_b64 s[8:9], 0
	s_mov_b64 s[20:21], -1
	s_waitcnt lgkmcnt(0)
	s_barrier
                                        ; implicit-def: $vgpr6_vgpr7
	s_cbranch_scc1 .LBB186_309
; %bb.294:                              ;   in Loop: Header=BB186_18 Depth=1
	v_readlane_b32 s4, v45, 52
	s_add_u32 s20, s10, s4
	v_readlane_b32 s4, v45, 54
	s_addc_u32 s9, s11, s4
	s_mov_b32 s8, s65
	s_cmp_lg_u64 s[8:9], 0
	s_cbranch_scc0 .LBB186_352
; %bb.295:                              ;   in Loop: Header=BB186_18 Depth=1
	v_cvt_f32_u32_e32 v2, s67
	s_sub_u32 s8, 0, s67
	s_subb_u32 s12, 0, 0
	v_mac_f32_e32 v2, 0, v41
	v_rcp_f32_e32 v2, v2
	v_mul_f32_e32 v2, 0x5f7ffffc, v2
	v_mul_f32_e32 v4, 0x2f800000, v2
	v_trunc_f32_e32 v4, v4
	v_mac_f32_e32 v2, 0xcf800000, v4
	v_cvt_u32_f32_e32 v4, v4
	v_cvt_u32_f32_e32 v2, v2
	v_readfirstlane_b32 s13, v4
	v_readfirstlane_b32 s4, v2
	s_mul_i32 s5, s8, s13
	s_mul_hi_u32 s28, s8, s4
	s_mul_i32 s21, s12, s4
	s_add_i32 s5, s28, s5
	s_mul_i32 s29, s8, s4
	s_add_i32 s5, s5, s21
	s_mul_hi_u32 s28, s4, s29
	s_mul_i32 s30, s4, s5
	s_mul_hi_u32 s21, s4, s5
	s_add_u32 s28, s28, s30
	s_addc_u32 s21, 0, s21
	s_mul_hi_u32 s31, s13, s29
	s_mul_i32 s29, s13, s29
	s_add_u32 s28, s28, s29
	s_mul_hi_u32 s30, s13, s5
	s_addc_u32 s21, s21, s31
	s_addc_u32 s28, s30, 0
	s_mul_i32 s5, s13, s5
	s_add_u32 s5, s21, s5
	s_addc_u32 s21, 0, s28
	s_add_u32 s28, s4, s5
	s_cselect_b64 s[4:5], -1, 0
	s_cmp_lg_u64 s[4:5], 0
	s_addc_u32 s13, s13, s21
	s_mul_i32 s4, s8, s13
	s_mul_hi_u32 s5, s8, s28
	s_add_i32 s4, s5, s4
	s_mul_i32 s12, s12, s28
	s_add_i32 s4, s4, s12
	s_mul_i32 s8, s8, s28
	s_mul_hi_u32 s12, s13, s8
	s_mul_i32 s21, s13, s8
	s_mul_i32 s30, s28, s4
	s_mul_hi_u32 s8, s28, s8
	s_mul_hi_u32 s29, s28, s4
	s_add_u32 s8, s8, s30
	s_addc_u32 s29, 0, s29
	s_add_u32 s8, s8, s21
	s_mul_hi_u32 s5, s13, s4
	s_addc_u32 s8, s29, s12
	s_addc_u32 s5, s5, 0
	s_mul_i32 s4, s13, s4
	s_add_u32 s4, s8, s4
	s_addc_u32 s8, 0, s5
	s_add_u32 s12, s28, s4
	s_cselect_b64 s[4:5], -1, 0
	s_cmp_lg_u64 s[4:5], 0
	s_addc_u32 s4, s13, s8
	s_mul_i32 s8, s20, s4
	s_mul_hi_u32 s13, s20, s12
	s_mul_hi_u32 s5, s20, s4
	s_add_u32 s8, s13, s8
	s_addc_u32 s5, 0, s5
	s_mul_hi_u32 s21, s9, s12
	s_mul_i32 s12, s9, s12
	s_add_u32 s8, s8, s12
	s_mul_hi_u32 s13, s9, s4
	s_addc_u32 s5, s5, s21
	s_addc_u32 s8, s13, 0
	s_mul_i32 s4, s9, s4
	s_add_u32 s4, s5, s4
	s_addc_u32 s5, 0, s8
	s_mul_i32 s5, s67, s5
	s_mul_hi_u32 s8, s67, s4
	s_add_i32 s8, s8, s5
	s_mul_i32 s4, s67, s4
	s_sub_u32 s12, s20, s4
	s_cselect_b64 s[4:5], -1, 0
	s_cmp_lg_u64 s[4:5], 0
	s_subb_u32 s8, s9, s8
	s_sub_u32 s13, s12, s67
	s_cselect_b64 s[4:5], -1, 0
	s_cmp_lg_u64 s[4:5], 0
	s_subb_u32 s21, s8, 0
	;; [unrolled: 4-line block ×3, first 2 shown]
	s_cmp_ge_u32 s13, s67
	s_cselect_b32 s5, -1, 0
	s_cmp_eq_u32 s21, 0
	s_cselect_b32 s5, s5, -1
	s_cmp_lg_u32 s5, 0
	s_cselect_b32 s4, s4, s21
	s_cselect_b32 s13, s28, s13
	s_cmp_ge_u32 s12, s67
	s_cselect_b32 s5, -1, 0
	s_cmp_eq_u32 s8, 0
	s_cselect_b32 s5, s5, -1
	s_cmp_lg_u32 s5, 0
	s_cselect_b32 s5, s4, s8
	s_cselect_b32 s4, s13, s12
	s_cbranch_execnz .LBB186_297
.LBB186_296:                            ;   in Loop: Header=BB186_18 Depth=1
	v_cvt_f32_u32_e32 v2, s67
	s_sub_i32 s4, 0, s67
	v_rcp_iflag_f32_e32 v2, v2
	v_mul_f32_e32 v2, 0x4f7ffffe, v2
	v_cvt_u32_f32_e32 v2, v2
	v_readfirstlane_b32 s5, v2
	s_mul_i32 s4, s4, s5
	s_mul_hi_u32 s4, s5, s4
	s_add_i32 s5, s5, s4
	s_mul_hi_u32 s4, s20, s5
	s_mul_i32 s4, s4, s67
	s_sub_i32 s4, s20, s4
	s_sub_i32 s5, s4, s67
	s_cmp_ge_u32 s4, s67
	s_cselect_b32 s4, s5, s4
	s_sub_i32 s5, s4, s67
	s_cmp_ge_u32 s4, s67
	s_cselect_b32 s64, s5, s4
	s_mov_b64 s[4:5], s[64:65]
.LBB186_297:                            ;   in Loop: Header=BB186_18 Depth=1
	s_sub_u32 s30, s20, s4
	s_subb_u32 s31, s9, s5
	v_cmp_gt_u64_e32 vcc, s[30:31], v[0:1]
	s_mov_b64 s[20:21], 0
	s_mov_b64 s[8:9], 0
                                        ; implicit-def: $vgpr6_vgpr7
	s_and_saveexec_b64 s[28:29], vcc
	s_cbranch_execz .LBB186_308
; %bb.298:                              ;   in Loop: Header=BB186_18 Depth=1
	v_mov_b32_e32 v9, v1
	v_mov_b32_e32 v10, v36
	;; [unrolled: 1-line block ×3, first 2 shown]
                                        ; implicit-def: $sgpr12_sgpr13
	s_branch .LBB186_302
.LBB186_299:                            ;   in Loop: Header=BB186_302 Depth=2
	s_or_b64 exec, exec, s[4:5]
	s_waitcnt lgkmcnt(0)
	s_barrier
	ds_read_b128 v[4:7], v19 offset:3072
	s_waitcnt lgkmcnt(0)
	s_barrier
	v_cmp_neq_f64_e32 vcc, 0, v[4:5]
	s_cbranch_vccnz .LBB186_305
; %bb.300:                              ;   in Loop: Header=BB186_302 Depth=2
	v_add_co_u32_e32 v8, vcc, s67, v8
	v_addc_co_u32_e32 v9, vcc, 0, v9, vcc
	v_cmp_le_u64_e32 vcc, s[30:31], v[8:9]
	v_add_u32_e32 v10, s74, v10
	s_mov_b64 s[4:5], 0
	s_orn2_b64 s[34:35], vcc, exec
.LBB186_301:                            ;   in Loop: Header=BB186_302 Depth=2
	s_and_b64 s[34:35], exec, s[34:35]
	s_or_b64 s[8:9], s[34:35], s[8:9]
	s_andn2_b64 s[12:13], s[12:13], exec
	s_and_b64 s[4:5], s[4:5], exec
	s_or_b64 s[12:13], s[12:13], s[4:5]
	s_andn2_b64 exec, exec, s[8:9]
	s_cbranch_execz .LBB186_307
.LBB186_302:                            ;   Parent Loop BB186_18 Depth=1
                                        ; =>  This Inner Loop Header: Depth=2
	v_cmp_gt_u64_e32 vcc, s[10:11], v[8:9]
	s_and_saveexec_b64 s[4:5], vcc
	s_cbranch_execz .LBB186_299
; %bb.303:                              ;   in Loop: Header=BB186_302 Depth=2
	ds_read_b64 v[4:5], v10
	s_waitcnt lgkmcnt(0)
	v_cmp_o_f64_e32 vcc, v[4:5], v[4:5]
	v_ashrrev_i32_e32 v2, 31, v5
	v_or_b32_e32 v6, 0x80000000, v2
	v_xor_b32_e32 v6, v6, v5
	v_xor_b32_e32 v2, v2, v4
	v_cndmask_b32_e32 v6, -1, v6, vcc
	v_cndmask_b32_e32 v2, -1, v2, vcc
	v_and_b32_e32 v7, v6, v25
	v_and_b32_e32 v6, v2, v24
	v_cmp_eq_u64_e32 vcc, v[6:7], v[22:23]
	s_and_b64 exec, exec, vcc
	s_cbranch_execz .LBB186_299
; %bb.304:                              ;   in Loop: Header=BB186_302 Depth=2
	v_mov_b32_e32 v2, v19
	ds_write_b128 v19, v[2:5] offset:3072
	s_branch .LBB186_299
.LBB186_305:                            ;   in Loop: Header=BB186_302 Depth=2
	s_mov_b64 s[34:35], -1
                                        ; implicit-def: $vgpr8_vgpr9
                                        ; implicit-def: $vgpr10
	s_mov_b64 s[4:5], -1
	s_branch .LBB186_301
.LBB186_306:                            ;   in Loop: Header=BB186_18 Depth=1
	v_mov_b32_e32 v23, v13
	v_mov_b32_e32 v25, v15
	;; [unrolled: 1-line block ×3, first 2 shown]
	s_mov_b64 s[14:15], 0
	v_mov_b32_e32 v22, v12
	v_mov_b32_e32 v24, v14
	;; [unrolled: 1-line block ×3, first 2 shown]
	s_and_saveexec_b64 s[4:5], s[52:53]
	s_cbranch_execnz .LBB186_490
	s_branch .LBB186_491
.LBB186_307:                            ;   in Loop: Header=BB186_18 Depth=1
	s_or_b64 exec, exec, s[8:9]
	s_and_b64 s[8:9], s[12:13], exec
.LBB186_308:                            ;   in Loop: Header=BB186_18 Depth=1
	s_or_b64 exec, exec, s[28:29]
.LBB186_309:                            ;   in Loop: Header=BB186_18 Depth=1
	s_and_b64 vcc, exec, s[20:21]
	s_cbranch_vccz .LBB186_324
; %bb.310:                              ;   in Loop: Header=BB186_18 Depth=1
	s_mov_b32 s72, s65
	s_cmp_lg_u64 s[72:73], 0
	s_cbranch_scc0 .LBB186_353
; %bb.311:                              ;   in Loop: Header=BB186_18 Depth=1
	v_cvt_f32_u32_e32 v2, s67
	s_sub_u32 s10, 0, s67
	s_subb_u32 s11, 0, 0
	v_mac_f32_e32 v2, 0, v41
	v_rcp_f32_e32 v2, v2
	v_mul_f32_e32 v2, 0x5f7ffffc, v2
	v_mul_f32_e32 v4, 0x2f800000, v2
	v_trunc_f32_e32 v4, v4
	v_mac_f32_e32 v2, 0xcf800000, v4
	v_cvt_u32_f32_e32 v4, v4
	v_cvt_u32_f32_e32 v2, v2
	v_readfirstlane_b32 s12, v4
	v_readfirstlane_b32 s4, v2
	s_mul_i32 s5, s10, s12
	s_mul_hi_u32 s14, s10, s4
	s_mul_i32 s13, s11, s4
	s_add_i32 s5, s14, s5
	s_mul_i32 s15, s10, s4
	s_add_i32 s5, s5, s13
	s_mul_hi_u32 s14, s4, s15
	s_mul_i32 s20, s4, s5
	s_mul_hi_u32 s13, s4, s5
	s_add_u32 s14, s14, s20
	s_addc_u32 s13, 0, s13
	s_mul_hi_u32 s21, s12, s15
	s_mul_i32 s15, s12, s15
	s_add_u32 s14, s14, s15
	s_mul_hi_u32 s20, s12, s5
	s_addc_u32 s13, s13, s21
	s_addc_u32 s14, s20, 0
	s_mul_i32 s5, s12, s5
	s_add_u32 s5, s13, s5
	s_addc_u32 s13, 0, s14
	s_add_u32 s14, s4, s5
	s_cselect_b64 s[4:5], -1, 0
	s_cmp_lg_u64 s[4:5], 0
	s_addc_u32 s12, s12, s13
	s_mul_i32 s4, s10, s12
	s_mul_hi_u32 s5, s10, s14
	s_add_i32 s4, s5, s4
	s_mul_i32 s11, s11, s14
	s_add_i32 s4, s4, s11
	s_mul_i32 s10, s10, s14
	s_mul_hi_u32 s11, s12, s10
	s_mul_i32 s13, s12, s10
	s_mul_i32 s20, s14, s4
	s_mul_hi_u32 s10, s14, s10
	s_mul_hi_u32 s15, s14, s4
	s_add_u32 s10, s10, s20
	s_addc_u32 s15, 0, s15
	s_add_u32 s10, s10, s13
	s_mul_hi_u32 s5, s12, s4
	s_addc_u32 s10, s15, s11
	s_addc_u32 s5, s5, 0
	s_mul_i32 s4, s12, s4
	s_add_u32 s4, s10, s4
	s_addc_u32 s10, 0, s5
	s_add_u32 s11, s14, s4
	s_cselect_b64 s[4:5], -1, 0
	s_cmp_lg_u64 s[4:5], 0
	s_addc_u32 s4, s12, s10
	v_readlane_b32 s15, v45, 53
	s_mul_i32 s10, s15, s4
	s_mul_hi_u32 s12, s15, s11
	s_mul_hi_u32 s5, s15, s4
	s_add_u32 s10, s12, s10
	s_addc_u32 s5, 0, s5
	s_mul_hi_u32 s13, s73, s11
	s_mul_i32 s11, s73, s11
	s_add_u32 s10, s10, s11
	s_mul_hi_u32 s12, s73, s4
	s_addc_u32 s5, s5, s13
	s_addc_u32 s10, s12, 0
	s_mul_i32 s4, s73, s4
	s_add_u32 s4, s5, s4
	s_addc_u32 s5, 0, s10
	s_mul_i32 s5, s67, s5
	s_mul_hi_u32 s10, s67, s4
	s_add_i32 s10, s10, s5
	s_mul_i32 s4, s67, s4
	s_sub_u32 s11, s15, s4
	s_cselect_b64 s[4:5], -1, 0
	s_cmp_lg_u64 s[4:5], 0
	s_subb_u32 s10, s73, s10
	s_sub_u32 s12, s11, s67
	s_cselect_b64 s[4:5], -1, 0
	s_cmp_lg_u64 s[4:5], 0
	s_subb_u32 s13, s10, 0
	;; [unrolled: 4-line block ×3, first 2 shown]
	s_cmp_ge_u32 s12, s67
	s_cselect_b32 s5, -1, 0
	s_cmp_eq_u32 s13, 0
	s_cselect_b32 s5, s5, -1
	s_cmp_lg_u32 s5, 0
	s_cselect_b32 s4, s4, s13
	s_cselect_b32 s12, s14, s12
	s_cmp_ge_u32 s11, s67
	s_cselect_b32 s5, -1, 0
	s_cmp_eq_u32 s10, 0
	s_cselect_b32 s5, s5, -1
	s_cmp_lg_u32 s5, 0
	s_cselect_b32 s5, s4, s10
	s_cselect_b32 s4, s12, s11
	s_cbranch_execnz .LBB186_313
.LBB186_312:                            ;   in Loop: Header=BB186_18 Depth=1
	v_cvt_f32_u32_e32 v2, s67
	s_sub_i32 s4, 0, s67
	v_rcp_iflag_f32_e32 v2, v2
	v_mul_f32_e32 v2, 0x4f7ffffe, v2
	v_cvt_u32_f32_e32 v2, v2
	v_readfirstlane_b32 s5, v2
	s_mul_i32 s4, s4, s5
	s_mul_hi_u32 s4, s5, s4
	s_add_i32 s5, s5, s4
	s_mul_hi_u32 s4, s15, s5
	s_mul_i32 s4, s4, s67
	s_sub_i32 s4, s15, s4
	s_sub_i32 s5, s4, s67
	s_cmp_ge_u32 s4, s67
	s_cselect_b32 s4, s5, s4
	s_sub_i32 s5, s4, s67
	s_cmp_ge_u32 s4, s67
	s_cselect_b32 s64, s5, s4
	s_mov_b64 s[4:5], s[64:65]
.LBB186_313:                            ;   in Loop: Header=BB186_18 Depth=1
	s_sub_u32 s14, s15, s4
	s_subb_u32 s15, s73, s5
	v_cmp_gt_u64_e32 vcc, s[14:15], v[0:1]
                                        ; implicit-def: $vgpr6_vgpr7
	s_and_saveexec_b64 s[10:11], vcc
	s_cbranch_execz .LBB186_323
; %bb.314:                              ;   in Loop: Header=BB186_18 Depth=1
	v_mov_b32_e32 v9, v1
	s_mov_b64 s[20:21], 0
	v_mov_b32_e32 v8, v0
                                        ; implicit-def: $sgpr12_sgpr13
	s_branch .LBB186_318
.LBB186_315:                            ;   in Loop: Header=BB186_318 Depth=2
	s_or_b64 exec, exec, s[4:5]
	s_waitcnt lgkmcnt(0)
	s_barrier
	ds_read_b128 v[4:7], v19 offset:3072
	s_waitcnt lgkmcnt(0)
	s_barrier
	v_cmp_neq_f64_e32 vcc, 0, v[4:5]
	s_cbranch_vccnz .LBB186_321
; %bb.316:                              ;   in Loop: Header=BB186_318 Depth=2
	v_add_co_u32_e32 v8, vcc, s67, v8
	v_addc_co_u32_e32 v9, vcc, 0, v9, vcc
	v_cmp_le_u64_e32 vcc, s[14:15], v[8:9]
	s_mov_b64 s[4:5], 0
	s_orn2_b64 s[28:29], vcc, exec
.LBB186_317:                            ;   in Loop: Header=BB186_318 Depth=2
	s_and_b64 s[28:29], exec, s[28:29]
	s_or_b64 s[20:21], s[28:29], s[20:21]
	s_andn2_b64 s[12:13], s[12:13], exec
	s_and_b64 s[4:5], s[4:5], exec
	s_or_b64 s[12:13], s[12:13], s[4:5]
	s_andn2_b64 exec, exec, s[20:21]
	s_cbranch_execz .LBB186_322
.LBB186_318:                            ;   Parent Loop BB186_18 Depth=1
                                        ; =>  This Inner Loop Header: Depth=2
	v_cmp_gt_u64_e32 vcc, s[24:25], v[8:9]
	s_and_saveexec_b64 s[4:5], vcc
	s_cbranch_execz .LBB186_315
; %bb.319:                              ;   in Loop: Header=BB186_318 Depth=2
	v_mul_lo_u32 v2, v9, s22
	v_mul_lo_u32 v6, v8, s23
	v_mad_u64_u32 v[4:5], s[28:29], v8, s22, 0
	v_add3_u32 v5, v5, v6, v2
	v_lshlrev_b64 v[4:5], 3, v[4:5]
	v_mov_b32_e32 v2, s66
	v_add_co_u32_e32 v4, vcc, s33, v4
	v_addc_co_u32_e32 v5, vcc, v2, v5, vcc
	global_load_dwordx2 v[4:5], v[4:5], off
	s_waitcnt vmcnt(0)
	v_cmp_o_f64_e32 vcc, v[4:5], v[4:5]
	v_ashrrev_i32_e32 v2, 31, v5
	v_or_b32_e32 v6, 0x80000000, v2
	v_xor_b32_e32 v6, v6, v5
	v_xor_b32_e32 v2, v2, v4
	v_cndmask_b32_e32 v6, -1, v6, vcc
	v_cndmask_b32_e32 v2, -1, v2, vcc
	v_and_b32_e32 v7, v6, v25
	v_and_b32_e32 v6, v2, v24
	v_cmp_eq_u64_e32 vcc, v[6:7], v[22:23]
	s_and_b64 exec, exec, vcc
	s_cbranch_execz .LBB186_315
; %bb.320:                              ;   in Loop: Header=BB186_318 Depth=2
	v_mov_b32_e32 v2, v19
	ds_write_b128 v19, v[2:5] offset:3072
	s_branch .LBB186_315
.LBB186_321:                            ;   in Loop: Header=BB186_318 Depth=2
	s_mov_b64 s[28:29], -1
                                        ; implicit-def: $vgpr8_vgpr9
	s_mov_b64 s[4:5], -1
	s_branch .LBB186_317
.LBB186_322:                            ;   in Loop: Header=BB186_18 Depth=1
	s_or_b64 exec, exec, s[20:21]
	s_andn2_b64 s[4:5], s[8:9], exec
	s_and_b64 s[8:9], s[12:13], exec
	s_or_b64 s[8:9], s[4:5], s[8:9]
.LBB186_323:                            ;   in Loop: Header=BB186_18 Depth=1
	s_or_b64 exec, exec, s[10:11]
	s_mov_b64 s[40:41], 0
	s_mov_b64 s[14:15], -1
.LBB186_324:                            ;   in Loop: Header=BB186_18 Depth=1
	s_orn2_b64 s[4:5], s[8:9], exec
.LBB186_325:                            ;   in Loop: Header=BB186_18 Depth=1
	s_or_b64 exec, exec, s[2:3]
                                        ; implicit-def: $vgpr28_vgpr29
                                        ; implicit-def: $vgpr42
	s_and_saveexec_b64 s[2:3], s[4:5]
	s_cbranch_execz .LBB186_489
; %bb.326:                              ;   in Loop: Header=BB186_18 Depth=1
	v_mov_b32_e32 v28, 1
	s_xor_b64 s[4:5], s[6:7], -1
	v_mov_b32_e32 v42, 1
	v_mov_b32_e32 v29, 0
	s_mov_b64 s[8:9], 0
	s_and_saveexec_b64 s[6:7], s[4:5]
	s_cbranch_execz .LBB186_335
; %bb.327:                              ;   in Loop: Header=BB186_18 Depth=1
	v_cmp_ge_u64_e32 vcc, s[46:47], v[26:27]
	s_and_saveexec_b64 s[4:5], vcc
	s_xor_b64 s[4:5], exec, s[4:5]
	s_cbranch_execz .LBB186_332
; %bb.328:                              ;   in Loop: Header=BB186_18 Depth=1
	ds_read_b64 v[4:5], v19 offset:5120
	v_or_b32_e32 v23, s19, v23
	v_or_b32_e32 v22, s18, v22
	;; [unrolled: 1-line block ×4, first 2 shown]
	s_waitcnt lgkmcnt(0)
	v_cmp_ne_u64_e32 vcc, 0, v[4:5]
	s_cbranch_vccnz .LBB186_332
; %bb.329:                              ;   in Loop: Header=BB186_18 Depth=1
	s_mov_b64 s[8:9], exec
	v_readlane_b32 s10, v45, 32
	v_readlane_b32 s11, v45, 33
	s_and_b64 s[10:11], s[8:9], s[10:11]
	s_mov_b64 exec, s[10:11]
; %bb.330:                              ;   in Loop: Header=BB186_18 Depth=1
	v_mov_b32_e32 v4, s46
	v_mov_b32_e32 v5, s47
	ds_write_b64 v19, v[4:5] offset:5128
; %bb.331:                              ;   in Loop: Header=BB186_18 Depth=1
	s_or_b64 exec, exec, s[8:9]
	s_waitcnt lgkmcnt(0)
	s_barrier
.LBB186_332:                            ;   in Loop: Header=BB186_18 Depth=1
	s_or_saveexec_b64 s[4:5], s[4:5]
	s_mov_b64 s[8:9], 0
	v_mov_b32_e32 v42, 5
	s_xor_b64 exec, exec, s[4:5]
; %bb.333:                              ;   in Loop: Header=BB186_18 Depth=1
	v_subrev_co_u32_e32 v26, vcc, s46, v26
	v_mov_b32_e32 v2, s47
	v_subb_co_u32_e32 v27, vcc, v27, v2, vcc
	v_mov_b32_e32 v42, 0
	s_mov_b64 s[8:9], exec
; %bb.334:                              ;   in Loop: Header=BB186_18 Depth=1
	s_or_b64 exec, exec, s[4:5]
	v_mov_b32_e32 v29, v27
	s_and_b64 s[8:9], s[8:9], exec
	v_mov_b32_e32 v28, v26
.LBB186_335:                            ;   in Loop: Header=BB186_18 Depth=1
	s_or_b64 exec, exec, s[6:7]
	s_mov_b64 s[4:5], -1
                                        ; implicit-def: $sgpr28_sgpr29
                                        ; implicit-def: $sgpr30_sgpr31
	s_and_saveexec_b64 s[6:7], s[8:9]
	s_xor_b64 s[6:7], exec, s[6:7]
	s_cbranch_execz .LBB186_486
; %bb.336:                              ;   in Loop: Header=BB186_18 Depth=1
	s_cmp_eq_u64 s[44:45], 1
	v_cmp_eq_u64_e32 vcc, 1, v[28:29]
	s_cselect_b64 s[4:5], -1, 0
	s_and_b64 s[20:21], s[4:5], vcc
	s_mov_b64 s[4:5], -1
                                        ; implicit-def: $sgpr30_sgpr31
                                        ; implicit-def: $sgpr28_sgpr29
	s_and_saveexec_b64 s[36:37], s[20:21]
	s_cbranch_execz .LBB186_372
; %bb.337:                              ;   in Loop: Header=BB186_18 Depth=1
	ds_read_b64 v[4:5], v19 offset:5120
	s_waitcnt lgkmcnt(0)
	s_barrier
	v_readfirstlane_b32 s10, v4
	v_readfirstlane_b32 s11, v5
	s_mov_b64 s[4:5], exec
	v_readlane_b32 s8, v45, 48
	v_readlane_b32 s9, v45, 49
	s_and_b64 s[8:9], s[4:5], s[8:9]
	s_mov_b64 exec, s[8:9]
; %bb.338:                              ;   in Loop: Header=BB186_18 Depth=1
	v_mov_b32_e32 v18, v19
	ds_write_b64 v37, v[18:19]
; %bb.339:                              ;   in Loop: Header=BB186_18 Depth=1
	s_or_b64 exec, exec, s[4:5]
	s_lshl_b64 s[4:5], 2, s75
	v_and_b32_e32 v2, s63, v23
	v_and_b32_e32 v4, s62, v22
	v_or_b32_e32 v23, s5, v2
	v_or_b32_e32 v22, s4, v4
	;; [unrolled: 1-line block ×4, first 2 shown]
	s_mov_b64 s[28:29], -1
	s_mov_b64 s[30:31], 0
	s_cmp_eq_u64 s[10:11], 0
	s_mov_b64 s[8:9], 0
	s_mov_b64 s[34:35], -1
	s_waitcnt lgkmcnt(0)
	s_barrier
                                        ; implicit-def: $vgpr6_vgpr7
	s_cbranch_scc1 .LBB186_356
; %bb.340:                              ;   in Loop: Header=BB186_18 Depth=1
	v_readlane_b32 s4, v45, 52
	s_add_u32 s34, s10, s4
	v_readlane_b32 s4, v45, 54
	s_addc_u32 s9, s11, s4
	s_mov_b32 s8, s65
	s_cmp_lg_u64 s[8:9], 0
	s_cbranch_scc0 .LBB186_399
; %bb.341:                              ;   in Loop: Header=BB186_18 Depth=1
	v_cvt_f32_u32_e32 v2, s67
	s_sub_u32 s8, 0, s67
	s_subb_u32 s12, 0, 0
	v_mac_f32_e32 v2, 0, v41
	v_rcp_f32_e32 v2, v2
	v_mul_f32_e32 v2, 0x5f7ffffc, v2
	v_mul_f32_e32 v4, 0x2f800000, v2
	v_trunc_f32_e32 v4, v4
	v_mac_f32_e32 v2, 0xcf800000, v4
	v_cvt_u32_f32_e32 v4, v4
	v_cvt_u32_f32_e32 v2, v2
	v_readfirstlane_b32 s13, v4
	v_readfirstlane_b32 s4, v2
	s_mul_i32 s5, s8, s13
	s_mul_hi_u32 s38, s8, s4
	s_mul_i32 s35, s12, s4
	s_add_i32 s5, s38, s5
	s_mul_i32 s39, s8, s4
	s_add_i32 s5, s5, s35
	s_mul_hi_u32 s38, s4, s39
	s_mul_i32 s46, s4, s5
	s_mul_hi_u32 s35, s4, s5
	s_add_u32 s38, s38, s46
	s_addc_u32 s35, 0, s35
	s_mul_hi_u32 s47, s13, s39
	s_mul_i32 s39, s13, s39
	s_add_u32 s38, s38, s39
	s_mul_hi_u32 s46, s13, s5
	s_addc_u32 s35, s35, s47
	s_addc_u32 s38, s46, 0
	s_mul_i32 s5, s13, s5
	s_add_u32 s5, s35, s5
	s_addc_u32 s35, 0, s38
	s_add_u32 s38, s4, s5
	s_cselect_b64 s[4:5], -1, 0
	s_cmp_lg_u64 s[4:5], 0
	s_addc_u32 s13, s13, s35
	s_mul_i32 s4, s8, s13
	s_mul_hi_u32 s5, s8, s38
	s_add_i32 s4, s5, s4
	s_mul_i32 s12, s12, s38
	s_add_i32 s4, s4, s12
	s_mul_i32 s8, s8, s38
	s_mul_hi_u32 s12, s13, s8
	s_mul_i32 s35, s13, s8
	s_mul_i32 s46, s38, s4
	s_mul_hi_u32 s8, s38, s8
	s_mul_hi_u32 s39, s38, s4
	s_add_u32 s8, s8, s46
	s_addc_u32 s39, 0, s39
	s_add_u32 s8, s8, s35
	s_mul_hi_u32 s5, s13, s4
	s_addc_u32 s8, s39, s12
	s_addc_u32 s5, s5, 0
	s_mul_i32 s4, s13, s4
	s_add_u32 s4, s8, s4
	s_addc_u32 s8, 0, s5
	s_add_u32 s12, s38, s4
	s_cselect_b64 s[4:5], -1, 0
	s_cmp_lg_u64 s[4:5], 0
	s_addc_u32 s4, s13, s8
	s_mul_i32 s8, s34, s4
	s_mul_hi_u32 s13, s34, s12
	s_mul_hi_u32 s5, s34, s4
	s_add_u32 s8, s13, s8
	s_addc_u32 s5, 0, s5
	s_mul_hi_u32 s35, s9, s12
	s_mul_i32 s12, s9, s12
	s_add_u32 s8, s8, s12
	s_mul_hi_u32 s13, s9, s4
	s_addc_u32 s5, s5, s35
	s_addc_u32 s8, s13, 0
	s_mul_i32 s4, s9, s4
	s_add_u32 s4, s5, s4
	s_addc_u32 s5, 0, s8
	s_mul_i32 s5, s67, s5
	s_mul_hi_u32 s8, s67, s4
	s_add_i32 s8, s8, s5
	s_mul_i32 s4, s67, s4
	s_sub_u32 s12, s34, s4
	s_cselect_b64 s[4:5], -1, 0
	s_cmp_lg_u64 s[4:5], 0
	s_subb_u32 s8, s9, s8
	s_sub_u32 s13, s12, s67
	s_cselect_b64 s[4:5], -1, 0
	s_cmp_lg_u64 s[4:5], 0
	s_subb_u32 s35, s8, 0
	;; [unrolled: 4-line block ×3, first 2 shown]
	s_cmp_ge_u32 s13, s67
	s_cselect_b32 s5, -1, 0
	s_cmp_eq_u32 s35, 0
	s_cselect_b32 s5, s5, -1
	s_cmp_lg_u32 s5, 0
	s_cselect_b32 s4, s4, s35
	s_cselect_b32 s13, s38, s13
	s_cmp_ge_u32 s12, s67
	s_cselect_b32 s5, -1, 0
	s_cmp_eq_u32 s8, 0
	s_cselect_b32 s5, s5, -1
	s_cmp_lg_u32 s5, 0
	s_cselect_b32 s5, s4, s8
	s_cselect_b32 s4, s13, s12
	s_cbranch_execnz .LBB186_343
.LBB186_342:                            ;   in Loop: Header=BB186_18 Depth=1
	v_cvt_f32_u32_e32 v2, s67
	s_sub_i32 s4, 0, s67
	v_rcp_iflag_f32_e32 v2, v2
	v_mul_f32_e32 v2, 0x4f7ffffe, v2
	v_cvt_u32_f32_e32 v2, v2
	v_readfirstlane_b32 s5, v2
	s_mul_i32 s4, s4, s5
	s_mul_hi_u32 s4, s5, s4
	s_add_i32 s5, s5, s4
	s_mul_hi_u32 s4, s34, s5
	s_mul_i32 s4, s4, s67
	s_sub_i32 s4, s34, s4
	s_sub_i32 s5, s4, s67
	s_cmp_ge_u32 s4, s67
	s_cselect_b32 s4, s5, s4
	s_sub_i32 s5, s4, s67
	s_cmp_ge_u32 s4, s67
	s_cselect_b32 s64, s5, s4
	s_mov_b64 s[4:5], s[64:65]
.LBB186_343:                            ;   in Loop: Header=BB186_18 Depth=1
	s_sub_u32 s46, s34, s4
	s_subb_u32 s47, s9, s5
	v_cmp_gt_u64_e32 vcc, s[46:47], v[0:1]
	s_mov_b64 s[34:35], 0
	s_mov_b64 s[8:9], 0
                                        ; implicit-def: $vgpr6_vgpr7
	s_and_saveexec_b64 s[38:39], vcc
	s_cbranch_execz .LBB186_355
; %bb.344:                              ;   in Loop: Header=BB186_18 Depth=1
	v_mov_b32_e32 v9, v1
	v_mov_b32_e32 v10, v36
	;; [unrolled: 1-line block ×3, first 2 shown]
                                        ; implicit-def: $sgpr12_sgpr13
	s_branch .LBB186_348
.LBB186_345:                            ;   in Loop: Header=BB186_348 Depth=2
	s_or_b64 exec, exec, s[4:5]
	s_waitcnt lgkmcnt(0)
	s_barrier
	ds_read_b128 v[4:7], v19 offset:3072
	s_waitcnt lgkmcnt(0)
	s_barrier
	v_cmp_neq_f64_e32 vcc, 0, v[4:5]
	s_cbranch_vccnz .LBB186_351
; %bb.346:                              ;   in Loop: Header=BB186_348 Depth=2
	v_add_co_u32_e32 v8, vcc, s67, v8
	v_addc_co_u32_e32 v9, vcc, 0, v9, vcc
	v_cmp_le_u64_e32 vcc, s[46:47], v[8:9]
	v_add_u32_e32 v10, s74, v10
	s_mov_b64 s[4:5], 0
	s_orn2_b64 s[48:49], vcc, exec
.LBB186_347:                            ;   in Loop: Header=BB186_348 Depth=2
	s_and_b64 s[48:49], exec, s[48:49]
	s_or_b64 s[8:9], s[48:49], s[8:9]
	s_andn2_b64 s[12:13], s[12:13], exec
	s_and_b64 s[4:5], s[4:5], exec
	s_or_b64 s[12:13], s[12:13], s[4:5]
	s_andn2_b64 exec, exec, s[8:9]
	s_cbranch_execz .LBB186_354
.LBB186_348:                            ;   Parent Loop BB186_18 Depth=1
                                        ; =>  This Inner Loop Header: Depth=2
	v_cmp_gt_u64_e32 vcc, s[10:11], v[8:9]
	s_and_saveexec_b64 s[4:5], vcc
	s_cbranch_execz .LBB186_345
; %bb.349:                              ;   in Loop: Header=BB186_348 Depth=2
	ds_read_b64 v[4:5], v10
	s_waitcnt lgkmcnt(0)
	v_cmp_o_f64_e32 vcc, v[4:5], v[4:5]
	v_ashrrev_i32_e32 v2, 31, v5
	v_or_b32_e32 v6, 0x80000000, v2
	v_xor_b32_e32 v6, v6, v5
	v_xor_b32_e32 v2, v2, v4
	v_cndmask_b32_e32 v6, -1, v6, vcc
	v_cndmask_b32_e32 v2, -1, v2, vcc
	v_and_b32_e32 v7, v6, v25
	v_and_b32_e32 v6, v2, v24
	v_cmp_eq_u64_e32 vcc, v[6:7], v[22:23]
	s_and_b64 exec, exec, vcc
	s_cbranch_execz .LBB186_345
; %bb.350:                              ;   in Loop: Header=BB186_348 Depth=2
	v_mov_b32_e32 v2, v19
	ds_write_b128 v19, v[2:5] offset:3072
	s_branch .LBB186_345
.LBB186_351:                            ;   in Loop: Header=BB186_348 Depth=2
	s_mov_b64 s[48:49], -1
                                        ; implicit-def: $vgpr8_vgpr9
                                        ; implicit-def: $vgpr10
	s_mov_b64 s[4:5], -1
	s_branch .LBB186_347
.LBB186_352:                            ;   in Loop: Header=BB186_18 Depth=1
                                        ; implicit-def: $sgpr4_sgpr5
	s_branch .LBB186_296
.LBB186_353:                            ;   in Loop: Header=BB186_18 Depth=1
	v_readlane_b32 s15, v45, 53
                                        ; implicit-def: $sgpr4_sgpr5
	s_branch .LBB186_312
.LBB186_354:                            ;   in Loop: Header=BB186_18 Depth=1
	s_or_b64 exec, exec, s[8:9]
	s_and_b64 s[8:9], s[12:13], exec
.LBB186_355:                            ;   in Loop: Header=BB186_18 Depth=1
	s_or_b64 exec, exec, s[38:39]
.LBB186_356:                            ;   in Loop: Header=BB186_18 Depth=1
	s_and_b64 vcc, exec, s[34:35]
	s_cbranch_vccz .LBB186_371
; %bb.357:                              ;   in Loop: Header=BB186_18 Depth=1
	s_mov_b32 s72, s65
	s_cmp_lg_u64 s[72:73], 0
	s_cbranch_scc0 .LBB186_400
; %bb.358:                              ;   in Loop: Header=BB186_18 Depth=1
	v_cvt_f32_u32_e32 v2, s67
	s_sub_u32 s10, 0, s67
	s_subb_u32 s11, 0, 0
	v_mac_f32_e32 v2, 0, v41
	v_rcp_f32_e32 v2, v2
	v_mul_f32_e32 v2, 0x5f7ffffc, v2
	v_mul_f32_e32 v4, 0x2f800000, v2
	v_trunc_f32_e32 v4, v4
	v_mac_f32_e32 v2, 0xcf800000, v4
	v_cvt_u32_f32_e32 v4, v4
	v_cvt_u32_f32_e32 v2, v2
	v_readfirstlane_b32 s12, v4
	v_readfirstlane_b32 s4, v2
	s_mul_i32 s5, s10, s12
	s_mul_hi_u32 s28, s10, s4
	s_mul_i32 s13, s11, s4
	s_add_i32 s5, s28, s5
	s_mul_i32 s29, s10, s4
	s_add_i32 s5, s5, s13
	s_mul_hi_u32 s28, s4, s29
	s_mul_i32 s30, s4, s5
	s_mul_hi_u32 s13, s4, s5
	s_add_u32 s28, s28, s30
	s_addc_u32 s13, 0, s13
	s_mul_hi_u32 s31, s12, s29
	s_mul_i32 s29, s12, s29
	s_add_u32 s28, s28, s29
	s_mul_hi_u32 s30, s12, s5
	s_addc_u32 s13, s13, s31
	s_addc_u32 s28, s30, 0
	s_mul_i32 s5, s12, s5
	s_add_u32 s5, s13, s5
	s_addc_u32 s13, 0, s28
	s_add_u32 s28, s4, s5
	s_cselect_b64 s[4:5], -1, 0
	s_cmp_lg_u64 s[4:5], 0
	s_addc_u32 s12, s12, s13
	s_mul_i32 s4, s10, s12
	s_mul_hi_u32 s5, s10, s28
	s_add_i32 s4, s5, s4
	s_mul_i32 s11, s11, s28
	s_add_i32 s4, s4, s11
	s_mul_i32 s10, s10, s28
	s_mul_hi_u32 s11, s12, s10
	s_mul_i32 s13, s12, s10
	s_mul_i32 s30, s28, s4
	s_mul_hi_u32 s10, s28, s10
	s_mul_hi_u32 s29, s28, s4
	s_add_u32 s10, s10, s30
	s_addc_u32 s29, 0, s29
	s_add_u32 s10, s10, s13
	s_mul_hi_u32 s5, s12, s4
	s_addc_u32 s10, s29, s11
	s_addc_u32 s5, s5, 0
	s_mul_i32 s4, s12, s4
	s_add_u32 s4, s10, s4
	s_addc_u32 s10, 0, s5
	s_add_u32 s11, s28, s4
	s_cselect_b64 s[4:5], -1, 0
	s_cmp_lg_u64 s[4:5], 0
	s_addc_u32 s4, s12, s10
	v_readlane_b32 s29, v45, 53
	s_mul_i32 s10, s29, s4
	s_mul_hi_u32 s12, s29, s11
	s_mul_hi_u32 s5, s29, s4
	s_add_u32 s10, s12, s10
	s_addc_u32 s5, 0, s5
	s_mul_hi_u32 s13, s73, s11
	s_mul_i32 s11, s73, s11
	s_add_u32 s10, s10, s11
	s_mul_hi_u32 s12, s73, s4
	s_addc_u32 s5, s5, s13
	s_addc_u32 s10, s12, 0
	s_mul_i32 s4, s73, s4
	s_add_u32 s4, s5, s4
	s_addc_u32 s5, 0, s10
	s_mul_i32 s5, s67, s5
	s_mul_hi_u32 s10, s67, s4
	s_add_i32 s10, s10, s5
	s_mul_i32 s4, s67, s4
	s_sub_u32 s11, s29, s4
	s_cselect_b64 s[4:5], -1, 0
	s_cmp_lg_u64 s[4:5], 0
	s_subb_u32 s10, s73, s10
	s_sub_u32 s12, s11, s67
	s_cselect_b64 s[4:5], -1, 0
	s_cmp_lg_u64 s[4:5], 0
	s_subb_u32 s13, s10, 0
	;; [unrolled: 4-line block ×3, first 2 shown]
	s_cmp_ge_u32 s12, s67
	s_cselect_b32 s5, -1, 0
	s_cmp_eq_u32 s13, 0
	s_cselect_b32 s5, s5, -1
	s_cmp_lg_u32 s5, 0
	s_cselect_b32 s4, s4, s13
	s_cselect_b32 s12, s28, s12
	s_cmp_ge_u32 s11, s67
	s_cselect_b32 s5, -1, 0
	s_cmp_eq_u32 s10, 0
	s_cselect_b32 s5, s5, -1
	s_cmp_lg_u32 s5, 0
	s_cselect_b32 s5, s4, s10
	s_cselect_b32 s4, s12, s11
	s_cbranch_execnz .LBB186_360
.LBB186_359:                            ;   in Loop: Header=BB186_18 Depth=1
	v_cvt_f32_u32_e32 v2, s67
	s_sub_i32 s4, 0, s67
	v_rcp_iflag_f32_e32 v2, v2
	v_mul_f32_e32 v2, 0x4f7ffffe, v2
	v_cvt_u32_f32_e32 v2, v2
	v_readfirstlane_b32 s5, v2
	s_mul_i32 s4, s4, s5
	s_mul_hi_u32 s4, s5, s4
	s_add_i32 s5, s5, s4
	s_mul_hi_u32 s4, s29, s5
	s_mul_i32 s4, s4, s67
	s_sub_i32 s4, s29, s4
	s_sub_i32 s5, s4, s67
	s_cmp_ge_u32 s4, s67
	s_cselect_b32 s4, s5, s4
	s_sub_i32 s5, s4, s67
	s_cmp_ge_u32 s4, s67
	s_cselect_b32 s64, s5, s4
	s_mov_b64 s[4:5], s[64:65]
.LBB186_360:                            ;   in Loop: Header=BB186_18 Depth=1
	s_sub_u32 s28, s29, s4
	s_subb_u32 s29, s73, s5
	v_cmp_gt_u64_e32 vcc, s[28:29], v[0:1]
                                        ; implicit-def: $vgpr6_vgpr7
	s_and_saveexec_b64 s[10:11], vcc
	s_cbranch_execz .LBB186_370
; %bb.361:                              ;   in Loop: Header=BB186_18 Depth=1
	v_mov_b32_e32 v9, v1
	s_mov_b64 s[12:13], 0
	v_mov_b32_e32 v8, v0
                                        ; implicit-def: $sgpr30_sgpr31
	s_branch .LBB186_365
.LBB186_362:                            ;   in Loop: Header=BB186_365 Depth=2
	s_or_b64 exec, exec, s[4:5]
	s_waitcnt lgkmcnt(0)
	s_barrier
	ds_read_b128 v[4:7], v19 offset:3072
	s_waitcnt lgkmcnt(0)
	s_barrier
	v_cmp_eq_f64_e32 vcc, 0, v[4:5]
	s_cbranch_vccz .LBB186_368
; %bb.363:                              ;   in Loop: Header=BB186_365 Depth=2
	v_add_co_u32_e32 v8, vcc, s67, v8
	v_addc_co_u32_e32 v9, vcc, 0, v9, vcc
	v_cmp_le_u64_e32 vcc, s[28:29], v[8:9]
	s_mov_b64 s[4:5], 0
	s_orn2_b64 s[34:35], vcc, exec
.LBB186_364:                            ;   in Loop: Header=BB186_365 Depth=2
	s_and_b64 s[34:35], exec, s[34:35]
	s_or_b64 s[12:13], s[34:35], s[12:13]
	s_andn2_b64 s[30:31], s[30:31], exec
	s_and_b64 s[4:5], s[4:5], exec
	s_or_b64 s[30:31], s[30:31], s[4:5]
	s_andn2_b64 exec, exec, s[12:13]
	s_cbranch_execz .LBB186_369
.LBB186_365:                            ;   Parent Loop BB186_18 Depth=1
                                        ; =>  This Inner Loop Header: Depth=2
	v_cmp_gt_u64_e32 vcc, s[24:25], v[8:9]
	s_and_saveexec_b64 s[4:5], vcc
	s_cbranch_execz .LBB186_362
; %bb.366:                              ;   in Loop: Header=BB186_365 Depth=2
	v_mul_lo_u32 v2, v9, s22
	v_mul_lo_u32 v6, v8, s23
	v_mad_u64_u32 v[4:5], s[34:35], v8, s22, 0
	v_add3_u32 v5, v5, v6, v2
	v_lshlrev_b64 v[4:5], 3, v[4:5]
	v_mov_b32_e32 v2, s66
	v_add_co_u32_e32 v4, vcc, s33, v4
	v_addc_co_u32_e32 v5, vcc, v2, v5, vcc
	global_load_dwordx2 v[4:5], v[4:5], off
	s_waitcnt vmcnt(0)
	v_cmp_o_f64_e32 vcc, v[4:5], v[4:5]
	v_ashrrev_i32_e32 v2, 31, v5
	v_or_b32_e32 v6, 0x80000000, v2
	v_xor_b32_e32 v6, v6, v5
	v_xor_b32_e32 v2, v2, v4
	v_cndmask_b32_e32 v6, -1, v6, vcc
	v_cndmask_b32_e32 v2, -1, v2, vcc
	v_and_b32_e32 v7, v6, v25
	v_and_b32_e32 v6, v2, v24
	v_cmp_eq_u64_e32 vcc, v[6:7], v[22:23]
	s_and_b64 exec, exec, vcc
	s_cbranch_execz .LBB186_362
; %bb.367:                              ;   in Loop: Header=BB186_365 Depth=2
	v_mov_b32_e32 v2, v19
	ds_write_b128 v19, v[2:5] offset:3072
	s_branch .LBB186_362
.LBB186_368:                            ;   in Loop: Header=BB186_365 Depth=2
	s_mov_b64 s[34:35], -1
                                        ; implicit-def: $vgpr8_vgpr9
	s_mov_b64 s[4:5], -1
	s_branch .LBB186_364
.LBB186_369:                            ;   in Loop: Header=BB186_18 Depth=1
	s_or_b64 exec, exec, s[12:13]
	s_andn2_b64 s[4:5], s[8:9], exec
	s_and_b64 s[8:9], s[30:31], exec
	s_or_b64 s[8:9], s[4:5], s[8:9]
.LBB186_370:                            ;   in Loop: Header=BB186_18 Depth=1
	s_or_b64 exec, exec, s[10:11]
	s_mov_b64 s[28:29], 0
	s_mov_b64 s[30:31], -1
.LBB186_371:                            ;   in Loop: Header=BB186_18 Depth=1
	s_orn2_b64 s[4:5], s[8:9], exec
.LBB186_372:                            ;   in Loop: Header=BB186_18 Depth=1
	s_or_b64 exec, exec, s[36:37]
	s_mov_b64 s[8:9], 0
	s_and_saveexec_b64 s[36:37], s[4:5]
	s_cbranch_execz .LBB186_485
; %bb.373:                              ;   in Loop: Header=BB186_18 Depth=1
	v_mov_b32_e32 v8, 1
	s_xor_b64 s[4:5], s[20:21], -1
	v_mov_b32_e32 v42, 1
	v_mov_b32_e32 v9, 0
	s_mov_b64 s[10:11], 0
	s_and_saveexec_b64 s[8:9], s[4:5]
	s_cbranch_execz .LBB186_382
; %bb.374:                              ;   in Loop: Header=BB186_18 Depth=1
	v_cmp_ge_u64_e32 vcc, s[44:45], v[28:29]
	s_and_saveexec_b64 s[4:5], vcc
	s_xor_b64 s[4:5], exec, s[4:5]
	s_cbranch_execz .LBB186_379
; %bb.375:                              ;   in Loop: Header=BB186_18 Depth=1
	s_lshl_b64 s[10:11], 2, s75
	v_and_b32_e32 v4, s62, v22
	v_or_b32_e32 v22, s10, v4
	ds_read_b64 v[4:5], v19 offset:5120
	v_and_b32_e32 v2, s63, v23
	v_or_b32_e32 v23, s11, v2
	v_or_b32_e32 v25, s19, v25
	;; [unrolled: 1-line block ×3, first 2 shown]
	s_waitcnt lgkmcnt(0)
	v_cmp_ne_u64_e32 vcc, 0, v[4:5]
	s_cbranch_vccnz .LBB186_379
; %bb.376:                              ;   in Loop: Header=BB186_18 Depth=1
	s_mov_b64 s[10:11], exec
	v_readlane_b32 s12, v45, 32
	v_readlane_b32 s13, v45, 33
	s_and_b64 s[12:13], s[10:11], s[12:13]
	s_mov_b64 exec, s[12:13]
; %bb.377:                              ;   in Loop: Header=BB186_18 Depth=1
	v_mov_b32_e32 v4, s44
	v_mov_b32_e32 v5, s45
	ds_write_b64 v19, v[4:5] offset:5128
; %bb.378:                              ;   in Loop: Header=BB186_18 Depth=1
	s_or_b64 exec, exec, s[10:11]
	s_waitcnt lgkmcnt(0)
	s_barrier
.LBB186_379:                            ;   in Loop: Header=BB186_18 Depth=1
	s_or_saveexec_b64 s[4:5], s[4:5]
	s_mov_b64 s[10:11], 0
	v_mov_b32_e32 v42, 5
	s_xor_b64 exec, exec, s[4:5]
; %bb.380:                              ;   in Loop: Header=BB186_18 Depth=1
	v_subrev_co_u32_e32 v28, vcc, s44, v28
	v_mov_b32_e32 v2, s45
	v_subb_co_u32_e32 v29, vcc, v29, v2, vcc
	v_mov_b32_e32 v42, 0
	s_mov_b64 s[10:11], exec
; %bb.381:                              ;   in Loop: Header=BB186_18 Depth=1
	s_or_b64 exec, exec, s[4:5]
	v_mov_b32_e32 v8, v28
	s_and_b64 s[10:11], s[10:11], exec
	v_mov_b32_e32 v9, v29
.LBB186_382:                            ;   in Loop: Header=BB186_18 Depth=1
	s_or_b64 exec, exec, s[8:9]
	s_mov_b64 s[4:5], -1
                                        ; implicit-def: $sgpr44_sgpr45
                                        ; implicit-def: $sgpr46_sgpr47
	s_and_saveexec_b64 s[38:39], s[10:11]
	s_cbranch_execz .LBB186_484
; %bb.383:                              ;   in Loop: Header=BB186_18 Depth=1
	s_cmp_eq_u64 s[42:43], 1
	v_cmp_eq_u64_e32 vcc, 1, v[8:9]
	s_cselect_b64 s[4:5], -1, 0
	s_and_b64 s[20:21], s[4:5], vcc
	s_mov_b64 s[4:5], -1
                                        ; implicit-def: $sgpr46_sgpr47
                                        ; implicit-def: $sgpr44_sgpr45
	s_and_saveexec_b64 s[48:49], s[20:21]
	s_cbranch_execz .LBB186_419
; %bb.384:                              ;   in Loop: Header=BB186_18 Depth=1
	ds_read_b64 v[4:5], v19 offset:5120
	s_waitcnt lgkmcnt(0)
	s_barrier
	v_readfirstlane_b32 s10, v4
	v_readfirstlane_b32 s11, v5
	s_mov_b64 s[4:5], exec
	v_readlane_b32 s8, v45, 48
	v_readlane_b32 s9, v45, 49
	s_and_b64 s[8:9], s[4:5], s[8:9]
	s_mov_b64 exec, s[8:9]
; %bb.385:                              ;   in Loop: Header=BB186_18 Depth=1
	v_mov_b32_e32 v18, v19
	ds_write_b64 v37, v[18:19]
; %bb.386:                              ;   in Loop: Header=BB186_18 Depth=1
	s_or_b64 exec, exec, s[4:5]
	s_lshl_b64 s[4:5], 1, s75
	v_and_b32_e32 v2, s63, v23
	v_and_b32_e32 v4, s62, v22
	v_or_b32_e32 v23, s5, v2
	v_or_b32_e32 v22, s4, v4
	;; [unrolled: 1-line block ×4, first 2 shown]
	s_mov_b64 s[44:45], -1
	s_mov_b64 s[46:47], 0
	s_cmp_eq_u64 s[10:11], 0
	s_mov_b64 s[8:9], 0
	s_mov_b64 s[34:35], -1
	s_waitcnt lgkmcnt(0)
	s_barrier
                                        ; implicit-def: $vgpr6_vgpr7
	s_cbranch_scc1 .LBB186_403
; %bb.387:                              ;   in Loop: Header=BB186_18 Depth=1
	v_readlane_b32 s4, v45, 52
	s_add_u32 s34, s10, s4
	v_readlane_b32 s4, v45, 54
	s_addc_u32 s9, s11, s4
	s_mov_b32 s8, s65
	s_cmp_lg_u64 s[8:9], 0
	s_cbranch_scc0 .LBB186_436
; %bb.388:                              ;   in Loop: Header=BB186_18 Depth=1
	v_cvt_f32_u32_e32 v2, s67
	s_sub_u32 s8, 0, s67
	s_subb_u32 s12, 0, 0
	v_mac_f32_e32 v2, 0, v41
	v_rcp_f32_e32 v2, v2
	v_mul_f32_e32 v2, 0x5f7ffffc, v2
	v_mul_f32_e32 v4, 0x2f800000, v2
	v_trunc_f32_e32 v4, v4
	v_mac_f32_e32 v2, 0xcf800000, v4
	v_cvt_u32_f32_e32 v4, v4
	v_cvt_u32_f32_e32 v2, v2
	v_readfirstlane_b32 s13, v4
	v_readfirstlane_b32 s4, v2
	s_mul_i32 s5, s8, s13
	s_mul_hi_u32 s54, s8, s4
	s_mul_i32 s35, s12, s4
	s_add_i32 s5, s54, s5
	s_mul_i32 s55, s8, s4
	s_add_i32 s5, s5, s35
	s_mul_hi_u32 s54, s4, s55
	s_mul_i32 s64, s4, s5
	s_mul_hi_u32 s35, s4, s5
	s_add_u32 s54, s54, s64
	s_addc_u32 s35, 0, s35
	s_mul_hi_u32 s70, s13, s55
	s_mul_i32 s55, s13, s55
	s_add_u32 s54, s54, s55
	s_mul_hi_u32 s64, s13, s5
	s_addc_u32 s35, s35, s70
	s_addc_u32 s54, s64, 0
	s_mul_i32 s5, s13, s5
	s_add_u32 s5, s35, s5
	s_addc_u32 s35, 0, s54
	s_add_u32 s54, s4, s5
	s_cselect_b64 s[4:5], -1, 0
	s_cmp_lg_u64 s[4:5], 0
	s_addc_u32 s13, s13, s35
	s_mul_i32 s4, s8, s13
	s_mul_hi_u32 s5, s8, s54
	s_add_i32 s4, s5, s4
	s_mul_i32 s12, s12, s54
	s_add_i32 s4, s4, s12
	s_mul_i32 s8, s8, s54
	s_mul_hi_u32 s12, s13, s8
	s_mul_i32 s35, s13, s8
	s_mul_i32 s64, s54, s4
	s_mul_hi_u32 s8, s54, s8
	s_mul_hi_u32 s55, s54, s4
	s_add_u32 s8, s8, s64
	s_addc_u32 s55, 0, s55
	s_add_u32 s8, s8, s35
	s_mul_hi_u32 s5, s13, s4
	s_addc_u32 s8, s55, s12
	s_addc_u32 s5, s5, 0
	s_mul_i32 s4, s13, s4
	s_add_u32 s4, s8, s4
	s_addc_u32 s8, 0, s5
	s_add_u32 s12, s54, s4
	s_cselect_b64 s[4:5], -1, 0
	s_cmp_lg_u64 s[4:5], 0
	s_addc_u32 s4, s13, s8
	s_mul_i32 s8, s34, s4
	s_mul_hi_u32 s13, s34, s12
	s_mul_hi_u32 s5, s34, s4
	s_add_u32 s8, s13, s8
	s_addc_u32 s5, 0, s5
	s_mul_hi_u32 s35, s9, s12
	s_mul_i32 s12, s9, s12
	s_add_u32 s8, s8, s12
	s_mul_hi_u32 s13, s9, s4
	s_addc_u32 s5, s5, s35
	s_addc_u32 s8, s13, 0
	s_mul_i32 s4, s9, s4
	s_add_u32 s4, s5, s4
	s_addc_u32 s5, 0, s8
	s_mul_i32 s5, s67, s5
	s_mul_hi_u32 s8, s67, s4
	s_add_i32 s8, s8, s5
	s_mul_i32 s4, s67, s4
	s_sub_u32 s12, s34, s4
	s_cselect_b64 s[4:5], -1, 0
	s_cmp_lg_u64 s[4:5], 0
	s_subb_u32 s8, s9, s8
	s_sub_u32 s13, s12, s67
	s_cselect_b64 s[4:5], -1, 0
	s_cmp_lg_u64 s[4:5], 0
	s_subb_u32 s35, s8, 0
	;; [unrolled: 4-line block ×3, first 2 shown]
	s_cmp_ge_u32 s13, s67
	s_cselect_b32 s5, -1, 0
	s_cmp_eq_u32 s35, 0
	s_cselect_b32 s5, s5, -1
	s_cmp_lg_u32 s5, 0
	s_cselect_b32 s4, s4, s35
	s_cselect_b32 s13, s54, s13
	s_cmp_ge_u32 s12, s67
	s_cselect_b32 s5, -1, 0
	s_cmp_eq_u32 s8, 0
	s_cselect_b32 s5, s5, -1
	s_cmp_lg_u32 s5, 0
	s_cselect_b32 s5, s4, s8
	s_cselect_b32 s4, s13, s12
	s_cbranch_execnz .LBB186_390
.LBB186_389:                            ;   in Loop: Header=BB186_18 Depth=1
	v_cvt_f32_u32_e32 v2, s67
	s_sub_i32 s4, 0, s67
	v_rcp_iflag_f32_e32 v2, v2
	v_mul_f32_e32 v2, 0x4f7ffffe, v2
	v_cvt_u32_f32_e32 v2, v2
	v_readfirstlane_b32 s5, v2
	s_mul_i32 s4, s4, s5
	s_mul_hi_u32 s4, s5, s4
	s_add_i32 s5, s5, s4
	s_mul_hi_u32 s4, s34, s5
	s_mul_i32 s4, s4, s67
	s_sub_i32 s4, s34, s4
	s_sub_i32 s5, s4, s67
	s_cmp_ge_u32 s4, s67
	s_cselect_b32 s4, s5, s4
	s_sub_i32 s5, s4, s67
	s_cmp_ge_u32 s4, s67
	s_cselect_b32 s64, s5, s4
	s_mov_b64 s[4:5], s[64:65]
.LBB186_390:                            ;   in Loop: Header=BB186_18 Depth=1
	s_sub_u32 s70, s34, s4
	s_subb_u32 s71, s9, s5
	v_cmp_gt_u64_e32 vcc, s[70:71], v[0:1]
	s_mov_b64 s[34:35], 0
	s_mov_b64 s[8:9], 0
                                        ; implicit-def: $vgpr6_vgpr7
	s_and_saveexec_b64 s[54:55], vcc
	s_cbranch_execz .LBB186_402
; %bb.391:                              ;   in Loop: Header=BB186_18 Depth=1
	v_mov_b32_e32 v11, v1
	v_mov_b32_e32 v12, v36
	;; [unrolled: 1-line block ×3, first 2 shown]
                                        ; implicit-def: $sgpr12_sgpr13
	s_branch .LBB186_395
.LBB186_392:                            ;   in Loop: Header=BB186_395 Depth=2
	s_or_b64 exec, exec, s[4:5]
	s_waitcnt lgkmcnt(0)
	s_barrier
	ds_read_b128 v[4:7], v19 offset:3072
	s_waitcnt lgkmcnt(0)
	s_barrier
	v_cmp_neq_f64_e32 vcc, 0, v[4:5]
	s_cbranch_vccnz .LBB186_398
; %bb.393:                              ;   in Loop: Header=BB186_395 Depth=2
	v_add_co_u32_e32 v10, vcc, s67, v10
	v_addc_co_u32_e32 v11, vcc, 0, v11, vcc
	v_cmp_le_u64_e32 vcc, s[70:71], v[10:11]
	v_add_u32_e32 v12, s74, v12
	s_mov_b64 s[4:5], 0
	s_orn2_b64 s[76:77], vcc, exec
.LBB186_394:                            ;   in Loop: Header=BB186_395 Depth=2
	s_and_b64 s[76:77], exec, s[76:77]
	s_or_b64 s[8:9], s[76:77], s[8:9]
	s_andn2_b64 s[12:13], s[12:13], exec
	s_and_b64 s[4:5], s[4:5], exec
	s_or_b64 s[12:13], s[12:13], s[4:5]
	s_andn2_b64 exec, exec, s[8:9]
	s_cbranch_execz .LBB186_401
.LBB186_395:                            ;   Parent Loop BB186_18 Depth=1
                                        ; =>  This Inner Loop Header: Depth=2
	v_cmp_gt_u64_e32 vcc, s[10:11], v[10:11]
	s_and_saveexec_b64 s[4:5], vcc
	s_cbranch_execz .LBB186_392
; %bb.396:                              ;   in Loop: Header=BB186_395 Depth=2
	ds_read_b64 v[4:5], v12
	s_waitcnt lgkmcnt(0)
	v_cmp_o_f64_e32 vcc, v[4:5], v[4:5]
	v_ashrrev_i32_e32 v2, 31, v5
	v_or_b32_e32 v6, 0x80000000, v2
	v_xor_b32_e32 v6, v6, v5
	v_xor_b32_e32 v2, v2, v4
	v_cndmask_b32_e32 v6, -1, v6, vcc
	v_cndmask_b32_e32 v2, -1, v2, vcc
	v_and_b32_e32 v7, v6, v25
	v_and_b32_e32 v6, v2, v24
	v_cmp_eq_u64_e32 vcc, v[6:7], v[22:23]
	s_and_b64 exec, exec, vcc
	s_cbranch_execz .LBB186_392
; %bb.397:                              ;   in Loop: Header=BB186_395 Depth=2
	v_mov_b32_e32 v2, v19
	ds_write_b128 v19, v[2:5] offset:3072
	s_branch .LBB186_392
.LBB186_398:                            ;   in Loop: Header=BB186_395 Depth=2
	s_mov_b64 s[76:77], -1
                                        ; implicit-def: $vgpr10_vgpr11
                                        ; implicit-def: $vgpr12
	s_mov_b64 s[4:5], -1
	s_branch .LBB186_394
.LBB186_399:                            ;   in Loop: Header=BB186_18 Depth=1
                                        ; implicit-def: $sgpr4_sgpr5
	s_branch .LBB186_342
.LBB186_400:                            ;   in Loop: Header=BB186_18 Depth=1
	v_readlane_b32 s29, v45, 53
                                        ; implicit-def: $sgpr4_sgpr5
	s_branch .LBB186_359
.LBB186_401:                            ;   in Loop: Header=BB186_18 Depth=1
	s_or_b64 exec, exec, s[8:9]
	s_and_b64 s[8:9], s[12:13], exec
.LBB186_402:                            ;   in Loop: Header=BB186_18 Depth=1
	s_or_b64 exec, exec, s[54:55]
.LBB186_403:                            ;   in Loop: Header=BB186_18 Depth=1
	s_and_b64 vcc, exec, s[34:35]
	s_cbranch_vccz .LBB186_418
; %bb.404:                              ;   in Loop: Header=BB186_18 Depth=1
	s_mov_b32 s72, s65
	s_cmp_lg_u64 s[72:73], 0
	s_cbranch_scc0 .LBB186_437
; %bb.405:                              ;   in Loop: Header=BB186_18 Depth=1
	v_cvt_f32_u32_e32 v2, s67
	s_sub_u32 s10, 0, s67
	s_subb_u32 s11, 0, 0
	v_mac_f32_e32 v2, 0, v41
	v_rcp_f32_e32 v2, v2
	v_mul_f32_e32 v2, 0x5f7ffffc, v2
	v_mul_f32_e32 v4, 0x2f800000, v2
	v_trunc_f32_e32 v4, v4
	v_mac_f32_e32 v2, 0xcf800000, v4
	v_cvt_u32_f32_e32 v4, v4
	v_cvt_u32_f32_e32 v2, v2
	v_readfirstlane_b32 s12, v4
	v_readfirstlane_b32 s4, v2
	s_mul_i32 s5, s10, s12
	s_mul_hi_u32 s34, s10, s4
	s_mul_i32 s13, s11, s4
	s_add_i32 s5, s34, s5
	s_mul_i32 s35, s10, s4
	s_add_i32 s5, s5, s13
	s_mul_hi_u32 s34, s4, s35
	s_mul_i32 s44, s4, s5
	s_mul_hi_u32 s13, s4, s5
	s_add_u32 s34, s34, s44
	s_addc_u32 s13, 0, s13
	s_mul_hi_u32 s45, s12, s35
	s_mul_i32 s35, s12, s35
	s_add_u32 s34, s34, s35
	s_mul_hi_u32 s44, s12, s5
	s_addc_u32 s13, s13, s45
	s_addc_u32 s34, s44, 0
	s_mul_i32 s5, s12, s5
	s_add_u32 s5, s13, s5
	s_addc_u32 s13, 0, s34
	s_add_u32 s34, s4, s5
	s_cselect_b64 s[4:5], -1, 0
	s_cmp_lg_u64 s[4:5], 0
	s_addc_u32 s12, s12, s13
	s_mul_i32 s4, s10, s12
	s_mul_hi_u32 s5, s10, s34
	s_add_i32 s4, s5, s4
	s_mul_i32 s11, s11, s34
	s_add_i32 s4, s4, s11
	s_mul_i32 s10, s10, s34
	s_mul_hi_u32 s11, s12, s10
	s_mul_i32 s13, s12, s10
	s_mul_i32 s44, s34, s4
	s_mul_hi_u32 s10, s34, s10
	s_mul_hi_u32 s35, s34, s4
	s_add_u32 s10, s10, s44
	s_addc_u32 s35, 0, s35
	s_add_u32 s10, s10, s13
	s_mul_hi_u32 s5, s12, s4
	s_addc_u32 s10, s35, s11
	s_addc_u32 s5, s5, 0
	s_mul_i32 s4, s12, s4
	s_add_u32 s4, s10, s4
	s_addc_u32 s10, 0, s5
	s_add_u32 s11, s34, s4
	s_cselect_b64 s[4:5], -1, 0
	s_cmp_lg_u64 s[4:5], 0
	s_addc_u32 s4, s12, s10
	v_readlane_b32 s35, v45, 53
	s_mul_i32 s10, s35, s4
	s_mul_hi_u32 s12, s35, s11
	s_mul_hi_u32 s5, s35, s4
	s_add_u32 s10, s12, s10
	s_addc_u32 s5, 0, s5
	s_mul_hi_u32 s13, s73, s11
	s_mul_i32 s11, s73, s11
	s_add_u32 s10, s10, s11
	s_mul_hi_u32 s12, s73, s4
	s_addc_u32 s5, s5, s13
	s_addc_u32 s10, s12, 0
	s_mul_i32 s4, s73, s4
	s_add_u32 s4, s5, s4
	s_addc_u32 s5, 0, s10
	s_mul_i32 s5, s67, s5
	s_mul_hi_u32 s10, s67, s4
	s_add_i32 s10, s10, s5
	s_mul_i32 s4, s67, s4
	s_sub_u32 s11, s35, s4
	s_cselect_b64 s[4:5], -1, 0
	s_cmp_lg_u64 s[4:5], 0
	s_subb_u32 s10, s73, s10
	s_sub_u32 s12, s11, s67
	s_cselect_b64 s[4:5], -1, 0
	s_cmp_lg_u64 s[4:5], 0
	s_subb_u32 s13, s10, 0
	;; [unrolled: 4-line block ×3, first 2 shown]
	s_cmp_ge_u32 s12, s67
	s_cselect_b32 s5, -1, 0
	s_cmp_eq_u32 s13, 0
	s_cselect_b32 s5, s5, -1
	s_cmp_lg_u32 s5, 0
	s_cselect_b32 s4, s4, s13
	s_cselect_b32 s12, s34, s12
	s_cmp_ge_u32 s11, s67
	s_cselect_b32 s5, -1, 0
	s_cmp_eq_u32 s10, 0
	s_cselect_b32 s5, s5, -1
	s_cmp_lg_u32 s5, 0
	s_cselect_b32 s5, s4, s10
	s_cselect_b32 s4, s12, s11
	s_cbranch_execnz .LBB186_407
.LBB186_406:                            ;   in Loop: Header=BB186_18 Depth=1
	v_cvt_f32_u32_e32 v2, s67
	s_sub_i32 s4, 0, s67
	v_rcp_iflag_f32_e32 v2, v2
	v_mul_f32_e32 v2, 0x4f7ffffe, v2
	v_cvt_u32_f32_e32 v2, v2
	v_readfirstlane_b32 s5, v2
	s_mul_i32 s4, s4, s5
	s_mul_hi_u32 s4, s5, s4
	s_add_i32 s5, s5, s4
	s_mul_hi_u32 s4, s35, s5
	s_mul_i32 s4, s4, s67
	s_sub_i32 s4, s35, s4
	s_sub_i32 s5, s4, s67
	s_cmp_ge_u32 s4, s67
	s_cselect_b32 s4, s5, s4
	s_sub_i32 s5, s4, s67
	s_cmp_ge_u32 s4, s67
	s_cselect_b32 s64, s5, s4
	s_mov_b64 s[4:5], s[64:65]
.LBB186_407:                            ;   in Loop: Header=BB186_18 Depth=1
	s_sub_u32 s34, s35, s4
	s_subb_u32 s35, s73, s5
	v_cmp_gt_u64_e32 vcc, s[34:35], v[0:1]
                                        ; implicit-def: $vgpr6_vgpr7
	s_and_saveexec_b64 s[10:11], vcc
	s_cbranch_execz .LBB186_417
; %bb.408:                              ;   in Loop: Header=BB186_18 Depth=1
	v_mov_b32_e32 v11, v1
	s_mov_b64 s[12:13], 0
	v_mov_b32_e32 v10, v0
                                        ; implicit-def: $sgpr44_sgpr45
	s_branch .LBB186_412
.LBB186_409:                            ;   in Loop: Header=BB186_412 Depth=2
	s_or_b64 exec, exec, s[4:5]
	s_waitcnt lgkmcnt(0)
	s_barrier
	ds_read_b128 v[4:7], v19 offset:3072
	s_waitcnt lgkmcnt(0)
	s_barrier
	v_cmp_eq_f64_e32 vcc, 0, v[4:5]
	s_cbranch_vccz .LBB186_415
; %bb.410:                              ;   in Loop: Header=BB186_412 Depth=2
	v_add_co_u32_e32 v10, vcc, s67, v10
	v_addc_co_u32_e32 v11, vcc, 0, v11, vcc
	v_cmp_le_u64_e32 vcc, s[34:35], v[10:11]
	s_mov_b64 s[4:5], 0
	s_orn2_b64 s[46:47], vcc, exec
.LBB186_411:                            ;   in Loop: Header=BB186_412 Depth=2
	s_and_b64 s[46:47], exec, s[46:47]
	s_or_b64 s[12:13], s[46:47], s[12:13]
	s_andn2_b64 s[44:45], s[44:45], exec
	s_and_b64 s[4:5], s[4:5], exec
	s_or_b64 s[44:45], s[44:45], s[4:5]
	s_andn2_b64 exec, exec, s[12:13]
	s_cbranch_execz .LBB186_416
.LBB186_412:                            ;   Parent Loop BB186_18 Depth=1
                                        ; =>  This Inner Loop Header: Depth=2
	v_cmp_gt_u64_e32 vcc, s[24:25], v[10:11]
	s_and_saveexec_b64 s[4:5], vcc
	s_cbranch_execz .LBB186_409
; %bb.413:                              ;   in Loop: Header=BB186_412 Depth=2
	v_mul_lo_u32 v2, v11, s22
	v_mul_lo_u32 v6, v10, s23
	v_mad_u64_u32 v[4:5], s[46:47], v10, s22, 0
	v_add3_u32 v5, v5, v6, v2
	v_lshlrev_b64 v[4:5], 3, v[4:5]
	v_mov_b32_e32 v2, s66
	v_add_co_u32_e32 v4, vcc, s33, v4
	v_addc_co_u32_e32 v5, vcc, v2, v5, vcc
	global_load_dwordx2 v[4:5], v[4:5], off
	s_waitcnt vmcnt(0)
	v_cmp_o_f64_e32 vcc, v[4:5], v[4:5]
	v_ashrrev_i32_e32 v2, 31, v5
	v_or_b32_e32 v6, 0x80000000, v2
	v_xor_b32_e32 v6, v6, v5
	v_xor_b32_e32 v2, v2, v4
	v_cndmask_b32_e32 v6, -1, v6, vcc
	v_cndmask_b32_e32 v2, -1, v2, vcc
	v_and_b32_e32 v7, v6, v25
	v_and_b32_e32 v6, v2, v24
	v_cmp_eq_u64_e32 vcc, v[6:7], v[22:23]
	s_and_b64 exec, exec, vcc
	s_cbranch_execz .LBB186_409
; %bb.414:                              ;   in Loop: Header=BB186_412 Depth=2
	v_mov_b32_e32 v2, v19
	ds_write_b128 v19, v[2:5] offset:3072
	s_branch .LBB186_409
.LBB186_415:                            ;   in Loop: Header=BB186_412 Depth=2
	s_mov_b64 s[46:47], -1
                                        ; implicit-def: $vgpr10_vgpr11
	s_mov_b64 s[4:5], -1
	s_branch .LBB186_411
.LBB186_416:                            ;   in Loop: Header=BB186_18 Depth=1
	s_or_b64 exec, exec, s[12:13]
	s_andn2_b64 s[4:5], s[8:9], exec
	s_and_b64 s[8:9], s[44:45], exec
	s_or_b64 s[8:9], s[4:5], s[8:9]
.LBB186_417:                            ;   in Loop: Header=BB186_18 Depth=1
	s_or_b64 exec, exec, s[10:11]
	s_mov_b64 s[44:45], 0
	s_mov_b64 s[46:47], -1
.LBB186_418:                            ;   in Loop: Header=BB186_18 Depth=1
	s_orn2_b64 s[4:5], s[8:9], exec
.LBB186_419:                            ;   in Loop: Header=BB186_18 Depth=1
	s_or_b64 exec, exec, s[48:49]
	s_mov_b64 s[8:9], 0
	s_and_saveexec_b64 s[48:49], s[4:5]
	s_cbranch_execz .LBB186_483
; %bb.420:                              ;   in Loop: Header=BB186_18 Depth=1
	v_mov_b32_e32 v10, 1
	s_xor_b64 s[4:5], s[20:21], -1
	v_mov_b32_e32 v42, 1
	v_mov_b32_e32 v11, 0
	s_mov_b64 s[12:13], 0
	s_and_saveexec_b64 s[8:9], s[4:5]
	s_cbranch_execz .LBB186_429
; %bb.421:                              ;   in Loop: Header=BB186_18 Depth=1
	v_cmp_ge_u64_e32 vcc, s[42:43], v[8:9]
	s_and_saveexec_b64 s[4:5], vcc
	s_xor_b64 s[4:5], exec, s[4:5]
	s_cbranch_execz .LBB186_426
; %bb.422:                              ;   in Loop: Header=BB186_18 Depth=1
	s_lshl_b64 s[10:11], 1, s75
	v_and_b32_e32 v4, s62, v22
	v_or_b32_e32 v22, s10, v4
	ds_read_b64 v[4:5], v19 offset:5120
	v_and_b32_e32 v2, s63, v23
	v_or_b32_e32 v23, s11, v2
	v_or_b32_e32 v25, s19, v25
	;; [unrolled: 1-line block ×3, first 2 shown]
	s_waitcnt lgkmcnt(0)
	v_cmp_ne_u64_e32 vcc, 0, v[4:5]
	s_cbranch_vccnz .LBB186_426
; %bb.423:                              ;   in Loop: Header=BB186_18 Depth=1
	s_mov_b64 s[10:11], exec
	v_readlane_b32 s12, v45, 32
	v_readlane_b32 s13, v45, 33
	s_and_b64 s[12:13], s[10:11], s[12:13]
	s_mov_b64 exec, s[12:13]
; %bb.424:                              ;   in Loop: Header=BB186_18 Depth=1
	v_mov_b32_e32 v4, s42
	v_mov_b32_e32 v5, s43
	ds_write_b64 v19, v[4:5] offset:5128
; %bb.425:                              ;   in Loop: Header=BB186_18 Depth=1
	s_or_b64 exec, exec, s[10:11]
	s_waitcnt lgkmcnt(0)
	s_barrier
.LBB186_426:                            ;   in Loop: Header=BB186_18 Depth=1
	s_or_saveexec_b64 s[4:5], s[4:5]
	s_mov_b64 s[10:11], 0
	v_mov_b32_e32 v42, 5
	s_xor_b64 exec, exec, s[4:5]
; %bb.427:                              ;   in Loop: Header=BB186_18 Depth=1
	v_subrev_co_u32_e32 v8, vcc, s42, v8
	v_mov_b32_e32 v2, s43
	v_subb_co_u32_e32 v9, vcc, v9, v2, vcc
	v_mov_b32_e32 v42, 0
	s_mov_b64 s[10:11], exec
; %bb.428:                              ;   in Loop: Header=BB186_18 Depth=1
	s_or_b64 exec, exec, s[4:5]
	v_mov_b32_e32 v11, v9
	s_and_b64 s[12:13], s[10:11], exec
	v_mov_b32_e32 v10, v8
.LBB186_429:                            ;   in Loop: Header=BB186_18 Depth=1
	s_or_b64 exec, exec, s[8:9]
	s_mov_b64 s[4:5], -1
                                        ; implicit-def: $sgpr10_sgpr11
                                        ; implicit-def: $sgpr8_sgpr9
	s_and_saveexec_b64 s[42:43], s[12:13]
	s_cbranch_execz .LBB186_482
; %bb.430:                              ;   in Loop: Header=BB186_18 Depth=1
	s_cmp_eq_u64 s[16:17], 1
	v_cmp_eq_u64_e32 vcc, 1, v[10:11]
	s_cselect_b64 s[4:5], -1, 0
	s_and_b64 s[70:71], s[4:5], vcc
	s_mov_b64 s[4:5], -1
                                        ; implicit-def: $sgpr10_sgpr11
                                        ; implicit-def: $sgpr8_sgpr9
	s_and_saveexec_b64 s[54:55], s[70:71]
	s_cbranch_execz .LBB186_470
; %bb.431:                              ;   in Loop: Header=BB186_18 Depth=1
	ds_read_b64 v[4:5], v19 offset:5120
	s_waitcnt lgkmcnt(0)
	s_barrier
	v_readfirstlane_b32 s78, v4
	v_readfirstlane_b32 s79, v5
	s_mov_b64 s[4:5], exec
	v_readlane_b32 s8, v45, 48
	v_readlane_b32 s9, v45, 49
	s_and_b64 s[8:9], s[4:5], s[8:9]
	s_mov_b64 exec, s[8:9]
; %bb.432:                              ;   in Loop: Header=BB186_18 Depth=1
	v_mov_b32_e32 v18, v19
	ds_write_b64 v37, v[18:19]
; %bb.433:                              ;   in Loop: Header=BB186_18 Depth=1
	s_or_b64 exec, exec, s[4:5]
	v_and_b32_e32 v23, s63, v23
	v_and_b32_e32 v22, s62, v22
	v_or_b32_e32 v25, s19, v25
	v_or_b32_e32 v24, s18, v24
	s_mov_b64 s[8:9], -1
	s_mov_b64 s[10:11], 0
	s_cmp_eq_u64 s[78:79], 0
	s_mov_b64 s[76:77], 0
	s_mov_b64 s[34:35], -1
	s_waitcnt lgkmcnt(0)
	s_barrier
                                        ; implicit-def: $vgpr6_vgpr7
	s_cbranch_scc1 .LBB186_452
; %bb.434:                              ;   in Loop: Header=BB186_18 Depth=1
	v_writelane_b32 v45, s70, 62
	v_writelane_b32 v45, s71, 63
	v_readlane_b32 s4, v45, 52
	s_add_u32 s20, s78, s4
	v_readlane_b32 s4, v45, 54
	s_addc_u32 s35, s79, s4
	s_mov_b32 s34, s65
	s_cmp_lg_u64 s[34:35], 0
	s_cbranch_scc0 .LBB186_438
; %bb.435:                              ;   in Loop: Header=BB186_18 Depth=1
	v_cvt_f32_u32_e32 v2, s67
	s_sub_u32 s12, 0, s67
	s_subb_u32 s13, 0, 0
	v_mac_f32_e32 v2, 0, v41
	v_rcp_f32_e32 v2, v2
	v_mul_f32_e32 v2, 0x5f7ffffc, v2
	v_mul_f32_e32 v4, 0x2f800000, v2
	v_trunc_f32_e32 v4, v4
	v_mac_f32_e32 v2, 0xcf800000, v4
	v_cvt_u32_f32_e32 v4, v4
	v_cvt_u32_f32_e32 v2, v2
	v_readfirstlane_b32 s21, v4
	v_readfirstlane_b32 s4, v2
	s_mul_i32 s5, s12, s21
	s_mul_hi_u32 s64, s12, s4
	s_mul_i32 s34, s13, s4
	s_add_i32 s5, s64, s5
	s_mul_i32 s70, s12, s4
	s_add_i32 s5, s5, s34
	s_mul_hi_u32 s64, s4, s70
	s_mul_i32 s71, s4, s5
	s_mul_hi_u32 s34, s4, s5
	s_add_u32 s64, s64, s71
	s_addc_u32 s34, 0, s34
	s_mul_hi_u32 s72, s21, s70
	s_mul_i32 s70, s21, s70
	s_add_u32 s64, s64, s70
	s_mul_hi_u32 s71, s21, s5
	s_addc_u32 s34, s34, s72
	s_addc_u32 s64, s71, 0
	s_mul_i32 s5, s21, s5
	s_add_u32 s5, s34, s5
	s_addc_u32 s34, 0, s64
	s_add_u32 s64, s4, s5
	s_cselect_b64 s[4:5], -1, 0
	s_cmp_lg_u64 s[4:5], 0
	s_addc_u32 s21, s21, s34
	s_mul_i32 s4, s12, s21
	s_mul_hi_u32 s5, s12, s64
	s_add_i32 s4, s5, s4
	s_mul_i32 s13, s13, s64
	s_add_i32 s4, s4, s13
	s_mul_i32 s12, s12, s64
	s_mul_hi_u32 s13, s21, s12
	s_mul_i32 s34, s21, s12
	s_mul_i32 s71, s64, s4
	s_mul_hi_u32 s12, s64, s12
	s_mul_hi_u32 s70, s64, s4
	s_add_u32 s12, s12, s71
	s_addc_u32 s70, 0, s70
	s_add_u32 s12, s12, s34
	s_mul_hi_u32 s5, s21, s4
	s_addc_u32 s12, s70, s13
	s_addc_u32 s5, s5, 0
	s_mul_i32 s4, s21, s4
	s_add_u32 s4, s12, s4
	s_addc_u32 s12, 0, s5
	s_add_u32 s13, s64, s4
	s_cselect_b64 s[4:5], -1, 0
	s_cmp_lg_u64 s[4:5], 0
	s_addc_u32 s4, s21, s12
	s_mul_i32 s12, s20, s4
	s_mul_hi_u32 s21, s20, s13
	s_mul_hi_u32 s5, s20, s4
	s_add_u32 s12, s21, s12
	s_addc_u32 s5, 0, s5
	s_mul_hi_u32 s34, s35, s13
	s_mul_i32 s13, s35, s13
	s_add_u32 s12, s12, s13
	s_mul_hi_u32 s21, s35, s4
	s_addc_u32 s5, s5, s34
	s_addc_u32 s12, s21, 0
	s_mul_i32 s4, s35, s4
	s_add_u32 s4, s5, s4
	s_addc_u32 s5, 0, s12
	s_mul_i32 s5, s67, s5
	s_mul_hi_u32 s12, s67, s4
	s_add_i32 s12, s12, s5
	s_mul_i32 s4, s67, s4
	s_sub_u32 s13, s20, s4
	s_cselect_b64 s[4:5], -1, 0
	s_cmp_lg_u64 s[4:5], 0
	s_subb_u32 s12, s35, s12
	s_sub_u32 s21, s13, s67
	s_cselect_b64 s[4:5], -1, 0
	s_cmp_lg_u64 s[4:5], 0
	s_subb_u32 s34, s12, 0
	s_sub_u32 s64, s21, s67
	s_cselect_b64 s[4:5], -1, 0
	s_cmp_lg_u64 s[4:5], 0
	s_subb_u32 s4, s34, 0
	s_cmp_ge_u32 s21, s67
	s_cselect_b32 s5, -1, 0
	s_cmp_eq_u32 s34, 0
	s_cselect_b32 s5, s5, -1
	s_cmp_lg_u32 s5, 0
	s_cselect_b32 s4, s4, s34
	s_cselect_b32 s21, s64, s21
	s_cmp_ge_u32 s13, s67
	s_cselect_b32 s5, -1, 0
	s_cmp_eq_u32 s12, 0
	s_cselect_b32 s5, s5, -1
	s_cmp_lg_u32 s5, 0
	s_cselect_b32 s5, s4, s12
	s_cselect_b32 s4, s21, s13
	s_mov_b64 s[12:13], 0
	s_branch .LBB186_439
.LBB186_436:                            ;   in Loop: Header=BB186_18 Depth=1
                                        ; implicit-def: $sgpr4_sgpr5
	s_branch .LBB186_389
.LBB186_437:                            ;   in Loop: Header=BB186_18 Depth=1
	v_readlane_b32 s35, v45, 53
                                        ; implicit-def: $sgpr4_sgpr5
	s_branch .LBB186_406
.LBB186_438:                            ;   in Loop: Header=BB186_18 Depth=1
	s_mov_b64 s[12:13], -1
                                        ; implicit-def: $sgpr4_sgpr5
.LBB186_439:                            ;   in Loop: Header=BB186_18 Depth=1
	s_andn2_b64 vcc, exec, s[12:13]
	s_cbranch_vccnz .LBB186_441
; %bb.440:                              ;   in Loop: Header=BB186_18 Depth=1
	v_cvt_f32_u32_e32 v2, s67
	s_sub_i32 s4, 0, s67
	v_rcp_iflag_f32_e32 v2, v2
	v_mul_f32_e32 v2, 0x4f7ffffe, v2
	v_cvt_u32_f32_e32 v2, v2
	v_readfirstlane_b32 s5, v2
	s_mul_i32 s4, s4, s5
	s_mul_hi_u32 s4, s5, s4
	s_add_i32 s5, s5, s4
	s_mul_hi_u32 s4, s20, s5
	s_mul_i32 s4, s4, s67
	s_sub_i32 s4, s20, s4
	s_sub_i32 s5, s4, s67
	s_cmp_ge_u32 s4, s67
	s_cselect_b32 s4, s5, s4
	s_sub_i32 s5, s4, s67
	s_cmp_ge_u32 s4, s67
	s_cselect_b32 s64, s5, s4
	s_mov_b64 s[4:5], s[64:65]
.LBB186_441:                            ;   in Loop: Header=BB186_18 Depth=1
	s_sub_u32 s70, s20, s4
	s_subb_u32 s71, s35, s5
	v_cmp_gt_u64_e32 vcc, s[70:71], v[0:1]
	s_mov_b64 s[34:35], 0
                                        ; implicit-def: $vgpr6_vgpr7
	s_and_saveexec_b64 s[20:21], vcc
	s_cbranch_execz .LBB186_451
; %bb.442:                              ;   in Loop: Header=BB186_18 Depth=1
	v_mov_b32_e32 v9, v1
	s_mov_b64 s[12:13], 0
	v_mov_b32_e32 v12, v36
	v_mov_b32_e32 v8, v0
                                        ; implicit-def: $sgpr76_sgpr77
	s_branch .LBB186_446
.LBB186_443:                            ;   in Loop: Header=BB186_446 Depth=2
	s_or_b64 exec, exec, s[4:5]
	s_waitcnt lgkmcnt(0)
	s_barrier
	ds_read_b128 v[4:7], v19 offset:3072
	s_waitcnt lgkmcnt(0)
	s_barrier
	v_cmp_neq_f64_e32 vcc, 0, v[4:5]
	s_cbranch_vccnz .LBB186_449
; %bb.444:                              ;   in Loop: Header=BB186_446 Depth=2
	v_add_co_u32_e32 v8, vcc, s67, v8
	v_addc_co_u32_e32 v9, vcc, 0, v9, vcc
	v_cmp_le_u64_e32 vcc, s[70:71], v[8:9]
	v_add_u32_e32 v12, s74, v12
	s_mov_b64 s[4:5], 0
	s_orn2_b64 vcc, vcc, exec
.LBB186_445:                            ;   in Loop: Header=BB186_446 Depth=2
	s_and_b64 vcc, exec, vcc
	s_or_b64 s[12:13], vcc, s[12:13]
	s_andn2_b64 s[76:77], s[76:77], exec
	s_and_b64 s[4:5], s[4:5], exec
	s_or_b64 s[76:77], s[76:77], s[4:5]
	s_andn2_b64 exec, exec, s[12:13]
	s_cbranch_execz .LBB186_450
.LBB186_446:                            ;   Parent Loop BB186_18 Depth=1
                                        ; =>  This Inner Loop Header: Depth=2
	v_cmp_gt_u64_e32 vcc, s[78:79], v[8:9]
	s_and_saveexec_b64 s[4:5], vcc
	s_cbranch_execz .LBB186_443
; %bb.447:                              ;   in Loop: Header=BB186_446 Depth=2
	ds_read_b64 v[4:5], v12
	s_waitcnt lgkmcnt(0)
	v_cmp_o_f64_e32 vcc, v[4:5], v[4:5]
	v_ashrrev_i32_e32 v2, 31, v5
	v_or_b32_e32 v6, 0x80000000, v2
	v_xor_b32_e32 v6, v6, v5
	v_xor_b32_e32 v2, v2, v4
	v_cndmask_b32_e32 v6, -1, v6, vcc
	v_cndmask_b32_e32 v2, -1, v2, vcc
	v_and_b32_e32 v7, v6, v25
	v_and_b32_e32 v6, v2, v24
	v_cmp_eq_u64_e32 vcc, v[6:7], v[22:23]
	s_and_b64 exec, exec, vcc
	s_cbranch_execz .LBB186_443
; %bb.448:                              ;   in Loop: Header=BB186_446 Depth=2
	v_mov_b32_e32 v2, v19
	ds_write_b128 v19, v[2:5] offset:3072
	s_branch .LBB186_443
.LBB186_449:                            ;   in Loop: Header=BB186_446 Depth=2
	s_mov_b64 vcc, -1
                                        ; implicit-def: $vgpr8_vgpr9
                                        ; implicit-def: $vgpr12
	s_mov_b64 s[4:5], -1
	s_branch .LBB186_445
.LBB186_450:                            ;   in Loop: Header=BB186_18 Depth=1
	s_or_b64 exec, exec, s[12:13]
	s_and_b64 s[76:77], s[76:77], exec
.LBB186_451:                            ;   in Loop: Header=BB186_18 Depth=1
	s_or_b64 exec, exec, s[20:21]
	v_readlane_b32 s70, v45, 62
	v_readlane_b32 s71, v45, 63
.LBB186_452:                            ;   in Loop: Header=BB186_18 Depth=1
	s_and_b64 vcc, exec, s[34:35]
	s_cbranch_vccz .LBB186_469
; %bb.453:                              ;   in Loop: Header=BB186_18 Depth=1
	s_mov_b32 s72, s65
	s_cmp_lg_u64 s[72:73], 0
	s_cbranch_scc0 .LBB186_455
; %bb.454:                              ;   in Loop: Header=BB186_18 Depth=1
	v_cvt_f32_u32_e32 v2, s67
	s_sub_u32 s8, 0, s67
	s_subb_u32 s9, 0, 0
	v_mac_f32_e32 v2, 0, v41
	v_rcp_f32_e32 v2, v2
	v_mul_f32_e32 v2, 0x5f7ffffc, v2
	v_mul_f32_e32 v4, 0x2f800000, v2
	v_trunc_f32_e32 v4, v4
	v_mac_f32_e32 v2, 0xcf800000, v4
	v_cvt_u32_f32_e32 v4, v4
	v_cvt_u32_f32_e32 v2, v2
	v_readfirstlane_b32 s10, v4
	v_readfirstlane_b32 s4, v2
	s_mul_i32 s5, s8, s10
	s_mul_hi_u32 s12, s8, s4
	s_mul_i32 s11, s9, s4
	s_add_i32 s5, s12, s5
	s_mul_i32 s13, s8, s4
	s_add_i32 s5, s5, s11
	s_mul_hi_u32 s12, s4, s13
	s_mul_i32 s20, s4, s5
	s_mul_hi_u32 s11, s4, s5
	s_add_u32 s12, s12, s20
	s_addc_u32 s11, 0, s11
	s_mul_hi_u32 s21, s10, s13
	s_mul_i32 s13, s10, s13
	s_add_u32 s12, s12, s13
	s_mul_hi_u32 s20, s10, s5
	s_addc_u32 s11, s11, s21
	s_addc_u32 s12, s20, 0
	s_mul_i32 s5, s10, s5
	s_add_u32 s5, s11, s5
	s_addc_u32 s11, 0, s12
	s_add_u32 s12, s4, s5
	s_cselect_b64 s[4:5], -1, 0
	s_cmp_lg_u64 s[4:5], 0
	s_addc_u32 s10, s10, s11
	s_mul_i32 s4, s8, s10
	s_mul_hi_u32 s5, s8, s12
	s_add_i32 s4, s5, s4
	s_mul_i32 s9, s9, s12
	s_add_i32 s4, s4, s9
	s_mul_i32 s8, s8, s12
	s_mul_hi_u32 s9, s10, s8
	s_mul_i32 s11, s10, s8
	s_mul_i32 s20, s12, s4
	s_mul_hi_u32 s8, s12, s8
	s_mul_hi_u32 s13, s12, s4
	s_add_u32 s8, s8, s20
	s_addc_u32 s13, 0, s13
	s_add_u32 s8, s8, s11
	s_mul_hi_u32 s5, s10, s4
	s_addc_u32 s8, s13, s9
	s_addc_u32 s5, s5, 0
	s_mul_i32 s4, s10, s4
	s_add_u32 s4, s8, s4
	s_addc_u32 s8, 0, s5
	s_add_u32 s9, s12, s4
	s_cselect_b64 s[4:5], -1, 0
	s_cmp_lg_u64 s[4:5], 0
	s_addc_u32 s4, s10, s8
	v_readlane_b32 s13, v45, 53
	s_mul_i32 s8, s13, s4
	s_mul_hi_u32 s10, s13, s9
	s_mul_hi_u32 s5, s13, s4
	s_add_u32 s8, s10, s8
	s_addc_u32 s5, 0, s5
	s_mul_hi_u32 s11, s73, s9
	s_mul_i32 s9, s73, s9
	s_add_u32 s8, s8, s9
	s_mul_hi_u32 s10, s73, s4
	s_addc_u32 s5, s5, s11
	s_addc_u32 s8, s10, 0
	s_mul_i32 s4, s73, s4
	s_add_u32 s4, s5, s4
	s_addc_u32 s5, 0, s8
	s_mul_i32 s5, s67, s5
	s_mul_hi_u32 s8, s67, s4
	s_add_i32 s8, s8, s5
	s_mul_i32 s4, s67, s4
	s_sub_u32 s9, s13, s4
	s_cselect_b64 s[4:5], -1, 0
	s_cmp_lg_u64 s[4:5], 0
	s_subb_u32 s8, s73, s8
	s_sub_u32 s10, s9, s67
	s_cselect_b64 s[4:5], -1, 0
	s_cmp_lg_u64 s[4:5], 0
	s_subb_u32 s11, s8, 0
	;; [unrolled: 4-line block ×3, first 2 shown]
	s_cmp_ge_u32 s10, s67
	s_cselect_b32 s5, -1, 0
	s_cmp_eq_u32 s11, 0
	s_cselect_b32 s5, s5, -1
	s_cmp_lg_u32 s5, 0
	s_cselect_b32 s4, s4, s11
	s_cselect_b32 s10, s12, s10
	s_cmp_ge_u32 s9, s67
	s_cselect_b32 s5, -1, 0
	s_cmp_eq_u32 s8, 0
	s_cselect_b32 s5, s5, -1
	s_cmp_lg_u32 s5, 0
	s_cselect_b32 s5, s4, s8
	s_cselect_b32 s4, s10, s9
	s_mov_b64 s[8:9], 0
	s_branch .LBB186_456
.LBB186_455:                            ;   in Loop: Header=BB186_18 Depth=1
	s_mov_b64 s[8:9], -1
	v_readlane_b32 s13, v45, 53
                                        ; implicit-def: $sgpr4_sgpr5
.LBB186_456:                            ;   in Loop: Header=BB186_18 Depth=1
	s_andn2_b64 vcc, exec, s[8:9]
	s_cbranch_vccnz .LBB186_458
; %bb.457:                              ;   in Loop: Header=BB186_18 Depth=1
	v_cvt_f32_u32_e32 v2, s67
	s_sub_i32 s4, 0, s67
	v_rcp_iflag_f32_e32 v2, v2
	v_mul_f32_e32 v2, 0x4f7ffffe, v2
	v_cvt_u32_f32_e32 v2, v2
	v_readfirstlane_b32 s5, v2
	s_mul_i32 s4, s4, s5
	s_mul_hi_u32 s4, s5, s4
	s_add_i32 s5, s5, s4
	s_mul_hi_u32 s4, s13, s5
	s_mul_i32 s4, s4, s67
	s_sub_i32 s4, s13, s4
	s_sub_i32 s5, s4, s67
	s_cmp_ge_u32 s4, s67
	s_cselect_b32 s4, s5, s4
	s_sub_i32 s5, s4, s67
	s_cmp_ge_u32 s4, s67
	s_cselect_b32 s64, s5, s4
	s_mov_b64 s[4:5], s[64:65]
.LBB186_458:                            ;   in Loop: Header=BB186_18 Depth=1
	s_sub_u32 s10, s13, s4
	s_subb_u32 s11, s73, s5
	v_cmp_gt_u64_e32 vcc, s[10:11], v[0:1]
                                        ; implicit-def: $vgpr6_vgpr7
	s_and_saveexec_b64 s[8:9], vcc
	s_cbranch_execz .LBB186_468
; %bb.459:                              ;   in Loop: Header=BB186_18 Depth=1
	v_mov_b32_e32 v9, v1
	s_mov_b64 s[12:13], 0
	v_mov_b32_e32 v8, v0
                                        ; implicit-def: $sgpr20_sgpr21
	s_branch .LBB186_463
.LBB186_460:                            ;   in Loop: Header=BB186_463 Depth=2
	s_or_b64 exec, exec, s[4:5]
	s_waitcnt lgkmcnt(0)
	s_barrier
	ds_read_b128 v[4:7], v19 offset:3072
	s_waitcnt lgkmcnt(0)
	s_barrier
	v_cmp_eq_f64_e32 vcc, 0, v[4:5]
	s_cbranch_vccz .LBB186_466
; %bb.461:                              ;   in Loop: Header=BB186_463 Depth=2
	v_add_co_u32_e32 v8, vcc, s67, v8
	v_addc_co_u32_e32 v9, vcc, 0, v9, vcc
	v_cmp_le_u64_e32 vcc, s[10:11], v[8:9]
	s_mov_b64 s[4:5], 0
	s_orn2_b64 s[34:35], vcc, exec
.LBB186_462:                            ;   in Loop: Header=BB186_463 Depth=2
	s_and_b64 s[34:35], exec, s[34:35]
	s_or_b64 s[12:13], s[34:35], s[12:13]
	s_andn2_b64 s[20:21], s[20:21], exec
	s_and_b64 s[4:5], s[4:5], exec
	s_or_b64 s[20:21], s[20:21], s[4:5]
	s_andn2_b64 exec, exec, s[12:13]
	s_cbranch_execz .LBB186_467
.LBB186_463:                            ;   Parent Loop BB186_18 Depth=1
                                        ; =>  This Inner Loop Header: Depth=2
	v_cmp_gt_u64_e32 vcc, s[24:25], v[8:9]
	s_and_saveexec_b64 s[4:5], vcc
	s_cbranch_execz .LBB186_460
; %bb.464:                              ;   in Loop: Header=BB186_463 Depth=2
	v_mul_lo_u32 v2, v9, s22
	v_mul_lo_u32 v6, v8, s23
	v_mad_u64_u32 v[4:5], s[34:35], v8, s22, 0
	v_add3_u32 v5, v5, v6, v2
	v_lshlrev_b64 v[4:5], 3, v[4:5]
	v_mov_b32_e32 v2, s66
	v_add_co_u32_e32 v4, vcc, s33, v4
	v_addc_co_u32_e32 v5, vcc, v2, v5, vcc
	global_load_dwordx2 v[4:5], v[4:5], off
	s_waitcnt vmcnt(0)
	v_cmp_o_f64_e32 vcc, v[4:5], v[4:5]
	v_ashrrev_i32_e32 v2, 31, v5
	v_or_b32_e32 v6, 0x80000000, v2
	v_xor_b32_e32 v6, v6, v5
	v_xor_b32_e32 v2, v2, v4
	v_cndmask_b32_e32 v6, -1, v6, vcc
	v_cndmask_b32_e32 v2, -1, v2, vcc
	v_and_b32_e32 v7, v6, v25
	v_and_b32_e32 v6, v2, v24
	v_cmp_eq_u64_e32 vcc, v[6:7], v[22:23]
	s_and_b64 exec, exec, vcc
	s_cbranch_execz .LBB186_460
; %bb.465:                              ;   in Loop: Header=BB186_463 Depth=2
	v_mov_b32_e32 v2, v19
	ds_write_b128 v19, v[2:5] offset:3072
	s_branch .LBB186_460
.LBB186_466:                            ;   in Loop: Header=BB186_463 Depth=2
	s_mov_b64 s[34:35], -1
                                        ; implicit-def: $vgpr8_vgpr9
	s_mov_b64 s[4:5], -1
	s_branch .LBB186_462
.LBB186_467:                            ;   in Loop: Header=BB186_18 Depth=1
	s_or_b64 exec, exec, s[12:13]
	s_andn2_b64 s[4:5], s[76:77], exec
	s_and_b64 s[10:11], s[20:21], exec
	s_or_b64 s[76:77], s[4:5], s[10:11]
.LBB186_468:                            ;   in Loop: Header=BB186_18 Depth=1
	s_or_b64 exec, exec, s[8:9]
	s_mov_b64 s[8:9], 0
	s_mov_b64 s[10:11], -1
.LBB186_469:                            ;   in Loop: Header=BB186_18 Depth=1
	s_orn2_b64 s[4:5], s[76:77], exec
.LBB186_470:                            ;   in Loop: Header=BB186_18 Depth=1
	s_or_b64 exec, exec, s[54:55]
	s_mov_b64 s[12:13], 0
	s_and_saveexec_b64 s[20:21], s[4:5]
	s_cbranch_execz .LBB186_481
; %bb.471:                              ;   in Loop: Header=BB186_18 Depth=1
	v_mov_b32_e32 v4, 1
	s_xor_b64 s[12:13], s[70:71], -1
	v_mov_b32_e32 v5, 0
	v_mov_b32_e32 v42, 1
	s_and_saveexec_b64 s[4:5], s[12:13]
	s_cbranch_execz .LBB186_480
; %bb.472:                              ;   in Loop: Header=BB186_18 Depth=1
	v_cmp_ge_u64_e32 vcc, s[16:17], v[10:11]
	s_and_saveexec_b64 s[12:13], vcc
	s_xor_b64 s[12:13], exec, s[12:13]
	s_cbranch_execz .LBB186_477
; %bb.473:                              ;   in Loop: Header=BB186_18 Depth=1
	ds_read_b64 v[4:5], v19 offset:5120
	v_and_b32_e32 v23, s63, v23
	v_and_b32_e32 v22, s62, v22
	v_or_b32_e32 v25, s19, v25
	v_or_b32_e32 v24, s18, v24
	s_waitcnt lgkmcnt(0)
	v_cmp_ne_u64_e32 vcc, 0, v[4:5]
	s_cbranch_vccnz .LBB186_477
; %bb.474:                              ;   in Loop: Header=BB186_18 Depth=1
	s_mov_b64 s[18:19], exec
	v_readlane_b32 s34, v45, 32
	v_readlane_b32 s35, v45, 33
	s_and_b64 s[34:35], s[18:19], s[34:35]
	s_mov_b64 exec, s[34:35]
; %bb.475:                              ;   in Loop: Header=BB186_18 Depth=1
	v_mov_b32_e32 v4, s16
	v_mov_b32_e32 v5, s17
	ds_write_b64 v19, v[4:5] offset:5128
; %bb.476:                              ;   in Loop: Header=BB186_18 Depth=1
	s_or_b64 exec, exec, s[18:19]
	s_waitcnt lgkmcnt(0)
	s_barrier
.LBB186_477:                            ;   in Loop: Header=BB186_18 Depth=1
	s_andn2_saveexec_b64 s[12:13], s[12:13]
; %bb.478:                              ;   in Loop: Header=BB186_18 Depth=1
	v_mov_b32_e32 v2, s17
	v_subrev_co_u32_e32 v10, vcc, s16, v10
	v_subb_co_u32_e32 v11, vcc, v11, v2, vcc
; %bb.479:                              ;   in Loop: Header=BB186_18 Depth=1
	s_or_b64 exec, exec, s[12:13]
	v_mov_b32_e32 v4, v10
	v_mov_b32_e32 v42, 5
	;; [unrolled: 1-line block ×3, first 2 shown]
.LBB186_480:                            ;   in Loop: Header=BB186_18 Depth=1
	s_or_b64 exec, exec, s[4:5]
	v_mov_b32_e32 v11, v5
	s_mov_b64 s[12:13], exec
	v_mov_b32_e32 v10, v4
.LBB186_481:                            ;   in Loop: Header=BB186_18 Depth=1
	s_or_b64 exec, exec, s[20:21]
	s_orn2_b64 s[4:5], s[12:13], exec
.LBB186_482:                            ;   in Loop: Header=BB186_18 Depth=1
	s_or_b64 exec, exec, s[42:43]
	s_andn2_b64 s[12:13], s[46:47], exec
	s_and_b64 s[10:11], s[10:11], exec
	s_or_b64 s[46:47], s[12:13], s[10:11]
	s_andn2_b64 s[10:11], s[44:45], exec
	s_and_b64 s[8:9], s[8:9], exec
	v_mov_b32_e32 v8, v10
	s_or_b64 s[44:45], s[10:11], s[8:9]
	s_and_b64 s[8:9], s[4:5], exec
	v_mov_b32_e32 v9, v11
.LBB186_483:                            ;   in Loop: Header=BB186_18 Depth=1
	s_or_b64 exec, exec, s[48:49]
	s_orn2_b64 s[4:5], s[8:9], exec
.LBB186_484:                            ;   in Loop: Header=BB186_18 Depth=1
	s_or_b64 exec, exec, s[38:39]
	s_andn2_b64 s[8:9], s[30:31], exec
	s_and_b64 s[10:11], s[46:47], exec
	s_or_b64 s[30:31], s[8:9], s[10:11]
	s_andn2_b64 s[8:9], s[28:29], exec
	s_and_b64 s[10:11], s[44:45], exec
	v_mov_b32_e32 v29, v9
	s_or_b64 s[28:29], s[8:9], s[10:11]
	s_and_b64 s[8:9], s[4:5], exec
	v_mov_b32_e32 v28, v8
.LBB186_485:                            ;   in Loop: Header=BB186_18 Depth=1
	s_or_b64 exec, exec, s[36:37]
	s_orn2_b64 s[4:5], s[8:9], exec
.LBB186_486:                            ;   in Loop: Header=BB186_18 Depth=1
	s_or_b64 exec, exec, s[6:7]
	s_mov_b64 s[6:7], s[52:53]
	s_mov_b64 s[8:9], s[50:51]
	s_and_saveexec_b64 s[10:11], s[4:5]
; %bb.487:                              ;   in Loop: Header=BB186_18 Depth=1
	v_cmp_ne_u32_e64 s[6:7], 5, v42
	v_cmp_eq_u32_e32 vcc, 5, v42
	s_andn2_b64 s[4:5], s[50:51], exec
	s_and_b64 s[6:7], s[6:7], exec
	s_or_b64 s[8:9], s[4:5], s[6:7]
	s_andn2_b64 s[4:5], s[52:53], exec
	s_and_b64 s[6:7], vcc, exec
	s_or_b64 s[6:7], s[4:5], s[6:7]
; %bb.488:                              ;   in Loop: Header=BB186_18 Depth=1
	s_or_b64 exec, exec, s[10:11]
	s_andn2_b64 s[4:5], s[14:15], exec
	s_and_b64 s[10:11], s[30:31], exec
	s_or_b64 s[14:15], s[4:5], s[10:11]
	s_andn2_b64 s[4:5], s[40:41], exec
	s_and_b64 s[10:11], s[28:29], exec
	s_or_b64 s[40:41], s[4:5], s[10:11]
	;; [unrolled: 3-line block ×4, first 2 shown]
.LBB186_489:                            ;   in Loop: Header=BB186_18 Depth=1
	s_or_b64 exec, exec, s[2:3]
	s_mov_b64 s[2:3], 0
	s_mov_b64 s[28:29], 0
	s_and_saveexec_b64 s[4:5], s[52:53]
.LBB186_490:                            ;   in Loop: Header=BB186_18 Depth=1
	v_mov_b32_e32 v42, 0
	s_or_b64 s[50:51], s[50:51], exec
.LBB186_491:                            ;   in Loop: Header=BB186_18 Depth=1
	s_or_b64 exec, exec, s[4:5]
	s_andn2_b64 s[6:7], s[60:61], exec
	s_and_b64 s[8:9], s[14:15], exec
	s_or_b64 s[60:61], s[6:7], s[8:9]
	s_andn2_b64 s[6:7], s[58:59], exec
	s_and_b64 s[8:9], s[40:41], exec
	s_or_b64 s[58:59], s[6:7], s[8:9]
	;; [unrolled: 3-line block ×3, first 2 shown]
	s_andn2_b64 s[6:7], s[92:93], exec
	s_and_b64 s[2:3], s[2:3], exec
	v_mov_b32_e32 v26, v28
	s_mov_b64 s[4:5], -1
	s_andn2_b64 s[56:57], s[56:57], exec
	s_or_b64 s[92:93], s[6:7], s[2:3]
	v_mov_b32_e32 v27, v29
	s_and_saveexec_b64 s[2:3], s[50:51]
	s_xor_b64 s[2:3], exec, s[2:3]
	s_cbranch_execz .LBB186_17
; %bb.492:                              ;   in Loop: Header=BB186_18 Depth=1
	v_cmp_eq_u32_e32 vcc, 0, v42
	s_mov_b64 s[6:7], -1
	s_and_saveexec_b64 s[8:9], vcc
	s_cbranch_execz .LBB186_16
; %bb.493:                              ;   in Loop: Header=BB186_18 Depth=1
	s_xor_b32 s68, s68, 1
	s_add_i32 s10, s75, -2
	s_cmp_eq_u32 s75, 0
	s_cselect_b64 s[4:5], -1, 0
	s_xor_b64 s[6:7], exec, -1
	s_orn2_b64 s[4:5], s[4:5], exec
	s_mov_b32 s75, s10
	s_branch .LBB186_16
.LBB186_494:
	s_or_b64 exec, exec, s[80:81]
	s_xor_b64 s[4:5], s[90:91], -1
	s_xor_b64 s[8:9], s[88:89], -1
	s_xor_b64 s[12:13], s[84:85], -1
	s_xor_b64 s[10:11], s[82:83], -1
	s_xor_b64 s[2:3], s[86:87], -1
	s_mov_b64 s[6:7], 0
	s_and_saveexec_b64 s[14:15], s[10:11]
	s_xor_b64 s[10:11], exec, s[14:15]
	s_cbranch_execnz .LBB186_499
; %bb.495:
	s_andn2_saveexec_b64 s[0:1], s[10:11]
	s_cbranch_execnz .LBB186_518
.LBB186_496:
	s_or_b64 exec, exec, s[0:1]
	s_and_saveexec_b64 s[0:1], s[6:7]
.LBB186_497:
	; divergent unreachable
.LBB186_498:
	s_endpgm
.LBB186_499:
	s_and_saveexec_b64 s[14:15], s[12:13]
	s_xor_b64 s[12:13], exec, s[14:15]
	s_cbranch_execz .LBB186_516
; %bb.500:
	s_and_saveexec_b64 s[14:15], s[8:9]
	s_xor_b64 s[14:15], exec, s[14:15]
	s_cbranch_execz .LBB186_514
; %bb.501:
	s_and_saveexec_b64 s[8:9], s[4:5]
	s_xor_b64 s[16:17], exec, s[8:9]
	s_cbranch_execz .LBB186_512
; %bb.502:
	s_and_saveexec_b64 s[4:5], s[2:3]
	s_xor_b64 s[2:3], exec, s[4:5]
; %bb.503:
	v_lshrrev_b32_e32 v2, 31, v23
	v_add_co_u32_e32 v2, vcc, -1, v2
	v_addc_co_u32_e64 v3, s[4:5], 0, -1, vcc
	v_or_b32_e32 v3, 0x80000000, v3
	v_xor_b32_e32 v7, v3, v23
	v_xor_b32_e32 v6, v2, v22
; %bb.504:
	s_or_b64 exec, exec, s[2:3]
	s_mov_b64 s[2:3], exec
	v_readlane_b32 s4, v45, 32
	v_readlane_b32 s5, v45, 33
	;; [unrolled: 1-line block ×4, first 2 shown]
	s_and_b64 s[4:5], s[2:3], s[4:5]
	v_readlane_b32 s31, v45, 37
	v_readlane_b32 s20, v45, 34
	;; [unrolled: 1-line block ×4, first 2 shown]
	s_mov_b64 exec, s[4:5]
; %bb.505:
	v_mov_b32_e32 v2, 0
	v_mov_b32_e32 v3, v2
	ds_write_b64 v2, v[2:3] offset:5136
; %bb.506:
	s_or_b64 exec, exec, s[2:3]
	v_mov_b32_e32 v4, 0
	v_mov_b32_e32 v5, 0
	s_waitcnt lgkmcnt(0)
	s_barrier
	s_mov_b64 s[2:3], exec
	v_readlane_b32 s4, v45, 46
	v_readlane_b32 s5, v45, 47
	;; [unrolled: 1-line block ×3, first 2 shown]
	s_and_b64 s[4:5], s[2:3], s[4:5]
	v_readlane_b32 s7, v45, 23
	s_mov_b64 exec, s[4:5]
	s_cbranch_execz .LBB186_508
; %bb.507:
	global_load_dwordx2 v[4:5], v[16:17], off
.LBB186_508:
	s_or_b64 exec, exec, s[2:3]
	v_readlane_b32 s40, v45, 24
	s_add_u32 s2, s24, 63
	v_readlane_b32 s42, v45, 26
	v_readlane_b32 s43, v45, 27
	s_mul_i32 s3, s6, s43
	s_addc_u32 s9, s25, 0
	s_and_b32 s8, s2, 0xffffffc0
	s_mul_hi_u32 s2, s6, s42
	s_add_i32 s2, s2, s3
	s_mul_i32 s3, s6, s42
	v_readlane_b32 s18, v45, 10
	s_sub_u32 s4, s20, s3
	v_readlane_b32 s19, v45, 11
	s_subb_u32 s2, 0, s2
	s_mul_i32 s3, s4, s19
	s_mul_hi_u32 s5, s4, s18
	s_add_i32 s3, s5, s3
	s_mul_i32 s2, s2, s18
	s_add_i32 s3, s3, s2
	s_mul_i32 s2, s4, s18
	v_readlane_b32 s36, v45, 4
	v_readlane_b32 s4, v45, 0
	;; [unrolled: 1-line block ×4, first 2 shown]
	s_mov_b32 s18, s4
	s_mul_i32 s4, s4, s37
	s_mul_hi_u32 s5, s18, s36
	s_add_i32 s5, s5, s4
	s_mul_i32 s4, s18, s36
	v_readlane_b32 s28, v45, 2
	v_readlane_b32 s44, v45, 18
	;; [unrolled: 1-line block ×3, first 2 shown]
	s_sub_u32 s4, s28, s4
	v_readlane_b32 s46, v45, 20
	v_readlane_b32 s47, v45, 21
	s_subb_u32 s5, s29, s5
	s_mov_b64 s[36:37], s[6:7]
	s_mul_i32 s6, s4, s47
	s_mul_hi_u32 s7, s4, s46
	v_readlane_b32 s45, v45, 19
	s_add_i32 s6, s7, s6
	s_mul_i32 s5, s5, s46
	v_readlane_b32 s38, v45, 6
	v_readlane_b32 s39, v45, 7
	s_add_i32 s5, s6, s5
	s_mul_i32 s6, s18, s45
	s_mul_hi_u32 s7, s18, s44
	s_add_i32 s7, s7, s6
	s_mul_i32 s6, s18, s44
	s_mul_i32 s18, s28, s39
	s_mul_hi_u32 s19, s28, s38
	s_add_i32 s19, s19, s18
	s_mul_i32 s18, s28, s38
	v_readlane_b32 s28, v45, 16
	s_sub_u32 s18, s20, s18
	v_readlane_b32 s29, v45, 17
	s_subb_u32 s19, 0, s19
	s_mul_i32 s20, s18, s29
	s_mul_hi_u32 s21, s18, s28
	s_add_i32 s20, s21, s20
	s_mul_i32 s19, s19, s28
	s_add_i32 s19, s20, s19
	v_readlane_b32 s20, v45, 8
	v_readlane_b32 s41, v45, 25
	;; [unrolled: 1-line block ×3, first 2 shown]
	s_mov_b32 s34, s20
	s_mul_i32 s20, s20, s41
	s_mul_hi_u32 s21, s34, s40
	s_add_i32 s21, s21, s20
	s_mul_i32 s20, s34, s40
	s_sub_u32 s20, s36, s20
	s_subb_u32 s21, s37, s21
	v_readlane_b32 s36, v45, 12
	v_readlane_b32 s38, v45, 14
	;; [unrolled: 1-line block ×3, first 2 shown]
	s_mul_i32 s18, s18, s28
	s_mul_i32 s28, s20, s39
	s_mul_hi_u32 s29, s20, s38
	v_readlane_b32 s37, v45, 13
	s_add_i32 s28, s29, s28
	s_mul_i32 s21, s21, s38
	s_add_i32 s21, s28, s21
	s_mul_i32 s28, s34, s37
	s_mul_hi_u32 s29, s34, s36
	s_add_i32 s29, s29, s28
	s_mul_i32 s28, s34, s36
	s_lshl_b64 s[6:7], s[6:7], 3
	v_readlane_b32 s34, v45, 30
	s_mul_i32 s4, s4, s46
	v_readlane_b32 s35, v45, 31
	s_add_u32 s6, s34, s6
	s_addc_u32 s7, s35, s7
	s_lshl_b64 s[4:5], s[4:5], 3
	v_cmp_o_f64_e32 vcc, v[6:7], v[6:7]
	s_add_u32 s6, s6, s4
	s_addc_u32 s7, s7, s5
	s_lshl_b64 s[4:5], s[18:19], 3
	s_add_u32 s44, s6, s4
	s_addc_u32 s45, s7, s5
	s_lshl_b64 s[4:5], s[28:29], 3
	v_readlane_b32 s6, v45, 28
	s_mul_i32 s20, s20, s38
	v_readlane_b32 s7, v45, 29
	s_add_u32 s6, s6, s4
	v_ashrrev_i32_e32 v2, 31, v7
	s_addc_u32 s7, s7, s5
	s_lshl_b64 s[4:5], s[20:21], 3
	s_load_dwordx2 s[18:19], s[30:31], 0x368
	s_load_dwordx2 s[20:21], s[30:31], 0x510
	v_or_b32_e32 v3, 0x80000000, v2
	s_add_u32 s4, s6, s4
	v_xor_b32_e32 v3, v3, v7
	v_xor_b32_e32 v2, v2, v6
	s_addc_u32 s5, s7, s5
	s_lshl_b64 s[2:3], s[2:3], 3
	v_cndmask_b32_e32 v3, -1, v3, vcc
	v_cndmask_b32_e32 v2, -1, v2, vcc
	s_add_u32 s46, s4, s2
	v_cmp_gt_u64_e32 vcc, s[8:9], v[0:1]
	s_addc_u32 s47, s5, s3
	s_mov_b64 s[30:31], -1
	s_mov_b64 s[2:3], 0
	s_mov_b64 s[4:5], 0
	s_and_saveexec_b64 s[28:29], vcc
	s_cbranch_execnz .LBB186_519
; %bb.509:
	s_or_b64 exec, exec, s[28:29]
	s_and_saveexec_b64 s[6:7], s[30:31]
	s_cbranch_execnz .LBB186_536
.LBB186_510:
	s_or_b64 exec, exec, s[6:7]
	s_and_saveexec_b64 s[0:1], s[4:5]
	s_xor_b64 s[0:1], exec, s[0:1]
	s_cbranch_execnz .LBB186_561
.LBB186_511:
	s_or_b64 exec, exec, s[0:1]
	s_and_b64 s[6:7], s[2:3], exec
.LBB186_512:
	s_andn2_saveexec_b64 s[0:1], s[16:17]
	s_cbranch_execnz .LBB186_563
.LBB186_513:
	s_or_b64 exec, exec, s[0:1]
	s_and_b64 s[6:7], s[6:7], exec
.LBB186_514:
	s_andn2_saveexec_b64 s[0:1], s[14:15]
	s_cbranch_execnz .LBB186_562
.LBB186_515:
	s_or_b64 exec, exec, s[0:1]
	s_and_b64 s[6:7], s[6:7], exec
.LBB186_516:
	s_andn2_saveexec_b64 s[0:1], s[12:13]
	s_cbranch_execnz .LBB186_557
.LBB186_517:
	s_or_b64 exec, exec, s[0:1]
	s_and_b64 s[6:7], s[6:7], exec
	s_andn2_saveexec_b64 s[0:1], s[10:11]
	s_cbranch_execz .LBB186_496
.LBB186_518:
	s_or_b64 s[6:7], s[6:7], exec
	s_trap 2
	s_or_b64 exec, exec, s[0:1]
	s_and_saveexec_b64 s[0:1], s[6:7]
	s_cbranch_execnz .LBB186_497
	s_branch .LBB186_498
.LBB186_519:
	v_mov_b32_e32 v15, v1
	s_mov_b64 s[30:31], 0
	v_mov_b32_e32 v7, 0
	v_mov_b32_e32 v14, v0
                                        ; implicit-def: $sgpr34_sgpr35
                                        ; implicit-def: $vgpr10_vgpr11
	s_branch .LBB186_521
.LBB186_520:                            ;   in Loop: Header=BB186_521 Depth=1
	s_or_b64 exec, exec, s[38:39]
	s_xor_b64 s[4:5], s[36:37], -1
	s_and_b64 s[6:7], exec, s[6:7]
	s_or_b64 s[30:31], s[6:7], s[30:31]
	s_andn2_b64 s[6:7], s[34:35], exec
	s_and_b64 s[4:5], s[4:5], exec
	s_waitcnt vmcnt(0)
	v_mov_b32_e32 v4, v12
	v_mov_b32_e32 v15, v9
	s_or_b64 s[34:35], s[6:7], s[4:5]
	v_mov_b32_e32 v5, v13
	v_mov_b32_e32 v14, v8
	s_andn2_b64 exec, exec, s[30:31]
	s_cbranch_execz .LBB186_535
.LBB186_521:                            ; =>This Inner Loop Header: Depth=1
	v_add_co_u32_e64 v8, s[4:5], s67, v14
	v_addc_co_u32_e64 v9, s[4:5], 0, v15, s[4:5]
	v_cmp_gt_u64_e64 s[4:5], s[24:25], v[8:9]
	v_mov_b32_e32 v12, 0
	v_mov_b32_e32 v13, 0
	s_and_saveexec_b64 s[6:7], s[4:5]
	s_cbranch_execz .LBB186_523
; %bb.522:                              ;   in Loop: Header=BB186_521 Depth=1
	v_mul_lo_u32 v6, v9, s22
	v_mul_lo_u32 v18, v8, s23
	v_mad_u64_u32 v[12:13], s[4:5], v8, s22, 0
	v_add3_u32 v13, v13, v18, v6
	v_lshlrev_b64 v[12:13], 3, v[12:13]
	v_mov_b32_e32 v6, s66
	v_add_co_u32_e64 v12, s[4:5], s33, v12
	v_addc_co_u32_e64 v13, s[4:5], v6, v13, s[4:5]
	global_load_dwordx2 v[12:13], v[12:13], off
.LBB186_523:                            ;   in Loop: Header=BB186_521 Depth=1
	s_or_b64 exec, exec, s[6:7]
	v_cmp_gt_u64_e64 s[4:5], s[24:25], v[14:15]
	s_mov_b64 s[36:37], 0
	s_and_saveexec_b64 s[6:7], s[4:5]
	s_cbranch_execz .LBB186_525
; %bb.524:                              ;   in Loop: Header=BB186_521 Depth=1
	s_waitcnt vmcnt(0)
	v_cmp_o_f64_e64 s[4:5], v[4:5], v[4:5]
	v_ashrrev_i32_e32 v6, 31, v5
	v_or_b32_e32 v18, 0x80000000, v6
	v_xor_b32_e32 v18, v18, v5
	v_xor_b32_e32 v6, v6, v4
	v_cndmask_b32_e64 v19, -1, v18, s[4:5]
	v_cndmask_b32_e64 v18, -1, v6, s[4:5]
	v_cmp_gt_u64_e64 s[4:5], v[18:19], v[2:3]
	v_cndmask_b32_e64 v6, 0, 1, s[4:5]
	v_cmp_lt_u64_e64 s[4:5], v[18:19], v[2:3]
	v_cndmask_b32_e64 v18, 0, 1, s[4:5]
	v_cndmask_b32_e64 v6, v18, v6, s[50:51]
	v_and_b32_e32 v6, 1, v6
	v_cmp_eq_u32_e64 s[4:5], 1, v6
	s_and_b64 s[36:37], s[4:5], exec
.LBB186_525:                            ;   in Loop: Header=BB186_521 Depth=1
	s_or_b64 exec, exec, s[6:7]
	v_cndmask_b32_e64 v6, 0, 1, s[36:37]
	v_cmp_ne_u32_e64 s[4:5], 0, v6
	s_cmp_lg_u64 s[4:5], 0
	s_cselect_b64 s[6:7], -1, 0
	s_and_b64 s[6:7], s[0:1], s[6:7]
	s_and_saveexec_b64 s[38:39], s[6:7]
	s_cbranch_execz .LBB186_529
; %bb.526:                              ;   in Loop: Header=BB186_521 Depth=1
	s_mov_b64 s[42:43], exec
	v_mbcnt_lo_u32_b32 v6, s42, 0
	v_mbcnt_hi_u32_b32 v18, s43, v6
	s_bcnt1_i32_b64 s48, s[4:5]
	v_cmp_eq_u32_e64 s[6:7], 0, v18
                                        ; implicit-def: $vgpr10_vgpr11
	s_and_saveexec_b64 s[40:41], s[6:7]
	s_cbranch_execz .LBB186_528
; %bb.527:                              ;   in Loop: Header=BB186_521 Depth=1
	s_bcnt1_i32_b64 s6, s[42:43]
	s_mul_i32 s6, s48, s6
	v_mov_b32_e32 v6, s6
	s_waitcnt lgkmcnt(0)
	ds_add_rtn_u64 v[10:11], v7, v[6:7] offset:5136
.LBB186_528:                            ;   in Loop: Header=BB186_521 Depth=1
	s_or_b64 exec, exec, s[40:41]
	s_waitcnt lgkmcnt(0)
	v_readfirstlane_b32 s6, v11
	v_readfirstlane_b32 s7, v10
	v_mov_b32_e32 v10, s7
	v_mov_b32_e32 v11, s6
	v_mad_u64_u32 v[10:11], s[6:7], s48, v18, v[10:11]
.LBB186_529:                            ;   in Loop: Header=BB186_521 Depth=1
	s_or_b64 exec, exec, s[38:39]
	s_waitcnt lgkmcnt(0)
	ds_bpermute_b32 v10, v32, v10
	ds_bpermute_b32 v11, v32, v11
	s_mov_b64 s[6:7], -1
	s_mov_b64 s[40:41], -1
	s_and_saveexec_b64 s[38:39], s[36:37]
	s_cbranch_execz .LBB186_533
; %bb.530:                              ;   in Loop: Header=BB186_521 Depth=1
	v_and_b32_e32 v18, s4, v34
	v_and_b32_e32 v6, s5, v33
	v_bcnt_u32_b32 v18, v18, 0
	v_bcnt_u32_b32 v6, v6, v18
	s_waitcnt lgkmcnt(0)
	v_add_co_u32_e64 v18, s[4:5], v10, v6
	v_addc_co_u32_e64 v19, s[4:5], 0, v11, s[4:5]
	v_cmp_gt_u64_e64 s[4:5], s[26:27], v[18:19]
	s_mov_b64 s[36:37], 0
	s_and_saveexec_b64 s[40:41], s[4:5]
	s_cbranch_execz .LBB186_532
; %bb.531:                              ;   in Loop: Header=BB186_521 Depth=1
	v_mul_lo_u32 v6, v19, s18
	v_mul_lo_u32 v22, v18, s19
	v_mad_u64_u32 v[20:21], s[4:5], v18, s18, 0
	v_mul_lo_u32 v23, v19, s20
	v_mul_lo_u32 v24, v18, s21
	v_mad_u64_u32 v[18:19], s[4:5], v18, s20, 0
	v_add3_u32 v21, v21, v22, v6
	v_lshlrev_b64 v[20:21], 3, v[20:21]
	v_mov_b32_e32 v6, s45
	v_add_co_u32_e64 v20, s[4:5], s44, v20
	v_add3_u32 v19, v19, v24, v23
	v_addc_co_u32_e64 v21, s[4:5], v6, v21, s[4:5]
	s_waitcnt vmcnt(0)
	global_store_dwordx2 v[20:21], v[4:5], off
	v_lshlrev_b64 v[4:5], 3, v[18:19]
	v_mov_b32_e32 v6, s47
	v_add_co_u32_e64 v4, s[4:5], s46, v4
	s_mov_b64 s[36:37], exec
	v_addc_co_u32_e64 v5, s[4:5], v6, v5, s[4:5]
	global_store_dwordx2 v[4:5], v[14:15], off
.LBB186_532:                            ;   in Loop: Header=BB186_521 Depth=1
	s_or_b64 exec, exec, s[40:41]
	s_orn2_b64 s[40:41], s[36:37], exec
.LBB186_533:                            ;   in Loop: Header=BB186_521 Depth=1
	s_or_b64 exec, exec, s[38:39]
	s_mov_b64 s[36:37], -1
	s_and_saveexec_b64 s[38:39], s[40:41]
	s_cbranch_execz .LBB186_520
; %bb.534:                              ;   in Loop: Header=BB186_521 Depth=1
	v_cmp_le_u64_e64 s[4:5], s[8:9], v[8:9]
	s_xor_b64 s[36:37], exec, -1
	s_orn2_b64 s[6:7], s[4:5], exec
	s_branch .LBB186_520
.LBB186_535:
	s_or_b64 exec, exec, s[30:31]
	s_mov_b64 s[4:5], exec
	s_orn2_b64 s[30:31], s[34:35], exec
	s_or_b64 exec, exec, s[28:29]
	s_and_saveexec_b64 s[6:7], s[30:31]
	s_cbranch_execz .LBB186_510
.LBB186_536:
	v_mov_b32_e32 v8, 0
	v_mov_b32_e32 v9, 0
	s_waitcnt vmcnt(0) lgkmcnt(0)
	s_barrier
	s_mov_b64 s[2:3], exec
	v_readlane_b32 s28, v45, 46
	v_readlane_b32 s29, v45, 47
	s_and_b64 s[28:29], s[2:3], s[28:29]
	s_mov_b64 exec, s[28:29]
	s_cbranch_execz .LBB186_538
; %bb.537:
	global_load_dwordx2 v[8:9], v[16:17], off
.LBB186_538:
	s_or_b64 exec, exec, s[2:3]
	s_mov_b64 s[2:3], 0
	s_and_saveexec_b64 s[28:29], vcc
	s_cbranch_execz .LBB186_560
; %bb.539:
	s_mov_b64 s[30:31], 0
	v_mov_b32_e32 v5, 0
                                        ; implicit-def: $sgpr34_sgpr35
                                        ; implicit-def: $vgpr10_vgpr11
	s_branch .LBB186_542
.LBB186_540:                            ;   in Loop: Header=BB186_542 Depth=1
	s_or_b64 exec, exec, s[38:39]
	s_orn2_b64 s[40:41], s[42:43], exec
	s_orn2_b64 s[38:39], s[36:37], exec
.LBB186_541:                            ;   in Loop: Header=BB186_542 Depth=1
	s_or_b64 exec, exec, s[2:3]
	s_xor_b64 s[2:3], s[40:41], -1
	s_and_b64 s[36:37], exec, s[38:39]
	s_or_b64 s[30:31], s[36:37], s[30:31]
	s_andn2_b64 s[34:35], s[34:35], exec
	s_and_b64 s[2:3], s[2:3], exec
	v_mov_b32_e32 v0, v6
	s_waitcnt vmcnt(0)
	v_mov_b32_e32 v8, v12
	s_or_b64 s[34:35], s[34:35], s[2:3]
	v_mov_b32_e32 v1, v7
	v_mov_b32_e32 v9, v13
	s_andn2_b64 exec, exec, s[30:31]
	s_cbranch_execz .LBB186_558
.LBB186_542:                            ; =>This Inner Loop Header: Depth=1
	v_add_co_u32_e32 v6, vcc, s67, v0
	v_addc_co_u32_e32 v7, vcc, 0, v1, vcc
	v_cmp_gt_u64_e32 vcc, s[24:25], v[6:7]
	v_mov_b32_e32 v12, 0
	v_mov_b32_e32 v13, 0
	s_and_saveexec_b64 s[2:3], vcc
	s_cbranch_execz .LBB186_544
; %bb.543:                              ;   in Loop: Header=BB186_542 Depth=1
	v_mul_lo_u32 v4, v7, s22
	v_mul_lo_u32 v14, v6, s23
	v_mad_u64_u32 v[12:13], s[36:37], v6, s22, 0
	v_add3_u32 v13, v13, v14, v4
	v_lshlrev_b64 v[12:13], 3, v[12:13]
	v_mov_b32_e32 v4, s66
	v_add_co_u32_e32 v12, vcc, s33, v12
	v_addc_co_u32_e32 v13, vcc, v4, v13, vcc
	global_load_dwordx2 v[12:13], v[12:13], off
.LBB186_544:                            ;   in Loop: Header=BB186_542 Depth=1
	s_or_b64 exec, exec, s[2:3]
	v_cmp_gt_u64_e32 vcc, s[24:25], v[0:1]
	s_mov_b64 s[36:37], 0
	s_and_saveexec_b64 s[2:3], vcc
	s_cbranch_execz .LBB186_546
; %bb.545:                              ;   in Loop: Header=BB186_542 Depth=1
	s_waitcnt vmcnt(0)
	v_cmp_o_f64_e32 vcc, v[8:9], v[8:9]
	v_ashrrev_i32_e32 v4, 31, v9
	v_or_b32_e32 v14, 0x80000000, v4
	v_xor_b32_e32 v14, v14, v9
	v_xor_b32_e32 v4, v4, v8
	v_cndmask_b32_e32 v15, -1, v14, vcc
	v_cndmask_b32_e32 v14, -1, v4, vcc
	v_cmp_eq_u64_e32 vcc, v[14:15], v[2:3]
	s_and_b64 s[36:37], vcc, exec
.LBB186_546:                            ;   in Loop: Header=BB186_542 Depth=1
	s_or_b64 exec, exec, s[2:3]
	v_cndmask_b32_e64 v4, 0, 1, s[36:37]
	v_cmp_ne_u32_e32 vcc, 0, v4
	s_cmp_lg_u64 vcc, 0
	s_cselect_b64 s[2:3], -1, 0
	s_and_b64 s[2:3], s[0:1], s[2:3]
	s_and_saveexec_b64 s[38:39], s[2:3]
	s_cbranch_execz .LBB186_550
; %bb.547:                              ;   in Loop: Header=BB186_542 Depth=1
	s_mov_b64 s[42:43], exec
	v_mbcnt_lo_u32_b32 v4, s42, 0
	v_mbcnt_hi_u32_b32 v14, s43, v4
	s_bcnt1_i32_b64 s48, vcc
	v_cmp_eq_u32_e64 s[2:3], 0, v14
                                        ; implicit-def: $vgpr10_vgpr11
	s_and_saveexec_b64 s[40:41], s[2:3]
; %bb.548:                              ;   in Loop: Header=BB186_542 Depth=1
	s_bcnt1_i32_b64 s2, s[42:43]
	s_mul_i32 s2, s48, s2
	v_mov_b32_e32 v4, s2
	ds_add_rtn_u64 v[10:11], v5, v[4:5] offset:5136
; %bb.549:                              ;   in Loop: Header=BB186_542 Depth=1
	s_or_b64 exec, exec, s[40:41]
	s_waitcnt lgkmcnt(0)
	v_readfirstlane_b32 s2, v11
	v_readfirstlane_b32 s3, v10
	v_mov_b32_e32 v10, s3
	v_mov_b32_e32 v11, s2
	v_mad_u64_u32 v[10:11], s[2:3], s48, v14, v[10:11]
.LBB186_550:                            ;   in Loop: Header=BB186_542 Depth=1
	s_or_b64 exec, exec, s[38:39]
	ds_bpermute_b32 v10, v32, v10
	ds_bpermute_b32 v11, v32, v11
	s_cmp_eq_u64 vcc, 0
	s_cselect_b64 s[40:41], -1, 0
	s_mov_b64 s[38:39], -1
	s_waitcnt lgkmcnt(0)
	v_cmp_gt_u64_e64 s[2:3], s[26:27], v[10:11]
	s_or_b64 s[42:43], s[40:41], s[2:3]
	s_mov_b64 s[40:41], -1
	s_and_saveexec_b64 s[2:3], s[42:43]
	s_cbranch_execz .LBB186_541
; %bb.551:                              ;   in Loop: Header=BB186_542 Depth=1
	v_and_b32_e32 v14, vcc_lo, v34
	v_and_b32_e32 v4, vcc_hi, v33
	v_bcnt_u32_b32 v14, v14, 0
	v_bcnt_u32_b32 v4, v4, v14
	v_mov_b32_e32 v15, s27
	v_sub_co_u32_e32 v14, vcc, s26, v10
	v_subb_co_u32_e32 v15, vcc, v15, v11, vcc
	v_cmp_gt_u64_e32 vcc, v[14:15], v[4:5]
	s_mov_b64 s[42:43], -1
	s_and_b64 s[48:49], s[36:37], vcc
	s_mov_b64 s[36:37], -1
	s_and_saveexec_b64 s[38:39], s[48:49]
	s_cbranch_execz .LBB186_555
; %bb.552:                              ;   in Loop: Header=BB186_542 Depth=1
	v_add_co_u32_e32 v14, vcc, v10, v4
	v_addc_co_u32_e32 v15, vcc, 0, v11, vcc
	v_cmp_gt_u64_e32 vcc, s[26:27], v[14:15]
	s_mov_b64 s[40:41], 0
	s_and_saveexec_b64 s[42:43], vcc
	s_cbranch_execz .LBB186_554
; %bb.553:                              ;   in Loop: Header=BB186_542 Depth=1
	v_mul_lo_u32 v4, v15, s18
	v_mul_lo_u32 v18, v14, s19
	v_mad_u64_u32 v[16:17], s[48:49], v14, s18, 0
	v_mul_lo_u32 v19, v15, s20
	v_mul_lo_u32 v20, v14, s21
	v_mad_u64_u32 v[14:15], s[48:49], v14, s20, 0
	v_add3_u32 v17, v17, v18, v4
	v_lshlrev_b64 v[16:17], 3, v[16:17]
	v_mov_b32_e32 v4, s45
	v_add_co_u32_e32 v16, vcc, s44, v16
	v_add3_u32 v15, v15, v20, v19
	v_addc_co_u32_e32 v17, vcc, v4, v17, vcc
	s_waitcnt vmcnt(0)
	global_store_dwordx2 v[16:17], v[8:9], off
	v_lshlrev_b64 v[8:9], 3, v[14:15]
	v_mov_b32_e32 v4, s47
	v_add_co_u32_e32 v8, vcc, s46, v8
	s_mov_b64 s[40:41], exec
	v_addc_co_u32_e32 v9, vcc, v4, v9, vcc
	global_store_dwordx2 v[8:9], v[0:1], off
.LBB186_554:                            ;   in Loop: Header=BB186_542 Depth=1
	s_or_b64 exec, exec, s[42:43]
	s_xor_b64 s[42:43], exec, -1
	s_orn2_b64 s[40:41], s[40:41], exec
.LBB186_555:                            ;   in Loop: Header=BB186_542 Depth=1
	s_or_b64 exec, exec, s[38:39]
	s_and_saveexec_b64 s[38:39], s[40:41]
	s_cbranch_execz .LBB186_540
; %bb.556:                              ;   in Loop: Header=BB186_542 Depth=1
	v_cmp_le_u64_e32 vcc, s[8:9], v[6:7]
	s_or_b64 s[42:43], s[42:43], exec
	s_orn2_b64 s[36:37], vcc, exec
	s_branch .LBB186_540
.LBB186_557:
	s_or_b64 s[6:7], s[6:7], exec
	s_trap 2
	s_branch .LBB186_517
.LBB186_558:
	s_or_b64 exec, exec, s[30:31]
	s_mov_b64 s[0:1], 0
	s_and_saveexec_b64 s[2:3], s[34:35]
	s_xor_b64 s[2:3], exec, s[2:3]
	s_cbranch_execnz .LBB186_564
.LBB186_559:
	s_or_b64 exec, exec, s[2:3]
	s_and_b64 s[2:3], s[0:1], exec
.LBB186_560:
	s_or_b64 exec, exec, s[28:29]
	s_and_b64 s[2:3], s[2:3], exec
	s_andn2_b64 s[4:5], s[4:5], exec
	s_or_b64 exec, exec, s[6:7]
	s_and_saveexec_b64 s[0:1], s[4:5]
	s_xor_b64 s[0:1], exec, s[0:1]
	s_cbranch_execz .LBB186_511
.LBB186_561:
	s_trap 2
	s_or_b64 s[2:3], s[2:3], exec
	s_branch .LBB186_511
.LBB186_562:
	s_or_b64 s[6:7], s[6:7], exec
	s_trap 2
	s_branch .LBB186_515
.LBB186_563:
	s_trap 2
	s_or_b64 s[6:7], s[6:7], exec
	s_branch .LBB186_513
.LBB186_564:
	s_mov_b64 s[0:1], exec
	s_trap 2
	s_branch .LBB186_559
	.section	.rodata,"a",@progbits
	.p2align	6, 0x0
	.amdhsa_kernel _ZN2at6native6sbtopk10gatherTopKIdmLi3ELb0EEEvNS_4cuda6detail10TensorInfoIKT_T0_EES8_S8_bS8_S8_NS5_IS6_S8_EES8_NS5_IlS8_EES8_PS6_
		.amdhsa_group_segment_fixed_size 5152
		.amdhsa_private_segment_fixed_size 0
		.amdhsa_kernarg_size 1568
		.amdhsa_user_sgpr_count 6
		.amdhsa_user_sgpr_private_segment_buffer 1
		.amdhsa_user_sgpr_dispatch_ptr 0
		.amdhsa_user_sgpr_queue_ptr 0
		.amdhsa_user_sgpr_kernarg_segment_ptr 1
		.amdhsa_user_sgpr_dispatch_id 0
		.amdhsa_user_sgpr_flat_scratch_init 0
		.amdhsa_user_sgpr_private_segment_size 0
		.amdhsa_uses_dynamic_stack 0
		.amdhsa_system_sgpr_private_segment_wavefront_offset 0
		.amdhsa_system_sgpr_workgroup_id_x 1
		.amdhsa_system_sgpr_workgroup_id_y 1
		.amdhsa_system_sgpr_workgroup_id_z 1
		.amdhsa_system_sgpr_workgroup_info 0
		.amdhsa_system_vgpr_workitem_id 0
		.amdhsa_next_free_vgpr 46
		.amdhsa_next_free_sgpr 96
		.amdhsa_reserve_vcc 1
		.amdhsa_reserve_flat_scratch 0
		.amdhsa_float_round_mode_32 0
		.amdhsa_float_round_mode_16_64 0
		.amdhsa_float_denorm_mode_32 3
		.amdhsa_float_denorm_mode_16_64 3
		.amdhsa_dx10_clamp 1
		.amdhsa_ieee_mode 1
		.amdhsa_fp16_overflow 0
		.amdhsa_exception_fp_ieee_invalid_op 0
		.amdhsa_exception_fp_denorm_src 0
		.amdhsa_exception_fp_ieee_div_zero 0
		.amdhsa_exception_fp_ieee_overflow 0
		.amdhsa_exception_fp_ieee_underflow 0
		.amdhsa_exception_fp_ieee_inexact 0
		.amdhsa_exception_int_div_zero 0
	.end_amdhsa_kernel
	.section	.text._ZN2at6native6sbtopk10gatherTopKIdmLi3ELb0EEEvNS_4cuda6detail10TensorInfoIKT_T0_EES8_S8_bS8_S8_NS5_IS6_S8_EES8_NS5_IlS8_EES8_PS6_,"axG",@progbits,_ZN2at6native6sbtopk10gatherTopKIdmLi3ELb0EEEvNS_4cuda6detail10TensorInfoIKT_T0_EES8_S8_bS8_S8_NS5_IS6_S8_EES8_NS5_IlS8_EES8_PS6_,comdat
.Lfunc_end186:
	.size	_ZN2at6native6sbtopk10gatherTopKIdmLi3ELb0EEEvNS_4cuda6detail10TensorInfoIKT_T0_EES8_S8_bS8_S8_NS5_IS6_S8_EES8_NS5_IlS8_EES8_PS6_, .Lfunc_end186-_ZN2at6native6sbtopk10gatherTopKIdmLi3ELb0EEEvNS_4cuda6detail10TensorInfoIKT_T0_EES8_S8_bS8_S8_NS5_IS6_S8_EES8_NS5_IlS8_EES8_PS6_
                                        ; -- End function
	.set _ZN2at6native6sbtopk10gatherTopKIdmLi3ELb0EEEvNS_4cuda6detail10TensorInfoIKT_T0_EES8_S8_bS8_S8_NS5_IS6_S8_EES8_NS5_IlS8_EES8_PS6_.num_vgpr, 46
	.set _ZN2at6native6sbtopk10gatherTopKIdmLi3ELb0EEEvNS_4cuda6detail10TensorInfoIKT_T0_EES8_S8_bS8_S8_NS5_IS6_S8_EES8_NS5_IlS8_EES8_PS6_.num_agpr, 0
	.set _ZN2at6native6sbtopk10gatherTopKIdmLi3ELb0EEEvNS_4cuda6detail10TensorInfoIKT_T0_EES8_S8_bS8_S8_NS5_IS6_S8_EES8_NS5_IlS8_EES8_PS6_.numbered_sgpr, 96
	.set _ZN2at6native6sbtopk10gatherTopKIdmLi3ELb0EEEvNS_4cuda6detail10TensorInfoIKT_T0_EES8_S8_bS8_S8_NS5_IS6_S8_EES8_NS5_IlS8_EES8_PS6_.num_named_barrier, 0
	.set _ZN2at6native6sbtopk10gatherTopKIdmLi3ELb0EEEvNS_4cuda6detail10TensorInfoIKT_T0_EES8_S8_bS8_S8_NS5_IS6_S8_EES8_NS5_IlS8_EES8_PS6_.private_seg_size, 0
	.set _ZN2at6native6sbtopk10gatherTopKIdmLi3ELb0EEEvNS_4cuda6detail10TensorInfoIKT_T0_EES8_S8_bS8_S8_NS5_IS6_S8_EES8_NS5_IlS8_EES8_PS6_.uses_vcc, 1
	.set _ZN2at6native6sbtopk10gatherTopKIdmLi3ELb0EEEvNS_4cuda6detail10TensorInfoIKT_T0_EES8_S8_bS8_S8_NS5_IS6_S8_EES8_NS5_IlS8_EES8_PS6_.uses_flat_scratch, 0
	.set _ZN2at6native6sbtopk10gatherTopKIdmLi3ELb0EEEvNS_4cuda6detail10TensorInfoIKT_T0_EES8_S8_bS8_S8_NS5_IS6_S8_EES8_NS5_IlS8_EES8_PS6_.has_dyn_sized_stack, 0
	.set _ZN2at6native6sbtopk10gatherTopKIdmLi3ELb0EEEvNS_4cuda6detail10TensorInfoIKT_T0_EES8_S8_bS8_S8_NS5_IS6_S8_EES8_NS5_IlS8_EES8_PS6_.has_recursion, 0
	.set _ZN2at6native6sbtopk10gatherTopKIdmLi3ELb0EEEvNS_4cuda6detail10TensorInfoIKT_T0_EES8_S8_bS8_S8_NS5_IS6_S8_EES8_NS5_IlS8_EES8_PS6_.has_indirect_call, 0
	.section	.AMDGPU.csdata,"",@progbits
; Kernel info:
; codeLenInByte = 27324
; TotalNumSgprs: 100
; NumVgprs: 46
; ScratchSize: 0
; MemoryBound: 0
; FloatMode: 240
; IeeeMode: 1
; LDSByteSize: 5152 bytes/workgroup (compile time only)
; SGPRBlocks: 12
; VGPRBlocks: 11
; NumSGPRsForWavesPerEU: 100
; NumVGPRsForWavesPerEU: 46
; Occupancy: 5
; WaveLimiterHint : 1
; COMPUTE_PGM_RSRC2:SCRATCH_EN: 0
; COMPUTE_PGM_RSRC2:USER_SGPR: 6
; COMPUTE_PGM_RSRC2:TRAP_HANDLER: 0
; COMPUTE_PGM_RSRC2:TGID_X_EN: 1
; COMPUTE_PGM_RSRC2:TGID_Y_EN: 1
; COMPUTE_PGM_RSRC2:TGID_Z_EN: 1
; COMPUTE_PGM_RSRC2:TIDIG_COMP_CNT: 0
	.section	.text._ZN2at6native6mbtopk23computeBlockDigitCountsIdmmLin1EEEvNS_4cuda6detail10TensorInfoIKT_T0_EEjPjjS8_iijT1_PSB_Ps,"axG",@progbits,_ZN2at6native6mbtopk23computeBlockDigitCountsIdmmLin1EEEvNS_4cuda6detail10TensorInfoIKT_T0_EEjPjjS8_iijT1_PSB_Ps,comdat
	.protected	_ZN2at6native6mbtopk23computeBlockDigitCountsIdmmLin1EEEvNS_4cuda6detail10TensorInfoIKT_T0_EEjPjjS8_iijT1_PSB_Ps ; -- Begin function _ZN2at6native6mbtopk23computeBlockDigitCountsIdmmLin1EEEvNS_4cuda6detail10TensorInfoIKT_T0_EEjPjjS8_iijT1_PSB_Ps
	.globl	_ZN2at6native6mbtopk23computeBlockDigitCountsIdmmLin1EEEvNS_4cuda6detail10TensorInfoIKT_T0_EEjPjjS8_iijT1_PSB_Ps
	.p2align	8
	.type	_ZN2at6native6mbtopk23computeBlockDigitCountsIdmmLin1EEEvNS_4cuda6detail10TensorInfoIKT_T0_EEjPjjS8_iijT1_PSB_Ps,@function
_ZN2at6native6mbtopk23computeBlockDigitCountsIdmmLin1EEEvNS_4cuda6detail10TensorInfoIKT_T0_EEjPjjS8_iijT1_PSB_Ps: ; @_ZN2at6native6mbtopk23computeBlockDigitCountsIdmmLin1EEEvNS_4cuda6detail10TensorInfoIKT_T0_EEjPjjS8_iijT1_PSB_Ps
; %bb.0:
	s_load_dwordx4 s[0:3], s[4:5], 0x1c0
	s_load_dwordx2 s[10:11], s[4:5], 0x1e8
	s_waitcnt lgkmcnt(0)
	s_load_dword s3, s[4:5], 0x1b0
	s_mov_b32 s15, 0
	v_cvt_f32_u32_e32 v1, s2
	s_mul_i32 s8, s11, s8
	s_add_i32 s7, s8, s7
	s_mul_i32 s26, s7, s10
	v_rcp_iflag_f32_e32 v1, v1
	s_sub_i32 s9, 0, s2
	s_add_i32 s26, s26, s6
	v_mul_f32_e32 v1, 0x4f7ffffe, v1
	v_cvt_u32_f32_e32 v1, v1
	v_readfirstlane_b32 s6, v1
	s_mul_i32 s9, s9, s6
	s_mul_hi_u32 s7, s6, s9
	s_add_i32 s6, s6, s7
	s_mul_hi_u32 s6, s26, s6
	s_mul_i32 s7, s6, s2
	s_sub_i32 s7, s26, s7
	s_add_i32 s8, s6, 1
	s_sub_i32 s9, s7, s2
	s_cmp_ge_u32 s7, s2
	s_cselect_b32 s6, s8, s6
	s_cselect_b32 s7, s9, s7
	s_add_i32 s8, s6, 1
	s_cmp_ge_u32 s7, s2
	s_cselect_b32 s14, s8, s6
	s_waitcnt lgkmcnt(0)
	s_cmp_ge_u32 s14, s3
	s_cbranch_scc1 .LBB187_28
; %bb.1:
	s_load_dwordx4 s[8:11], s[4:5], 0x1d0
	s_load_dword s16, s[4:5], 0x198
	s_load_dwordx2 s[6:7], s[4:5], 0x1e0
	s_lshl_b64 s[12:13], s[14:15], 3
	s_mov_b64 s[22:23], s[14:15]
	s_waitcnt lgkmcnt(0)
	s_add_u32 s10, s10, s12
	s_addc_u32 s11, s11, s13
	s_load_dwordx2 s[10:11], s[10:11], 0x0
	s_cmp_lt_i32 s16, 2
	s_mov_b64 s[12:13], 0
	s_cbranch_scc1 .LBB187_7
; %bb.2:
	s_add_i32 s18, s16, -1
	s_mov_b32 s19, 0
	s_add_i32 s3, s16, 1
	s_lshl_b64 s[12:13], s[18:19], 3
	s_add_u32 s12, s4, s12
	s_addc_u32 s13, s5, s13
	s_add_u32 s20, s12, 8
	s_addc_u32 s21, s13, 0
	s_mov_b64 s[12:13], 0
.LBB187_3:                              ; =>This Inner Loop Header: Depth=1
	s_load_dwordx2 s[24:25], s[20:21], 0x0
	s_mov_b64 s[16:17], 0
	s_waitcnt lgkmcnt(0)
	v_mov_b32_e32 v1, s24
	v_mov_b32_e32 v2, s25
	v_cmp_lt_u64_e32 vcc, s[22:23], v[1:2]
	s_cbranch_vccnz .LBB187_5
; %bb.4:                                ;   in Loop: Header=BB187_3 Depth=1
	v_cvt_f32_u32_e32 v1, s24
	s_sub_i32 s15, 0, s24
	v_rcp_iflag_f32_e32 v1, v1
	v_mul_f32_e32 v1, 0x4f7ffffe, v1
	v_cvt_u32_f32_e32 v1, v1
	v_readfirstlane_b32 s16, v1
	s_mul_i32 s15, s15, s16
	s_mul_hi_u32 s15, s16, s15
	s_add_i32 s16, s16, s15
	s_mul_hi_u32 s15, s22, s16
	s_mul_i32 s17, s15, s24
	s_sub_i32 s17, s22, s17
	s_add_i32 s16, s15, 1
	s_sub_i32 s18, s17, s24
	s_cmp_ge_u32 s17, s24
	s_cselect_b32 s15, s16, s15
	s_cselect_b32 s17, s18, s17
	s_add_i32 s16, s15, 1
	s_cmp_ge_u32 s17, s24
	s_cselect_b32 s18, s16, s15
	s_mov_b64 s[16:17], s[18:19]
.LBB187_5:                              ;   in Loop: Header=BB187_3 Depth=1
	s_load_dwordx2 s[28:29], s[20:21], 0xc8
	s_mul_i32 s15, s16, s25
	s_mul_hi_u32 s18, s16, s24
	s_add_i32 s18, s18, s15
	s_mul_i32 s15, s16, s24
	s_sub_u32 s15, s22, s15
	s_subb_u32 s18, s23, s18
	s_waitcnt lgkmcnt(0)
	s_mul_i32 s18, s28, s18
	s_mul_hi_u32 s22, s28, s15
	s_add_i32 s18, s22, s18
	s_mul_i32 s22, s29, s15
	s_add_i32 s18, s18, s22
	s_mul_i32 s15, s28, s15
	s_add_u32 s12, s15, s12
	s_addc_u32 s13, s18, s13
	s_add_i32 s3, s3, -1
	s_add_u32 s20, s20, -8
	s_addc_u32 s21, s21, -1
	s_cmp_gt_u32 s3, 2
	s_cbranch_scc0 .LBB187_8
; %bb.6:                                ;   in Loop: Header=BB187_3 Depth=1
	s_mov_b64 s[22:23], s[16:17]
	s_branch .LBB187_3
.LBB187_7:
	s_mov_b64 s[16:17], s[22:23]
.LBB187_8:
	s_movk_i32 s3, 0x100
	v_cmp_gt_u32_e32 vcc, s3, v0
	v_lshlrev_b32_e32 v3, 2, v0
	s_and_saveexec_b64 s[18:19], vcc
; %bb.9:
	v_mov_b32_e32 v1, 0
	ds_write_b32 v3, v1
; %bb.10:
	s_or_b64 exec, exec, s[18:19]
	s_load_dword s15, s[4:5], 0x1a0
	s_mul_i32 s3, s14, s2
	s_sub_i32 s3, s26, s3
	s_add_i32 s14, s3, 1
	s_mul_i32 s3, s1, s3
	s_lshl_b32 s17, s3, 8
	s_waitcnt lgkmcnt(0)
	s_sub_i32 s3, s15, s17
	s_add_u32 s18, s3, 0xff
	s_addc_u32 s19, 0, 0
	s_lshr_b64 s[18:19], s[18:19], 8
	s_cmp_lt_u32 s14, s2
	s_cselect_b32 s14, s1, s18
	s_cmp_lt_i32 s14, 1
	s_mov_b32 s1, 0
	s_barrier
	s_cbranch_scc1 .LBB187_26
; %bb.11:
	s_load_dwordx2 s[18:19], s[4:5], 0xd0
	s_load_dwordx2 s[2:3], s[4:5], 0x1b8
	;; [unrolled: 1-line block ×3, first 2 shown]
	v_add_u32_e32 v4, s17, v0
	s_waitcnt lgkmcnt(0)
	s_mul_i32 s5, s19, s16
	s_mul_hi_u32 s19, s18, s16
	s_mul_i32 s4, s18, s16
	s_add_i32 s5, s19, s5
	s_lshl_b64 s[4:5], s[4:5], 3
	s_add_u32 s16, s20, s4
	s_addc_u32 s18, s21, s5
	s_lshl_b64 s[4:5], s[12:13], 3
	s_add_u32 s13, s16, s4
	s_addc_u32 s16, s18, s5
	s_and_b32 s12, s0, 0xff
	s_cmp_eq_u32 s14, 1
	s_cbranch_scc1 .LBB187_21
; %bb.12:
	s_and_b32 s17, s14, 0x7ffffffe
	s_mov_b32 s18, 0
	v_mov_b32_e32 v5, 1
	v_mov_b32_e32 v6, 2
	;; [unrolled: 1-line block ×3, first 2 shown]
	s_branch .LBB187_14
.LBB187_13:                             ;   in Loop: Header=BB187_14 Depth=1
	s_or_b64 exec, exec, s[4:5]
	s_add_i32 s18, s18, 2
	s_cmp_eq_u32 s17, s18
	v_add_u32_e32 v7, 0x200, v7
	s_cbranch_scc1 .LBB187_20
.LBB187_14:                             ; =>This Inner Loop Header: Depth=1
	v_cmp_gt_u32_e64 s[0:1], s15, v7
	s_and_saveexec_b64 s[4:5], s[0:1]
	s_cbranch_execz .LBB187_17
; %bb.15:                               ;   in Loop: Header=BB187_14 Depth=1
	v_mad_u64_u32 v[1:2], s[0:1], s2, v7, 0
	v_mad_u64_u32 v[8:9], s[0:1], s3, v7, v[2:3]
	v_mov_b32_e32 v9, s16
	v_mov_b32_e32 v2, v8
	v_lshlrev_b64 v[1:2], 3, v[1:2]
	v_add_co_u32_e64 v1, s[0:1], s13, v1
	v_addc_co_u32_e64 v2, s[0:1], v9, v2, s[0:1]
	global_load_dwordx2 v[1:2], v[1:2], off
	s_waitcnt vmcnt(0)
	v_cmp_o_f64_e64 s[0:1], v[1:2], v[1:2]
	v_ashrrev_i32_e32 v8, 31, v2
	v_or_b32_e32 v9, 0x80000000, v8
	v_xor_b32_e32 v9, v9, v2
	v_xor_b32_e32 v1, v8, v1
	v_cndmask_b32_e64 v2, -1, v9, s[0:1]
	v_cndmask_b32_e64 v1, -1, v1, s[0:1]
	v_xor_b32_e32 v8, s11, v2
	v_xor_b32_e32 v10, s10, v1
	v_and_b32_e32 v9, s9, v8
	v_and_b32_e32 v8, s8, v10
	v_cmp_eq_u64_e64 s[0:1], 0, v[8:9]
	s_and_b64 exec, exec, s[0:1]
; %bb.16:                               ;   in Loop: Header=BB187_14 Depth=1
	v_lshrrev_b64 v[1:2], s12, v[1:2]
	v_lshlrev_b32_sdwa v1, v6, v1 dst_sel:DWORD dst_unused:UNUSED_PAD src0_sel:DWORD src1_sel:BYTE_0
	ds_add_u32 v1, v5
.LBB187_17:                             ;   in Loop: Header=BB187_14 Depth=1
	s_or_b64 exec, exec, s[4:5]
	v_add_u32_e32 v1, 0x100, v7
	v_cmp_gt_u32_e64 s[0:1], s15, v1
	s_and_saveexec_b64 s[4:5], s[0:1]
	s_cbranch_execz .LBB187_13
; %bb.18:                               ;   in Loop: Header=BB187_14 Depth=1
	v_mad_u64_u32 v[8:9], s[0:1], s2, v1, 0
	v_mov_b32_e32 v10, s16
	v_mov_b32_e32 v2, v9
	v_mad_u64_u32 v[1:2], s[0:1], s3, v1, v[2:3]
	v_mov_b32_e32 v9, v1
	v_lshlrev_b64 v[1:2], 3, v[8:9]
	v_add_co_u32_e64 v1, s[0:1], s13, v1
	v_addc_co_u32_e64 v2, s[0:1], v10, v2, s[0:1]
	global_load_dwordx2 v[1:2], v[1:2], off
	s_waitcnt vmcnt(0)
	v_cmp_o_f64_e64 s[0:1], v[1:2], v[1:2]
	v_ashrrev_i32_e32 v8, 31, v2
	v_or_b32_e32 v9, 0x80000000, v8
	v_xor_b32_e32 v9, v9, v2
	v_xor_b32_e32 v1, v8, v1
	v_cndmask_b32_e64 v2, -1, v9, s[0:1]
	v_cndmask_b32_e64 v1, -1, v1, s[0:1]
	v_xor_b32_e32 v8, s11, v2
	v_xor_b32_e32 v10, s10, v1
	v_and_b32_e32 v9, s9, v8
	v_and_b32_e32 v8, s8, v10
	v_cmp_eq_u64_e64 s[0:1], 0, v[8:9]
	s_and_b64 exec, exec, s[0:1]
	s_cbranch_execz .LBB187_13
; %bb.19:                               ;   in Loop: Header=BB187_14 Depth=1
	v_lshrrev_b64 v[1:2], s12, v[1:2]
	v_lshlrev_b32_sdwa v1, v6, v1 dst_sel:DWORD dst_unused:UNUSED_PAD src0_sel:DWORD src1_sel:BYTE_0
	ds_add_u32 v1, v5
	s_branch .LBB187_13
.LBB187_20:
	s_lshl_b32 s1, s17, 8
.LBB187_21:
	s_bitcmp0_b32 s14, 0
	s_cbranch_scc1 .LBB187_26
; %bb.22:
	v_add_u32_e32 v1, s1, v4
	v_cmp_gt_u32_e64 s[0:1], s15, v1
	s_and_saveexec_b64 s[4:5], s[0:1]
	s_cbranch_execz .LBB187_25
; %bb.23:
	v_mad_u64_u32 v[4:5], s[0:1], s2, v1, 0
	v_mov_b32_e32 v6, s16
	v_mov_b32_e32 v2, v5
	v_mad_u64_u32 v[1:2], s[0:1], s3, v1, v[2:3]
	v_mov_b32_e32 v5, v1
	v_lshlrev_b64 v[1:2], 3, v[4:5]
	v_add_co_u32_e64 v1, s[0:1], s13, v1
	v_addc_co_u32_e64 v2, s[0:1], v6, v2, s[0:1]
	global_load_dwordx2 v[1:2], v[1:2], off
	s_waitcnt vmcnt(0)
	v_cmp_o_f64_e64 s[0:1], v[1:2], v[1:2]
	v_ashrrev_i32_e32 v4, 31, v2
	v_or_b32_e32 v5, 0x80000000, v4
	v_xor_b32_e32 v5, v5, v2
	v_xor_b32_e32 v1, v4, v1
	v_cndmask_b32_e64 v2, -1, v5, s[0:1]
	v_cndmask_b32_e64 v1, -1, v1, s[0:1]
	v_xor_b32_e32 v4, s11, v2
	v_xor_b32_e32 v6, s10, v1
	v_and_b32_e32 v5, s9, v4
	v_and_b32_e32 v4, s8, v6
	v_cmp_eq_u64_e64 s[0:1], 0, v[4:5]
	s_and_b64 exec, exec, s[0:1]
	s_cbranch_execz .LBB187_25
; %bb.24:
	v_lshrrev_b64 v[1:2], s12, v[1:2]
	v_mov_b32_e32 v2, 2
	v_lshlrev_b32_sdwa v1, v2, v1 dst_sel:DWORD dst_unused:UNUSED_PAD src0_sel:DWORD src1_sel:BYTE_0
	v_mov_b32_e32 v2, 1
	ds_add_u32 v1, v2
.LBB187_25:
	s_or_b64 exec, exec, s[4:5]
.LBB187_26:
	s_waitcnt lgkmcnt(0)
	s_barrier
	s_and_saveexec_b64 s[0:1], vcc
	s_cbranch_execz .LBB187_28
; %bb.27:
	v_lshl_or_b32 v0, s26, 8, v0
	v_mov_b32_e32 v1, 0
	ds_read_b32 v3, v3
	v_lshlrev_b64 v[0:1], 1, v[0:1]
	v_mov_b32_e32 v2, s7
	v_add_co_u32_e32 v0, vcc, s6, v0
	v_addc_co_u32_e32 v1, vcc, v2, v1, vcc
	s_waitcnt lgkmcnt(0)
	global_store_short v[0:1], v3, off
.LBB187_28:
	s_endpgm
	.section	.rodata,"a",@progbits
	.p2align	6, 0x0
	.amdhsa_kernel _ZN2at6native6mbtopk23computeBlockDigitCountsIdmmLin1EEEvNS_4cuda6detail10TensorInfoIKT_T0_EEjPjjS8_iijT1_PSB_Ps
		.amdhsa_group_segment_fixed_size 1024
		.amdhsa_private_segment_fixed_size 0
		.amdhsa_kernarg_size 744
		.amdhsa_user_sgpr_count 6
		.amdhsa_user_sgpr_private_segment_buffer 1
		.amdhsa_user_sgpr_dispatch_ptr 0
		.amdhsa_user_sgpr_queue_ptr 0
		.amdhsa_user_sgpr_kernarg_segment_ptr 1
		.amdhsa_user_sgpr_dispatch_id 0
		.amdhsa_user_sgpr_flat_scratch_init 0
		.amdhsa_user_sgpr_private_segment_size 0
		.amdhsa_uses_dynamic_stack 0
		.amdhsa_system_sgpr_private_segment_wavefront_offset 0
		.amdhsa_system_sgpr_workgroup_id_x 1
		.amdhsa_system_sgpr_workgroup_id_y 1
		.amdhsa_system_sgpr_workgroup_id_z 1
		.amdhsa_system_sgpr_workgroup_info 0
		.amdhsa_system_vgpr_workitem_id 0
		.amdhsa_next_free_vgpr 11
		.amdhsa_next_free_sgpr 30
		.amdhsa_reserve_vcc 1
		.amdhsa_reserve_flat_scratch 0
		.amdhsa_float_round_mode_32 0
		.amdhsa_float_round_mode_16_64 0
		.amdhsa_float_denorm_mode_32 3
		.amdhsa_float_denorm_mode_16_64 3
		.amdhsa_dx10_clamp 1
		.amdhsa_ieee_mode 1
		.amdhsa_fp16_overflow 0
		.amdhsa_exception_fp_ieee_invalid_op 0
		.amdhsa_exception_fp_denorm_src 0
		.amdhsa_exception_fp_ieee_div_zero 0
		.amdhsa_exception_fp_ieee_overflow 0
		.amdhsa_exception_fp_ieee_underflow 0
		.amdhsa_exception_fp_ieee_inexact 0
		.amdhsa_exception_int_div_zero 0
	.end_amdhsa_kernel
	.section	.text._ZN2at6native6mbtopk23computeBlockDigitCountsIdmmLin1EEEvNS_4cuda6detail10TensorInfoIKT_T0_EEjPjjS8_iijT1_PSB_Ps,"axG",@progbits,_ZN2at6native6mbtopk23computeBlockDigitCountsIdmmLin1EEEvNS_4cuda6detail10TensorInfoIKT_T0_EEjPjjS8_iijT1_PSB_Ps,comdat
.Lfunc_end187:
	.size	_ZN2at6native6mbtopk23computeBlockDigitCountsIdmmLin1EEEvNS_4cuda6detail10TensorInfoIKT_T0_EEjPjjS8_iijT1_PSB_Ps, .Lfunc_end187-_ZN2at6native6mbtopk23computeBlockDigitCountsIdmmLin1EEEvNS_4cuda6detail10TensorInfoIKT_T0_EEjPjjS8_iijT1_PSB_Ps
                                        ; -- End function
	.set _ZN2at6native6mbtopk23computeBlockDigitCountsIdmmLin1EEEvNS_4cuda6detail10TensorInfoIKT_T0_EEjPjjS8_iijT1_PSB_Ps.num_vgpr, 11
	.set _ZN2at6native6mbtopk23computeBlockDigitCountsIdmmLin1EEEvNS_4cuda6detail10TensorInfoIKT_T0_EEjPjjS8_iijT1_PSB_Ps.num_agpr, 0
	.set _ZN2at6native6mbtopk23computeBlockDigitCountsIdmmLin1EEEvNS_4cuda6detail10TensorInfoIKT_T0_EEjPjjS8_iijT1_PSB_Ps.numbered_sgpr, 30
	.set _ZN2at6native6mbtopk23computeBlockDigitCountsIdmmLin1EEEvNS_4cuda6detail10TensorInfoIKT_T0_EEjPjjS8_iijT1_PSB_Ps.num_named_barrier, 0
	.set _ZN2at6native6mbtopk23computeBlockDigitCountsIdmmLin1EEEvNS_4cuda6detail10TensorInfoIKT_T0_EEjPjjS8_iijT1_PSB_Ps.private_seg_size, 0
	.set _ZN2at6native6mbtopk23computeBlockDigitCountsIdmmLin1EEEvNS_4cuda6detail10TensorInfoIKT_T0_EEjPjjS8_iijT1_PSB_Ps.uses_vcc, 1
	.set _ZN2at6native6mbtopk23computeBlockDigitCountsIdmmLin1EEEvNS_4cuda6detail10TensorInfoIKT_T0_EEjPjjS8_iijT1_PSB_Ps.uses_flat_scratch, 0
	.set _ZN2at6native6mbtopk23computeBlockDigitCountsIdmmLin1EEEvNS_4cuda6detail10TensorInfoIKT_T0_EEjPjjS8_iijT1_PSB_Ps.has_dyn_sized_stack, 0
	.set _ZN2at6native6mbtopk23computeBlockDigitCountsIdmmLin1EEEvNS_4cuda6detail10TensorInfoIKT_T0_EEjPjjS8_iijT1_PSB_Ps.has_recursion, 0
	.set _ZN2at6native6mbtopk23computeBlockDigitCountsIdmmLin1EEEvNS_4cuda6detail10TensorInfoIKT_T0_EEjPjjS8_iijT1_PSB_Ps.has_indirect_call, 0
	.section	.AMDGPU.csdata,"",@progbits
; Kernel info:
; codeLenInByte = 1360
; TotalNumSgprs: 34
; NumVgprs: 11
; ScratchSize: 0
; MemoryBound: 0
; FloatMode: 240
; IeeeMode: 1
; LDSByteSize: 1024 bytes/workgroup (compile time only)
; SGPRBlocks: 4
; VGPRBlocks: 2
; NumSGPRsForWavesPerEU: 34
; NumVGPRsForWavesPerEU: 11
; Occupancy: 10
; WaveLimiterHint : 0
; COMPUTE_PGM_RSRC2:SCRATCH_EN: 0
; COMPUTE_PGM_RSRC2:USER_SGPR: 6
; COMPUTE_PGM_RSRC2:TRAP_HANDLER: 0
; COMPUTE_PGM_RSRC2:TGID_X_EN: 1
; COMPUTE_PGM_RSRC2:TGID_Y_EN: 1
; COMPUTE_PGM_RSRC2:TGID_Z_EN: 1
; COMPUTE_PGM_RSRC2:TIDIG_COMP_CNT: 0
	.section	.text._ZN2at6native6mbtopk10gatherTopKIdmLin1EEEvNS_4cuda6detail10TensorInfoIKT_T0_EES8_S8_bjS8_NS5_IS6_S8_EES8_NS5_IlS8_EES8_jjPS6_PjSD_j,"axG",@progbits,_ZN2at6native6mbtopk10gatherTopKIdmLin1EEEvNS_4cuda6detail10TensorInfoIKT_T0_EES8_S8_bjS8_NS5_IS6_S8_EES8_NS5_IlS8_EES8_jjPS6_PjSD_j,comdat
	.protected	_ZN2at6native6mbtopk10gatherTopKIdmLin1EEEvNS_4cuda6detail10TensorInfoIKT_T0_EES8_S8_bjS8_NS5_IS6_S8_EES8_NS5_IlS8_EES8_jjPS6_PjSD_j ; -- Begin function _ZN2at6native6mbtopk10gatherTopKIdmLin1EEEvNS_4cuda6detail10TensorInfoIKT_T0_EES8_S8_bjS8_NS5_IS6_S8_EES8_NS5_IlS8_EES8_jjPS6_PjSD_j
	.globl	_ZN2at6native6mbtopk10gatherTopKIdmLin1EEEvNS_4cuda6detail10TensorInfoIKT_T0_EES8_S8_bjS8_NS5_IS6_S8_EES8_NS5_IlS8_EES8_jjPS6_PjSD_j
	.p2align	8
	.type	_ZN2at6native6mbtopk10gatherTopKIdmLin1EEEvNS_4cuda6detail10TensorInfoIKT_T0_EES8_S8_bjS8_NS5_IS6_S8_EES8_NS5_IlS8_EES8_jjPS6_PjSD_j,@function
_ZN2at6native6mbtopk10gatherTopKIdmLin1EEEvNS_4cuda6detail10TensorInfoIKT_T0_EES8_S8_bjS8_NS5_IS6_S8_EES8_NS5_IlS8_EES8_jjPS6_PjSD_j: ; @_ZN2at6native6mbtopk10gatherTopKIdmLin1EEEvNS_4cuda6detail10TensorInfoIKT_T0_EES8_S8_bjS8_NS5_IS6_S8_EES8_NS5_IlS8_EES8_jjPS6_PjSD_j
; %bb.0:
	s_load_dwordx2 s[0:1], s[4:5], 0x538
	s_load_dword s3, s[4:5], 0x530
	s_waitcnt lgkmcnt(0)
	s_mul_i32 s1, s1, s8
	s_add_i32 s1, s1, s7
	s_mul_i32 s2, s1, s0
	s_add_i32 s2, s2, s6
	s_cmp_ge_u32 s2, s3
	s_cbranch_scc1 .LBB188_61
; %bb.1:
	s_load_dwordx2 s[20:21], s[4:5], 0x510
	s_load_dwordx4 s[8:11], s[4:5], 0x1a0
	s_mov_b32 s1, 0
	s_waitcnt lgkmcnt(0)
	v_cvt_f32_u32_e32 v1, s21
	s_sub_i32 s0, 0, s21
	s_lshl_b32 s3, s20, 8
	v_rcp_iflag_f32_e32 v1, v1
	v_mul_f32_e32 v1, 0x4f7ffffe, v1
	v_cvt_u32_f32_e32 v1, v1
	v_readfirstlane_b32 s6, v1
	s_mul_i32 s0, s0, s6
	s_mul_hi_u32 s0, s6, s0
	s_add_i32 s6, s6, s0
	s_mul_hi_u32 s0, s2, s6
	s_mul_i32 s6, s0, s21
	s_sub_i32 s6, s2, s6
	s_add_i32 s7, s0, 1
	s_sub_i32 s12, s6, s21
	s_cmp_ge_u32 s6, s21
	s_cselect_b32 s0, s7, s0
	s_cselect_b32 s6, s12, s6
	s_add_i32 s7, s0, 1
	s_cmp_ge_u32 s6, s21
	s_cselect_b32 s0, s7, s0
	s_mul_i32 s6, s0, s21
	s_sub_i32 s56, s2, s6
	s_add_i32 s2, s56, 1
	s_cmp_lt_u32 s2, s21
	s_mul_i32 s33, s56, s3
	s_cbranch_scc1 .LBB188_3
; %bb.2:
	s_sub_u32 s2, s8, s33
	s_subb_u32 s3, s9, 0
	s_add_u32 s2, s2, 0xff
	s_addc_u32 s3, s3, 0
	s_ashr_i32 s7, s3, 31
	s_lshr_b32 s7, s7, 24
	s_add_u32 s2, s2, s7
	s_addc_u32 s3, s3, 0
	s_lshr_b64 s[2:3], s[2:3], 8
	s_mov_b32 s20, s2
.LBB188_3:
	s_load_dword s2, s[4:5], 0x198
	s_mov_b64 s[22:23], 0
	s_mov_b64 s[24:25], s[0:1]
	s_waitcnt lgkmcnt(0)
	s_cmp_lt_i32 s2, 2
	s_cbranch_scc1 .LBB188_9
; %bb.4:
	s_add_i32 s7, s2, 1
	s_add_i32 s2, s2, -1
	s_mov_b32 s3, 0
	s_lshl_b64 s[12:13], s[2:3], 3
	s_add_u32 s2, s4, s12
	s_addc_u32 s13, s5, s13
	s_add_u32 s12, s2, 8
	s_addc_u32 s13, s13, 0
	s_mov_b64 s[14:15], s[0:1]
.LBB188_5:                              ; =>This Inner Loop Header: Depth=1
	s_load_dwordx2 s[16:17], s[12:13], 0x0
	s_mov_b64 s[24:25], 0
	s_waitcnt lgkmcnt(0)
	v_mov_b32_e32 v1, s16
	v_mov_b32_e32 v2, s17
	v_cmp_lt_u64_e32 vcc, s[14:15], v[1:2]
	s_cbranch_vccnz .LBB188_7
; %bb.6:                                ;   in Loop: Header=BB188_5 Depth=1
	v_cvt_f32_u32_e32 v1, s16
	s_sub_i32 s2, 0, s16
	v_rcp_iflag_f32_e32 v1, v1
	v_mul_f32_e32 v1, 0x4f7ffffe, v1
	v_cvt_u32_f32_e32 v1, v1
	v_readfirstlane_b32 s18, v1
	s_mul_i32 s2, s2, s18
	s_mul_hi_u32 s2, s18, s2
	s_add_i32 s18, s18, s2
	s_mul_hi_u32 s2, s14, s18
	s_mul_i32 s19, s2, s16
	s_sub_i32 s19, s14, s19
	s_add_i32 s18, s2, 1
	s_sub_i32 s24, s19, s16
	s_cmp_ge_u32 s19, s16
	s_cselect_b32 s2, s18, s2
	s_cselect_b32 s19, s24, s19
	s_add_i32 s18, s2, 1
	s_cmp_ge_u32 s19, s16
	s_cselect_b32 s2, s18, s2
	s_mov_b64 s[24:25], s[2:3]
.LBB188_7:                              ;   in Loop: Header=BB188_5 Depth=1
	s_load_dwordx2 s[18:19], s[12:13], 0xc8
	s_mul_i32 s2, s24, s17
	s_mul_hi_u32 s17, s24, s16
	s_add_i32 s17, s17, s2
	s_mul_i32 s2, s24, s16
	s_sub_u32 s2, s14, s2
	s_subb_u32 s14, s15, s17
	s_waitcnt lgkmcnt(0)
	s_mul_i32 s14, s18, s14
	s_mul_hi_u32 s15, s18, s2
	s_add_i32 s14, s15, s14
	s_mul_i32 s15, s19, s2
	s_add_i32 s14, s14, s15
	s_mul_i32 s2, s18, s2
	s_add_u32 s22, s2, s22
	s_addc_u32 s23, s14, s23
	s_add_i32 s7, s7, -1
	s_add_u32 s12, s12, -8
	s_addc_u32 s13, s13, -1
	s_cmp_gt_u32 s7, 2
	s_cbranch_scc0 .LBB188_9
; %bb.8:                                ;   in Loop: Header=BB188_5 Depth=1
	s_mov_b64 s[14:15], s[24:25]
	s_branch .LBB188_5
.LBB188_9:
	s_load_dword s12, s[4:5], 0x358
	s_load_dwordx2 s[28:29], s[4:5], 0xd0
	s_add_u32 s2, s4, 0x1c0
	s_addc_u32 s3, s5, 0
	s_mov_b64 s[26:27], 0
	s_waitcnt lgkmcnt(0)
	s_cmp_lt_i32 s12, 2
	s_mov_b64 s[30:31], s[0:1]
	s_cbranch_scc1 .LBB188_15
; %bb.10:
	s_add_i32 s7, s12, 1
	s_add_i32 s12, s12, -1
	s_mov_b32 s13, 0
	s_lshl_b64 s[14:15], s[12:13], 3
	s_add_u32 s12, s2, s14
	s_addc_u32 s15, s3, s15
	s_add_u32 s14, s12, 8
	s_addc_u32 s15, s15, 0
	s_mov_b64 s[16:17], s[0:1]
.LBB188_11:                             ; =>This Inner Loop Header: Depth=1
	s_load_dwordx2 s[18:19], s[14:15], 0x0
	s_mov_b64 s[30:31], 0
	s_waitcnt lgkmcnt(0)
	v_mov_b32_e32 v1, s18
	v_mov_b32_e32 v2, s19
	v_cmp_lt_u64_e32 vcc, s[16:17], v[1:2]
	s_cbranch_vccnz .LBB188_13
; %bb.12:                               ;   in Loop: Header=BB188_11 Depth=1
	v_cvt_f32_u32_e32 v1, s18
	s_sub_i32 s12, 0, s18
	v_rcp_iflag_f32_e32 v1, v1
	v_mul_f32_e32 v1, 0x4f7ffffe, v1
	v_cvt_u32_f32_e32 v1, v1
	v_readfirstlane_b32 s25, v1
	s_mul_i32 s12, s12, s25
	s_mul_hi_u32 s12, s25, s12
	s_add_i32 s25, s25, s12
	s_mul_hi_u32 s12, s16, s25
	s_mul_i32 s30, s12, s18
	s_sub_i32 s30, s16, s30
	s_add_i32 s25, s12, 1
	s_sub_i32 s31, s30, s18
	s_cmp_ge_u32 s30, s18
	s_cselect_b32 s12, s25, s12
	s_cselect_b32 s30, s31, s30
	s_add_i32 s25, s12, 1
	s_cmp_ge_u32 s30, s18
	s_cselect_b32 s12, s25, s12
	s_mov_b64 s[30:31], s[12:13]
.LBB188_13:                             ;   in Loop: Header=BB188_11 Depth=1
	s_load_dwordx2 s[34:35], s[14:15], 0xc8
	s_mul_i32 s12, s30, s19
	s_mul_hi_u32 s19, s30, s18
	s_add_i32 s19, s19, s12
	s_mul_i32 s12, s30, s18
	s_sub_u32 s12, s16, s12
	s_subb_u32 s16, s17, s19
	s_waitcnt lgkmcnt(0)
	s_mul_i32 s16, s34, s16
	s_mul_hi_u32 s17, s34, s12
	s_add_i32 s16, s17, s16
	s_mul_i32 s17, s35, s12
	s_add_i32 s16, s16, s17
	s_mul_i32 s12, s34, s12
	s_add_u32 s26, s12, s26
	s_addc_u32 s27, s16, s27
	s_add_i32 s7, s7, -1
	s_add_u32 s14, s14, -8
	s_addc_u32 s15, s15, -1
	s_cmp_gt_u32 s7, 2
	s_cbranch_scc0 .LBB188_15
; %bb.14:                               ;   in Loop: Header=BB188_11 Depth=1
	s_mov_b64 s[16:17], s[30:31]
	s_branch .LBB188_11
.LBB188_15:
	s_load_dword s14, s[4:5], 0x500
	s_load_dwordx2 s[36:37], s[2:3], 0xd0
	s_add_u32 s12, s4, 0x368
	s_addc_u32 s13, s5, 0
	s_mov_b64 s[34:35], 0
	s_waitcnt lgkmcnt(0)
	s_cmp_lt_i32 s14, 2
	s_cbranch_scc1 .LBB188_21
; %bb.16:
	s_add_i32 s2, s14, -1
	s_mov_b32 s3, 0
	s_add_i32 s7, s14, 1
	s_lshl_b64 s[14:15], s[2:3], 3
	s_add_u32 s2, s12, s14
	s_addc_u32 s13, s13, s15
	s_add_u32 s12, s2, 8
	s_addc_u32 s13, s13, 0
	s_mov_b64 s[14:15], s[0:1]
.LBB188_17:                             ; =>This Inner Loop Header: Depth=1
	s_load_dwordx2 s[16:17], s[12:13], 0x0
	s_mov_b64 s[38:39], 0
	s_waitcnt lgkmcnt(0)
	v_mov_b32_e32 v1, s16
	v_mov_b32_e32 v2, s17
	v_cmp_lt_u64_e32 vcc, s[14:15], v[1:2]
	s_cbranch_vccnz .LBB188_19
; %bb.18:                               ;   in Loop: Header=BB188_17 Depth=1
	v_cvt_f32_u32_e32 v1, s16
	s_sub_i32 s2, 0, s16
	v_rcp_iflag_f32_e32 v1, v1
	v_mul_f32_e32 v1, 0x4f7ffffe, v1
	v_cvt_u32_f32_e32 v1, v1
	v_readfirstlane_b32 s18, v1
	s_mul_i32 s2, s2, s18
	s_mul_hi_u32 s2, s18, s2
	s_add_i32 s18, s18, s2
	s_mul_hi_u32 s2, s14, s18
	s_mul_i32 s19, s2, s16
	s_sub_i32 s19, s14, s19
	s_add_i32 s18, s2, 1
	s_sub_i32 s25, s19, s16
	s_cmp_ge_u32 s19, s16
	s_cselect_b32 s2, s18, s2
	s_cselect_b32 s19, s25, s19
	s_add_i32 s18, s2, 1
	s_cmp_ge_u32 s19, s16
	s_cselect_b32 s2, s18, s2
	s_mov_b64 s[38:39], s[2:3]
.LBB188_19:                             ;   in Loop: Header=BB188_17 Depth=1
	s_load_dwordx2 s[18:19], s[12:13], 0xc8
	s_mul_i32 s2, s38, s17
	s_mul_hi_u32 s17, s38, s16
	s_add_i32 s17, s17, s2
	s_mul_i32 s2, s38, s16
	s_sub_u32 s2, s14, s2
	s_subb_u32 s14, s15, s17
	s_waitcnt lgkmcnt(0)
	s_mul_i32 s14, s18, s14
	s_mul_hi_u32 s15, s18, s2
	s_add_i32 s14, s15, s14
	s_mul_i32 s15, s19, s2
	s_add_i32 s14, s14, s15
	s_mul_i32 s2, s18, s2
	s_add_u32 s34, s2, s34
	s_addc_u32 s35, s14, s35
	s_add_i32 s7, s7, -1
	s_add_u32 s12, s12, -8
	s_addc_u32 s13, s13, -1
	s_cmp_gt_u32 s7, 2
	s_cbranch_scc0 .LBB188_22
; %bb.20:                               ;   in Loop: Header=BB188_17 Depth=1
	s_mov_b64 s[14:15], s[38:39]
	s_branch .LBB188_17
.LBB188_21:
	s_mov_b64 s[38:39], s[0:1]
.LBB188_22:
	s_load_dwordx4 s[12:15], s[4:5], 0x518
	s_load_dwordx2 s[46:47], s[4:5], 0x438
	s_load_dwordx2 s[44:45], s[4:5], 0x0
	;; [unrolled: 1-line block ×4, first 2 shown]
	s_lshl_b64 s[0:1], s[0:1], 3
	s_waitcnt lgkmcnt(0)
	s_add_u32 s0, s12, s0
	s_addc_u32 s1, s13, s1
	s_load_dwordx2 s[12:13], s[0:1], 0x0
	s_mov_b32 s7, 0
	v_cmp_ne_u32_e64 s[0:1], 0, v0
	v_cmp_eq_u32_e64 s[2:3], 0, v0
	s_and_saveexec_b64 s[48:49], s[2:3]
	s_cbranch_execz .LBB188_38
; %bb.23:
	s_load_dwordx2 s[50:51], s[4:5], 0x528
	s_lshl_b64 s[52:53], s[6:7], 2
	s_add_u32 s16, s14, s52
	s_addc_u32 s17, s15, s53
	s_mov_b32 s6, 0
	s_waitcnt lgkmcnt(0)
	s_add_u32 s18, s50, s52
	s_addc_u32 s19, s51, s53
	s_mov_b32 s25, 0
	s_cmp_lt_u32 s21, 4
	s_cbranch_scc1 .LBB188_35
; %bb.24:
	s_mov_b32 s31, 0
.LBB188_25:                             ; =>This Inner Loop Header: Depth=1
	s_add_u32 s54, s14, s52
	s_addc_u32 s55, s15, s53
	s_load_dwordx4 s[16:19], s[54:55], 0x0
	s_add_u32 s54, s50, s52
	s_addc_u32 s55, s51, s53
	s_cmp_ge_u32 s31, s56
	s_cbranch_scc0 .LBB188_32
; %bb.26:                               ;   in Loop: Header=BB188_25 Depth=1
	s_add_i32 s39, s31, 1
	s_cmp_ge_u32 s39, s56
	s_cbranch_scc0 .LBB188_33
.LBB188_27:                             ;   in Loop: Header=BB188_25 Depth=1
	s_add_i32 s39, s39, 1
	s_cmp_ge_u32 s39, s56
	s_cbranch_scc0 .LBB188_34
.LBB188_28:                             ;   in Loop: Header=BB188_25 Depth=1
	s_add_i32 s39, s39, 1
	s_cmp_ge_u32 s39, s56
	s_cbranch_scc1 .LBB188_30
.LBB188_29:                             ;   in Loop: Header=BB188_25 Depth=1
	s_load_dword s54, s[54:55], 0xc
	s_waitcnt lgkmcnt(0)
	s_add_i32 s7, s7, s19
	s_add_i32 s6, s54, s6
.LBB188_30:                             ;   in Loop: Header=BB188_25 Depth=1
	s_waitcnt lgkmcnt(0)
	s_add_i32 s16, s16, s25
	s_add_i32 s16, s16, s17
	;; [unrolled: 1-line block ×4, first 2 shown]
	s_add_u32 s14, s14, 16
	s_addc_u32 s15, s15, 0
	s_add_u32 s50, s50, 16
	s_addc_u32 s51, s51, 0
	s_add_i32 s54, s39, 4
	s_add_u32 s18, s50, s52
	s_addc_u32 s19, s51, s53
	s_add_u32 s16, s14, s52
	s_addc_u32 s17, s15, s53
	s_add_i32 s39, s39, 1
	s_cmp_ge_u32 s54, s21
	s_cbranch_scc1 .LBB188_36
; %bb.31:                               ;   in Loop: Header=BB188_25 Depth=1
	s_mov_b32 s31, s39
	s_branch .LBB188_25
.LBB188_32:                             ;   in Loop: Header=BB188_25 Depth=1
	s_load_dword s39, s[54:55], 0x0
	s_waitcnt lgkmcnt(0)
	s_add_i32 s7, s16, s7
	s_add_i32 s6, s39, s6
	;; [unrolled: 1-line block ×3, first 2 shown]
	s_cmp_ge_u32 s39, s56
	s_cbranch_scc1 .LBB188_27
.LBB188_33:                             ;   in Loop: Header=BB188_25 Depth=1
	s_load_dword s57, s[54:55], 0x4
	s_waitcnt lgkmcnt(0)
	s_add_i32 s7, s7, s17
	s_add_i32 s6, s57, s6
	;; [unrolled: 1-line block ×3, first 2 shown]
	s_cmp_ge_u32 s39, s56
	s_cbranch_scc1 .LBB188_28
.LBB188_34:                             ;   in Loop: Header=BB188_25 Depth=1
	s_load_dword s57, s[54:55], 0x8
	s_waitcnt lgkmcnt(0)
	s_add_i32 s7, s7, s18
	s_add_i32 s6, s57, s6
	s_add_i32 s39, s39, 1
	s_cmp_ge_u32 s39, s56
	s_cbranch_scc0 .LBB188_29
	s_branch .LBB188_30
.LBB188_35:
	s_mov_b32 s14, 0
	s_cmp_ge_u32 s14, s21
	s_cbranch_scc0 .LBB188_59
	s_branch .LBB188_37
.LBB188_36:
	s_add_i32 s14, s31, 4
	s_cmp_ge_u32 s14, s21
	s_cbranch_scc0 .LBB188_59
.LBB188_37:
	v_mov_b32_e32 v1, s6
	v_mov_b32_e32 v2, s25
	;; [unrolled: 1-line block ×4, first 2 shown]
	ds_write_b96 v4, v[1:3] offset:1056
.LBB188_38:
	s_or_b64 exec, exec, s[48:49]
	s_cmp_eq_u32 s20, 0
	s_waitcnt lgkmcnt(0)
	s_barrier
	s_cbranch_scc1 .LBB188_61
; %bb.39:
	s_mul_i32 s14, s29, s24
	s_mul_hi_u32 s15, s28, s24
	s_mul_i32 s6, s37, s30
	s_mul_hi_u32 s7, s36, s30
	s_add_i32 s15, s15, s14
	s_mul_i32 s14, s28, s24
	s_mul_i32 s16, s47, s38
	s_mul_hi_u32 s17, s46, s38
	s_add_i32 s7, s7, s6
	s_add_i32 s17, s17, s16
	s_lshl_b64 s[14:15], s[14:15], 3
	s_add_u32 s18, s44, s14
	s_addc_u32 s19, s45, s15
	s_lshl_b64 s[14:15], s[22:23], 3
	s_mul_i32 s6, s36, s30
	s_add_u32 s21, s18, s14
	s_addc_u32 s24, s19, s15
	s_lshl_b64 s[6:7], s[6:7], 3
	s_add_u32 s14, s42, s6
	s_addc_u32 s15, s43, s7
	s_lshl_b64 s[6:7], s[26:27], 3
	s_add_u32 s25, s14, s6
	s_mul_i32 s16, s46, s38
	s_addc_u32 s26, s15, s7
	v_cmp_o_f64_e64 s[14:15], s[12:13], s[12:13]
	s_lshl_b64 s[6:7], s[16:17], 3
	s_add_u32 s16, s40, s6
	v_mov_b32_e32 v5, 0
	s_addc_u32 s17, s41, s7
	s_lshl_b64 s[6:7], s[34:35], 3
	ds_read_b96 v[1:3], v5 offset:1056
	s_add_u32 s27, s16, s6
	s_addc_u32 s28, s17, s7
	s_ashr_i32 s6, s13, 31
	s_or_b32 s7, s6, 0x80000000
	s_xor_b64 s[6:7], s[6:7], s[12:13]
	s_and_b64 s[12:13], s[14:15], exec
	s_waitcnt lgkmcnt(0)
	v_add_u32_e32 v1, v1, v2
	v_lshrrev_b32_e32 v2, 3, v0
	s_cselect_b32 s12, s6, -1
	s_load_dword s6, s[4:5], 0x1b0
	v_and_b32_e32 v2, 28, v2
	s_load_dwordx2 s[14:15], s[4:5], 0x1b8
	s_load_dwordx2 s[16:17], s[4:5], 0x360
	;; [unrolled: 1-line block ×3, first 2 shown]
	v_lshl_add_u32 v10, v0, 2, v2
	v_lshrrev_b32_e32 v2, 1, v0
	v_and_b32_e32 v11, 0x7c, v2
	v_add_u32_e32 v2, -1, v0
	v_lshrrev_b32_e32 v4, 3, v2
	v_and_b32_e32 v4, 0x1ffffffc, v4
	s_cselect_b32 s13, s7, -1
	s_waitcnt lgkmcnt(0)
	s_bitcmp1_b32 s6, 0
	v_cmp_gt_u32_e64 s[6:7], 64, v0
	v_lshlrev_b32_e32 v12, 4, v0
	v_lshl_add_u32 v13, v2, 2, v4
	v_add_u32_e32 v4, s33, v0
	v_mbcnt_lo_u32_b32 v0, -1, 0
	s_cselect_b64 s[4:5], -1, 0
	v_mbcnt_hi_u32_b32 v0, -1, v0
                                        ; implicit-def: $vgpr6_vgpr7
	s_branch .LBB188_42
.LBB188_40:                             ;   in Loop: Header=BB188_42 Depth=1
	s_or_b64 exec, exec, s[22:23]
	v_add_u32_e32 v1, v2, v1
.LBB188_41:                             ;   in Loop: Header=BB188_42 Depth=1
	s_add_i32 s20, s20, -1
	v_add_u32_e32 v3, v14, v3
	s_cmp_lg_u32 s20, 0
	v_add_u32_e32 v4, 0x100, v4
	s_cbranch_scc0 .LBB188_61
.LBB188_42:                             ; =>This Inner Loop Header: Depth=1
	v_cmp_gt_u64_e32 vcc, s[8:9], v[4:5]
	v_mov_b32_e32 v2, v5
	v_mov_b32_e32 v8, v5
	s_and_saveexec_b64 s[22:23], vcc
	s_cbranch_execz .LBB188_44
; %bb.43:                               ;   in Loop: Header=BB188_42 Depth=1
	v_mad_u64_u32 v[6:7], s[30:31], s14, v4, 0
	v_mov_b32_e32 v2, v7
	v_mad_u64_u32 v[7:8], s[30:31], s15, v4, v[2:3]
	v_mov_b32_e32 v2, s24
	v_lshlrev_b64 v[6:7], 3, v[6:7]
	v_add_co_u32_e32 v6, vcc, s21, v6
	v_addc_co_u32_e32 v7, vcc, v2, v7, vcc
	global_load_dwordx2 v[6:7], v[6:7], off
	s_waitcnt vmcnt(0)
	v_cmp_o_f64_e32 vcc, v[6:7], v[6:7]
	v_ashrrev_i32_e32 v2, 31, v7
	v_or_b32_e32 v8, 0x80000000, v2
	v_xor_b32_e32 v8, v8, v7
	v_xor_b32_e32 v2, v2, v6
	v_cndmask_b32_e32 v9, -1, v8, vcc
	v_cndmask_b32_e32 v8, -1, v2, vcc
	v_cmp_lt_u64_e32 vcc, s[12:13], v[8:9]
	v_cndmask_b32_e64 v2, 0, 1, vcc
	v_cmp_gt_u64_e32 vcc, s[12:13], v[8:9]
	v_cndmask_b32_e64 v14, 0, 1, vcc
	v_cmp_eq_u64_e32 vcc, s[12:13], v[8:9]
	v_cndmask_b32_e64 v2, v14, v2, s[4:5]
	v_and_b32_e32 v2, 1, v2
	v_cndmask_b32_e64 v8, 0, 1, vcc
.LBB188_44:                             ;   in Loop: Header=BB188_42 Depth=1
	s_or_b64 exec, exec, s[22:23]
	ds_write_b32 v10, v2
	s_waitcnt vmcnt(0) lgkmcnt(0)
	s_barrier
	s_and_saveexec_b64 s[22:23], s[6:7]
	s_cbranch_execz .LBB188_46
; %bb.45:                               ;   in Loop: Header=BB188_42 Depth=1
	v_add_u32_e32 v9, v11, v12
	ds_read2_b32 v[14:15], v9 offset1:1
	ds_read2_b32 v[16:17], v9 offset0:2 offset1:3
	v_and_b32_e32 v18, 15, v0
	v_cmp_ne_u32_e32 vcc, 0, v18
	s_waitcnt lgkmcnt(1)
	v_add_u32_e32 v15, v15, v14
	s_waitcnt lgkmcnt(0)
	v_add3_u32 v15, v15, v16, v17
	v_bfe_i32 v17, v0, 4, 1
	; wave barrier
	s_nop 0
	v_mov_b32_dpp v16, v15 row_shr:1 row_mask:0xf bank_mask:0xf
	v_cndmask_b32_e32 v16, 0, v16, vcc
	v_add_u32_e32 v15, v16, v15
	v_cmp_lt_u32_e32 vcc, 1, v18
	s_nop 0
	v_mov_b32_dpp v16, v15 row_shr:2 row_mask:0xf bank_mask:0xf
	v_cndmask_b32_e32 v16, 0, v16, vcc
	v_add_u32_e32 v15, v15, v16
	v_cmp_lt_u32_e32 vcc, 3, v18
	;; [unrolled: 5-line block ×4, first 2 shown]
	s_nop 0
	v_mov_b32_dpp v16, v15 row_bcast:15 row_mask:0xf bank_mask:0xf
	v_and_b32_e32 v16, v17, v16
	v_add_u32_e32 v15, v15, v16
	v_and_b32_e32 v17, 64, v0
	s_nop 0
	v_mov_b32_dpp v16, v15 row_bcast:31 row_mask:0xf bank_mask:0xf
	v_cndmask_b32_e32 v16, 0, v16, vcc
	v_add_u32_e32 v15, v15, v16
	v_add_u32_e32 v16, -1, v0
	v_cmp_lt_i32_e32 vcc, v16, v17
	v_cndmask_b32_e32 v16, v16, v0, vcc
	v_lshlrev_b32_e32 v16, 2, v16
	ds_bpermute_b32 v15, v16, v15
	s_waitcnt lgkmcnt(0)
	v_add_u32_e32 v14, v15, v14
	v_cndmask_b32_e64 v16, v14, v2, s[2:3]
	ds_write_b32 v9, v16
	; wave barrier
	ds_read2_b32 v[14:15], v9 offset0:1 offset1:2
	ds_read_b32 v17, v9 offset:12
	s_waitcnt lgkmcnt(1)
	v_add_u32_e32 v14, v14, v16
	v_add_u32_e32 v15, v15, v14
	ds_write2_b32 v9, v14, v15 offset0:1 offset1:2
	s_waitcnt lgkmcnt(1)
	v_add_u32_e32 v14, v17, v15
	ds_write_b32 v9, v14 offset:12
.LBB188_46:                             ;   in Loop: Header=BB188_42 Depth=1
	s_or_b64 exec, exec, s[22:23]
	v_mov_b32_e32 v9, 0
	s_waitcnt lgkmcnt(0)
	s_barrier
	s_and_saveexec_b64 s[22:23], s[0:1]
; %bb.47:                               ;   in Loop: Header=BB188_42 Depth=1
	ds_read_b32 v9, v13
; %bb.48:                               ;   in Loop: Header=BB188_42 Depth=1
	s_or_b64 exec, exec, s[22:23]
	ds_read_b32 v14, v5 offset:1048
	v_cmp_ne_u32_e32 vcc, 0, v2
	s_waitcnt lgkmcnt(0)
	s_barrier
	s_and_saveexec_b64 s[22:23], vcc
	s_cbranch_execz .LBB188_50
; %bb.49:                               ;   in Loop: Header=BB188_42 Depth=1
	v_add_u32_e32 v9, v9, v3
	v_mad_u64_u32 v[15:16], s[30:31], s16, v9, 0
	v_mad_u64_u32 v[17:18], s[30:31], s18, v9, 0
	v_mov_b32_e32 v2, v16
	v_mad_u64_u32 v[19:20], s[30:31], s17, v9, v[2:3]
	v_mov_b32_e32 v2, v18
	v_mov_b32_e32 v20, s26
	;; [unrolled: 1-line block ×3, first 2 shown]
	v_lshlrev_b64 v[15:16], 3, v[15:16]
	v_mad_u64_u32 v[18:19], s[30:31], s19, v9, v[2:3]
	v_add_co_u32_e32 v15, vcc, s25, v15
	v_addc_co_u32_e32 v16, vcc, v20, v16, vcc
	global_store_dwordx2 v[15:16], v[6:7], off
	v_lshlrev_b64 v[15:16], 3, v[17:18]
	v_mov_b32_e32 v2, s28
	v_add_co_u32_e32 v15, vcc, s27, v15
	v_addc_co_u32_e32 v16, vcc, v2, v16, vcc
	global_store_dwordx2 v[15:16], v[4:5], off
.LBB188_50:                             ;   in Loop: Header=BB188_42 Depth=1
	s_or_b64 exec, exec, s[22:23]
	v_mov_b32_e32 v2, v5
	v_cmp_le_u64_e32 vcc, s[10:11], v[1:2]
	s_cbranch_vccnz .LBB188_41
; %bb.51:                               ;   in Loop: Header=BB188_42 Depth=1
	ds_write_b32 v10, v8
	s_waitcnt vmcnt(0) lgkmcnt(0)
	s_barrier
	s_and_saveexec_b64 s[22:23], s[6:7]
	s_cbranch_execz .LBB188_53
; %bb.52:                               ;   in Loop: Header=BB188_42 Depth=1
	v_add_u32_e32 v2, v11, v12
	ds_read2_b32 v[15:16], v2 offset1:1
	ds_read2_b32 v[17:18], v2 offset0:2 offset1:3
	v_and_b32_e32 v9, 15, v0
	v_cmp_ne_u32_e32 vcc, 0, v9
	s_waitcnt lgkmcnt(1)
	v_add_u32_e32 v16, v16, v15
	s_waitcnt lgkmcnt(0)
	v_add3_u32 v16, v16, v17, v18
	; wave barrier
	s_nop 1
	v_mov_b32_dpp v17, v16 row_shr:1 row_mask:0xf bank_mask:0xf
	v_cndmask_b32_e32 v17, 0, v17, vcc
	v_add_u32_e32 v16, v17, v16
	v_cmp_lt_u32_e32 vcc, 1, v9
	s_nop 0
	v_mov_b32_dpp v17, v16 row_shr:2 row_mask:0xf bank_mask:0xf
	v_cndmask_b32_e32 v17, 0, v17, vcc
	v_add_u32_e32 v16, v16, v17
	v_cmp_lt_u32_e32 vcc, 3, v9
	;; [unrolled: 5-line block ×3, first 2 shown]
	s_nop 0
	v_mov_b32_dpp v17, v16 row_shr:8 row_mask:0xf bank_mask:0xf
	v_cndmask_b32_e32 v9, 0, v17, vcc
	v_add_u32_e32 v9, v16, v9
	v_bfe_i32 v17, v0, 4, 1
	v_cmp_lt_u32_e32 vcc, 31, v0
	v_mov_b32_dpp v16, v9 row_bcast:15 row_mask:0xf bank_mask:0xf
	v_and_b32_e32 v16, v17, v16
	v_add_u32_e32 v9, v9, v16
	v_and_b32_e32 v17, 64, v0
	s_nop 0
	v_mov_b32_dpp v16, v9 row_bcast:31 row_mask:0xf bank_mask:0xf
	v_cndmask_b32_e32 v16, 0, v16, vcc
	v_add_u32_e32 v9, v9, v16
	v_add_u32_e32 v16, -1, v0
	v_cmp_lt_i32_e32 vcc, v16, v17
	v_cndmask_b32_e32 v16, v16, v0, vcc
	v_lshlrev_b32_e32 v16, 2, v16
	ds_bpermute_b32 v9, v16, v9
	s_waitcnt lgkmcnt(0)
	v_add_u32_e32 v9, v9, v15
	v_cndmask_b32_e64 v9, v9, v8, s[2:3]
	ds_write_b32 v2, v9
	; wave barrier
	ds_read2_b32 v[15:16], v2 offset0:1 offset1:2
	ds_read_b32 v17, v2 offset:12
	s_waitcnt lgkmcnt(1)
	v_add_u32_e32 v9, v15, v9
	v_add_u32_e32 v15, v16, v9
	ds_write2_b32 v2, v9, v15 offset0:1 offset1:2
	s_waitcnt lgkmcnt(1)
	v_add_u32_e32 v9, v17, v15
	ds_write_b32 v2, v9 offset:12
.LBB188_53:                             ;   in Loop: Header=BB188_42 Depth=1
	s_or_b64 exec, exec, s[22:23]
	v_mov_b32_e32 v9, 0
	s_waitcnt lgkmcnt(0)
	s_barrier
	s_and_saveexec_b64 s[22:23], s[0:1]
; %bb.54:                               ;   in Loop: Header=BB188_42 Depth=1
	ds_read_b32 v9, v13
; %bb.55:                               ;   in Loop: Header=BB188_42 Depth=1
	s_or_b64 exec, exec, s[22:23]
	ds_read_b32 v2, v5 offset:1048
	v_cmp_ne_u32_e32 vcc, 0, v8
	s_waitcnt lgkmcnt(0)
	s_barrier
	s_and_saveexec_b64 s[22:23], vcc
	s_cbranch_execz .LBB188_40
; %bb.56:                               ;   in Loop: Header=BB188_42 Depth=1
	v_add_u32_e32 v8, v9, v1
	v_mov_b32_e32 v9, v5
	v_cmp_gt_u64_e32 vcc, s[10:11], v[8:9]
	s_and_b64 exec, exec, vcc
	s_cbranch_execz .LBB188_40
; %bb.57:                               ;   in Loop: Header=BB188_42 Depth=1
	v_mad_u64_u32 v[15:16], s[30:31], s16, v8, 0
	v_mad_u64_u32 v[17:18], s[30:31], s18, v8, 0
	v_mov_b32_e32 v9, v16
	v_mad_u64_u32 v[19:20], s[30:31], s17, v8, v[9:10]
	v_mov_b32_e32 v9, v18
	;; [unrolled: 2-line block ×3, first 2 shown]
	v_lshlrev_b64 v[15:16], 3, v[15:16]
	v_mov_b32_e32 v18, v8
	v_mov_b32_e32 v20, s26
	v_add_co_u32_e32 v15, vcc, s25, v15
	v_lshlrev_b64 v[8:9], 3, v[17:18]
	v_addc_co_u32_e32 v16, vcc, v20, v16, vcc
	global_store_dwordx2 v[15:16], v[6:7], off
	v_mov_b32_e32 v15, s28
	v_add_co_u32_e32 v8, vcc, s27, v8
	v_addc_co_u32_e32 v9, vcc, v15, v9, vcc
	global_store_dwordx2 v[8:9], v[4:5], off
	s_branch .LBB188_40
.LBB188_58:                             ;   in Loop: Header=BB188_59 Depth=1
	s_add_u32 s16, s16, 4
	s_addc_u32 s17, s17, 0
	s_waitcnt lgkmcnt(0)
	s_add_i32 s25, s15, s25
	s_add_u32 s18, s18, 4
	s_addc_u32 s19, s19, 0
	s_add_i32 s14, s14, 1
	s_cmp_lt_u32 s14, s21
	s_cbranch_scc0 .LBB188_37
.LBB188_59:                             ; =>This Inner Loop Header: Depth=1
	s_load_dword s15, s[16:17], 0x0
	s_cmp_ge_u32 s14, s56
	s_cbranch_scc1 .LBB188_58
; %bb.60:                               ;   in Loop: Header=BB188_59 Depth=1
	s_load_dword s31, s[18:19], 0x0
	s_waitcnt lgkmcnt(0)
	s_add_i32 s7, s15, s7
	s_add_i32 s6, s31, s6
	s_branch .LBB188_58
.LBB188_61:
	s_endpgm
	.section	.rodata,"a",@progbits
	.p2align	6, 0x0
	.amdhsa_kernel _ZN2at6native6mbtopk10gatherTopKIdmLin1EEEvNS_4cuda6detail10TensorInfoIKT_T0_EES8_S8_bjS8_NS5_IS6_S8_EES8_NS5_IlS8_EES8_jjPS6_PjSD_j
		.amdhsa_group_segment_fixed_size 1068
		.amdhsa_private_segment_fixed_size 0
		.amdhsa_kernarg_size 1592
		.amdhsa_user_sgpr_count 6
		.amdhsa_user_sgpr_private_segment_buffer 1
		.amdhsa_user_sgpr_dispatch_ptr 0
		.amdhsa_user_sgpr_queue_ptr 0
		.amdhsa_user_sgpr_kernarg_segment_ptr 1
		.amdhsa_user_sgpr_dispatch_id 0
		.amdhsa_user_sgpr_flat_scratch_init 0
		.amdhsa_user_sgpr_private_segment_size 0
		.amdhsa_uses_dynamic_stack 0
		.amdhsa_system_sgpr_private_segment_wavefront_offset 0
		.amdhsa_system_sgpr_workgroup_id_x 1
		.amdhsa_system_sgpr_workgroup_id_y 1
		.amdhsa_system_sgpr_workgroup_id_z 1
		.amdhsa_system_sgpr_workgroup_info 0
		.amdhsa_system_vgpr_workitem_id 0
		.amdhsa_next_free_vgpr 21
		.amdhsa_next_free_sgpr 58
		.amdhsa_reserve_vcc 1
		.amdhsa_reserve_flat_scratch 0
		.amdhsa_float_round_mode_32 0
		.amdhsa_float_round_mode_16_64 0
		.amdhsa_float_denorm_mode_32 3
		.amdhsa_float_denorm_mode_16_64 3
		.amdhsa_dx10_clamp 1
		.amdhsa_ieee_mode 1
		.amdhsa_fp16_overflow 0
		.amdhsa_exception_fp_ieee_invalid_op 0
		.amdhsa_exception_fp_denorm_src 0
		.amdhsa_exception_fp_ieee_div_zero 0
		.amdhsa_exception_fp_ieee_overflow 0
		.amdhsa_exception_fp_ieee_underflow 0
		.amdhsa_exception_fp_ieee_inexact 0
		.amdhsa_exception_int_div_zero 0
	.end_amdhsa_kernel
	.section	.text._ZN2at6native6mbtopk10gatherTopKIdmLin1EEEvNS_4cuda6detail10TensorInfoIKT_T0_EES8_S8_bjS8_NS5_IS6_S8_EES8_NS5_IlS8_EES8_jjPS6_PjSD_j,"axG",@progbits,_ZN2at6native6mbtopk10gatherTopKIdmLin1EEEvNS_4cuda6detail10TensorInfoIKT_T0_EES8_S8_bjS8_NS5_IS6_S8_EES8_NS5_IlS8_EES8_jjPS6_PjSD_j,comdat
.Lfunc_end188:
	.size	_ZN2at6native6mbtopk10gatherTopKIdmLin1EEEvNS_4cuda6detail10TensorInfoIKT_T0_EES8_S8_bjS8_NS5_IS6_S8_EES8_NS5_IlS8_EES8_jjPS6_PjSD_j, .Lfunc_end188-_ZN2at6native6mbtopk10gatherTopKIdmLin1EEEvNS_4cuda6detail10TensorInfoIKT_T0_EES8_S8_bjS8_NS5_IS6_S8_EES8_NS5_IlS8_EES8_jjPS6_PjSD_j
                                        ; -- End function
	.set _ZN2at6native6mbtopk10gatherTopKIdmLin1EEEvNS_4cuda6detail10TensorInfoIKT_T0_EES8_S8_bjS8_NS5_IS6_S8_EES8_NS5_IlS8_EES8_jjPS6_PjSD_j.num_vgpr, 21
	.set _ZN2at6native6mbtopk10gatherTopKIdmLin1EEEvNS_4cuda6detail10TensorInfoIKT_T0_EES8_S8_bjS8_NS5_IS6_S8_EES8_NS5_IlS8_EES8_jjPS6_PjSD_j.num_agpr, 0
	.set _ZN2at6native6mbtopk10gatherTopKIdmLin1EEEvNS_4cuda6detail10TensorInfoIKT_T0_EES8_S8_bjS8_NS5_IS6_S8_EES8_NS5_IlS8_EES8_jjPS6_PjSD_j.numbered_sgpr, 58
	.set _ZN2at6native6mbtopk10gatherTopKIdmLin1EEEvNS_4cuda6detail10TensorInfoIKT_T0_EES8_S8_bjS8_NS5_IS6_S8_EES8_NS5_IlS8_EES8_jjPS6_PjSD_j.num_named_barrier, 0
	.set _ZN2at6native6mbtopk10gatherTopKIdmLin1EEEvNS_4cuda6detail10TensorInfoIKT_T0_EES8_S8_bjS8_NS5_IS6_S8_EES8_NS5_IlS8_EES8_jjPS6_PjSD_j.private_seg_size, 0
	.set _ZN2at6native6mbtopk10gatherTopKIdmLin1EEEvNS_4cuda6detail10TensorInfoIKT_T0_EES8_S8_bjS8_NS5_IS6_S8_EES8_NS5_IlS8_EES8_jjPS6_PjSD_j.uses_vcc, 1
	.set _ZN2at6native6mbtopk10gatherTopKIdmLin1EEEvNS_4cuda6detail10TensorInfoIKT_T0_EES8_S8_bjS8_NS5_IS6_S8_EES8_NS5_IlS8_EES8_jjPS6_PjSD_j.uses_flat_scratch, 0
	.set _ZN2at6native6mbtopk10gatherTopKIdmLin1EEEvNS_4cuda6detail10TensorInfoIKT_T0_EES8_S8_bjS8_NS5_IS6_S8_EES8_NS5_IlS8_EES8_jjPS6_PjSD_j.has_dyn_sized_stack, 0
	.set _ZN2at6native6mbtopk10gatherTopKIdmLin1EEEvNS_4cuda6detail10TensorInfoIKT_T0_EES8_S8_bjS8_NS5_IS6_S8_EES8_NS5_IlS8_EES8_jjPS6_PjSD_j.has_recursion, 0
	.set _ZN2at6native6mbtopk10gatherTopKIdmLin1EEEvNS_4cuda6detail10TensorInfoIKT_T0_EES8_S8_bjS8_NS5_IS6_S8_EES8_NS5_IlS8_EES8_jjPS6_PjSD_j.has_indirect_call, 0
	.section	.AMDGPU.csdata,"",@progbits
; Kernel info:
; codeLenInByte = 3164
; TotalNumSgprs: 62
; NumVgprs: 21
; ScratchSize: 0
; MemoryBound: 0
; FloatMode: 240
; IeeeMode: 1
; LDSByteSize: 1068 bytes/workgroup (compile time only)
; SGPRBlocks: 7
; VGPRBlocks: 5
; NumSGPRsForWavesPerEU: 62
; NumVGPRsForWavesPerEU: 21
; Occupancy: 10
; WaveLimiterHint : 1
; COMPUTE_PGM_RSRC2:SCRATCH_EN: 0
; COMPUTE_PGM_RSRC2:USER_SGPR: 6
; COMPUTE_PGM_RSRC2:TRAP_HANDLER: 0
; COMPUTE_PGM_RSRC2:TGID_X_EN: 1
; COMPUTE_PGM_RSRC2:TGID_Y_EN: 1
; COMPUTE_PGM_RSRC2:TGID_Z_EN: 1
; COMPUTE_PGM_RSRC2:TIDIG_COMP_CNT: 0
	.section	.text._ZN2at6native6sbtopk10gatherTopKIdmLin1ELb0EEEvNS_4cuda6detail10TensorInfoIKT_T0_EES8_S8_bS8_S8_NS5_IS6_S8_EES8_NS5_IlS8_EES8_PS6_,"axG",@progbits,_ZN2at6native6sbtopk10gatherTopKIdmLin1ELb0EEEvNS_4cuda6detail10TensorInfoIKT_T0_EES8_S8_bS8_S8_NS5_IS6_S8_EES8_NS5_IlS8_EES8_PS6_,comdat
	.protected	_ZN2at6native6sbtopk10gatherTopKIdmLin1ELb0EEEvNS_4cuda6detail10TensorInfoIKT_T0_EES8_S8_bS8_S8_NS5_IS6_S8_EES8_NS5_IlS8_EES8_PS6_ ; -- Begin function _ZN2at6native6sbtopk10gatherTopKIdmLin1ELb0EEEvNS_4cuda6detail10TensorInfoIKT_T0_EES8_S8_bS8_S8_NS5_IS6_S8_EES8_NS5_IlS8_EES8_PS6_
	.globl	_ZN2at6native6sbtopk10gatherTopKIdmLin1ELb0EEEvNS_4cuda6detail10TensorInfoIKT_T0_EES8_S8_bS8_S8_NS5_IS6_S8_EES8_NS5_IlS8_EES8_PS6_
	.p2align	8
	.type	_ZN2at6native6sbtopk10gatherTopKIdmLin1ELb0EEEvNS_4cuda6detail10TensorInfoIKT_T0_EES8_S8_bS8_S8_NS5_IS6_S8_EES8_NS5_IlS8_EES8_PS6_,@function
_ZN2at6native6sbtopk10gatherTopKIdmLin1ELb0EEEvNS_4cuda6detail10TensorInfoIKT_T0_EES8_S8_bS8_S8_NS5_IS6_S8_EES8_NS5_IlS8_EES8_PS6_: ; @_ZN2at6native6sbtopk10gatherTopKIdmLin1ELb0EEEvNS_4cuda6detail10TensorInfoIKT_T0_EES8_S8_bS8_S8_NS5_IS6_S8_EES8_NS5_IlS8_EES8_PS6_
; %bb.0:
	s_load_dwordx2 s[38:39], s[4:5], 0x520
	s_load_dwordx4 s[20:23], s[4:5], 0x1b8
	s_add_u32 s2, s4, 0x520
	s_addc_u32 s3, s5, 0
	s_mov_b32 s9, 0
	s_waitcnt lgkmcnt(0)
	s_mul_i32 s0, s39, s8
	s_add_i32 s0, s0, s7
	s_mul_i32 s0, s0, s38
	s_add_i32 s8, s0, s6
	v_mov_b32_e32 v1, s8
	v_mov_b32_e32 v2, s9
	v_cmp_le_u64_e32 vcc, s[20:21], v[1:2]
	s_cbranch_vccnz .LBB189_512
; %bb.1:
	s_load_dword s7, s[4:5], 0x198
	s_mov_b64 s[0:1], 0
	s_mov_b64 s[10:11], s[8:9]
	s_waitcnt lgkmcnt(0)
	s_cmp_lt_i32 s7, 2
	s_cbranch_scc1 .LBB189_9
; %bb.2:
	s_mov_b32 s12, 0
	s_add_i32 s0, s7, -1
	s_mov_b32 s1, s12
	s_add_i32 s29, s7, 1
	s_lshl_b64 s[0:1], s[0:1], 3
	s_add_u32 s0, s4, s0
	s_addc_u32 s1, s5, s1
	s_add_u32 s14, s0, 8
	s_addc_u32 s15, s1, 0
	s_mov_b64 s[0:1], 0
	s_mov_b64 s[16:17], s[8:9]
.LBB189_3:                              ; =>This Inner Loop Header: Depth=1
	s_load_dwordx2 s[18:19], s[14:15], 0x0
	s_waitcnt lgkmcnt(0)
	s_or_b64 s[10:11], s[16:17], s[18:19]
	s_mov_b32 s13, s11
	s_cmp_lg_u64 s[12:13], 0
	s_cbranch_scc0 .LBB189_8
; %bb.4:                                ;   in Loop: Header=BB189_3 Depth=1
	v_cvt_f32_u32_e32 v1, s18
	v_cvt_f32_u32_e32 v2, s19
	s_sub_u32 s7, 0, s18
	s_subb_u32 s13, 0, s19
	v_mac_f32_e32 v1, 0x4f800000, v2
	v_rcp_f32_e32 v1, v1
	v_mul_f32_e32 v1, 0x5f7ffffc, v1
	v_mul_f32_e32 v2, 0x2f800000, v1
	v_trunc_f32_e32 v2, v2
	v_mac_f32_e32 v1, 0xcf800000, v2
	v_cvt_u32_f32_e32 v2, v2
	v_cvt_u32_f32_e32 v1, v1
	v_readfirstlane_b32 s20, v2
	v_readfirstlane_b32 s10, v1
	s_mul_i32 s11, s7, s20
	s_mul_hi_u32 s24, s7, s10
	s_mul_i32 s21, s13, s10
	s_add_i32 s11, s24, s11
	s_mul_i32 s25, s7, s10
	s_add_i32 s11, s11, s21
	s_mul_i32 s24, s10, s11
	s_mul_hi_u32 s26, s10, s25
	s_mul_hi_u32 s21, s10, s11
	s_add_u32 s24, s26, s24
	s_addc_u32 s21, 0, s21
	s_mul_hi_u32 s27, s20, s25
	s_mul_i32 s25, s20, s25
	s_add_u32 s24, s24, s25
	s_mul_hi_u32 s26, s20, s11
	s_addc_u32 s21, s21, s27
	s_addc_u32 s24, s26, 0
	s_mul_i32 s11, s20, s11
	s_add_u32 s11, s21, s11
	s_addc_u32 s21, 0, s24
	s_add_u32 s24, s10, s11
	s_cselect_b64 s[10:11], -1, 0
	s_cmp_lg_u64 s[10:11], 0
	s_addc_u32 s20, s20, s21
	s_mul_i32 s10, s7, s20
	s_mul_hi_u32 s11, s7, s24
	s_add_i32 s10, s11, s10
	s_mul_i32 s13, s13, s24
	s_add_i32 s10, s10, s13
	s_mul_i32 s7, s7, s24
	s_mul_hi_u32 s13, s20, s7
	s_mul_i32 s21, s20, s7
	s_mul_i32 s26, s24, s10
	s_mul_hi_u32 s7, s24, s7
	s_mul_hi_u32 s25, s24, s10
	s_add_u32 s7, s7, s26
	s_addc_u32 s25, 0, s25
	s_add_u32 s7, s7, s21
	s_mul_hi_u32 s11, s20, s10
	s_addc_u32 s7, s25, s13
	s_addc_u32 s11, s11, 0
	s_mul_i32 s10, s20, s10
	s_add_u32 s7, s7, s10
	s_addc_u32 s13, 0, s11
	s_add_u32 s7, s24, s7
	s_cselect_b64 s[10:11], -1, 0
	s_cmp_lg_u64 s[10:11], 0
	s_addc_u32 s10, s20, s13
	s_mul_i32 s13, s16, s10
	s_mul_hi_u32 s20, s16, s7
	s_mul_hi_u32 s11, s16, s10
	s_add_u32 s13, s20, s13
	s_addc_u32 s11, 0, s11
	s_mul_hi_u32 s21, s17, s7
	s_mul_i32 s7, s17, s7
	s_add_u32 s7, s13, s7
	s_mul_hi_u32 s20, s17, s10
	s_addc_u32 s7, s11, s21
	s_addc_u32 s11, s20, 0
	s_mul_i32 s10, s17, s10
	s_add_u32 s7, s7, s10
	s_addc_u32 s13, 0, s11
	s_mul_i32 s10, s18, s13
	s_mul_hi_u32 s11, s18, s7
	s_add_i32 s10, s11, s10
	s_mul_i32 s11, s19, s7
	s_add_i32 s24, s10, s11
	s_sub_i32 s20, s17, s24
	s_mul_i32 s10, s18, s7
	s_sub_u32 s25, s16, s10
	s_cselect_b64 s[10:11], -1, 0
	s_cmp_lg_u64 s[10:11], 0
	s_subb_u32 s26, s20, s19
	s_sub_u32 s27, s25, s18
	s_cselect_b64 s[20:21], -1, 0
	s_cmp_lg_u64 s[20:21], 0
	s_subb_u32 s20, s26, 0
	s_cmp_ge_u32 s20, s19
	s_cselect_b32 s21, -1, 0
	s_cmp_ge_u32 s27, s18
	s_cselect_b32 s26, -1, 0
	s_cmp_eq_u32 s20, s19
	s_cselect_b32 s20, s26, s21
	s_add_u32 s21, s7, 1
	s_addc_u32 s26, s13, 0
	s_add_u32 s27, s7, 2
	s_addc_u32 s28, s13, 0
	s_cmp_lg_u32 s20, 0
	s_cselect_b32 s20, s27, s21
	s_cselect_b32 s21, s28, s26
	s_cmp_lg_u64 s[10:11], 0
	s_subb_u32 s10, s17, s24
	s_cmp_ge_u32 s10, s19
	s_cselect_b32 s11, -1, 0
	s_cmp_ge_u32 s25, s18
	s_cselect_b32 s24, -1, 0
	s_cmp_eq_u32 s10, s19
	s_cselect_b32 s10, s24, s11
	s_cmp_lg_u32 s10, 0
	s_cselect_b32 s11, s21, s13
	s_cselect_b32 s10, s20, s7
	s_cbranch_execnz .LBB189_6
.LBB189_5:                              ;   in Loop: Header=BB189_3 Depth=1
	v_cvt_f32_u32_e32 v1, s18
	s_sub_i32 s7, 0, s18
	v_rcp_iflag_f32_e32 v1, v1
	v_mul_f32_e32 v1, 0x4f7ffffe, v1
	v_cvt_u32_f32_e32 v1, v1
	v_readfirstlane_b32 s10, v1
	s_mul_i32 s7, s7, s10
	s_mul_hi_u32 s7, s10, s7
	s_add_i32 s10, s10, s7
	s_mul_hi_u32 s7, s16, s10
	s_mul_i32 s11, s7, s18
	s_sub_i32 s11, s16, s11
	s_add_i32 s10, s7, 1
	s_sub_i32 s13, s11, s18
	s_cmp_ge_u32 s11, s18
	s_cselect_b32 s7, s10, s7
	s_cselect_b32 s11, s13, s11
	s_add_i32 s10, s7, 1
	s_cmp_ge_u32 s11, s18
	s_cselect_b32 s10, s10, s7
	s_mov_b32 s11, s12
.LBB189_6:                              ;   in Loop: Header=BB189_3 Depth=1
	s_mul_i32 s7, s10, s19
	s_mul_hi_u32 s13, s10, s18
	s_load_dwordx2 s[20:21], s[14:15], 0xc8
	s_add_i32 s7, s13, s7
	s_mul_i32 s13, s11, s18
	s_add_i32 s7, s7, s13
	s_mul_i32 s13, s10, s18
	s_sub_u32 s13, s16, s13
	s_subb_u32 s7, s17, s7
	s_waitcnt lgkmcnt(0)
	s_mul_i32 s7, s20, s7
	s_mul_hi_u32 s16, s20, s13
	s_add_i32 s7, s16, s7
	s_mul_i32 s16, s21, s13
	s_add_i32 s7, s7, s16
	s_mul_i32 s13, s20, s13
	s_add_u32 s0, s13, s0
	s_addc_u32 s1, s7, s1
	s_add_i32 s29, s29, -1
	s_add_u32 s14, s14, -8
	s_addc_u32 s15, s15, -1
	s_cmp_gt_u32 s29, 2
	s_cbranch_scc0 .LBB189_9
; %bb.7:                                ;   in Loop: Header=BB189_3 Depth=1
	s_mov_b64 s[16:17], s[10:11]
	s_branch .LBB189_3
.LBB189_8:                              ;   in Loop: Header=BB189_3 Depth=1
                                        ; implicit-def: $sgpr10_sgpr11
	s_branch .LBB189_5
.LBB189_9:
	s_load_dword s7, s[4:5], 0x360
	s_load_dwordx2 s[12:13], s[4:5], 0xd0
	s_add_u32 s14, s4, 0x1c8
	s_addc_u32 s15, s5, 0
	s_mov_b64 s[28:29], 0
	s_waitcnt lgkmcnt(0)
	s_cmp_lt_i32 s7, 2
	s_mov_b64 s[34:35], s[8:9]
	s_cbranch_scc1 .LBB189_17
; %bb.10:
	s_mov_b32 s16, 0
	s_add_i32 s18, s7, -1
	s_mov_b32 s19, s16
	s_add_i32 s39, s7, 1
	s_lshl_b64 s[18:19], s[18:19], 3
	s_add_u32 s7, s14, s18
	s_addc_u32 s17, s15, s19
	s_add_u32 s18, s7, 8
	s_addc_u32 s19, s17, 0
	s_mov_b64 s[20:21], s[8:9]
.LBB189_11:                             ; =>This Inner Loop Header: Depth=1
	s_load_dwordx2 s[24:25], s[18:19], 0x0
	s_waitcnt lgkmcnt(0)
	s_or_b64 s[26:27], s[20:21], s[24:25]
	s_mov_b32 s17, s27
	s_cmp_lg_u64 s[16:17], 0
	s_cbranch_scc0 .LBB189_16
; %bb.12:                               ;   in Loop: Header=BB189_11 Depth=1
	v_cvt_f32_u32_e32 v1, s24
	v_cvt_f32_u32_e32 v2, s25
	s_sub_u32 s7, 0, s24
	s_subb_u32 s17, 0, s25
	v_mac_f32_e32 v1, 0x4f800000, v2
	v_rcp_f32_e32 v1, v1
	v_mul_f32_e32 v1, 0x5f7ffffc, v1
	v_mul_f32_e32 v2, 0x2f800000, v1
	v_trunc_f32_e32 v2, v2
	v_mac_f32_e32 v1, 0xcf800000, v2
	v_cvt_u32_f32_e32 v2, v2
	v_cvt_u32_f32_e32 v1, v1
	v_readfirstlane_b32 s30, v2
	v_readfirstlane_b32 s26, v1
	s_mul_i32 s27, s7, s30
	s_mul_hi_u32 s33, s7, s26
	s_mul_i32 s31, s17, s26
	s_add_i32 s27, s33, s27
	s_mul_i32 s34, s7, s26
	s_add_i32 s27, s27, s31
	s_mul_i32 s33, s26, s27
	s_mul_hi_u32 s35, s26, s34
	s_mul_hi_u32 s31, s26, s27
	s_add_u32 s33, s35, s33
	s_addc_u32 s31, 0, s31
	s_mul_hi_u32 s36, s30, s34
	s_mul_i32 s34, s30, s34
	s_add_u32 s33, s33, s34
	s_mul_hi_u32 s35, s30, s27
	s_addc_u32 s31, s31, s36
	s_addc_u32 s33, s35, 0
	s_mul_i32 s27, s30, s27
	s_add_u32 s27, s31, s27
	s_addc_u32 s31, 0, s33
	s_add_u32 s33, s26, s27
	s_cselect_b64 s[26:27], -1, 0
	s_cmp_lg_u64 s[26:27], 0
	s_addc_u32 s30, s30, s31
	s_mul_i32 s26, s7, s30
	s_mul_hi_u32 s27, s7, s33
	s_add_i32 s26, s27, s26
	s_mul_i32 s17, s17, s33
	s_add_i32 s26, s26, s17
	s_mul_i32 s7, s7, s33
	s_mul_hi_u32 s27, s30, s7
	s_mul_i32 s31, s30, s7
	s_mul_i32 s35, s33, s26
	s_mul_hi_u32 s7, s33, s7
	s_mul_hi_u32 s34, s33, s26
	s_add_u32 s7, s7, s35
	s_addc_u32 s34, 0, s34
	s_add_u32 s7, s7, s31
	s_mul_hi_u32 s17, s30, s26
	s_addc_u32 s7, s34, s27
	s_addc_u32 s17, s17, 0
	s_mul_i32 s26, s30, s26
	s_add_u32 s7, s7, s26
	s_addc_u32 s17, 0, s17
	s_add_u32 s7, s33, s7
	s_cselect_b64 s[26:27], -1, 0
	s_cmp_lg_u64 s[26:27], 0
	s_addc_u32 s17, s30, s17
	s_mul_i32 s27, s20, s17
	s_mul_hi_u32 s30, s20, s7
	s_mul_hi_u32 s26, s20, s17
	s_add_u32 s27, s30, s27
	s_addc_u32 s26, 0, s26
	s_mul_hi_u32 s31, s21, s7
	s_mul_i32 s7, s21, s7
	s_add_u32 s7, s27, s7
	s_mul_hi_u32 s30, s21, s17
	s_addc_u32 s7, s26, s31
	s_addc_u32 s26, s30, 0
	s_mul_i32 s17, s21, s17
	s_add_u32 s7, s7, s17
	s_addc_u32 s17, 0, s26
	s_mul_i32 s26, s24, s17
	s_mul_hi_u32 s27, s24, s7
	s_add_i32 s26, s27, s26
	s_mul_i32 s27, s25, s7
	s_add_i32 s33, s26, s27
	s_sub_i32 s30, s21, s33
	s_mul_i32 s26, s24, s7
	s_sub_u32 s34, s20, s26
	s_cselect_b64 s[26:27], -1, 0
	s_cmp_lg_u64 s[26:27], 0
	s_subb_u32 s35, s30, s25
	s_sub_u32 s36, s34, s24
	s_cselect_b64 s[30:31], -1, 0
	s_cmp_lg_u64 s[30:31], 0
	s_subb_u32 s30, s35, 0
	s_cmp_ge_u32 s30, s25
	s_cselect_b32 s31, -1, 0
	s_cmp_ge_u32 s36, s24
	s_cselect_b32 s35, -1, 0
	s_cmp_eq_u32 s30, s25
	s_cselect_b32 s30, s35, s31
	s_add_u32 s31, s7, 1
	s_addc_u32 s35, s17, 0
	s_add_u32 s36, s7, 2
	s_addc_u32 s37, s17, 0
	s_cmp_lg_u32 s30, 0
	s_cselect_b32 s30, s36, s31
	s_cselect_b32 s31, s37, s35
	s_cmp_lg_u64 s[26:27], 0
	s_subb_u32 s26, s21, s33
	s_cmp_ge_u32 s26, s25
	s_cselect_b32 s27, -1, 0
	s_cmp_ge_u32 s34, s24
	s_cselect_b32 s33, -1, 0
	s_cmp_eq_u32 s26, s25
	s_cselect_b32 s26, s33, s27
	s_cmp_lg_u32 s26, 0
	s_cselect_b32 s35, s31, s17
	s_cselect_b32 s34, s30, s7
	s_cbranch_execnz .LBB189_14
.LBB189_13:                             ;   in Loop: Header=BB189_11 Depth=1
	v_cvt_f32_u32_e32 v1, s24
	s_sub_i32 s7, 0, s24
	s_mov_b32 s35, s16
	v_rcp_iflag_f32_e32 v1, v1
	v_mul_f32_e32 v1, 0x4f7ffffe, v1
	v_cvt_u32_f32_e32 v1, v1
	v_readfirstlane_b32 s17, v1
	s_mul_i32 s7, s7, s17
	s_mul_hi_u32 s7, s17, s7
	s_add_i32 s17, s17, s7
	s_mul_hi_u32 s7, s20, s17
	s_mul_i32 s26, s7, s24
	s_sub_i32 s26, s20, s26
	s_add_i32 s17, s7, 1
	s_sub_i32 s27, s26, s24
	s_cmp_ge_u32 s26, s24
	s_cselect_b32 s7, s17, s7
	s_cselect_b32 s26, s27, s26
	s_add_i32 s17, s7, 1
	s_cmp_ge_u32 s26, s24
	s_cselect_b32 s34, s17, s7
.LBB189_14:                             ;   in Loop: Header=BB189_11 Depth=1
	s_mul_i32 s7, s34, s25
	s_mul_hi_u32 s17, s34, s24
	s_load_dwordx2 s[26:27], s[18:19], 0xc8
	s_add_i32 s7, s17, s7
	s_mul_i32 s17, s35, s24
	s_add_i32 s7, s7, s17
	s_mul_i32 s17, s34, s24
	s_sub_u32 s17, s20, s17
	s_subb_u32 s7, s21, s7
	s_waitcnt lgkmcnt(0)
	s_mul_i32 s7, s26, s7
	s_mul_hi_u32 s20, s26, s17
	s_add_i32 s7, s20, s7
	s_mul_i32 s20, s27, s17
	s_add_i32 s7, s7, s20
	s_mul_i32 s17, s26, s17
	s_add_u32 s28, s17, s28
	s_addc_u32 s29, s7, s29
	s_add_i32 s39, s39, -1
	s_add_u32 s18, s18, -8
	s_addc_u32 s19, s19, -1
	s_cmp_gt_u32 s39, 2
	s_cbranch_scc0 .LBB189_17
; %bb.15:                               ;   in Loop: Header=BB189_11 Depth=1
	s_mov_b64 s[20:21], s[34:35]
	s_branch .LBB189_11
.LBB189_16:                             ;   in Loop: Header=BB189_11 Depth=1
                                        ; implicit-def: $sgpr34_sgpr35
	s_branch .LBB189_13
.LBB189_17:
	s_load_dword s16, s[4:5], 0x508
	s_load_dwordx2 s[18:19], s[14:15], 0xd0
	s_add_u32 s7, s4, 0x370
                                        ; implicit-def: $vgpr59 : SGPR spill to VGPR lane
                                        ; kill: killed $sgpr14 killed $sgpr15
	s_addc_u32 s15, s5, 0
	s_mov_b64 s[42:43], 0
	s_waitcnt lgkmcnt(0)
	s_cmp_lt_i32 s16, 2
	v_writelane_b32 v59, s18, 0
	v_writelane_b32 v59, s19, 1
	s_cbranch_scc1 .LBB189_25
; %bb.18:
	s_mov_b32 s14, 0
	s_add_i32 s36, s16, 1
	s_add_i32 s16, s16, -1
	s_mov_b32 s17, s14
	s_lshl_b64 s[16:17], s[16:17], 3
	s_add_u32 s7, s7, s16
	s_addc_u32 s15, s15, s17
	s_add_u32 s16, s7, 8
	s_addc_u32 s17, s15, 0
.LBB189_19:                             ; =>This Inner Loop Header: Depth=1
	s_load_dwordx2 s[18:19], s[16:17], 0x0
	s_waitcnt lgkmcnt(0)
	s_or_b64 s[20:21], s[8:9], s[18:19]
	s_mov_b32 s15, s21
	s_cmp_lg_u64 s[14:15], 0
	s_cbranch_scc0 .LBB189_24
; %bb.20:                               ;   in Loop: Header=BB189_19 Depth=1
	v_cvt_f32_u32_e32 v1, s18
	v_cvt_f32_u32_e32 v2, s19
	s_sub_u32 s7, 0, s18
	s_subb_u32 s15, 0, s19
	v_mac_f32_e32 v1, 0x4f800000, v2
	v_rcp_f32_e32 v1, v1
	v_mul_f32_e32 v1, 0x5f7ffffc, v1
	v_mul_f32_e32 v2, 0x2f800000, v1
	v_trunc_f32_e32 v2, v2
	v_mac_f32_e32 v1, 0xcf800000, v2
	v_cvt_u32_f32_e32 v2, v2
	v_cvt_u32_f32_e32 v1, v1
	v_readfirstlane_b32 s24, v2
	v_readfirstlane_b32 s20, v1
	s_mul_i32 s21, s7, s24
	s_mul_hi_u32 s26, s7, s20
	s_mul_i32 s25, s15, s20
	s_add_i32 s21, s26, s21
	s_mul_i32 s27, s7, s20
	s_add_i32 s21, s21, s25
	s_mul_i32 s26, s20, s21
	s_mul_hi_u32 s30, s20, s27
	s_mul_hi_u32 s25, s20, s21
	s_add_u32 s26, s30, s26
	s_addc_u32 s25, 0, s25
	s_mul_hi_u32 s31, s24, s27
	s_mul_i32 s27, s24, s27
	s_add_u32 s26, s26, s27
	s_mul_hi_u32 s30, s24, s21
	s_addc_u32 s25, s25, s31
	s_addc_u32 s26, s30, 0
	s_mul_i32 s21, s24, s21
	s_add_u32 s21, s25, s21
	s_addc_u32 s25, 0, s26
	s_add_u32 s26, s20, s21
	s_cselect_b64 s[20:21], -1, 0
	s_cmp_lg_u64 s[20:21], 0
	s_addc_u32 s24, s24, s25
	s_mul_i32 s20, s7, s24
	s_mul_hi_u32 s21, s7, s26
	s_add_i32 s20, s21, s20
	s_mul_i32 s15, s15, s26
	s_add_i32 s20, s20, s15
	s_mul_i32 s7, s7, s26
	s_mul_hi_u32 s21, s24, s7
	s_mul_i32 s25, s24, s7
	s_mul_i32 s30, s26, s20
	s_mul_hi_u32 s7, s26, s7
	s_mul_hi_u32 s27, s26, s20
	s_add_u32 s7, s7, s30
	s_addc_u32 s27, 0, s27
	s_add_u32 s7, s7, s25
	s_mul_hi_u32 s15, s24, s20
	s_addc_u32 s7, s27, s21
	s_addc_u32 s15, s15, 0
	s_mul_i32 s20, s24, s20
	s_add_u32 s7, s7, s20
	s_addc_u32 s15, 0, s15
	s_add_u32 s7, s26, s7
	s_cselect_b64 s[20:21], -1, 0
	s_cmp_lg_u64 s[20:21], 0
	s_addc_u32 s15, s24, s15
	s_mul_i32 s21, s8, s15
	s_mul_hi_u32 s24, s8, s7
	s_mul_hi_u32 s20, s8, s15
	s_add_u32 s21, s24, s21
	s_addc_u32 s20, 0, s20
	s_mul_hi_u32 s25, s9, s7
	s_mul_i32 s7, s9, s7
	s_add_u32 s7, s21, s7
	s_mul_hi_u32 s24, s9, s15
	s_addc_u32 s7, s20, s25
	s_addc_u32 s20, s24, 0
	s_mul_i32 s15, s9, s15
	s_add_u32 s7, s7, s15
	s_addc_u32 s15, 0, s20
	s_mul_i32 s20, s18, s15
	s_mul_hi_u32 s21, s18, s7
	s_add_i32 s20, s21, s20
	s_mul_i32 s21, s19, s7
	s_add_i32 s26, s20, s21
	s_sub_i32 s24, s9, s26
	s_mul_i32 s20, s18, s7
	s_sub_u32 s27, s8, s20
	s_cselect_b64 s[20:21], -1, 0
	s_cmp_lg_u64 s[20:21], 0
	s_subb_u32 s30, s24, s19
	s_sub_u32 s31, s27, s18
	s_cselect_b64 s[24:25], -1, 0
	s_cmp_lg_u64 s[24:25], 0
	s_subb_u32 s24, s30, 0
	s_cmp_ge_u32 s24, s19
	s_cselect_b32 s25, -1, 0
	s_cmp_ge_u32 s31, s18
	s_cselect_b32 s30, -1, 0
	s_cmp_eq_u32 s24, s19
	s_cselect_b32 s24, s30, s25
	s_add_u32 s25, s7, 1
	s_addc_u32 s30, s15, 0
	s_add_u32 s31, s7, 2
	s_addc_u32 s33, s15, 0
	s_cmp_lg_u32 s24, 0
	s_cselect_b32 s24, s31, s25
	s_cselect_b32 s25, s33, s30
	s_cmp_lg_u64 s[20:21], 0
	s_subb_u32 s20, s9, s26
	s_cmp_ge_u32 s20, s19
	s_cselect_b32 s21, -1, 0
	s_cmp_ge_u32 s27, s18
	s_cselect_b32 s26, -1, 0
	s_cmp_eq_u32 s20, s19
	s_cselect_b32 s20, s26, s21
	s_cmp_lg_u32 s20, 0
	s_cselect_b32 s47, s25, s15
	s_cselect_b32 s46, s24, s7
	s_cbranch_execnz .LBB189_22
.LBB189_21:                             ;   in Loop: Header=BB189_19 Depth=1
	v_cvt_f32_u32_e32 v1, s18
	s_sub_i32 s7, 0, s18
	s_mov_b32 s47, s14
	v_rcp_iflag_f32_e32 v1, v1
	v_mul_f32_e32 v1, 0x4f7ffffe, v1
	v_cvt_u32_f32_e32 v1, v1
	v_readfirstlane_b32 s15, v1
	s_mul_i32 s7, s7, s15
	s_mul_hi_u32 s7, s15, s7
	s_add_i32 s15, s15, s7
	s_mul_hi_u32 s7, s8, s15
	s_mul_i32 s20, s7, s18
	s_sub_i32 s20, s8, s20
	s_add_i32 s15, s7, 1
	s_sub_i32 s21, s20, s18
	s_cmp_ge_u32 s20, s18
	s_cselect_b32 s7, s15, s7
	s_cselect_b32 s20, s21, s20
	s_add_i32 s15, s7, 1
	s_cmp_ge_u32 s20, s18
	s_cselect_b32 s46, s15, s7
.LBB189_22:                             ;   in Loop: Header=BB189_19 Depth=1
	s_mul_i32 s7, s46, s19
	s_mul_hi_u32 s15, s46, s18
	s_load_dwordx2 s[20:21], s[16:17], 0xc8
	s_add_i32 s7, s15, s7
	s_mul_i32 s15, s47, s18
	s_add_i32 s7, s7, s15
	s_mul_i32 s15, s46, s18
	s_sub_u32 s8, s8, s15
	s_subb_u32 s7, s9, s7
	s_waitcnt lgkmcnt(0)
	s_mul_i32 s7, s20, s7
	s_mul_hi_u32 s9, s20, s8
	s_add_i32 s7, s9, s7
	s_mul_i32 s9, s21, s8
	s_add_i32 s7, s7, s9
	s_mul_i32 s8, s20, s8
	s_add_u32 s42, s8, s42
	s_addc_u32 s43, s7, s43
	s_add_i32 s36, s36, -1
	s_add_u32 s16, s16, -8
	s_addc_u32 s17, s17, -1
	s_cmp_gt_u32 s36, 2
	s_cbranch_scc0 .LBB189_26
; %bb.23:                               ;   in Loop: Header=BB189_19 Depth=1
	s_mov_b64 s[8:9], s[46:47]
	s_branch .LBB189_19
.LBB189_24:                             ;   in Loop: Header=BB189_19 Depth=1
                                        ; implicit-def: $sgpr46_sgpr47
	s_branch .LBB189_21
.LBB189_25:
	s_mov_b64 s[46:47], s[8:9]
.LBB189_26:
	s_load_dwordx4 s[24:27], s[4:5], 0x1a0
	s_load_dwordx2 s[16:17], s[4:5], 0x0
	s_load_dwordx2 s[8:9], s[4:5], 0x440
	s_mov_b32 s55, 0
	v_cmp_eq_u32_e64 s[14:15], 0, v0
	s_waitcnt lgkmcnt(0)
	v_writelane_b32 v59, s8, 2
	v_writelane_b32 v59, s9, 3
	s_load_dwordx2 s[8:9], s[4:5], 0x1c8
	s_waitcnt lgkmcnt(0)
	v_writelane_b32 v59, s8, 4
	v_writelane_b32 v59, s9, 5
	s_load_dwordx2 s[8:9], s[4:5], 0x370
	s_waitcnt lgkmcnt(0)
	v_writelane_b32 v59, s8, 6
	v_writelane_b32 v59, s9, 7
	s_mov_b64 s[8:9], exec
	v_writelane_b32 v59, s14, 8
	v_writelane_b32 v59, s15, 9
	s_and_b64 s[14:15], s[8:9], s[14:15]
	s_mov_b64 exec, s[14:15]
	s_cbranch_execz .LBB189_28
; %bb.27:
	v_mov_b32_e32 v1, 0
	v_mov_b32_e32 v3, s24
	;; [unrolled: 1-line block ×4, first 2 shown]
	ds_write_b32 v1, v1 offset:5144
	ds_write_b128 v1, v[1:4] offset:5120
.LBB189_28:
	s_or_b64 exec, exec, s[8:9]
	s_mul_i32 s8, s12, s11
	s_mul_hi_u32 s7, s12, s10
	s_add_i32 s8, s7, s8
	s_mul_i32 s7, s13, s10
	s_add_i32 s9, s8, s7
	s_mul_i32 s8, s12, s10
	v_writelane_b32 v59, s4, 10
	s_lshl_b64 s[12:13], s[8:9], 3
	v_writelane_b32 v59, s5, 11
	s_load_dword s5, s[4:5], 0x1b0
	s_add_u32 s8, s16, s12
	s_addc_u32 s9, s17, s13
	s_lshl_b64 s[40:41], s[0:1], 3
	s_add_u32 s62, s8, s40
	s_addc_u32 s63, s9, s41
	s_waitcnt lgkmcnt(0)
	s_bitcmp1_b32 s5, 0
	s_cselect_b64 s[0:1], -1, 0
	v_writelane_b32 v59, s0, 12
	v_writelane_b32 v59, s1, 13
	s_xor_b64 s[0:1], s[0:1], -1
	v_mbcnt_lo_u32_b32 v1, -1, 0
	v_writelane_b32 v59, s0, 14
	v_mbcnt_hi_u32_b32 v49, -1, v1
	v_writelane_b32 v59, s1, 15
	v_cmp_gt_u32_e32 vcc, 64, v0
	v_cmp_gt_i32_e64 s[10:11], 4, v49
	v_mad_u64_u32 v[4:5], s[0:1], s22, v0, 0
	v_mov_b32_e32 v1, 0x180
	s_and_b64 s[0:1], vcc, s[10:11]
	v_mov_b32_e32 v2, 0
	v_writelane_b32 v59, s0, 16
	v_writelane_b32 v59, s1, 17
	v_cmp_gt_u64_e64 s[0:1], s[24:25], v[1:2]
	v_mov_b32_e32 v1, v5
	v_writelane_b32 v59, s0, 18
	v_mov_b32_e32 v19, 0
	v_writelane_b32 v59, s1, 19
	v_mad_u64_u32 v[2:3], s[0:1], s23, v0, v[1:2]
	v_mov_b32_e32 v1, v19
	v_cmp_gt_u64_e64 s[0:1], s[24:25], v[0:1]
	v_writelane_b32 v59, s0, 20
	v_writelane_b32 v59, s1, 21
	v_cmp_gt_u32_e64 s[0:1], 2, v0
	v_writelane_b32 v59, s0, 22
	s_barrier
	v_writelane_b32 v59, s1, 23
	s_load_dword s0, s[2:3], 0xc
	v_mov_b32_e32 v5, v2
	v_lshlrev_b64 v[2:3], 3, v[4:5]
	v_mov_b32_e32 v6, s63
	v_add_co_u32_e32 v16, vcc, s62, v2
	s_waitcnt lgkmcnt(0)
	s_and_b32 s33, s0, 0xffff
	s_bfe_u32 s5, s0, 0xa0006
	s_cmp_gt_u32 s33, 63
	s_cselect_b64 s[0:1], -1, 0
	v_writelane_b32 v59, s0, 24
	v_writelane_b32 v59, s1, 25
	s_add_u32 s0, s33, -1
	s_addc_u32 s1, 0, -1
	v_writelane_b32 v59, s0, 26
	s_add_u32 s0, s0, s24
	v_writelane_b32 v59, s0, 27
	v_writelane_b32 v59, s1, 28
	s_addc_u32 s1, s1, s25
	v_writelane_b32 v59, s0, 29
	s_cmp_lt_u32 s6, s38
	v_addc_co_u32_e32 v17, vcc, v6, v3, vcc
	v_lshlrev_b64 v[6:7], v49, -1
	v_writelane_b32 v59, s1, 30
	s_cselect_b32 s0, 12, 18
	s_add_u32 s0, s2, s0
	v_not_b32_e32 v48, v6
	v_lshrrev_b32_e32 v6, 1, v0
	s_addc_u32 s1, s3, 0
	v_and_b32_e32 v6, 0x1e0, v6
	v_writelane_b32 v59, s0, 31
	v_not_b32_e32 v47, v7
	v_or_b32_e32 v51, 0xc00, v6
	v_writelane_b32 v59, s1, 32
	s_add_i32 s0, s5, -1
	v_lshlrev_b32_e32 v52, 5, v0
	v_mov_b32_e32 v6, s8
	s_bfe_u32 s2, s33, 0x30006
	s_and_b32 s0, s0, 0xffff
	v_or_b32_e32 v9, 24, v52
	v_mov_b32_e32 v7, s9
	s_cmp_gt_u32 s0, 6
	v_mad_u64_u32 v[22:23], s[0:1], s22, v9, v[6:7]
	s_cselect_b64 s[0:1], -1, 0
	v_lshlrev_b32_e32 v8, 2, v49
	v_writelane_b32 v59, s0, 33
	v_and_b32_e32 v46, 0x100, v8
	v_writelane_b32 v59, s1, 34
	s_and_b32 s0, s5, 0x3f8
	v_mov_b32_e32 v8, v23
	v_writelane_b32 v59, s2, 35
	s_cmp_lg_u32 s2, 0
	v_mad_u64_u32 v[8:9], s[2:3], s23, v9, v[8:9]
	v_or_b32_e32 v9, 16, v52
	v_mad_u64_u32 v[24:25], s[2:3], s22, v9, v[6:7]
	s_cselect_b64 s[2:3], -1, 0
	v_writelane_b32 v59, s2, 36
	v_mov_b32_e32 v23, v8
	v_mov_b32_e32 v8, v25
	v_writelane_b32 v59, s3, 37
	v_mad_u64_u32 v[8:9], s[2:3], s23, v9, v[8:9]
	v_or_b32_e32 v9, 8, v52
	v_mad_u64_u32 v[26:27], s[2:3], s22, v9, v[6:7]
	s_add_u32 s1, s12, s40
	s_addc_u32 s4, s13, s41
	s_add_u32 s6, s16, s1
	v_mov_b32_e32 v6, v27
	s_addc_u32 s7, s17, s4
	v_mad_u64_u32 v[6:7], s[2:3], s23, v9, v[6:7]
	v_writelane_b32 v59, s6, 38
	v_writelane_b32 v59, s7, 39
	s_lshl_b64 s[2:3], s[22:23], 5
	v_writelane_b32 v59, s2, 40
	s_lshl_b64 s[36:37], s[22:23], 3
	v_writelane_b32 v59, s3, 41
	s_lshl_b32 s1, s33, 3
	v_lshlrev_b64 v[4:5], 5, v[4:5]
	s_add_u32 s2, s16, s40
	v_writelane_b32 v59, s16, 42
	v_writelane_b32 v59, s17, 43
	s_addc_u32 s3, s17, s41
	v_mov_b32_e32 v27, v6
	v_mov_b32_e32 v6, s9
	v_add_co_u32_e32 v28, vcc, s8, v4
	s_add_u32 s2, s2, s12
	v_writelane_b32 v59, s12, 44
	v_cmp_eq_u32_e64 s[72:73], 0, v49
	v_addc_co_u32_e32 v29, vcc, v6, v5, vcc
	v_writelane_b32 v59, s13, 45
	s_addc_u32 s3, s3, s13
	v_mov_b32_e32 v4, s3
	v_add_co_u32_e32 v32, vcc, s2, v2
	s_mul_i32 s2, s23, s33
	s_mul_hi_u32 s3, s22, s33
	v_writelane_b32 v59, s72, 46
	v_lshlrev_b32_e32 v50, 3, v0
	v_mov_b32_e32 v2, 0xc00
	s_add_i32 s3, s3, s2
	s_mul_i32 s2, s22, s33
	v_mov_b32_e32 v6, 0
	v_mov_b32_e32 v37, s27
	v_mov_b32_e32 v30, 0
	v_mov_b32_e32 v34, 0
	v_writelane_b32 v59, s73, 47
	v_lshlrev_b32_e32 v20, 2, v0
	v_mov_b32_e32 v21, v19
	v_mov_b32_e32 v25, v8
	v_addc_co_u32_e32 v33, vcc, v4, v3, vcc
	v_lshl_or_b32 v53, v49, 3, v2
	s_lshl_b64 s[30:31], s[2:3], 3
	s_mov_b32 s88, 62
	s_mov_b64 s[76:77], 0
	v_mov_b32_e32 v7, 0
	v_mov_b32_e32 v36, s26
	;; [unrolled: 1-line block ×3, first 2 shown]
	v_add_u32_e32 v54, 0xc00, v50
	s_mov_b32 s89, 0
	v_mov_b32_e32 v55, 0x4f800000
	v_mov_b32_e32 v35, 0
	;; [unrolled: 1-line block ×3, first 2 shown]
	v_writelane_b32 v59, s36, 48
                                        ; implicit-def: $sgpr78_sgpr79
                                        ; implicit-def: $sgpr80_sgpr81
                                        ; implicit-def: $sgpr84_sgpr85
                                        ; implicit-def: $sgpr86_sgpr87
                                        ; implicit-def: $sgpr82_sgpr83
                                        ; implicit-def: $sgpr64_sgpr65
                                        ; implicit-def: $sgpr90_sgpr91
                                        ; implicit-def: $sgpr92_sgpr93
                                        ; implicit-def: $sgpr94_sgpr95
                                        ; implicit-def: $sgpr48_sgpr49
	v_writelane_b32 v59, s37, 49
	s_branch .LBB189_31
.LBB189_29:                             ;   in Loop: Header=BB189_31 Depth=1
	s_or_b64 exec, exec, s[8:9]
	s_andn2_b64 s[8:9], s[48:49], exec
	s_and_b64 s[6:7], s[6:7], exec
	v_mov_b32_e32 v36, v38
	s_or_b64 s[48:49], s[8:9], s[6:7]
	s_andn2_b64 s[94:95], s[94:95], exec
	s_andn2_b64 s[92:93], s[92:93], exec
	;; [unrolled: 1-line block ×4, first 2 shown]
	s_orn2_b64 s[4:5], s[4:5], exec
	v_mov_b32_e32 v37, v39
.LBB189_30:                             ;   in Loop: Header=BB189_31 Depth=1
	s_or_b64 exec, exec, s[2:3]
	s_and_b64 s[2:3], exec, s[4:5]
	s_or_b64 s[76:77], s[2:3], s[76:77]
	s_andn2_b64 s[2:3], s[82:83], exec
	s_and_b64 s[4:5], s[48:49], exec
	s_or_b64 s[82:83], s[2:3], s[4:5]
	s_andn2_b64 s[2:3], s[86:87], exec
	s_and_b64 s[4:5], s[94:95], exec
	;; [unrolled: 3-line block ×5, first 2 shown]
	s_or_b64 s[78:79], s[2:3], s[4:5]
	s_andn2_b64 exec, exec, s[76:77]
	s_cbranch_execz .LBB189_508
.LBB189_31:                             ; =>This Loop Header: Depth=1
                                        ;     Child Loop BB189_37 Depth 2
                                        ;     Child Loop BB189_50 Depth 2
	;; [unrolled: 1-line block ×24, first 2 shown]
	ds_read_b128 v[8:11], v19 offset:5120
	s_waitcnt lgkmcnt(0)
	v_readfirstlane_b32 s3, v9
	v_readfirstlane_b32 s2, v8
	s_cmp_lg_u64 s[2:3], 0
	s_cbranch_scc1 .LBB189_58
; %bb.32:                               ;   in Loop: Header=BB189_31 Depth=1
	v_readlane_b32 s2, v59, 18
	v_readlane_b32 s3, v59, 19
	s_and_b64 vcc, exec, s[2:3]
	s_cbranch_vccz .LBB189_45
; %bb.33:                               ;   in Loop: Header=BB189_31 Depth=1
	s_mov_b64 s[2:3], 0x181
	v_cmp_gt_u64_e32 vcc, s[2:3], v[10:11]
	s_mov_b64 s[2:3], 0
	s_mov_b64 s[4:5], 0
	s_cbranch_vccz .LBB189_46
; %bb.34:                               ;   in Loop: Header=BB189_31 Depth=1
	s_mov_b64 s[4:5], exec
	v_readlane_b32 s6, v59, 20
	v_readlane_b32 s7, v59, 21
	s_and_b64 s[6:7], s[4:5], s[6:7]
	s_mov_b64 exec, s[6:7]
	s_cbranch_execz .LBB189_114
; %bb.35:                               ;   in Loop: Header=BB189_31 Depth=1
	v_readlane_b32 s6, v59, 31
	v_readlane_b32 s7, v59, 32
	s_nop 4
	global_load_ushort v2, v19, s[6:7]
	global_load_dwordx2 v[8:9], v[16:17], off
	v_readlane_b32 s6, v59, 38
	v_readlane_b32 s7, v59, 39
	v_mov_b32_e32 v4, s6
	v_mov_b32_e32 v5, s7
	s_mov_b64 s[8:9], 0
	s_waitcnt vmcnt(1)
	v_readfirstlane_b32 s6, v2
	s_and_b32 s10, 0xffff, s6
	v_add_u32_e32 v10, s10, v0
	v_mad_u64_u32 v[4:5], s[6:7], s36, v10, v[4:5]
	s_mul_i32 s11, s37, s10
	s_mul_i32 s18, s36, s10
	v_mad_u64_u32 v[10:11], s[6:7], s37, v10, v[5:6]
	s_mul_hi_u32 s6, s36, s10
	s_add_i32 s19, s6, s11
	v_mov_b32_e32 v5, v10
	v_mov_b32_e32 v11, v1
	;; [unrolled: 1-line block ×3, first 2 shown]
	s_branch .LBB189_37
.LBB189_36:                             ;   in Loop: Header=BB189_37 Depth=2
	s_or_b64 exec, exec, s[6:7]
	v_mov_b32_e32 v8, s19
	v_add_co_u32_e32 v4, vcc, s18, v4
	v_addc_co_u32_e32 v5, vcc, v5, v8, vcc
	v_mov_b32_e32 v8, v12
	v_mov_b32_e32 v9, v13
	s_andn2_b64 exec, exec, s[8:9]
	s_cbranch_execz .LBB189_114
.LBB189_37:                             ;   Parent Loop BB189_31 Depth=1
                                        ; =>  This Inner Loop Header: Depth=2
	v_add_co_u32_sdwa v10, vcc, v10, v2 dst_sel:DWORD dst_unused:UNUSED_PAD src0_sel:DWORD src1_sel:WORD_0
	v_addc_co_u32_e32 v11, vcc, 0, v11, vcc
	v_cmp_gt_u64_e64 s[6:7], s[24:25], v[10:11]
	v_cmp_le_u64_e32 vcc, s[24:25], v[10:11]
	v_mov_b32_e32 v12, 0
	v_mov_b32_e32 v13, 0
	s_and_saveexec_b64 s[10:11], s[6:7]
	s_cbranch_execz .LBB189_39
; %bb.38:                               ;   in Loop: Header=BB189_37 Depth=2
	global_load_dwordx2 v[12:13], v[4:5], off
.LBB189_39:                             ;   in Loop: Header=BB189_37 Depth=2
	s_or_b64 exec, exec, s[10:11]
	s_waitcnt vmcnt(0)
	v_cmp_o_f64_e64 s[6:7], v[8:9], v[8:9]
	s_waitcnt lgkmcnt(0)
	v_ashrrev_i32_e32 v14, 31, v9
	v_or_b32_e32 v15, 0x80000000, v14
	v_xor_b32_e32 v15, v15, v9
	v_xor_b32_e32 v14, v14, v8
	v_cndmask_b32_e64 v15, -1, v15, s[6:7]
	v_cndmask_b32_e64 v14, -1, v14, s[6:7]
	v_and_b32_e32 v15, v15, v35
	v_and_b32_e32 v14, v14, v34
	v_cmp_eq_u64_e64 s[14:15], v[14:15], v[30:31]
	v_mov_b32_e32 v14, 0
	s_cmp_lg_u64 s[14:15], 0
	s_cselect_b64 s[6:7], -1, 0
	s_and_b64 s[6:7], s[72:73], s[6:7]
	s_and_saveexec_b64 s[10:11], s[6:7]
	s_cbranch_execz .LBB189_43
; %bb.40:                               ;   in Loop: Header=BB189_37 Depth=2
	s_mov_b64 s[16:17], exec
	v_mbcnt_lo_u32_b32 v14, s16, 0
	v_mbcnt_hi_u32_b32 v14, s17, v14
	s_bcnt1_i32_b64 s20, s[14:15]
	v_cmp_eq_u32_e64 s[6:7], 0, v14
                                        ; implicit-def: $vgpr15
	s_and_saveexec_b64 s[12:13], s[6:7]
; %bb.41:                               ;   in Loop: Header=BB189_37 Depth=2
	s_bcnt1_i32_b64 s6, s[16:17]
	s_mul_i32 s6, s20, s6
	v_mov_b32_e32 v15, s6
	ds_add_rtn_u32 v15, v19, v15 offset:5144
; %bb.42:                               ;   in Loop: Header=BB189_37 Depth=2
	s_or_b64 exec, exec, s[12:13]
	s_waitcnt lgkmcnt(0)
	v_readfirstlane_b32 s6, v15
	v_mov_b32_e32 v15, s6
	v_mad_u32_u24 v14, s20, v14, v15
.LBB189_43:                             ;   in Loop: Header=BB189_37 Depth=2
	s_or_b64 exec, exec, s[10:11]
	ds_bpermute_b32 v14, v46, v14
	s_and_b64 s[6:7], exec, vcc
	s_or_b64 s[8:9], s[6:7], s[8:9]
	s_and_saveexec_b64 s[6:7], s[14:15]
	s_cbranch_execz .LBB189_36
; %bb.44:                               ;   in Loop: Header=BB189_37 Depth=2
	v_and_b32_e32 v18, s14, v48
	v_and_b32_e32 v15, s15, v47
	v_bcnt_u32_b32 v18, v18, 0
	v_bcnt_u32_b32 v15, v15, v18
	v_lshlrev_b32_e32 v15, 3, v15
	s_waitcnt lgkmcnt(0)
	v_lshl_add_u32 v14, v14, 3, v15
	ds_write_b64 v14, v[8:9]
	s_branch .LBB189_36
.LBB189_45:                             ;   in Loop: Header=BB189_31 Depth=1
	s_mov_b64 s[2:3], -1
	s_mov_b64 s[4:5], 0
.LBB189_46:                             ;   in Loop: Header=BB189_31 Depth=1
	s_and_b64 vcc, exec, s[2:3]
	s_cbranch_vccz .LBB189_56
.LBB189_47:                             ;   in Loop: Header=BB189_31 Depth=1
	s_mov_b64 s[2:3], exec
	v_readlane_b32 s4, v59, 20
	v_readlane_b32 s5, v59, 21
	s_and_b64 s[4:5], s[2:3], s[4:5]
	s_mov_b64 exec, s[4:5]
	s_cbranch_execz .LBB189_53
; %bb.48:                               ;   in Loop: Header=BB189_31 Depth=1
	v_readlane_b32 s4, v59, 31
	v_readlane_b32 s5, v59, 32
	s_nop 4
	global_load_ushort v2, v19, s[4:5]
	global_load_dwordx2 v[4:5], v[16:17], off
	s_waitcnt vmcnt(1)
	v_add_u32_sdwa v18, v2, v0 dst_sel:DWORD dst_unused:UNUSED_PAD src0_sel:WORD_0 src1_sel:DWORD
	v_cmp_gt_u64_e32 vcc, s[24:25], v[18:19]
	v_readfirstlane_b32 s6, v2
	v_mov_b32_e32 v2, v0
	s_and_saveexec_b64 s[4:5], vcc
	s_cbranch_execz .LBB189_52
; %bb.49:                               ;   in Loop: Header=BB189_31 Depth=1
	v_readlane_b32 s8, v59, 38
	v_readlane_b32 s9, v59, 39
	v_mov_b32_e32 v8, s8
	v_mov_b32_e32 v9, s9
	v_mad_u64_u32 v[8:9], s[8:9], s36, v18, v[8:9]
	s_and_b32 s8, s6, 0xffff
	v_mov_b32_e32 v12, v18
	v_mov_b32_e32 v2, v9
	v_mad_u64_u32 v[9:10], s[6:7], s37, v18, v[2:3]
	s_mul_i32 s6, s37, s8
	s_mul_hi_u32 s7, s36, s8
	v_mov_b32_e32 v15, v1
	s_add_i32 s9, s7, s6
	s_mov_b64 s[6:7], 0
	v_mov_b32_e32 v13, v19
	v_mov_b32_e32 v14, v0
.LBB189_50:                             ;   Parent Loop BB189_31 Depth=1
                                        ; =>  This Inner Loop Header: Depth=2
	global_load_dwordx2 v[10:11], v[8:9], off
	v_mov_b32_e32 v39, v13
	s_mul_i32 s10, s36, s8
	v_mov_b32_e32 v38, v12
	v_mov_b32_e32 v12, s9
	v_add_co_u32_e32 v8, vcc, s10, v8
	v_addc_co_u32_e32 v9, vcc, v9, v12, vcc
	v_add_co_u32_e32 v12, vcc, s8, v38
	v_addc_co_u32_e32 v13, vcc, 0, v39, vcc
	v_lshlrev_b32_e32 v2, 3, v14
	v_cmp_le_u64_e32 vcc, s[24:25], v[12:13]
	s_waitcnt vmcnt(1)
	ds_write_b64 v2, v[4:5]
	v_mov_b32_e32 v14, v38
	s_or_b64 s[6:7], vcc, s[6:7]
	v_mov_b32_e32 v15, v39
	s_waitcnt vmcnt(0)
	v_mov_b32_e32 v4, v10
	v_mov_b32_e32 v5, v11
	s_andn2_b64 exec, exec, s[6:7]
	s_cbranch_execnz .LBB189_50
; %bb.51:                               ;   in Loop: Header=BB189_31 Depth=1
	s_or_b64 exec, exec, s[6:7]
	v_mov_b32_e32 v4, v10
	v_subrev_u32_e32 v2, s8, v12
	v_mov_b32_e32 v5, v11
.LBB189_52:                             ;   in Loop: Header=BB189_31 Depth=1
	s_or_b64 exec, exec, s[4:5]
	v_lshlrev_b32_e32 v2, 3, v2
	s_waitcnt vmcnt(0)
	ds_write_b64 v2, v[4:5]
.LBB189_53:                             ;   in Loop: Header=BB189_31 Depth=1
	s_or_b64 exec, exec, s[2:3]
	s_waitcnt lgkmcnt(0)
	s_barrier
	s_mov_b64 s[2:3], exec
	v_readlane_b32 s4, v59, 8
	v_readlane_b32 s5, v59, 9
	s_and_b64 s[4:5], s[2:3], s[4:5]
	s_mov_b64 exec, s[4:5]
; %bb.54:                               ;   in Loop: Header=BB189_31 Depth=1
	v_mov_b32_e32 v4, s24
	v_mov_b32_e32 v5, s25
	ds_write_b64 v19, v[4:5] offset:5120
; %bb.55:                               ;   in Loop: Header=BB189_31 Depth=1
	s_or_b64 exec, exec, s[2:3]
	s_waitcnt lgkmcnt(0)
	s_barrier
	s_mov_b64 s[4:5], -1
.LBB189_56:                             ;   in Loop: Header=BB189_31 Depth=1
	s_mov_b64 s[2:3], 0
	s_and_b64 vcc, exec, s[4:5]
	s_cbranch_vccz .LBB189_58
; %bb.57:                               ;   in Loop: Header=BB189_31 Depth=1
	ds_read_b64 v[4:5], v19 offset:5120
	s_waitcnt lgkmcnt(0)
	v_readfirstlane_b32 s2, v4
.LBB189_58:                             ;   in Loop: Header=BB189_31 Depth=1
	s_cmp_lt_i32 s2, 1
	s_mov_b64 s[4:5], -1
                                        ; implicit-def: $vgpr8_vgpr9
                                        ; implicit-def: $vgpr12_vgpr13
	s_cbranch_scc1 .LBB189_68
; %bb.59:                               ;   in Loop: Header=BB189_31 Depth=1
	s_and_b64 vcc, exec, s[4:5]
	s_cbranch_vccnz .LBB189_82
.LBB189_60:                             ;   in Loop: Header=BB189_31 Depth=1
	s_lshl_b32 s4, s89, 6
	s_and_saveexec_b64 s[2:3], s[72:73]
	s_cbranch_execz .LBB189_62
.LBB189_61:                             ;   in Loop: Header=BB189_31 Depth=1
	v_lshl_add_u32 v2, s4, 3, v51
	ds_write_b128 v2, v[8:11]
	ds_write_b128 v2, v[12:15] offset:16
.LBB189_62:                             ;   in Loop: Header=BB189_31 Depth=1
	s_or_b64 exec, exec, s[2:3]
	s_waitcnt lgkmcnt(0)
	s_barrier
	s_mov_b64 s[2:3], exec
	v_readlane_b32 s6, v59, 16
	v_readlane_b32 s7, v59, 17
	s_and_b64 s[6:7], s[2:3], s[6:7]
	s_mov_b64 exec, s[6:7]
	s_cbranch_execz .LBB189_97
; %bb.63:                               ;   in Loop: Header=BB189_31 Depth=1
	v_readlane_b32 s6, v59, 24
	v_mov_b32_e32 v4, 0
	v_readlane_b32 s7, v59, 25
	v_mov_b32_e32 v5, 0
	s_andn2_b64 vcc, exec, s[6:7]
	s_cbranch_vccnz .LBB189_96
; %bb.64:                               ;   in Loop: Header=BB189_31 Depth=1
	v_readlane_b32 s6, v59, 33
	v_readlane_b32 s7, v59, 34
	s_andn2_b64 vcc, exec, s[6:7]
	s_cbranch_vccnz .LBB189_92
; %bb.65:                               ;   in Loop: Header=BB189_31 Depth=1
	v_mov_b32_e32 v4, 0
	v_lshl_add_u32 v2, s89, 9, v53
	v_mov_b32_e32 v5, 0
	s_mov_b32 s5, 0
.LBB189_66:                             ;   Parent Loop BB189_31 Depth=1
                                        ; =>  This Inner Loop Header: Depth=2
	ds_read2_b64 v[8:11], v2 offset1:4
	s_add_i32 s5, s5, 8
	s_cmp_eq_u32 s0, s5
	s_waitcnt lgkmcnt(0)
	v_add_co_u32_e32 v4, vcc, v8, v4
	v_addc_co_u32_e32 v5, vcc, v9, v5, vcc
	v_add_co_u32_e32 v4, vcc, v10, v4
	v_addc_co_u32_e32 v5, vcc, v11, v5, vcc
	ds_read2_b64 v[8:11], v2 offset0:8 offset1:12
	s_waitcnt lgkmcnt(0)
	v_add_co_u32_e32 v4, vcc, v8, v4
	v_addc_co_u32_e32 v5, vcc, v9, v5, vcc
	v_add_co_u32_e32 v4, vcc, v10, v4
	v_addc_co_u32_e32 v5, vcc, v11, v5, vcc
	ds_read2_b64 v[8:11], v2 offset0:16 offset1:20
	;; [unrolled: 6-line block ×3, first 2 shown]
	v_add_u32_e32 v2, 0x100, v2
	s_waitcnt lgkmcnt(0)
	v_add_co_u32_e32 v4, vcc, v8, v4
	v_addc_co_u32_e32 v5, vcc, v9, v5, vcc
	v_add_co_u32_e32 v4, vcc, v10, v4
	v_addc_co_u32_e32 v5, vcc, v11, v5, vcc
	s_cbranch_scc0 .LBB189_66
; %bb.67:                               ;   in Loop: Header=BB189_31 Depth=1
	s_mov_b32 s5, s0
	s_branch .LBB189_93
.LBB189_68:                             ;   in Loop: Header=BB189_31 Depth=1
	v_readlane_b32 s4, v59, 31
	v_readlane_b32 s5, v59, 32
	s_nop 4
	global_load_ushort v2, v19, s[4:5]
	s_mov_b32 s4, s55
	s_mov_b32 s5, s25
	s_waitcnt vmcnt(0)
	v_readfirstlane_b32 s3, v2
	s_and_b32 s3, s3, 0xffff
	s_lshl_b32 s12, s3, 2
	s_cmp_lg_u64 s[4:5], 0
	s_cbranch_scc0 .LBB189_91
; %bb.69:                               ;   in Loop: Header=BB189_31 Depth=1
	v_cvt_f32_u32_e32 v2, s12
	s_sub_u32 s6, 0, s12
	s_subb_u32 s7, 0, 0
	v_mac_f32_e32 v2, 0, v55
	v_rcp_f32_e32 v2, v2
	v_mul_f32_e32 v2, 0x5f7ffffc, v2
	v_mul_f32_e32 v4, 0x2f800000, v2
	v_trunc_f32_e32 v4, v4
	v_mac_f32_e32 v2, 0xcf800000, v4
	v_cvt_u32_f32_e32 v4, v4
	v_cvt_u32_f32_e32 v2, v2
	v_readfirstlane_b32 s8, v4
	v_readfirstlane_b32 s4, v2
	s_mul_i32 s5, s6, s8
	s_mul_hi_u32 s10, s6, s4
	s_mul_i32 s9, s7, s4
	s_add_i32 s5, s10, s5
	s_mul_i32 s11, s6, s4
	s_add_i32 s5, s5, s9
	s_mul_hi_u32 s10, s4, s11
	s_mul_i32 s13, s4, s5
	s_mul_hi_u32 s9, s4, s5
	s_add_u32 s10, s10, s13
	s_addc_u32 s9, 0, s9
	s_mul_hi_u32 s14, s8, s11
	s_mul_i32 s11, s8, s11
	s_add_u32 s10, s10, s11
	s_mul_hi_u32 s13, s8, s5
	s_addc_u32 s9, s9, s14
	s_addc_u32 s10, s13, 0
	s_mul_i32 s5, s8, s5
	s_add_u32 s5, s9, s5
	s_addc_u32 s9, 0, s10
	s_add_u32 s10, s4, s5
	s_cselect_b64 s[4:5], -1, 0
	s_cmp_lg_u64 s[4:5], 0
	s_addc_u32 s8, s8, s9
	s_mul_i32 s4, s6, s8
	s_mul_hi_u32 s5, s6, s10
	s_add_i32 s4, s5, s4
	s_mul_i32 s7, s7, s10
	s_add_i32 s4, s4, s7
	s_mul_i32 s6, s6, s10
	s_mul_hi_u32 s7, s8, s6
	s_mul_i32 s9, s8, s6
	s_mul_i32 s13, s10, s4
	s_mul_hi_u32 s6, s10, s6
	s_mul_hi_u32 s11, s10, s4
	s_add_u32 s6, s6, s13
	s_addc_u32 s11, 0, s11
	s_add_u32 s6, s6, s9
	s_mul_hi_u32 s5, s8, s4
	s_addc_u32 s6, s11, s7
	s_addc_u32 s5, s5, 0
	s_mul_i32 s4, s8, s4
	s_add_u32 s4, s6, s4
	s_addc_u32 s6, 0, s5
	s_add_u32 s7, s10, s4
	s_cselect_b64 s[4:5], -1, 0
	s_cmp_lg_u64 s[4:5], 0
	s_addc_u32 s4, s8, s6
	s_mul_i32 s6, s24, s4
	s_mul_hi_u32 s8, s24, s7
	s_mul_hi_u32 s5, s24, s4
	s_add_u32 s6, s8, s6
	s_addc_u32 s5, 0, s5
	s_mul_hi_u32 s9, s25, s7
	s_mul_i32 s7, s25, s7
	s_add_u32 s6, s6, s7
	s_mul_hi_u32 s8, s25, s4
	s_addc_u32 s5, s5, s9
	s_addc_u32 s6, s8, 0
	s_mul_i32 s4, s25, s4
	s_add_u32 s4, s5, s4
	s_addc_u32 s5, 0, s6
	s_mul_i32 s5, s12, s5
	s_mul_hi_u32 s6, s12, s4
	s_add_i32 s6, s6, s5
	s_mul_i32 s4, s12, s4
	s_sub_u32 s7, s24, s4
	s_cselect_b64 s[4:5], -1, 0
	s_cmp_lg_u64 s[4:5], 0
	s_subb_u32 s6, s25, s6
	s_sub_u32 s8, s7, s12
	s_cselect_b64 s[4:5], -1, 0
	s_cmp_lg_u64 s[4:5], 0
	s_subb_u32 s9, s6, 0
	;; [unrolled: 4-line block ×3, first 2 shown]
	s_cmp_ge_u32 s8, s12
	s_cselect_b32 s5, -1, 0
	s_cmp_eq_u32 s9, 0
	s_cselect_b32 s5, s5, -1
	s_cmp_lg_u32 s5, 0
	s_cselect_b32 s4, s4, s9
	s_cselect_b32 s8, s10, s8
	s_cmp_ge_u32 s7, s12
	s_cselect_b32 s5, -1, 0
	s_cmp_eq_u32 s6, 0
	s_cselect_b32 s5, s5, -1
	s_cmp_lg_u32 s5, 0
	s_cselect_b32 s5, s4, s6
	s_cselect_b32 s4, s8, s7
	s_cbranch_execnz .LBB189_71
.LBB189_70:                             ;   in Loop: Header=BB189_31 Depth=1
	v_cvt_f32_u32_e32 v2, s12
	s_sub_i32 s4, 0, s12
	v_rcp_iflag_f32_e32 v2, v2
	v_mul_f32_e32 v2, 0x4f7ffffe, v2
	v_cvt_u32_f32_e32 v2, v2
	v_readfirstlane_b32 s5, v2
	s_mul_i32 s4, s4, s5
	s_mul_hi_u32 s4, s5, s4
	s_add_i32 s5, s5, s4
	s_mul_hi_u32 s4, s24, s5
	s_mul_i32 s4, s4, s12
	s_sub_i32 s4, s24, s4
	s_sub_i32 s5, s4, s12
	s_cmp_ge_u32 s4, s12
	s_cselect_b32 s4, s5, s4
	s_sub_i32 s5, s4, s12
	s_cmp_ge_u32 s4, s12
	s_cselect_b32 s54, s5, s4
	s_mov_b64 s[4:5], s[54:55]
.LBB189_71:                             ;   in Loop: Header=BB189_31 Depth=1
	s_sub_u32 s8, s24, s4
	s_subb_u32 s9, s25, s5
	v_cmp_gt_u64_e32 vcc, s[8:9], v[20:21]
	v_mov_b32_e32 v8, 0
	v_mov_b32_e32 v10, 0
	;; [unrolled: 1-line block ×8, first 2 shown]
	s_and_saveexec_b64 s[10:11], vcc
	s_cbranch_execz .LBB189_75
; %bb.72:                               ;   in Loop: Header=BB189_31 Depth=1
	v_readlane_b32 s6, v59, 40
	v_readlane_b32 s7, v59, 41
	s_mul_i32 s4, s7, s3
	s_mul_hi_u32 s5, s6, s3
	v_mov_b32_e32 v4, v28
	v_mov_b32_e32 v39, v27
	;; [unrolled: 1-line block ×5, first 2 shown]
	s_add_i32 s4, s5, s4
	s_mul_i32 s5, s6, s3
	s_mov_b64 s[20:21], 0
	v_mov_b32_e32 v5, v29
	v_mov_b32_e32 v38, v26
	;; [unrolled: 1-line block ×4, first 2 shown]
	s_mov_b64 s[36:37], 0
	s_mov_b64 s[38:39], 0
	;; [unrolled: 1-line block ×4, first 2 shown]
	v_mov_b32_e32 v44, v20
.LBB189_73:                             ;   Parent Loop BB189_31 Depth=1
                                        ; =>  This Inner Loop Header: Depth=2
	v_add_co_u32_e32 v8, vcc, s40, v4
	v_mov_b32_e32 v2, s41
	v_addc_co_u32_e32 v9, vcc, v5, v2, vcc
	global_load_dwordx2 v[8:9], v[8:9], off
	v_add_co_u32_e32 v10, vcc, s40, v38
	v_addc_co_u32_e32 v11, vcc, v39, v2, vcc
	global_load_dwordx2 v[10:11], v[10:11], off
	v_add_co_u32_e32 v12, vcc, s40, v40
	;; [unrolled: 3-line block ×3, first 2 shown]
	v_addc_co_u32_e32 v15, vcc, v43, v2, vcc
	global_load_dwordx2 v[14:15], v[14:15], off
	s_waitcnt vmcnt(3)
	v_cmp_o_f64_e32 vcc, v[8:9], v[8:9]
	v_ashrrev_i32_e32 v2, 31, v9
	v_or_b32_e32 v18, 0x80000000, v2
	v_xor_b32_e32 v9, v18, v9
	v_xor_b32_e32 v2, v2, v8
	v_cndmask_b32_e32 v9, -1, v9, vcc
	v_cndmask_b32_e32 v8, -1, v2, vcc
	s_waitcnt vmcnt(2)
	v_cmp_o_f64_e32 vcc, v[10:11], v[10:11]
	v_ashrrev_i32_e32 v2, 31, v11
	v_or_b32_e32 v18, 0x80000000, v2
	v_xor_b32_e32 v11, v18, v11
	v_xor_b32_e32 v2, v2, v10
	v_cndmask_b32_e32 v57, -1, v11, vcc
	v_cndmask_b32_e32 v56, -1, v2, vcc
	;; [unrolled: 8-line block ×3, first 2 shown]
	s_waitcnt vmcnt(0)
	v_cmp_o_f64_e32 vcc, v[14:15], v[14:15]
	v_ashrrev_i32_e32 v2, 31, v15
	v_or_b32_e32 v10, 0x80000000, v2
	v_xor_b32_e32 v10, v10, v15
	v_xor_b32_e32 v2, v2, v14
	v_and_b32_e32 v15, v9, v35
	v_and_b32_e32 v14, v8, v34
	v_lshrrev_b64 v[8:9], s88, v[8:9]
	v_cndmask_b32_e32 v11, -1, v10, vcc
	v_and_b32_e32 v18, 3, v8
	v_lshrrev_b64 v[8:9], s88, v[56:57]
	v_cndmask_b32_e32 v10, -1, v2, vcc
	v_cmp_eq_u64_e32 vcc, v[14:15], v[30:31]
	v_and_b32_e32 v15, v57, v35
	v_and_b32_e32 v14, v56, v34
	v_cmp_eq_u64_e64 s[6:7], 0, v[18:19]
	v_cmp_eq_u64_e64 s[14:15], v[14:15], v[30:31]
	v_and_b32_e32 v15, v13, v35
	v_and_b32_e32 v14, v12, v34
	;; [unrolled: 1-line block ×3, first 2 shown]
	v_mov_b32_e32 v9, v19
	v_lshrrev_b64 v[12:13], s88, v[12:13]
	s_and_b64 s[52:53], vcc, s[6:7]
	v_cmp_eq_u64_e64 s[6:7], 0, v[8:9]
	v_cmp_eq_u64_e64 s[16:17], v[14:15], v[30:31]
	v_and_b32_e32 v15, v11, v35
	v_and_b32_e32 v14, v10, v34
	;; [unrolled: 1-line block ×3, first 2 shown]
	v_mov_b32_e32 v13, v19
	v_lshrrev_b64 v[10:11], s88, v[10:11]
	s_and_b64 s[56:57], s[14:15], s[6:7]
	v_cmp_eq_u64_e64 s[6:7], 0, v[12:13]
	v_and_b32_e32 v10, 3, v10
	v_mov_b32_e32 v11, v19
	v_cmp_eq_u64_e64 s[18:19], v[14:15], v[30:31]
	s_and_b64 s[58:59], s[16:17], s[6:7]
	v_cmp_eq_u64_e64 s[6:7], 0, v[10:11]
	v_cndmask_b32_e64 v2, 0, 1, s[52:53]
	s_and_b64 s[60:61], s[18:19], s[6:7]
	v_cmp_ne_u32_e64 s[6:7], 0, v2
	v_cndmask_b32_e64 v2, 0, 1, s[56:57]
	s_bcnt1_i32_b64 s13, s[6:7]
	v_cmp_ne_u32_e64 s[6:7], 0, v2
	v_cndmask_b32_e64 v2, 0, 1, s[58:59]
	s_bcnt1_i32_b64 s52, s[6:7]
	;; [unrolled: 3-line block ×3, first 2 shown]
	v_cmp_ne_u32_e64 s[6:7], 0, v2
	s_bcnt1_i32_b64 s6, s[6:7]
	s_add_u32 s7, s13, s50
	s_addc_u32 s13, 0, s51
	s_add_u32 s7, s7, s52
	s_addc_u32 s13, s13, 0
	;; [unrolled: 2-line block ×3, first 2 shown]
	s_add_u32 s50, s7, s6
	v_cmp_eq_u64_e64 s[6:7], 1, v[18:19]
	s_addc_u32 s51, s13, 0
	s_and_b64 s[52:53], vcc, s[6:7]
	v_cmp_eq_u64_e64 s[6:7], 1, v[8:9]
	v_cndmask_b32_e64 v2, 0, 1, s[52:53]
	s_and_b64 s[56:57], s[14:15], s[6:7]
	v_cmp_eq_u64_e64 s[6:7], 1, v[12:13]
	s_and_b64 s[58:59], s[16:17], s[6:7]
	v_cmp_eq_u64_e64 s[6:7], 1, v[10:11]
	s_and_b64 s[60:61], s[18:19], s[6:7]
	v_cmp_ne_u32_e64 s[6:7], 0, v2
	v_cndmask_b32_e64 v2, 0, 1, s[56:57]
	s_bcnt1_i32_b64 s13, s[6:7]
	v_cmp_ne_u32_e64 s[6:7], 0, v2
	v_cndmask_b32_e64 v2, 0, 1, s[58:59]
	s_bcnt1_i32_b64 s52, s[6:7]
	;; [unrolled: 3-line block ×3, first 2 shown]
	v_cmp_ne_u32_e64 s[6:7], 0, v2
	s_bcnt1_i32_b64 s6, s[6:7]
	s_add_u32 s7, s13, s44
	s_addc_u32 s13, 0, s45
	s_add_u32 s7, s7, s52
	s_addc_u32 s13, s13, 0
	;; [unrolled: 2-line block ×3, first 2 shown]
	s_add_u32 s44, s7, s6
	v_cmp_eq_u64_e64 s[6:7], 2, v[18:19]
	s_addc_u32 s45, s13, 0
	s_and_b64 s[52:53], vcc, s[6:7]
	v_cmp_eq_u64_e64 s[6:7], 2, v[8:9]
	v_cndmask_b32_e64 v2, 0, 1, s[52:53]
	s_and_b64 s[56:57], s[14:15], s[6:7]
	v_cmp_eq_u64_e64 s[6:7], 2, v[12:13]
	s_and_b64 s[58:59], s[16:17], s[6:7]
	v_cmp_eq_u64_e64 s[6:7], 2, v[10:11]
	s_and_b64 s[60:61], s[18:19], s[6:7]
	v_cmp_ne_u32_e64 s[6:7], 0, v2
	v_cndmask_b32_e64 v2, 0, 1, s[56:57]
	s_bcnt1_i32_b64 s13, s[6:7]
	v_cmp_ne_u32_e64 s[6:7], 0, v2
	v_cndmask_b32_e64 v2, 0, 1, s[58:59]
	s_bcnt1_i32_b64 s52, s[6:7]
	;; [unrolled: 3-line block ×3, first 2 shown]
	v_cmp_ne_u32_e64 s[6:7], 0, v2
	s_bcnt1_i32_b64 s6, s[6:7]
	s_add_u32 s7, s13, s38
	s_addc_u32 s13, 0, s39
	s_add_u32 s7, s7, s52
	s_addc_u32 s13, s13, 0
	;; [unrolled: 2-line block ×3, first 2 shown]
	s_add_u32 s38, s7, s6
	v_cmp_eq_u64_e64 s[6:7], 3, v[18:19]
	s_addc_u32 s39, s13, 0
	s_and_b64 s[6:7], vcc, s[6:7]
	v_cmp_eq_u64_e32 vcc, 3, v[8:9]
	v_cndmask_b32_e64 v2, 0, 1, s[6:7]
	s_and_b64 s[14:15], s[14:15], vcc
	v_cmp_eq_u64_e32 vcc, 3, v[12:13]
	v_mov_b32_e32 v8, s50
	s_and_b64 s[16:17], s[16:17], vcc
	v_cmp_eq_u64_e32 vcc, 3, v[10:11]
	v_mov_b32_e32 v10, s44
	s_and_b64 s[18:19], s[18:19], vcc
	v_cmp_ne_u32_e32 vcc, 0, v2
	v_cndmask_b32_e64 v2, 0, 1, s[14:15]
	s_bcnt1_i32_b64 s6, vcc
	v_cmp_ne_u32_e32 vcc, 0, v2
	v_cndmask_b32_e64 v2, 0, 1, s[16:17]
	s_bcnt1_i32_b64 s7, vcc
	;; [unrolled: 3-line block ×3, first 2 shown]
	v_cmp_ne_u32_e32 vcc, 0, v2
	s_bcnt1_i32_b64 s14, vcc
	v_add_co_u32_e32 v44, vcc, s12, v44
	v_addc_co_u32_e32 v45, vcc, 0, v45, vcc
	v_add_co_u32_e32 v42, vcc, s5, v42
	v_mov_b32_e32 v2, s4
	v_addc_co_u32_e32 v43, vcc, v43, v2, vcc
	s_add_u32 s6, s6, s36
	v_add_co_u32_e32 v40, vcc, s5, v40
	s_addc_u32 s15, 0, s37
	v_addc_co_u32_e32 v41, vcc, v41, v2, vcc
	s_add_u32 s6, s6, s7
	v_add_co_u32_e32 v38, vcc, s5, v38
	s_addc_u32 s7, s15, 0
	v_addc_co_u32_e32 v39, vcc, v39, v2, vcc
	s_add_u32 s6, s6, s13
	v_add_co_u32_e32 v4, vcc, s5, v4
	s_addc_u32 s7, s7, 0
	v_addc_co_u32_e32 v5, vcc, v5, v2, vcc
	s_add_u32 s36, s6, s14
	v_cmp_le_u64_e32 vcc, s[8:9], v[44:45]
	s_addc_u32 s37, s7, 0
	v_mov_b32_e32 v12, s38
	v_mov_b32_e32 v14, s36
	s_or_b64 s[20:21], vcc, s[20:21]
	v_mov_b32_e32 v9, s51
	v_mov_b32_e32 v11, s45
	;; [unrolled: 1-line block ×4, first 2 shown]
	s_andn2_b64 exec, exec, s[20:21]
	s_cbranch_execnz .LBB189_73
; %bb.74:                               ;   in Loop: Header=BB189_31 Depth=1
	s_or_b64 exec, exec, s[20:21]
.LBB189_75:                             ;   in Loop: Header=BB189_31 Depth=1
	s_or_b64 exec, exec, s[10:11]
	v_mov_b32_e32 v2, s9
	v_add_co_u32_e32 v4, vcc, s8, v0
	v_addc_co_u32_e32 v5, vcc, 0, v2, vcc
	v_cmp_gt_u64_e32 vcc, s[24:25], v[4:5]
	s_and_saveexec_b64 s[4:5], vcc
	s_cbranch_execz .LBB189_81
; %bb.76:                               ;   in Loop: Header=BB189_31 Depth=1
	v_mul_lo_u32 v2, v5, s22
	v_mul_lo_u32 v18, v4, s23
	v_mad_u64_u32 v[38:39], s[6:7], v4, s22, 0
	s_mov_b64 s[8:9], 0
	v_add3_u32 v39, v39, v18, v2
	v_lshlrev_b64 v[38:39], 3, v[38:39]
	v_mov_b32_e32 v2, s63
	v_add_co_u32_e32 v38, vcc, s62, v38
	v_addc_co_u32_e32 v39, vcc, v2, v39, vcc
	global_load_dwordx2 v[40:41], v[38:39], off
	s_branch .LBB189_78
.LBB189_77:                             ;   in Loop: Header=BB189_78 Depth=2
	s_or_b64 exec, exec, s[10:11]
	s_and_b64 s[6:7], exec, vcc
	s_waitcnt vmcnt(0)
	v_cmp_o_f64_e32 vcc, v[40:41], v[40:41]
	v_ashrrev_i32_e32 v2, 31, v41
	v_or_b32_e32 v18, 0x80000000, v2
	v_xor_b32_e32 v18, v18, v41
	v_xor_b32_e32 v2, v2, v40
	s_or_b64 s[8:9], s[6:7], s[8:9]
	v_cndmask_b32_e32 v41, -1, v18, vcc
	v_cndmask_b32_e32 v40, -1, v2, vcc
	v_and_b32_e32 v43, v41, v35
	v_and_b32_e32 v42, v40, v34
	v_lshrrev_b64 v[40:41], s88, v[40:41]
	v_cmp_eq_u64_e32 vcc, v[42:43], v[30:31]
	v_and_b32_e32 v18, 3, v40
	v_cmp_eq_u64_e64 s[6:7], 0, v[18:19]
	v_mov_b32_e32 v41, v39
	s_and_b64 s[6:7], vcc, s[6:7]
	v_cndmask_b32_e64 v2, 0, 1, s[6:7]
	v_cmp_ne_u32_e64 s[6:7], 0, v2
	s_bcnt1_i32_b64 s6, s[6:7]
	v_add_co_u32_e64 v8, s[6:7], s6, v8
	v_addc_co_u32_e64 v9, s[6:7], 0, v9, s[6:7]
	v_cmp_eq_u64_e64 s[6:7], 1, v[18:19]
	v_mov_b32_e32 v40, v38
	s_and_b64 s[6:7], vcc, s[6:7]
	v_cndmask_b32_e64 v2, 0, 1, s[6:7]
	v_cmp_ne_u32_e64 s[6:7], 0, v2
	s_bcnt1_i32_b64 s6, s[6:7]
	v_add_co_u32_e64 v10, s[6:7], s6, v10
	v_addc_co_u32_e64 v11, s[6:7], 0, v11, s[6:7]
	v_cmp_eq_u64_e64 s[6:7], 2, v[18:19]
	s_and_b64 s[6:7], vcc, s[6:7]
	v_cndmask_b32_e64 v2, 0, 1, s[6:7]
	v_cmp_ne_u32_e64 s[6:7], 0, v2
	s_bcnt1_i32_b64 s6, s[6:7]
	v_add_co_u32_e64 v12, s[6:7], s6, v12
	v_addc_co_u32_e64 v13, s[6:7], 0, v13, s[6:7]
	v_cmp_eq_u64_e64 s[6:7], 3, v[18:19]
	s_and_b64 s[6:7], vcc, s[6:7]
	v_cndmask_b32_e64 v2, 0, 1, s[6:7]
	v_cmp_ne_u32_e32 vcc, 0, v2
	s_bcnt1_i32_b64 s6, vcc
	v_add_co_u32_e32 v14, vcc, s6, v14
	v_addc_co_u32_e32 v15, vcc, 0, v15, vcc
	s_andn2_b64 exec, exec, s[8:9]
	s_cbranch_execz .LBB189_80
.LBB189_78:                             ;   Parent Loop BB189_31 Depth=1
                                        ; =>  This Inner Loop Header: Depth=2
	v_add_co_u32_e32 v4, vcc, s3, v4
	v_addc_co_u32_e32 v5, vcc, 0, v5, vcc
	v_cmp_gt_u64_e64 s[6:7], s[24:25], v[4:5]
	v_cmp_le_u64_e32 vcc, s[24:25], v[4:5]
	v_mov_b32_e32 v38, 0
	v_mov_b32_e32 v39, 0
	s_and_saveexec_b64 s[10:11], s[6:7]
	s_cbranch_execz .LBB189_77
; %bb.79:                               ;   in Loop: Header=BB189_78 Depth=2
	v_mul_lo_u32 v2, v5, s22
	v_mul_lo_u32 v18, v4, s23
	v_mad_u64_u32 v[38:39], s[6:7], v4, s22, 0
	v_add3_u32 v39, v39, v18, v2
	v_lshlrev_b64 v[38:39], 3, v[38:39]
	v_mov_b32_e32 v2, s63
	v_add_co_u32_e64 v38, s[6:7], s62, v38
	v_addc_co_u32_e64 v39, s[6:7], v2, v39, s[6:7]
	global_load_dwordx2 v[38:39], v[38:39], off
	s_branch .LBB189_77
.LBB189_80:                             ;   in Loop: Header=BB189_31 Depth=1
	s_or_b64 exec, exec, s[8:9]
.LBB189_81:                             ;   in Loop: Header=BB189_31 Depth=1
	s_or_b64 exec, exec, s[4:5]
	s_branch .LBB189_60
.LBB189_82:                             ;   in Loop: Header=BB189_31 Depth=1
	v_readlane_b32 s4, v59, 31
	v_readlane_b32 s5, v59, 32
	v_mov_b32_e32 v8, 0
	v_mov_b32_e32 v10, 0
	;; [unrolled: 1-line block ×5, first 2 shown]
	global_load_ushort v2, v19, s[4:5]
	v_mov_b32_e32 v11, 0
	v_mov_b32_e32 v13, 0
	;; [unrolled: 1-line block ×3, first 2 shown]
	s_waitcnt vmcnt(0)
	v_readfirstlane_b32 s3, v2
	s_and_b32 s4, 0xffff, s3
	s_lshl_b32 s3, s4, 2
	v_cvt_f32_u32_e32 v4, s3
	s_sub_i32 s5, 0, s3
	v_rcp_iflag_f32_e32 v4, v4
	v_mul_f32_e32 v4, 0x4f7ffffe, v4
	v_cvt_u32_f32_e32 v4, v4
	v_readfirstlane_b32 s6, v4
	s_mul_i32 s5, s5, s6
	s_mul_hi_u32 s5, s6, s5
	s_add_i32 s6, s6, s5
	s_mul_hi_u32 s5, s2, s6
	s_mul_i32 s6, s5, s3
	s_sub_i32 s6, s2, s6
	s_add_i32 s7, s5, 1
	s_sub_i32 s8, s6, s3
	s_cmp_ge_u32 s6, s3
	s_cselect_b32 s5, s7, s5
	s_cselect_b32 s6, s8, s6
	s_add_i32 s7, s5, 1
	s_cmp_ge_u32 s6, s3
	s_cselect_b32 s5, s7, s5
	s_mul_hi_u32 s9, s4, s5
	s_mul_i32 s8, s4, s5
	s_lshl_b64 s[10:11], s[8:9], 2
	v_cmp_gt_u64_e32 vcc, s[10:11], v[20:21]
	s_and_saveexec_b64 s[20:21], vcc
	s_cbranch_execz .LBB189_86
; %bb.83:                               ;   in Loop: Header=BB189_31 Depth=1
	v_mov_b32_e32 v4, v20
	s_lshl_b32 s5, s4, 5
	s_mov_b64 s[36:37], 0
	v_mov_b32_e32 v38, v52
	s_mov_b64 s[38:39], 0
	s_mov_b64 s[44:45], 0
	;; [unrolled: 1-line block ×4, first 2 shown]
	v_mov_b32_e32 v5, v21
.LBB189_84:                             ;   Parent Loop BB189_31 Depth=1
                                        ; =>  This Inner Loop Header: Depth=2
	ds_read_b128 v[8:11], v38
	ds_read_b128 v[12:15], v38 offset:16
	v_add_u32_e32 v38, s5, v38
	s_waitcnt lgkmcnt(1)
	v_cmp_o_f64_e32 vcc, v[8:9], v[8:9]
	v_ashrrev_i32_e32 v18, 31, v9
	v_or_b32_e32 v39, 0x80000000, v18
	v_xor_b32_e32 v9, v39, v9
	v_xor_b32_e32 v8, v18, v8
	v_ashrrev_i32_e32 v18, 31, v11
	v_or_b32_e32 v39, 0x80000000, v18
	v_cndmask_b32_e32 v9, -1, v9, vcc
	v_cndmask_b32_e32 v8, -1, v8, vcc
	v_cmp_o_f64_e32 vcc, v[10:11], v[10:11]
	v_xor_b32_e32 v11, v39, v11
	v_xor_b32_e32 v10, v18, v10
	v_cndmask_b32_e32 v40, -1, v11, vcc
	v_cndmask_b32_e32 v39, -1, v10, vcc
	s_waitcnt lgkmcnt(0)
	v_cmp_o_f64_e32 vcc, v[12:13], v[12:13]
	v_ashrrev_i32_e32 v10, 31, v13
	v_or_b32_e32 v11, 0x80000000, v10
	v_xor_b32_e32 v11, v11, v13
	v_xor_b32_e32 v10, v10, v12
	v_cndmask_b32_e32 v13, -1, v11, vcc
	v_cndmask_b32_e32 v12, -1, v10, vcc
	v_cmp_o_f64_e32 vcc, v[14:15], v[14:15]
	v_ashrrev_i32_e32 v10, 31, v15
	v_or_b32_e32 v11, 0x80000000, v10
	v_xor_b32_e32 v11, v11, v15
	v_xor_b32_e32 v10, v10, v14
	v_and_b32_e32 v15, v9, v35
	v_and_b32_e32 v14, v8, v34
	v_lshrrev_b64 v[8:9], s88, v[8:9]
	v_cndmask_b32_e32 v11, -1, v11, vcc
	v_and_b32_e32 v18, 3, v8
	v_lshrrev_b64 v[8:9], s88, v[39:40]
	v_cndmask_b32_e32 v10, -1, v10, vcc
	v_cmp_eq_u64_e32 vcc, v[14:15], v[30:31]
	v_and_b32_e32 v15, v40, v35
	v_and_b32_e32 v14, v39, v34
	v_cmp_eq_u64_e64 s[6:7], 0, v[18:19]
	v_cmp_eq_u64_e64 s[14:15], v[14:15], v[30:31]
	v_and_b32_e32 v15, v13, v35
	v_and_b32_e32 v14, v12, v34
	;; [unrolled: 1-line block ×3, first 2 shown]
	v_mov_b32_e32 v9, v19
	v_lshrrev_b64 v[12:13], s88, v[12:13]
	s_and_b64 s[12:13], vcc, s[6:7]
	v_cmp_eq_u64_e64 s[6:7], 0, v[8:9]
	v_cmp_eq_u64_e64 s[16:17], v[14:15], v[30:31]
	v_and_b32_e32 v15, v11, v35
	v_and_b32_e32 v14, v10, v34
	v_and_b32_e32 v12, 3, v12
	v_mov_b32_e32 v13, v19
	v_lshrrev_b64 v[10:11], s88, v[10:11]
	s_and_b64 s[56:57], s[14:15], s[6:7]
	v_cmp_eq_u64_e64 s[6:7], 0, v[12:13]
	v_and_b32_e32 v10, 3, v10
	v_mov_b32_e32 v11, v19
	v_cmp_eq_u64_e64 s[18:19], v[14:15], v[30:31]
	s_and_b64 s[58:59], s[16:17], s[6:7]
	v_cmp_eq_u64_e64 s[6:7], 0, v[10:11]
	v_cndmask_b32_e64 v14, 0, 1, s[12:13]
	s_and_b64 s[60:61], s[18:19], s[6:7]
	v_cmp_ne_u32_e64 s[6:7], 0, v14
	v_cndmask_b32_e64 v14, 0, 1, s[56:57]
	s_bcnt1_i32_b64 s9, s[6:7]
	v_cmp_ne_u32_e64 s[6:7], 0, v14
	v_cndmask_b32_e64 v14, 0, 1, s[58:59]
	s_bcnt1_i32_b64 s12, s[6:7]
	;; [unrolled: 3-line block ×3, first 2 shown]
	v_cmp_ne_u32_e64 s[6:7], 0, v14
	s_bcnt1_i32_b64 s6, s[6:7]
	s_add_u32 s7, s9, s52
	s_addc_u32 s9, 0, s53
	s_add_u32 s7, s7, s12
	s_addc_u32 s9, s9, 0
	;; [unrolled: 2-line block ×3, first 2 shown]
	s_add_u32 s52, s7, s6
	v_cmp_eq_u64_e64 s[6:7], 1, v[18:19]
	s_addc_u32 s53, s9, 0
	s_and_b64 s[12:13], vcc, s[6:7]
	v_cmp_eq_u64_e64 s[6:7], 1, v[8:9]
	v_cndmask_b32_e64 v14, 0, 1, s[12:13]
	s_and_b64 s[56:57], s[14:15], s[6:7]
	v_cmp_eq_u64_e64 s[6:7], 1, v[12:13]
	s_and_b64 s[58:59], s[16:17], s[6:7]
	v_cmp_eq_u64_e64 s[6:7], 1, v[10:11]
	s_and_b64 s[60:61], s[18:19], s[6:7]
	v_cmp_ne_u32_e64 s[6:7], 0, v14
	v_cndmask_b32_e64 v14, 0, 1, s[56:57]
	s_bcnt1_i32_b64 s9, s[6:7]
	v_cmp_ne_u32_e64 s[6:7], 0, v14
	v_cndmask_b32_e64 v14, 0, 1, s[58:59]
	s_bcnt1_i32_b64 s12, s[6:7]
	;; [unrolled: 3-line block ×3, first 2 shown]
	v_cmp_ne_u32_e64 s[6:7], 0, v14
	s_bcnt1_i32_b64 s6, s[6:7]
	s_add_u32 s7, s9, s50
	s_addc_u32 s9, 0, s51
	s_add_u32 s7, s7, s12
	s_addc_u32 s9, s9, 0
	;; [unrolled: 2-line block ×3, first 2 shown]
	s_add_u32 s50, s7, s6
	v_cmp_eq_u64_e64 s[6:7], 2, v[18:19]
	s_addc_u32 s51, s9, 0
	s_and_b64 s[12:13], vcc, s[6:7]
	v_cmp_eq_u64_e64 s[6:7], 2, v[8:9]
	v_cndmask_b32_e64 v14, 0, 1, s[12:13]
	s_and_b64 s[56:57], s[14:15], s[6:7]
	v_cmp_eq_u64_e64 s[6:7], 2, v[12:13]
	s_and_b64 s[58:59], s[16:17], s[6:7]
	v_cmp_eq_u64_e64 s[6:7], 2, v[10:11]
	s_and_b64 s[60:61], s[18:19], s[6:7]
	v_cmp_ne_u32_e64 s[6:7], 0, v14
	v_cndmask_b32_e64 v14, 0, 1, s[56:57]
	s_bcnt1_i32_b64 s9, s[6:7]
	v_cmp_ne_u32_e64 s[6:7], 0, v14
	v_cndmask_b32_e64 v14, 0, 1, s[58:59]
	s_bcnt1_i32_b64 s12, s[6:7]
	;; [unrolled: 3-line block ×3, first 2 shown]
	v_cmp_ne_u32_e64 s[6:7], 0, v14
	s_bcnt1_i32_b64 s6, s[6:7]
	s_add_u32 s7, s9, s44
	s_addc_u32 s9, 0, s45
	s_add_u32 s7, s7, s12
	s_addc_u32 s9, s9, 0
	;; [unrolled: 2-line block ×3, first 2 shown]
	s_add_u32 s44, s7, s6
	v_cmp_eq_u64_e64 s[6:7], 3, v[18:19]
	s_addc_u32 s45, s9, 0
	s_and_b64 s[6:7], vcc, s[6:7]
	v_cmp_eq_u64_e32 vcc, 3, v[8:9]
	v_cndmask_b32_e64 v8, 0, 1, s[6:7]
	s_and_b64 s[12:13], s[14:15], vcc
	v_cmp_eq_u64_e32 vcc, 3, v[12:13]
	v_mov_b32_e32 v12, s44
	s_and_b64 s[14:15], s[16:17], vcc
	v_cmp_eq_u64_e32 vcc, 3, v[10:11]
	v_mov_b32_e32 v10, s50
	s_and_b64 s[16:17], s[18:19], vcc
	v_cmp_ne_u32_e32 vcc, 0, v8
	v_cndmask_b32_e64 v8, 0, 1, s[12:13]
	s_bcnt1_i32_b64 s6, vcc
	v_cmp_ne_u32_e32 vcc, 0, v8
	v_cndmask_b32_e64 v8, 0, 1, s[14:15]
	s_bcnt1_i32_b64 s7, vcc
	v_cmp_ne_u32_e32 vcc, 0, v8
	v_cndmask_b32_e64 v8, 0, 1, s[16:17]
	s_bcnt1_i32_b64 s9, vcc
	v_cmp_ne_u32_e32 vcc, 0, v8
	s_bcnt1_i32_b64 s12, vcc
	s_add_u32 s6, s6, s38
	s_addc_u32 s13, 0, s39
	s_add_u32 s6, s6, s7
	s_addc_u32 s7, s13, 0
	s_add_u32 s6, s6, s9
	v_add_co_u32_e32 v4, vcc, s3, v4
	s_addc_u32 s7, s7, 0
	v_addc_co_u32_e32 v5, vcc, 0, v5, vcc
	s_add_u32 s38, s6, s12
	v_cmp_le_u64_e32 vcc, s[10:11], v[4:5]
	s_addc_u32 s39, s7, 0
	v_mov_b32_e32 v8, s52
	v_mov_b32_e32 v14, s38
	s_or_b64 s[36:37], vcc, s[36:37]
	v_mov_b32_e32 v9, s53
	v_mov_b32_e32 v11, s51
	;; [unrolled: 1-line block ×4, first 2 shown]
	s_andn2_b64 exec, exec, s[36:37]
	s_cbranch_execnz .LBB189_84
; %bb.85:                               ;   in Loop: Header=BB189_31 Depth=1
	s_or_b64 exec, exec, s[36:37]
.LBB189_86:                             ;   in Loop: Header=BB189_31 Depth=1
	s_or_b64 exec, exec, s[20:21]
	v_mov_b32_e32 v5, s11
	v_add_co_u32_e32 v4, vcc, s10, v0
	s_and_b32 s54, s2, 0x7fffffff
	v_addc_co_u32_e32 v5, vcc, 0, v5, vcc
	v_cmp_gt_u64_e32 vcc, s[54:55], v[4:5]
	s_and_saveexec_b64 s[2:3], vcc
	s_cbranch_execz .LBB189_90
; %bb.87:                               ;   in Loop: Header=BB189_31 Depth=1
	v_lshl_add_u32 v38, s8, 5, v50
	s_lshl_b32 s8, s4, 3
	s_mov_b64 s[4:5], 0
.LBB189_88:                             ;   Parent Loop BB189_31 Depth=1
                                        ; =>  This Inner Loop Header: Depth=2
	ds_read_b64 v[39:40], v38
	v_add_u32_e32 v38, s8, v38
	s_waitcnt lgkmcnt(0)
	v_cmp_o_f64_e32 vcc, v[39:40], v[39:40]
	v_ashrrev_i32_e32 v18, 31, v40
	v_or_b32_e32 v41, 0x80000000, v18
	v_xor_b32_e32 v40, v41, v40
	v_xor_b32_e32 v18, v18, v39
	v_cndmask_b32_e32 v40, -1, v40, vcc
	v_cndmask_b32_e32 v39, -1, v18, vcc
	v_and_b32_e32 v42, v40, v35
	v_and_b32_e32 v41, v39, v34
	v_lshrrev_b64 v[39:40], s88, v[39:40]
	v_cmp_eq_u64_e32 vcc, v[41:42], v[30:31]
	v_and_b32_e32 v18, 3, v39
	v_cmp_eq_u64_e64 s[6:7], 0, v[18:19]
	s_and_b64 s[6:7], vcc, s[6:7]
	v_cndmask_b32_e64 v39, 0, 1, s[6:7]
	v_cmp_ne_u32_e64 s[6:7], 0, v39
	s_bcnt1_i32_b64 s6, s[6:7]
	v_add_co_u32_e64 v8, s[6:7], s6, v8
	v_addc_co_u32_e64 v9, s[6:7], 0, v9, s[6:7]
	v_cmp_eq_u64_e64 s[6:7], 1, v[18:19]
	s_and_b64 s[6:7], vcc, s[6:7]
	v_cndmask_b32_e64 v39, 0, 1, s[6:7]
	v_cmp_ne_u32_e64 s[6:7], 0, v39
	s_bcnt1_i32_b64 s6, s[6:7]
	v_add_co_u32_e64 v10, s[6:7], s6, v10
	v_addc_co_u32_e64 v11, s[6:7], 0, v11, s[6:7]
	;; [unrolled: 7-line block ×3, first 2 shown]
	v_cmp_eq_u64_e64 s[6:7], 3, v[18:19]
	s_and_b64 s[6:7], vcc, s[6:7]
	v_cndmask_b32_e64 v18, 0, 1, s[6:7]
	v_cmp_ne_u32_e32 vcc, 0, v18
	s_bcnt1_i32_b64 s6, vcc
	v_add_co_u32_e32 v14, vcc, s6, v14
	v_addc_co_u32_e32 v15, vcc, 0, v15, vcc
	v_add_co_u32_sdwa v4, vcc, v4, v2 dst_sel:DWORD dst_unused:UNUSED_PAD src0_sel:DWORD src1_sel:WORD_0
	v_addc_co_u32_e32 v5, vcc, 0, v5, vcc
	v_cmp_le_u64_e32 vcc, s[54:55], v[4:5]
	s_or_b64 s[4:5], vcc, s[4:5]
	s_andn2_b64 exec, exec, s[4:5]
	s_cbranch_execnz .LBB189_88
; %bb.89:                               ;   in Loop: Header=BB189_31 Depth=1
	s_or_b64 exec, exec, s[4:5]
.LBB189_90:                             ;   in Loop: Header=BB189_31 Depth=1
	s_or_b64 exec, exec, s[2:3]
	s_lshl_b32 s4, s89, 6
	s_and_saveexec_b64 s[2:3], s[72:73]
	s_cbranch_execnz .LBB189_61
	s_branch .LBB189_62
.LBB189_91:                             ;   in Loop: Header=BB189_31 Depth=1
                                        ; implicit-def: $sgpr4_sgpr5
	s_branch .LBB189_70
.LBB189_92:                             ;   in Loop: Header=BB189_31 Depth=1
	v_mov_b32_e32 v4, 0
	v_mov_b32_e32 v5, 0
	s_mov_b32 s5, 0
.LBB189_93:                             ;   in Loop: Header=BB189_31 Depth=1
	v_readlane_b32 s6, v59, 36
	v_readlane_b32 s7, v59, 37
	s_andn2_b64 vcc, exec, s[6:7]
	s_cbranch_vccnz .LBB189_96
; %bb.94:                               ;   in Loop: Header=BB189_31 Depth=1
	s_lshl_b32 s6, s89, 9
	s_lshl_b32 s5, s5, 5
	s_add_i32 s6, s6, s5
	v_add_u32_e32 v2, s6, v53
	v_readlane_b32 s5, v59, 35
.LBB189_95:                             ;   Parent Loop BB189_31 Depth=1
                                        ; =>  This Inner Loop Header: Depth=2
	ds_read_b64 v[8:9], v2
	s_add_i32 s5, s5, -1
	v_add_u32_e32 v2, 32, v2
	s_cmp_lg_u32 s5, 0
	s_waitcnt lgkmcnt(0)
	v_add_co_u32_e32 v4, vcc, v8, v4
	v_addc_co_u32_e32 v5, vcc, v9, v5, vcc
	s_cbranch_scc1 .LBB189_95
.LBB189_96:                             ;   in Loop: Header=BB189_31 Depth=1
	v_add_lshl_u32 v2, s4, v49, 3
	ds_write_b64 v2, v[4:5] offset:3072
.LBB189_97:                             ;   in Loop: Header=BB189_31 Depth=1
	v_writelane_b32 v59, s64, 50
	v_writelane_b32 v59, s65, 51
	s_or_b64 exec, exec, s[2:3]
	s_lshl_b32 s2, s4, 3
	v_mov_b32_e32 v2, s2
	s_waitcnt lgkmcnt(0)
	s_barrier
	ds_read_b128 v[8:11], v2 offset:3072
	ds_read_b128 v[12:15], v2 offset:3088
	v_readlane_b32 s4, v59, 14
	s_lshl_b64 s[18:19], 3, s88
	v_cmp_eq_u64_e64 s[14:15], 1, v[36:37]
	v_readlane_b32 s5, v59, 15
	s_waitcnt lgkmcnt(1)
	v_readfirstlane_b32 s17, v9
	v_readfirstlane_b32 s16, v8
	;; [unrolled: 1-line block ×4, first 2 shown]
	s_waitcnt lgkmcnt(0)
	v_readfirstlane_b32 s3, v13
	v_readfirstlane_b32 s2, v12
	;; [unrolled: 1-line block ×4, first 2 shown]
	s_not_b64 s[50:51], s[18:19]
	s_mov_b64 s[20:21], -1
	s_mov_b64 s[52:53], 0
	s_andn2_b64 vcc, exec, s[4:5]
	s_mov_b64 s[38:39], 0
	s_mov_b64 s[36:37], 0
                                        ; implicit-def: $sgpr66_sgpr67
                                        ; implicit-def: $sgpr68_sgpr69
                                        ; implicit-def: $vgpr38_vgpr39
                                        ; implicit-def: $vgpr44
                                        ; implicit-def: $vgpr12_vgpr13
                                        ; implicit-def: $vgpr14_vgpr15
                                        ; implicit-def: $vgpr10_vgpr11
	s_cbranch_vccnz .LBB189_302
; %bb.98:                               ;   in Loop: Header=BB189_31 Depth=1
	s_cmp_eq_u64 s[16:17], 1
	s_cselect_b64 s[4:5], -1, 0
	v_mov_b32_e32 v12, v30
	v_mov_b32_e32 v14, v34
	;; [unrolled: 1-line block ×3, first 2 shown]
	s_and_b64 s[4:5], s[4:5], s[14:15]
	s_mov_b64 s[10:11], -1
	v_mov_b32_e32 v13, v31
	v_mov_b32_e32 v15, v35
	;; [unrolled: 1-line block ×3, first 2 shown]
                                        ; implicit-def: $sgpr68_sgpr69
                                        ; implicit-def: $sgpr66_sgpr67
	s_and_saveexec_b64 s[6:7], s[4:5]
	s_cbranch_execz .LBB189_135
; %bb.99:                               ;   in Loop: Header=BB189_31 Depth=1
	ds_read_b64 v[4:5], v19 offset:5120
	s_waitcnt lgkmcnt(0)
	s_barrier
	v_readfirstlane_b32 s10, v4
	v_readfirstlane_b32 s11, v5
	s_mov_b64 s[8:9], exec
	v_readlane_b32 s12, v59, 22
	v_readlane_b32 s13, v59, 23
	s_and_b64 s[12:13], s[8:9], s[12:13]
	s_mov_b64 exec, s[12:13]
; %bb.100:                              ;   in Loop: Header=BB189_31 Depth=1
	v_mov_b32_e32 v18, v19
	ds_write_b64 v54, v[18:19]
; %bb.101:                              ;   in Loop: Header=BB189_31 Depth=1
	s_or_b64 exec, exec, s[8:9]
	v_and_b32_e32 v13, s51, v31
	v_and_b32_e32 v12, s50, v30
	v_or_b32_e32 v15, s19, v35
	v_or_b32_e32 v14, s18, v34
	s_mov_b64 s[66:67], -1
	s_mov_b64 s[68:69], 0
	s_cmp_eq_u64 s[10:11], 0
	s_mov_b64 s[8:9], 0
	s_mov_b64 s[12:13], -1
	s_waitcnt lgkmcnt(0)
	s_barrier
                                        ; implicit-def: $vgpr10_vgpr11
	s_cbranch_scc1 .LBB189_119
; %bb.102:                              ;   in Loop: Header=BB189_31 Depth=1
	v_readlane_b32 s8, v59, 26
	s_add_u32 s36, s10, s8
	v_readlane_b32 s8, v59, 28
	s_addc_u32 s9, s11, s8
	s_mov_b32 s8, s55
	s_cmp_lg_u64 s[8:9], 0
	s_cbranch_scc0 .LBB189_162
; %bb.103:                              ;   in Loop: Header=BB189_31 Depth=1
	v_cvt_f32_u32_e32 v2, s33
	s_sub_u32 s8, 0, s33
	s_subb_u32 s20, 0, 0
	v_mac_f32_e32 v2, 0, v55
	v_rcp_f32_e32 v2, v2
	v_mul_f32_e32 v2, 0x5f7ffffc, v2
	v_mul_f32_e32 v4, 0x2f800000, v2
	v_trunc_f32_e32 v4, v4
	v_mac_f32_e32 v2, 0xcf800000, v4
	v_cvt_u32_f32_e32 v4, v4
	v_cvt_u32_f32_e32 v2, v2
	v_readfirstlane_b32 s21, v4
	v_readfirstlane_b32 s12, v2
	s_mul_i32 s13, s8, s21
	s_mul_hi_u32 s38, s8, s12
	s_mul_i32 s37, s20, s12
	s_add_i32 s13, s38, s13
	s_mul_i32 s39, s8, s12
	s_add_i32 s13, s13, s37
	s_mul_hi_u32 s38, s12, s39
	s_mul_i32 s54, s12, s13
	s_mul_hi_u32 s37, s12, s13
	s_add_u32 s38, s38, s54
	s_addc_u32 s37, 0, s37
	s_mul_hi_u32 s56, s21, s39
	s_mul_i32 s39, s21, s39
	s_add_u32 s38, s38, s39
	s_mul_hi_u32 s54, s21, s13
	s_addc_u32 s37, s37, s56
	s_addc_u32 s38, s54, 0
	s_mul_i32 s13, s21, s13
	s_add_u32 s13, s37, s13
	s_addc_u32 s37, 0, s38
	s_add_u32 s38, s12, s13
	s_cselect_b64 s[12:13], -1, 0
	s_cmp_lg_u64 s[12:13], 0
	s_addc_u32 s21, s21, s37
	s_mul_i32 s12, s8, s21
	s_mul_hi_u32 s13, s8, s38
	s_add_i32 s12, s13, s12
	s_mul_i32 s20, s20, s38
	s_add_i32 s12, s12, s20
	s_mul_i32 s8, s8, s38
	s_mul_hi_u32 s20, s21, s8
	s_mul_i32 s37, s21, s8
	s_mul_i32 s54, s38, s12
	s_mul_hi_u32 s8, s38, s8
	s_mul_hi_u32 s39, s38, s12
	s_add_u32 s8, s8, s54
	s_addc_u32 s39, 0, s39
	s_add_u32 s8, s8, s37
	s_mul_hi_u32 s13, s21, s12
	s_addc_u32 s8, s39, s20
	s_addc_u32 s13, s13, 0
	s_mul_i32 s12, s21, s12
	s_add_u32 s8, s8, s12
	s_addc_u32 s20, 0, s13
	s_add_u32 s8, s38, s8
	s_cselect_b64 s[12:13], -1, 0
	s_cmp_lg_u64 s[12:13], 0
	s_addc_u32 s12, s21, s20
	s_mul_i32 s20, s36, s12
	s_mul_hi_u32 s21, s36, s8
	s_mul_hi_u32 s13, s36, s12
	s_add_u32 s20, s21, s20
	s_addc_u32 s13, 0, s13
	s_mul_hi_u32 s37, s9, s8
	s_mul_i32 s8, s9, s8
	s_add_u32 s8, s20, s8
	s_mul_hi_u32 s21, s9, s12
	s_addc_u32 s8, s13, s37
	s_addc_u32 s13, s21, 0
	s_mul_i32 s12, s9, s12
	s_add_u32 s8, s8, s12
	s_addc_u32 s12, 0, s13
	s_mul_i32 s12, s33, s12
	s_mul_hi_u32 s13, s33, s8
	s_add_i32 s20, s13, s12
	s_mul_i32 s8, s33, s8
	s_sub_u32 s8, s36, s8
	s_cselect_b64 s[12:13], -1, 0
	s_cmp_lg_u64 s[12:13], 0
	s_subb_u32 s20, s9, s20
	s_sub_u32 s21, s8, s33
	s_cselect_b64 s[12:13], -1, 0
	s_cmp_lg_u64 s[12:13], 0
	s_subb_u32 s37, s20, 0
	;; [unrolled: 4-line block ×3, first 2 shown]
	s_cmp_ge_u32 s21, s33
	s_cselect_b32 s13, -1, 0
	s_cmp_eq_u32 s37, 0
	s_cselect_b32 s13, s13, -1
	s_cmp_lg_u32 s13, 0
	s_cselect_b32 s12, s12, s37
	s_cselect_b32 s21, s38, s21
	s_cmp_ge_u32 s8, s33
	s_cselect_b32 s13, -1, 0
	s_cmp_eq_u32 s20, 0
	s_cselect_b32 s13, s13, -1
	s_cmp_lg_u32 s13, 0
	s_cselect_b32 s13, s12, s20
	s_cselect_b32 s12, s21, s8
	s_cbranch_execnz .LBB189_105
.LBB189_104:                            ;   in Loop: Header=BB189_31 Depth=1
	v_cvt_f32_u32_e32 v2, s33
	s_sub_i32 s8, 0, s33
	v_rcp_iflag_f32_e32 v2, v2
	v_mul_f32_e32 v2, 0x4f7ffffe, v2
	v_cvt_u32_f32_e32 v2, v2
	v_readfirstlane_b32 s12, v2
	s_mul_i32 s8, s8, s12
	s_mul_hi_u32 s8, s12, s8
	s_add_i32 s12, s12, s8
	s_mul_hi_u32 s8, s36, s12
	s_mul_i32 s8, s8, s33
	s_sub_i32 s8, s36, s8
	s_sub_i32 s12, s8, s33
	s_cmp_ge_u32 s8, s33
	s_cselect_b32 s8, s12, s8
	s_sub_i32 s12, s8, s33
	s_cmp_ge_u32 s8, s33
	s_cselect_b32 s54, s12, s8
	s_mov_b64 s[12:13], s[54:55]
.LBB189_105:                            ;   in Loop: Header=BB189_31 Depth=1
	s_sub_u32 s36, s36, s12
	s_subb_u32 s37, s9, s13
	v_cmp_gt_u64_e32 vcc, s[36:37], v[0:1]
	s_mov_b64 s[12:13], 0
	s_mov_b64 s[8:9], 0
                                        ; implicit-def: $vgpr10_vgpr11
	s_and_saveexec_b64 s[20:21], vcc
	s_cbranch_execz .LBB189_118
; %bb.106:                              ;   in Loop: Header=BB189_31 Depth=1
	v_mov_b32_e32 v39, v1
	v_mov_b32_e32 v18, v50
	;; [unrolled: 1-line block ×3, first 2 shown]
                                        ; implicit-def: $sgpr38_sgpr39
	s_branch .LBB189_110
.LBB189_107:                            ;   in Loop: Header=BB189_110 Depth=2
	s_or_b64 exec, exec, s[56:57]
	s_waitcnt lgkmcnt(0)
	s_barrier
	ds_read_b128 v[8:11], v19 offset:3072
	s_waitcnt lgkmcnt(0)
	s_barrier
	v_cmp_neq_f64_e32 vcc, 0, v[8:9]
	s_cbranch_vccnz .LBB189_113
; %bb.108:                              ;   in Loop: Header=BB189_110 Depth=2
	v_add_co_u32_e32 v38, vcc, s33, v38
	v_addc_co_u32_e32 v39, vcc, 0, v39, vcc
	v_cmp_le_u64_e32 vcc, s[36:37], v[38:39]
	v_add_u32_e32 v18, s1, v18
	s_mov_b64 s[56:57], 0
	s_orn2_b64 s[58:59], vcc, exec
.LBB189_109:                            ;   in Loop: Header=BB189_110 Depth=2
	s_and_b64 s[58:59], exec, s[58:59]
	s_or_b64 s[8:9], s[58:59], s[8:9]
	s_andn2_b64 s[38:39], s[38:39], exec
	s_and_b64 s[56:57], s[56:57], exec
	s_or_b64 s[38:39], s[38:39], s[56:57]
	s_andn2_b64 exec, exec, s[8:9]
	s_cbranch_execz .LBB189_117
.LBB189_110:                            ;   Parent Loop BB189_31 Depth=1
                                        ; =>  This Inner Loop Header: Depth=2
	v_cmp_gt_u64_e32 vcc, s[10:11], v[38:39]
	s_and_saveexec_b64 s[56:57], vcc
	s_cbranch_execz .LBB189_107
; %bb.111:                              ;   in Loop: Header=BB189_110 Depth=2
	ds_read_b64 v[4:5], v18
	s_waitcnt lgkmcnt(0)
	v_cmp_o_f64_e32 vcc, v[4:5], v[4:5]
	v_ashrrev_i32_e32 v2, 31, v5
	v_or_b32_e32 v8, 0x80000000, v2
	v_xor_b32_e32 v8, v8, v5
	v_xor_b32_e32 v2, v2, v4
	v_cndmask_b32_e32 v8, -1, v8, vcc
	v_cndmask_b32_e32 v2, -1, v2, vcc
	v_and_b32_e32 v9, v8, v15
	v_and_b32_e32 v8, v2, v14
	v_cmp_eq_u64_e32 vcc, v[8:9], v[12:13]
	s_and_b64 exec, exec, vcc
	s_cbranch_execz .LBB189_107
; %bb.112:                              ;   in Loop: Header=BB189_110 Depth=2
	v_mov_b32_e32 v2, v19
	ds_write_b128 v19, v[2:5] offset:3072
	s_branch .LBB189_107
.LBB189_113:                            ;   in Loop: Header=BB189_110 Depth=2
	s_mov_b64 s[58:59], -1
                                        ; implicit-def: $vgpr38_vgpr39
                                        ; implicit-def: $vgpr18
	s_mov_b64 s[56:57], -1
	s_branch .LBB189_109
.LBB189_114:                            ;   in Loop: Header=BB189_31 Depth=1
	s_or_b64 exec, exec, s[4:5]
	s_waitcnt lgkmcnt(0)
	s_barrier
	s_mov_b64 s[4:5], exec
	v_readlane_b32 s6, v59, 8
	v_readlane_b32 s7, v59, 9
	s_and_b64 s[6:7], s[4:5], s[6:7]
	s_mov_b64 exec, s[6:7]
	s_cbranch_execz .LBB189_116
; %bb.115:                              ;   in Loop: Header=BB189_31 Depth=1
	ds_read_b32 v4, v19 offset:5144
	s_waitcnt lgkmcnt(0)
	v_ashrrev_i32_e32 v5, 31, v4
	ds_write_b64 v19, v[4:5] offset:5120
.LBB189_116:                            ;   in Loop: Header=BB189_31 Depth=1
	s_or_b64 exec, exec, s[4:5]
	s_waitcnt lgkmcnt(0)
	s_barrier
	s_mov_b64 s[4:5], -1
	s_and_b64 vcc, exec, s[2:3]
	s_cbranch_vccnz .LBB189_47
	s_branch .LBB189_56
.LBB189_117:                            ;   in Loop: Header=BB189_31 Depth=1
	s_or_b64 exec, exec, s[8:9]
	s_and_b64 s[8:9], s[38:39], exec
.LBB189_118:                            ;   in Loop: Header=BB189_31 Depth=1
	s_or_b64 exec, exec, s[20:21]
.LBB189_119:                            ;   in Loop: Header=BB189_31 Depth=1
	s_and_b64 vcc, exec, s[12:13]
	s_cbranch_vccz .LBB189_134
; %bb.120:                              ;   in Loop: Header=BB189_31 Depth=1
	v_readlane_b32 s56, v59, 29
	v_readlane_b32 s57, v59, 30
	s_mov_b32 s56, s55
	s_cmp_lg_u64 s[56:57], 0
	v_writelane_b32 v59, s56, 29
	v_writelane_b32 v59, s57, 30
	s_cbranch_scc0 .LBB189_163
; %bb.121:                              ;   in Loop: Header=BB189_31 Depth=1
	v_cvt_f32_u32_e32 v2, s33
	s_sub_u32 s12, 0, s33
	s_subb_u32 s13, 0, 0
	v_mac_f32_e32 v2, 0, v55
	v_rcp_f32_e32 v2, v2
	v_mul_f32_e32 v2, 0x5f7ffffc, v2
	v_mul_f32_e32 v4, 0x2f800000, v2
	v_trunc_f32_e32 v4, v4
	v_mac_f32_e32 v2, 0xcf800000, v4
	v_cvt_u32_f32_e32 v4, v4
	v_cvt_u32_f32_e32 v2, v2
	v_readfirstlane_b32 s20, v4
	v_readfirstlane_b32 s10, v2
	s_mul_i32 s11, s12, s20
	s_mul_hi_u32 s36, s12, s10
	s_mul_i32 s21, s13, s10
	s_add_i32 s11, s36, s11
	s_mul_i32 s37, s12, s10
	s_add_i32 s11, s11, s21
	s_mul_hi_u32 s36, s10, s37
	s_mul_i32 s38, s10, s11
	s_mul_hi_u32 s21, s10, s11
	s_add_u32 s36, s36, s38
	s_addc_u32 s21, 0, s21
	s_mul_hi_u32 s39, s20, s37
	s_mul_i32 s37, s20, s37
	s_add_u32 s36, s36, s37
	s_mul_hi_u32 s38, s20, s11
	s_addc_u32 s21, s21, s39
	s_addc_u32 s36, s38, 0
	s_mul_i32 s11, s20, s11
	s_add_u32 s11, s21, s11
	s_addc_u32 s21, 0, s36
	s_add_u32 s36, s10, s11
	s_cselect_b64 s[10:11], -1, 0
	s_cmp_lg_u64 s[10:11], 0
	s_addc_u32 s20, s20, s21
	s_mul_i32 s10, s12, s20
	s_mul_hi_u32 s11, s12, s36
	s_add_i32 s10, s11, s10
	s_mul_i32 s13, s13, s36
	s_add_i32 s10, s10, s13
	s_mul_i32 s12, s12, s36
	s_mul_hi_u32 s13, s20, s12
	s_mul_i32 s21, s20, s12
	s_mul_i32 s38, s36, s10
	s_mul_hi_u32 s12, s36, s12
	s_mul_hi_u32 s37, s36, s10
	s_add_u32 s12, s12, s38
	s_addc_u32 s37, 0, s37
	s_add_u32 s12, s12, s21
	s_mul_hi_u32 s11, s20, s10
	s_addc_u32 s12, s37, s13
	s_addc_u32 s11, s11, 0
	s_mul_i32 s10, s20, s10
	s_add_u32 s10, s12, s10
	s_addc_u32 s12, 0, s11
	s_add_u32 s13, s36, s10
	s_cselect_b64 s[10:11], -1, 0
	s_cmp_lg_u64 s[10:11], 0
	s_addc_u32 s10, s20, s12
	v_readlane_b32 s36, v59, 27
	s_mul_i32 s12, s36, s10
	s_mul_hi_u32 s20, s36, s13
	s_mul_hi_u32 s11, s36, s10
	s_add_u32 s12, s20, s12
	s_addc_u32 s11, 0, s11
	s_mul_hi_u32 s21, s57, s13
	s_mul_i32 s13, s57, s13
	s_add_u32 s12, s12, s13
	s_mul_hi_u32 s20, s57, s10
	s_addc_u32 s11, s11, s21
	s_addc_u32 s12, s20, 0
	s_mul_i32 s10, s57, s10
	s_add_u32 s10, s11, s10
	s_addc_u32 s11, 0, s12
	s_mul_i32 s11, s33, s11
	s_mul_hi_u32 s12, s33, s10
	s_add_i32 s12, s12, s11
	s_mul_i32 s10, s33, s10
	s_sub_u32 s13, s36, s10
	s_cselect_b64 s[10:11], -1, 0
	s_cmp_lg_u64 s[10:11], 0
	s_subb_u32 s12, s57, s12
	s_sub_u32 s20, s13, s33
	s_cselect_b64 s[10:11], -1, 0
	s_cmp_lg_u64 s[10:11], 0
	s_subb_u32 s21, s12, 0
	;; [unrolled: 4-line block ×3, first 2 shown]
	s_cmp_ge_u32 s20, s33
	s_cselect_b32 s11, -1, 0
	s_cmp_eq_u32 s21, 0
	s_cselect_b32 s11, s11, -1
	s_cmp_lg_u32 s11, 0
	s_cselect_b32 s10, s10, s21
	s_cselect_b32 s20, s36, s20
	s_cmp_ge_u32 s13, s33
	s_cselect_b32 s11, -1, 0
	s_cmp_eq_u32 s12, 0
	s_cselect_b32 s11, s11, -1
	s_cmp_lg_u32 s11, 0
	s_cselect_b32 s11, s10, s12
	s_cselect_b32 s10, s20, s13
	s_cbranch_execnz .LBB189_123
.LBB189_122:                            ;   in Loop: Header=BB189_31 Depth=1
	v_cvt_f32_u32_e32 v2, s33
	s_sub_i32 s10, 0, s33
	v_readlane_b32 s12, v59, 27
	v_rcp_iflag_f32_e32 v2, v2
	v_mul_f32_e32 v2, 0x4f7ffffe, v2
	v_cvt_u32_f32_e32 v2, v2
	v_readfirstlane_b32 s11, v2
	s_mul_i32 s10, s10, s11
	s_mul_hi_u32 s10, s11, s10
	s_add_i32 s11, s11, s10
	s_mul_hi_u32 s10, s12, s11
	s_mul_i32 s10, s10, s33
	s_sub_i32 s10, s12, s10
	s_sub_i32 s11, s10, s33
	s_cmp_ge_u32 s10, s33
	s_cselect_b32 s10, s11, s10
	s_sub_i32 s11, s10, s33
	s_cmp_ge_u32 s10, s33
	s_cselect_b32 s54, s11, s10
	s_mov_b64 s[10:11], s[54:55]
.LBB189_123:                            ;   in Loop: Header=BB189_31 Depth=1
	v_readlane_b32 s12, v59, 27
	v_readlane_b32 s20, v59, 29
	s_sub_u32 s12, s12, s10
	v_readlane_b32 s21, v59, 30
	s_subb_u32 s13, s21, s11
	v_cmp_gt_u64_e32 vcc, s[12:13], v[0:1]
                                        ; implicit-def: $vgpr10_vgpr11
	s_and_saveexec_b64 s[10:11], vcc
	s_cbranch_execz .LBB189_133
; %bb.124:                              ;   in Loop: Header=BB189_31 Depth=1
	v_mov_b32_e32 v39, v33
	v_mov_b32_e32 v41, v1
	s_mov_b64 s[36:37], 0
	v_mov_b32_e32 v38, v32
	v_mov_b32_e32 v40, v0
                                        ; implicit-def: $sgpr20_sgpr21
	s_branch .LBB189_128
.LBB189_125:                            ;   in Loop: Header=BB189_128 Depth=2
	s_or_b64 exec, exec, s[38:39]
	s_waitcnt lgkmcnt(0)
	s_barrier
	ds_read_b128 v[8:11], v19 offset:3072
	s_waitcnt lgkmcnt(0)
	s_barrier
	v_cmp_neq_f64_e32 vcc, 0, v[8:9]
	s_cbranch_vccnz .LBB189_131
; %bb.126:                              ;   in Loop: Header=BB189_128 Depth=2
	v_add_co_u32_e32 v40, vcc, s33, v40
	v_addc_co_u32_e32 v41, vcc, 0, v41, vcc
	v_mov_b32_e32 v2, s31
	v_add_co_u32_e32 v38, vcc, s30, v38
	v_addc_co_u32_e32 v39, vcc, v39, v2, vcc
	v_cmp_le_u64_e32 vcc, s[12:13], v[40:41]
	s_mov_b64 s[38:39], 0
	s_orn2_b64 s[56:57], vcc, exec
.LBB189_127:                            ;   in Loop: Header=BB189_128 Depth=2
	s_and_b64 s[56:57], exec, s[56:57]
	s_or_b64 s[36:37], s[56:57], s[36:37]
	s_andn2_b64 s[20:21], s[20:21], exec
	s_and_b64 s[38:39], s[38:39], exec
	s_or_b64 s[20:21], s[20:21], s[38:39]
	s_andn2_b64 exec, exec, s[36:37]
	s_cbranch_execz .LBB189_132
.LBB189_128:                            ;   Parent Loop BB189_31 Depth=1
                                        ; =>  This Inner Loop Header: Depth=2
	v_cmp_gt_u64_e32 vcc, s[24:25], v[40:41]
	s_and_saveexec_b64 s[38:39], vcc
	s_cbranch_execz .LBB189_125
; %bb.129:                              ;   in Loop: Header=BB189_128 Depth=2
	global_load_dwordx2 v[4:5], v[38:39], off
	s_waitcnt vmcnt(0)
	v_cmp_o_f64_e32 vcc, v[4:5], v[4:5]
	v_ashrrev_i32_e32 v2, 31, v5
	v_or_b32_e32 v8, 0x80000000, v2
	v_xor_b32_e32 v8, v8, v5
	v_xor_b32_e32 v2, v2, v4
	v_cndmask_b32_e32 v8, -1, v8, vcc
	v_cndmask_b32_e32 v2, -1, v2, vcc
	v_and_b32_e32 v9, v8, v15
	v_and_b32_e32 v8, v2, v14
	v_cmp_eq_u64_e32 vcc, v[8:9], v[12:13]
	s_and_b64 exec, exec, vcc
	s_cbranch_execz .LBB189_125
; %bb.130:                              ;   in Loop: Header=BB189_128 Depth=2
	v_mov_b32_e32 v2, v19
	ds_write_b128 v19, v[2:5] offset:3072
	s_branch .LBB189_125
.LBB189_131:                            ;   in Loop: Header=BB189_128 Depth=2
	s_mov_b64 s[56:57], -1
                                        ; implicit-def: $vgpr40_vgpr41
                                        ; implicit-def: $vgpr38_vgpr39
	s_mov_b64 s[38:39], -1
	s_branch .LBB189_127
.LBB189_132:                            ;   in Loop: Header=BB189_31 Depth=1
	s_or_b64 exec, exec, s[36:37]
	s_andn2_b64 s[8:9], s[8:9], exec
	s_and_b64 s[12:13], s[20:21], exec
	s_or_b64 s[8:9], s[8:9], s[12:13]
.LBB189_133:                            ;   in Loop: Header=BB189_31 Depth=1
	s_or_b64 exec, exec, s[10:11]
	s_mov_b64 s[66:67], 0
	s_mov_b64 s[68:69], -1
.LBB189_134:                            ;   in Loop: Header=BB189_31 Depth=1
	s_orn2_b64 s[10:11], s[8:9], exec
.LBB189_135:                            ;   in Loop: Header=BB189_31 Depth=1
	s_or_b64 exec, exec, s[6:7]
	s_mov_b64 s[20:21], 0
	s_mov_b64 s[38:39], 0
	;; [unrolled: 1-line block ×3, first 2 shown]
                                        ; implicit-def: $vgpr38_vgpr39
                                        ; implicit-def: $vgpr44
	s_and_saveexec_b64 s[8:9], s[10:11]
	s_cbranch_execz .LBB189_301
; %bb.136:                              ;   in Loop: Header=BB189_31 Depth=1
	v_mov_b32_e32 v38, 1
	s_xor_b64 s[10:11], s[4:5], -1
	v_mov_b32_e32 v44, 1
	v_mov_b32_e32 v39, 0
	s_mov_b64 s[6:7], 0
	s_and_saveexec_b64 s[4:5], s[10:11]
	s_cbranch_execz .LBB189_145
; %bb.137:                              ;   in Loop: Header=BB189_31 Depth=1
	v_cmp_ge_u64_e32 vcc, s[16:17], v[36:37]
	s_and_saveexec_b64 s[6:7], vcc
	s_xor_b64 s[6:7], exec, s[6:7]
	s_cbranch_execz .LBB189_142
; %bb.138:                              ;   in Loop: Header=BB189_31 Depth=1
	ds_read_b64 v[4:5], v19 offset:5120
	v_and_b32_e32 v13, s51, v13
	v_and_b32_e32 v12, s50, v12
	v_or_b32_e32 v15, s19, v15
	v_or_b32_e32 v14, s18, v14
	s_waitcnt lgkmcnt(0)
	v_cmp_ne_u64_e32 vcc, 0, v[4:5]
	s_cbranch_vccnz .LBB189_142
; %bb.139:                              ;   in Loop: Header=BB189_31 Depth=1
	s_mov_b64 s[10:11], exec
	v_readlane_b32 s12, v59, 8
	v_readlane_b32 s13, v59, 9
	s_and_b64 s[12:13], s[10:11], s[12:13]
	s_mov_b64 exec, s[12:13]
; %bb.140:                              ;   in Loop: Header=BB189_31 Depth=1
	v_mov_b32_e32 v4, s16
	v_mov_b32_e32 v5, s17
	ds_write_b64 v19, v[4:5] offset:5128
; %bb.141:                              ;   in Loop: Header=BB189_31 Depth=1
	s_or_b64 exec, exec, s[10:11]
	s_waitcnt lgkmcnt(0)
	s_barrier
.LBB189_142:                            ;   in Loop: Header=BB189_31 Depth=1
	s_or_saveexec_b64 s[6:7], s[6:7]
	v_mov_b32_e32 v39, v37
	s_mov_b64 s[10:11], 0
	v_mov_b32_e32 v44, 8
	v_mov_b32_e32 v38, v36
	s_xor_b64 exec, exec, s[6:7]
; %bb.143:                              ;   in Loop: Header=BB189_31 Depth=1
	v_subrev_co_u32_e32 v38, vcc, s16, v36
	v_mov_b32_e32 v2, s17
	v_subb_co_u32_e32 v39, vcc, v37, v2, vcc
	v_mov_b32_e32 v44, 0
	s_mov_b64 s[10:11], exec
; %bb.144:                              ;   in Loop: Header=BB189_31 Depth=1
	s_or_b64 exec, exec, s[6:7]
	s_and_b64 s[6:7], s[10:11], exec
.LBB189_145:                            ;   in Loop: Header=BB189_31 Depth=1
	s_or_b64 exec, exec, s[4:5]
	s_mov_b64 s[4:5], -1
                                        ; implicit-def: $sgpr36_sgpr37
                                        ; implicit-def: $sgpr38_sgpr39
	s_and_saveexec_b64 s[10:11], s[6:7]
	s_xor_b64 s[6:7], exec, s[10:11]
	s_cbranch_execz .LBB189_298
; %bb.146:                              ;   in Loop: Header=BB189_31 Depth=1
	s_cmp_eq_u64 s[44:45], 1
	v_cmp_eq_u64_e32 vcc, 1, v[38:39]
	s_cselect_b64 s[4:5], -1, 0
	s_and_b64 s[4:5], s[4:5], vcc
	s_mov_b64 s[12:13], -1
                                        ; implicit-def: $sgpr38_sgpr39
                                        ; implicit-def: $sgpr36_sgpr37
	s_and_saveexec_b64 s[10:11], s[4:5]
	s_cbranch_execz .LBB189_182
; %bb.147:                              ;   in Loop: Header=BB189_31 Depth=1
	ds_read_b64 v[4:5], v19 offset:5120
	s_waitcnt lgkmcnt(0)
	s_barrier
	v_readfirstlane_b32 s60, v4
	v_readfirstlane_b32 s61, v5
	s_mov_b64 s[12:13], exec
	v_readlane_b32 s36, v59, 22
	v_readlane_b32 s37, v59, 23
	s_and_b64 s[36:37], s[12:13], s[36:37]
	s_mov_b64 exec, s[36:37]
; %bb.148:                              ;   in Loop: Header=BB189_31 Depth=1
	v_mov_b32_e32 v18, v19
	ds_write_b64 v54, v[18:19]
; %bb.149:                              ;   in Loop: Header=BB189_31 Depth=1
	s_or_b64 exec, exec, s[12:13]
	s_lshl_b64 s[12:13], 1, s88
	v_and_b32_e32 v2, s51, v13
	v_and_b32_e32 v4, s50, v12
	v_or_b32_e32 v13, s13, v2
	v_or_b32_e32 v12, s12, v4
	;; [unrolled: 1-line block ×4, first 2 shown]
	s_mov_b64 s[36:37], -1
	s_mov_b64 s[38:39], 0
	s_cmp_eq_u64 s[60:61], 0
	s_mov_b64 s[12:13], 0
	s_mov_b64 s[56:57], -1
	s_waitcnt lgkmcnt(0)
	s_barrier
                                        ; implicit-def: $vgpr10_vgpr11
	s_cbranch_scc1 .LBB189_166
; %bb.150:                              ;   in Loop: Header=BB189_31 Depth=1
	v_readlane_b32 s12, v59, 26
	s_add_u32 s64, s60, s12
	v_readlane_b32 s12, v59, 28
	s_addc_u32 s13, s61, s12
	s_mov_b32 s12, s55
	s_cmp_lg_u64 s[12:13], 0
	s_cbranch_scc0 .LBB189_209
; %bb.151:                              ;   in Loop: Header=BB189_31 Depth=1
	v_cvt_f32_u32_e32 v2, s33
	s_sub_u32 s12, 0, s33
	s_subb_u32 s54, 0, 0
	v_mac_f32_e32 v2, 0, v55
	v_rcp_f32_e32 v2, v2
	v_mul_f32_e32 v2, 0x5f7ffffc, v2
	v_mul_f32_e32 v4, 0x2f800000, v2
	v_trunc_f32_e32 v4, v4
	v_mac_f32_e32 v2, 0xcf800000, v4
	v_cvt_u32_f32_e32 v4, v4
	v_cvt_u32_f32_e32 v2, v2
	v_readfirstlane_b32 s58, v4
	v_readfirstlane_b32 s56, v2
	s_mul_i32 s57, s12, s58
	s_mul_hi_u32 s65, s12, s56
	s_mul_i32 s59, s54, s56
	s_add_i32 s57, s65, s57
	s_mul_i32 s72, s12, s56
	s_add_i32 s57, s57, s59
	s_mul_hi_u32 s65, s56, s72
	s_mul_i32 s73, s56, s57
	s_mul_hi_u32 s59, s56, s57
	s_add_u32 s65, s65, s73
	s_addc_u32 s59, 0, s59
	s_mul_hi_u32 s74, s58, s72
	s_mul_i32 s72, s58, s72
	s_add_u32 s65, s65, s72
	s_mul_hi_u32 s73, s58, s57
	s_addc_u32 s59, s59, s74
	s_addc_u32 s65, s73, 0
	s_mul_i32 s57, s58, s57
	s_add_u32 s57, s59, s57
	s_addc_u32 s59, 0, s65
	s_add_u32 s65, s56, s57
	s_cselect_b64 s[56:57], -1, 0
	s_cmp_lg_u64 s[56:57], 0
	s_addc_u32 s58, s58, s59
	s_mul_i32 s56, s12, s58
	s_mul_hi_u32 s57, s12, s65
	s_add_i32 s56, s57, s56
	s_mul_i32 s54, s54, s65
	s_add_i32 s56, s56, s54
	s_mul_i32 s12, s12, s65
	s_mul_hi_u32 s57, s58, s12
	s_mul_i32 s59, s58, s12
	s_mul_i32 s73, s65, s56
	s_mul_hi_u32 s12, s65, s12
	s_mul_hi_u32 s72, s65, s56
	s_add_u32 s12, s12, s73
	s_addc_u32 s72, 0, s72
	s_add_u32 s12, s12, s59
	s_mul_hi_u32 s54, s58, s56
	s_addc_u32 s12, s72, s57
	s_addc_u32 s54, s54, 0
	s_mul_i32 s56, s58, s56
	s_add_u32 s12, s12, s56
	s_addc_u32 s54, 0, s54
	s_add_u32 s12, s65, s12
	s_cselect_b64 s[56:57], -1, 0
	s_cmp_lg_u64 s[56:57], 0
	s_addc_u32 s54, s58, s54
	s_mul_i32 s57, s64, s54
	s_mul_hi_u32 s58, s64, s12
	s_mul_hi_u32 s56, s64, s54
	s_add_u32 s57, s58, s57
	s_addc_u32 s56, 0, s56
	s_mul_hi_u32 s59, s13, s12
	s_mul_i32 s12, s13, s12
	s_add_u32 s12, s57, s12
	s_mul_hi_u32 s58, s13, s54
	s_addc_u32 s12, s56, s59
	s_addc_u32 s56, s58, 0
	s_mul_i32 s54, s13, s54
	s_add_u32 s12, s12, s54
	s_addc_u32 s54, 0, s56
	s_mul_i32 s54, s33, s54
	s_mul_hi_u32 s56, s33, s12
	s_add_i32 s54, s56, s54
	s_mul_i32 s12, s33, s12
	s_sub_u32 s12, s64, s12
	s_cselect_b64 s[56:57], -1, 0
	s_cmp_lg_u64 s[56:57], 0
	s_subb_u32 s54, s13, s54
	s_sub_u32 s58, s12, s33
	s_cselect_b64 s[56:57], -1, 0
	s_cmp_lg_u64 s[56:57], 0
	s_subb_u32 s59, s54, 0
	s_sub_u32 s65, s58, s33
	s_cselect_b64 s[56:57], -1, 0
	s_cmp_lg_u64 s[56:57], 0
	s_subb_u32 s56, s59, 0
	s_cmp_ge_u32 s58, s33
	s_cselect_b32 s57, -1, 0
	s_cmp_eq_u32 s59, 0
	s_cselect_b32 s57, s57, -1
	s_cmp_lg_u32 s57, 0
	s_cselect_b32 s56, s56, s59
	s_cselect_b32 s58, s65, s58
	s_cmp_ge_u32 s12, s33
	s_cselect_b32 s57, -1, 0
	s_cmp_eq_u32 s54, 0
	s_cselect_b32 s57, s57, -1
	s_cmp_lg_u32 s57, 0
	s_cselect_b32 s57, s56, s54
	s_cselect_b32 s56, s58, s12
	s_cbranch_execnz .LBB189_153
.LBB189_152:                            ;   in Loop: Header=BB189_31 Depth=1
	v_cvt_f32_u32_e32 v2, s33
	s_sub_i32 s12, 0, s33
	v_rcp_iflag_f32_e32 v2, v2
	v_mul_f32_e32 v2, 0x4f7ffffe, v2
	v_cvt_u32_f32_e32 v2, v2
	v_readfirstlane_b32 s54, v2
	s_mul_i32 s12, s12, s54
	s_mul_hi_u32 s12, s54, s12
	s_add_i32 s54, s54, s12
	s_mul_hi_u32 s12, s64, s54
	s_mul_i32 s12, s12, s33
	s_sub_i32 s12, s64, s12
	s_sub_i32 s54, s12, s33
	s_cmp_ge_u32 s12, s33
	s_cselect_b32 s12, s54, s12
	s_sub_i32 s54, s12, s33
	s_cmp_ge_u32 s12, s33
	s_cselect_b32 s54, s54, s12
	s_mov_b64 s[56:57], s[54:55]
.LBB189_153:                            ;   in Loop: Header=BB189_31 Depth=1
	s_sub_u32 s64, s64, s56
	s_subb_u32 s65, s13, s57
	v_cmp_gt_u64_e32 vcc, s[64:65], v[0:1]
	s_mov_b64 s[56:57], 0
	s_mov_b64 s[12:13], 0
                                        ; implicit-def: $vgpr10_vgpr11
	s_and_saveexec_b64 s[58:59], vcc
	s_cbranch_execz .LBB189_165
; %bb.154:                              ;   in Loop: Header=BB189_31 Depth=1
	v_mov_b32_e32 v41, v1
	v_mov_b32_e32 v18, v50
	;; [unrolled: 1-line block ×3, first 2 shown]
                                        ; implicit-def: $sgpr74_sgpr75
	s_branch .LBB189_158
.LBB189_155:                            ;   in Loop: Header=BB189_158 Depth=2
	s_or_b64 exec, exec, s[72:73]
	s_waitcnt lgkmcnt(0)
	s_barrier
	ds_read_b128 v[8:11], v19 offset:3072
	s_waitcnt lgkmcnt(0)
	s_barrier
	v_cmp_neq_f64_e32 vcc, 0, v[8:9]
	s_cbranch_vccnz .LBB189_161
; %bb.156:                              ;   in Loop: Header=BB189_158 Depth=2
	v_add_co_u32_e32 v40, vcc, s33, v40
	v_addc_co_u32_e32 v41, vcc, 0, v41, vcc
	v_cmp_le_u64_e32 vcc, s[64:65], v[40:41]
	v_add_u32_e32 v18, s1, v18
	s_mov_b64 s[72:73], 0
	s_orn2_b64 vcc, vcc, exec
.LBB189_157:                            ;   in Loop: Header=BB189_158 Depth=2
	s_and_b64 vcc, exec, vcc
	s_or_b64 s[12:13], vcc, s[12:13]
	s_andn2_b64 s[74:75], s[74:75], exec
	s_and_b64 s[72:73], s[72:73], exec
	s_or_b64 s[74:75], s[74:75], s[72:73]
	s_andn2_b64 exec, exec, s[12:13]
	s_cbranch_execz .LBB189_164
.LBB189_158:                            ;   Parent Loop BB189_31 Depth=1
                                        ; =>  This Inner Loop Header: Depth=2
	v_cmp_gt_u64_e32 vcc, s[60:61], v[40:41]
	s_and_saveexec_b64 s[72:73], vcc
	s_cbranch_execz .LBB189_155
; %bb.159:                              ;   in Loop: Header=BB189_158 Depth=2
	ds_read_b64 v[4:5], v18
	s_waitcnt lgkmcnt(0)
	v_cmp_o_f64_e32 vcc, v[4:5], v[4:5]
	v_ashrrev_i32_e32 v2, 31, v5
	v_or_b32_e32 v8, 0x80000000, v2
	v_xor_b32_e32 v8, v8, v5
	v_xor_b32_e32 v2, v2, v4
	v_cndmask_b32_e32 v8, -1, v8, vcc
	v_cndmask_b32_e32 v2, -1, v2, vcc
	v_and_b32_e32 v9, v8, v15
	v_and_b32_e32 v8, v2, v14
	v_cmp_eq_u64_e32 vcc, v[8:9], v[12:13]
	s_and_b64 exec, exec, vcc
	s_cbranch_execz .LBB189_155
; %bb.160:                              ;   in Loop: Header=BB189_158 Depth=2
	v_mov_b32_e32 v2, v19
	ds_write_b128 v19, v[2:5] offset:3072
	s_branch .LBB189_155
.LBB189_161:                            ;   in Loop: Header=BB189_158 Depth=2
	s_mov_b64 vcc, -1
                                        ; implicit-def: $vgpr40_vgpr41
                                        ; implicit-def: $vgpr18
	s_mov_b64 s[72:73], -1
	s_branch .LBB189_157
.LBB189_162:                            ;   in Loop: Header=BB189_31 Depth=1
                                        ; implicit-def: $sgpr12_sgpr13
	s_andn2_b64 vcc, exec, s[20:21]
	s_cbranch_vccz .LBB189_104
	s_branch .LBB189_105
.LBB189_163:                            ;   in Loop: Header=BB189_31 Depth=1
                                        ; implicit-def: $sgpr10_sgpr11
	s_branch .LBB189_122
.LBB189_164:                            ;   in Loop: Header=BB189_31 Depth=1
	s_or_b64 exec, exec, s[12:13]
	s_and_b64 s[12:13], s[74:75], exec
.LBB189_165:                            ;   in Loop: Header=BB189_31 Depth=1
	s_or_b64 exec, exec, s[58:59]
	v_readlane_b32 s72, v59, 46
	v_readlane_b32 s73, v59, 47
.LBB189_166:                            ;   in Loop: Header=BB189_31 Depth=1
	s_and_b64 vcc, exec, s[56:57]
	s_cbranch_vccz .LBB189_181
; %bb.167:                              ;   in Loop: Header=BB189_31 Depth=1
	v_readlane_b32 s60, v59, 29
	v_readlane_b32 s61, v59, 30
	s_mov_b32 s60, s55
	s_cmp_lg_u64 s[60:61], 0
	v_writelane_b32 v59, s60, 29
	v_writelane_b32 v59, s61, 30
	s_cbranch_scc0 .LBB189_210
; %bb.168:                              ;   in Loop: Header=BB189_31 Depth=1
	v_cvt_f32_u32_e32 v2, s33
	s_sub_u32 s38, 0, s33
	s_subb_u32 s39, 0, 0
	v_mac_f32_e32 v2, 0, v55
	v_rcp_f32_e32 v2, v2
	v_mul_f32_e32 v2, 0x5f7ffffc, v2
	v_mul_f32_e32 v4, 0x2f800000, v2
	v_trunc_f32_e32 v4, v4
	v_mac_f32_e32 v2, 0xcf800000, v4
	v_cvt_u32_f32_e32 v4, v4
	v_cvt_u32_f32_e32 v2, v2
	v_readfirstlane_b32 s54, v4
	v_readfirstlane_b32 s36, v2
	s_mul_i32 s37, s38, s54
	s_mul_hi_u32 s57, s38, s36
	s_mul_i32 s56, s39, s36
	s_add_i32 s37, s57, s37
	s_mul_i32 s58, s38, s36
	s_add_i32 s37, s37, s56
	s_mul_hi_u32 s57, s36, s58
	s_mul_i32 s59, s36, s37
	s_mul_hi_u32 s56, s36, s37
	s_add_u32 s57, s57, s59
	s_addc_u32 s56, 0, s56
	s_mul_hi_u32 s60, s54, s58
	s_mul_i32 s58, s54, s58
	s_add_u32 s57, s57, s58
	s_mul_hi_u32 s59, s54, s37
	s_addc_u32 s56, s56, s60
	s_addc_u32 s57, s59, 0
	s_mul_i32 s37, s54, s37
	s_add_u32 s37, s56, s37
	s_addc_u32 s56, 0, s57
	s_add_u32 s57, s36, s37
	s_cselect_b64 s[36:37], -1, 0
	s_cmp_lg_u64 s[36:37], 0
	s_addc_u32 s54, s54, s56
	s_mul_i32 s36, s38, s54
	s_mul_hi_u32 s37, s38, s57
	s_add_i32 s36, s37, s36
	s_mul_i32 s39, s39, s57
	s_add_i32 s36, s36, s39
	s_mul_i32 s38, s38, s57
	s_mul_hi_u32 s39, s54, s38
	s_mul_i32 s56, s54, s38
	s_mul_i32 s59, s57, s36
	s_mul_hi_u32 s38, s57, s38
	s_mul_hi_u32 s58, s57, s36
	s_add_u32 s38, s38, s59
	s_addc_u32 s58, 0, s58
	s_add_u32 s38, s38, s56
	s_mul_hi_u32 s37, s54, s36
	s_addc_u32 s38, s58, s39
	s_addc_u32 s37, s37, 0
	s_mul_i32 s36, s54, s36
	s_add_u32 s36, s38, s36
	s_addc_u32 s38, 0, s37
	s_add_u32 s39, s57, s36
	s_cselect_b64 s[36:37], -1, 0
	s_cmp_lg_u64 s[36:37], 0
	s_addc_u32 s36, s54, s38
	v_readlane_b32 s57, v59, 27
	s_mul_i32 s38, s57, s36
	s_mul_hi_u32 s54, s57, s39
	s_mul_hi_u32 s37, s57, s36
	s_add_u32 s38, s54, s38
	s_addc_u32 s37, 0, s37
	s_mul_hi_u32 s56, s61, s39
	s_mul_i32 s39, s61, s39
	s_add_u32 s38, s38, s39
	s_mul_hi_u32 s54, s61, s36
	s_addc_u32 s37, s37, s56
	s_addc_u32 s38, s54, 0
	s_mul_i32 s36, s61, s36
	s_add_u32 s36, s37, s36
	s_addc_u32 s37, 0, s38
	s_mul_i32 s37, s33, s37
	s_mul_hi_u32 s38, s33, s36
	s_add_i32 s38, s38, s37
	s_mul_i32 s36, s33, s36
	s_sub_u32 s39, s57, s36
	s_cselect_b64 s[36:37], -1, 0
	s_cmp_lg_u64 s[36:37], 0
	s_subb_u32 s38, s61, s38
	s_sub_u32 s54, s39, s33
	s_cselect_b64 s[36:37], -1, 0
	s_cmp_lg_u64 s[36:37], 0
	s_subb_u32 s56, s38, 0
	;; [unrolled: 4-line block ×3, first 2 shown]
	s_cmp_ge_u32 s54, s33
	s_cselect_b32 s37, -1, 0
	s_cmp_eq_u32 s56, 0
	s_cselect_b32 s37, s37, -1
	s_cmp_lg_u32 s37, 0
	s_cselect_b32 s36, s36, s56
	s_cselect_b32 s54, s57, s54
	s_cmp_ge_u32 s39, s33
	s_cselect_b32 s37, -1, 0
	s_cmp_eq_u32 s38, 0
	s_cselect_b32 s37, s37, -1
	s_cmp_lg_u32 s37, 0
	s_cselect_b32 s37, s36, s38
	s_cselect_b32 s36, s54, s39
	s_cbranch_execnz .LBB189_170
.LBB189_169:                            ;   in Loop: Header=BB189_31 Depth=1
	v_cvt_f32_u32_e32 v2, s33
	s_sub_i32 s36, 0, s33
	v_readlane_b32 s38, v59, 27
	v_rcp_iflag_f32_e32 v2, v2
	v_mul_f32_e32 v2, 0x4f7ffffe, v2
	v_cvt_u32_f32_e32 v2, v2
	v_readfirstlane_b32 s37, v2
	s_mul_i32 s36, s36, s37
	s_mul_hi_u32 s36, s37, s36
	s_add_i32 s37, s37, s36
	s_mul_hi_u32 s36, s38, s37
	s_mul_i32 s36, s36, s33
	s_sub_i32 s36, s38, s36
	s_sub_i32 s37, s36, s33
	s_cmp_ge_u32 s36, s33
	s_cselect_b32 s36, s37, s36
	s_sub_i32 s37, s36, s33
	s_cmp_ge_u32 s36, s33
	s_cselect_b32 s54, s37, s36
	s_mov_b64 s[36:37], s[54:55]
.LBB189_170:                            ;   in Loop: Header=BB189_31 Depth=1
	v_readlane_b32 s38, v59, 27
	v_readlane_b32 s56, v59, 29
	s_sub_u32 s38, s38, s36
	v_readlane_b32 s57, v59, 30
	s_subb_u32 s39, s57, s37
	v_cmp_gt_u64_e32 vcc, s[38:39], v[0:1]
                                        ; implicit-def: $vgpr10_vgpr11
	s_and_saveexec_b64 s[36:37], vcc
	s_cbranch_execz .LBB189_180
; %bb.171:                              ;   in Loop: Header=BB189_31 Depth=1
	v_mov_b32_e32 v41, v33
	v_mov_b32_e32 v43, v1
	s_mov_b64 s[56:57], 0
	v_mov_b32_e32 v40, v32
	v_mov_b32_e32 v42, v0
                                        ; implicit-def: $sgpr58_sgpr59
	s_branch .LBB189_175
.LBB189_172:                            ;   in Loop: Header=BB189_175 Depth=2
	s_or_b64 exec, exec, s[60:61]
	s_waitcnt lgkmcnt(0)
	s_barrier
	ds_read_b128 v[8:11], v19 offset:3072
	s_waitcnt lgkmcnt(0)
	s_barrier
	v_cmp_eq_f64_e32 vcc, 0, v[8:9]
	s_cbranch_vccz .LBB189_178
; %bb.173:                              ;   in Loop: Header=BB189_175 Depth=2
	v_add_co_u32_e32 v42, vcc, s33, v42
	v_addc_co_u32_e32 v43, vcc, 0, v43, vcc
	v_mov_b32_e32 v2, s31
	v_add_co_u32_e32 v40, vcc, s30, v40
	v_addc_co_u32_e32 v41, vcc, v41, v2, vcc
	v_cmp_le_u64_e32 vcc, s[38:39], v[42:43]
	s_mov_b64 s[60:61], 0
	s_orn2_b64 s[64:65], vcc, exec
.LBB189_174:                            ;   in Loop: Header=BB189_175 Depth=2
	s_and_b64 s[64:65], exec, s[64:65]
	s_or_b64 s[56:57], s[64:65], s[56:57]
	s_andn2_b64 s[58:59], s[58:59], exec
	s_and_b64 s[60:61], s[60:61], exec
	s_or_b64 s[58:59], s[58:59], s[60:61]
	s_andn2_b64 exec, exec, s[56:57]
	s_cbranch_execz .LBB189_179
.LBB189_175:                            ;   Parent Loop BB189_31 Depth=1
                                        ; =>  This Inner Loop Header: Depth=2
	v_cmp_gt_u64_e32 vcc, s[24:25], v[42:43]
	s_and_saveexec_b64 s[60:61], vcc
	s_cbranch_execz .LBB189_172
; %bb.176:                              ;   in Loop: Header=BB189_175 Depth=2
	global_load_dwordx2 v[4:5], v[40:41], off
	s_waitcnt vmcnt(0)
	v_cmp_o_f64_e32 vcc, v[4:5], v[4:5]
	v_ashrrev_i32_e32 v2, 31, v5
	v_or_b32_e32 v8, 0x80000000, v2
	v_xor_b32_e32 v8, v8, v5
	v_xor_b32_e32 v2, v2, v4
	v_cndmask_b32_e32 v8, -1, v8, vcc
	v_cndmask_b32_e32 v2, -1, v2, vcc
	v_and_b32_e32 v9, v8, v15
	v_and_b32_e32 v8, v2, v14
	v_cmp_eq_u64_e32 vcc, v[8:9], v[12:13]
	s_and_b64 exec, exec, vcc
	s_cbranch_execz .LBB189_172
; %bb.177:                              ;   in Loop: Header=BB189_175 Depth=2
	v_mov_b32_e32 v2, v19
	ds_write_b128 v19, v[2:5] offset:3072
	s_branch .LBB189_172
.LBB189_178:                            ;   in Loop: Header=BB189_175 Depth=2
	s_mov_b64 s[64:65], -1
                                        ; implicit-def: $vgpr42_vgpr43
                                        ; implicit-def: $vgpr40_vgpr41
	s_mov_b64 s[60:61], -1
	s_branch .LBB189_174
.LBB189_179:                            ;   in Loop: Header=BB189_31 Depth=1
	s_or_b64 exec, exec, s[56:57]
	s_andn2_b64 s[12:13], s[12:13], exec
	s_and_b64 s[38:39], s[58:59], exec
	s_or_b64 s[12:13], s[12:13], s[38:39]
.LBB189_180:                            ;   in Loop: Header=BB189_31 Depth=1
	s_or_b64 exec, exec, s[36:37]
	s_mov_b64 s[36:37], 0
	s_mov_b64 s[38:39], -1
.LBB189_181:                            ;   in Loop: Header=BB189_31 Depth=1
	s_orn2_b64 s[12:13], s[12:13], exec
.LBB189_182:                            ;   in Loop: Header=BB189_31 Depth=1
	s_or_b64 exec, exec, s[10:11]
	s_mov_b64 s[56:57], 0
	s_and_saveexec_b64 s[10:11], s[12:13]
	s_cbranch_execz .LBB189_297
; %bb.183:                              ;   in Loop: Header=BB189_31 Depth=1
	v_mov_b32_e32 v40, 1
	s_xor_b64 s[56:57], s[4:5], -1
	v_mov_b32_e32 v44, 1
	v_mov_b32_e32 v41, 0
	s_mov_b64 s[12:13], 0
	s_and_saveexec_b64 s[4:5], s[56:57]
	s_cbranch_execz .LBB189_192
; %bb.184:                              ;   in Loop: Header=BB189_31 Depth=1
	v_cmp_ge_u64_e32 vcc, s[44:45], v[38:39]
	s_and_saveexec_b64 s[12:13], vcc
	s_xor_b64 s[12:13], exec, s[12:13]
	s_cbranch_execz .LBB189_189
; %bb.185:                              ;   in Loop: Header=BB189_31 Depth=1
	s_lshl_b64 s[56:57], 1, s88
	v_and_b32_e32 v4, s50, v12
	v_or_b32_e32 v12, s56, v4
	ds_read_b64 v[4:5], v19 offset:5120
	v_and_b32_e32 v2, s51, v13
	v_or_b32_e32 v13, s57, v2
	v_or_b32_e32 v15, s19, v15
	;; [unrolled: 1-line block ×3, first 2 shown]
	s_waitcnt lgkmcnt(0)
	v_cmp_ne_u64_e32 vcc, 0, v[4:5]
	s_cbranch_vccnz .LBB189_189
; %bb.186:                              ;   in Loop: Header=BB189_31 Depth=1
	s_mov_b64 s[56:57], exec
	v_readlane_b32 s58, v59, 8
	v_readlane_b32 s59, v59, 9
	s_and_b64 s[58:59], s[56:57], s[58:59]
	s_mov_b64 exec, s[58:59]
; %bb.187:                              ;   in Loop: Header=BB189_31 Depth=1
	v_mov_b32_e32 v4, s44
	v_mov_b32_e32 v5, s45
	ds_write_b64 v19, v[4:5] offset:5128
; %bb.188:                              ;   in Loop: Header=BB189_31 Depth=1
	s_or_b64 exec, exec, s[56:57]
	s_waitcnt lgkmcnt(0)
	s_barrier
.LBB189_189:                            ;   in Loop: Header=BB189_31 Depth=1
	s_or_saveexec_b64 s[12:13], s[12:13]
	s_mov_b64 s[56:57], 0
	v_mov_b32_e32 v44, 8
	s_xor_b64 exec, exec, s[12:13]
; %bb.190:                              ;   in Loop: Header=BB189_31 Depth=1
	v_subrev_co_u32_e32 v38, vcc, s44, v38
	v_mov_b32_e32 v2, s45
	v_subb_co_u32_e32 v39, vcc, v39, v2, vcc
	v_mov_b32_e32 v44, 0
	s_mov_b64 s[56:57], exec
; %bb.191:                              ;   in Loop: Header=BB189_31 Depth=1
	s_or_b64 exec, exec, s[12:13]
	v_mov_b32_e32 v41, v39
	s_and_b64 s[12:13], s[56:57], exec
	v_mov_b32_e32 v40, v38
.LBB189_192:                            ;   in Loop: Header=BB189_31 Depth=1
	s_or_b64 exec, exec, s[4:5]
	s_mov_b64 s[4:5], -1
                                        ; implicit-def: $sgpr58_sgpr59
                                        ; implicit-def: $sgpr64_sgpr65
	s_and_saveexec_b64 s[60:61], s[12:13]
	s_cbranch_execz .LBB189_296
; %bb.193:                              ;   in Loop: Header=BB189_31 Depth=1
	s_cmp_eq_u64 s[2:3], 1
	v_cmp_eq_u64_e32 vcc, 1, v[40:41]
	v_writelane_b32 v59, s60, 54
	s_cselect_b64 s[4:5], -1, 0
	s_mov_b64 s[12:13], -1
	v_writelane_b32 v59, s61, 55
	s_and_b64 s[56:57], s[4:5], vcc
                                        ; implicit-def: $sgpr64_sgpr65
                                        ; implicit-def: $sgpr58_sgpr59
	s_mov_b64 s[4:5], exec
	v_writelane_b32 v59, s56, 52
	v_writelane_b32 v59, s57, 53
	s_and_b64 s[56:57], s[4:5], s[56:57]
	s_mov_b64 exec, s[56:57]
	s_cbranch_execz .LBB189_230
; %bb.194:                              ;   in Loop: Header=BB189_31 Depth=1
	ds_read_b64 v[4:5], v19 offset:5120
	s_waitcnt lgkmcnt(0)
	s_barrier
	v_readfirstlane_b32 s56, v4
	v_readfirstlane_b32 s57, v5
	s_mov_b64 s[12:13], exec
	v_readlane_b32 s58, v59, 22
	v_readlane_b32 s59, v59, 23
	s_and_b64 s[58:59], s[12:13], s[58:59]
	s_mov_b64 exec, s[58:59]
; %bb.195:                              ;   in Loop: Header=BB189_31 Depth=1
	v_mov_b32_e32 v18, v19
	ds_write_b64 v54, v[18:19]
; %bb.196:                              ;   in Loop: Header=BB189_31 Depth=1
	s_or_b64 exec, exec, s[12:13]
	s_lshl_b64 s[12:13], 2, s88
	v_and_b32_e32 v2, s51, v13
	v_and_b32_e32 v4, s50, v12
	v_or_b32_e32 v13, s13, v2
	v_or_b32_e32 v12, s12, v4
	;; [unrolled: 1-line block ×4, first 2 shown]
	s_cmp_eq_u64 s[56:57], 0
	s_mov_b64 s[74:75], 0
	s_mov_b64 s[58:59], -1
	s_waitcnt lgkmcnt(0)
	s_barrier
                                        ; implicit-def: $vgpr10_vgpr11
	s_cbranch_scc1 .LBB189_213
; %bb.197:                              ;   in Loop: Header=BB189_31 Depth=1
	v_readlane_b32 s12, v59, 26
	s_add_u32 s60, s56, s12
	v_readlane_b32 s12, v59, 28
	s_addc_u32 s75, s57, s12
	s_mov_b32 s74, s55
	s_cmp_lg_u64 s[74:75], 0
	s_cbranch_scc0 .LBB189_247
; %bb.198:                              ;   in Loop: Header=BB189_31 Depth=1
	v_cvt_f32_u32_e32 v2, s33
	s_sub_u32 s54, 0, s33
	s_subb_u32 s58, 0, 0
	v_mac_f32_e32 v2, 0, v55
	v_rcp_f32_e32 v2, v2
	v_mul_f32_e32 v2, 0x5f7ffffc, v2
	v_mul_f32_e32 v4, 0x2f800000, v2
	v_trunc_f32_e32 v4, v4
	v_mac_f32_e32 v2, 0xcf800000, v4
	v_cvt_u32_f32_e32 v4, v4
	v_cvt_u32_f32_e32 v2, v2
	v_readfirstlane_b32 s59, v4
	v_readfirstlane_b32 s12, v2
	s_mul_i32 s13, s54, s59
	s_mul_hi_u32 s64, s54, s12
	s_mul_i32 s61, s58, s12
	s_add_i32 s13, s64, s13
	s_mul_i32 s65, s54, s12
	s_add_i32 s13, s13, s61
	s_mul_hi_u32 s64, s12, s65
	s_mul_i32 s72, s12, s13
	s_mul_hi_u32 s61, s12, s13
	s_add_u32 s64, s64, s72
	s_addc_u32 s61, 0, s61
	s_mul_hi_u32 s73, s59, s65
	s_mul_i32 s65, s59, s65
	s_add_u32 s64, s64, s65
	s_mul_hi_u32 s72, s59, s13
	s_addc_u32 s61, s61, s73
	s_addc_u32 s64, s72, 0
	s_mul_i32 s13, s59, s13
	s_add_u32 s13, s61, s13
	s_addc_u32 s61, 0, s64
	s_add_u32 s64, s12, s13
	s_cselect_b64 s[12:13], -1, 0
	s_cmp_lg_u64 s[12:13], 0
	s_addc_u32 s59, s59, s61
	s_mul_i32 s12, s54, s59
	s_mul_hi_u32 s13, s54, s64
	s_add_i32 s12, s13, s12
	s_mul_i32 s58, s58, s64
	s_add_i32 s12, s12, s58
	s_mul_i32 s54, s54, s64
	s_mul_hi_u32 s58, s59, s54
	s_mul_i32 s61, s59, s54
	s_mul_i32 s72, s64, s12
	s_mul_hi_u32 s54, s64, s54
	s_mul_hi_u32 s65, s64, s12
	s_add_u32 s54, s54, s72
	s_addc_u32 s65, 0, s65
	s_add_u32 s54, s54, s61
	s_mul_hi_u32 s13, s59, s12
	s_addc_u32 s54, s65, s58
	s_addc_u32 s13, s13, 0
	s_mul_i32 s12, s59, s12
	s_add_u32 s12, s54, s12
	s_addc_u32 s54, 0, s13
	s_add_u32 s58, s64, s12
	s_cselect_b64 s[12:13], -1, 0
	s_cmp_lg_u64 s[12:13], 0
	s_addc_u32 s12, s59, s54
	s_mul_i32 s54, s60, s12
	s_mul_hi_u32 s59, s60, s58
	s_mul_hi_u32 s13, s60, s12
	s_add_u32 s54, s59, s54
	s_addc_u32 s13, 0, s13
	s_mul_hi_u32 s61, s75, s58
	s_mul_i32 s58, s75, s58
	s_add_u32 s54, s54, s58
	s_mul_hi_u32 s59, s75, s12
	s_addc_u32 s13, s13, s61
	s_addc_u32 s54, s59, 0
	s_mul_i32 s12, s75, s12
	s_add_u32 s12, s13, s12
	s_addc_u32 s13, 0, s54
	s_mul_i32 s13, s33, s13
	s_mul_hi_u32 s54, s33, s12
	s_add_i32 s54, s54, s13
	s_mul_i32 s12, s33, s12
	s_sub_u32 s58, s60, s12
	s_cselect_b64 s[12:13], -1, 0
	s_cmp_lg_u64 s[12:13], 0
	s_subb_u32 s54, s75, s54
	s_sub_u32 s59, s58, s33
	s_cselect_b64 s[12:13], -1, 0
	s_cmp_lg_u64 s[12:13], 0
	s_subb_u32 s61, s54, 0
	;; [unrolled: 4-line block ×3, first 2 shown]
	s_cmp_ge_u32 s59, s33
	s_cselect_b32 s13, -1, 0
	s_cmp_eq_u32 s61, 0
	s_cselect_b32 s13, s13, -1
	s_cmp_lg_u32 s13, 0
	s_cselect_b32 s12, s12, s61
	s_cselect_b32 s59, s64, s59
	s_cmp_ge_u32 s58, s33
	s_cselect_b32 s13, -1, 0
	s_cmp_eq_u32 s54, 0
	s_cselect_b32 s13, s13, -1
	s_cmp_lg_u32 s13, 0
	s_cselect_b32 s13, s12, s54
	s_cselect_b32 s12, s59, s58
	s_cbranch_execnz .LBB189_200
.LBB189_199:                            ;   in Loop: Header=BB189_31 Depth=1
	v_cvt_f32_u32_e32 v2, s33
	s_sub_i32 s12, 0, s33
	v_rcp_iflag_f32_e32 v2, v2
	v_mul_f32_e32 v2, 0x4f7ffffe, v2
	v_cvt_u32_f32_e32 v2, v2
	v_readfirstlane_b32 s13, v2
	s_mul_i32 s12, s12, s13
	s_mul_hi_u32 s12, s13, s12
	s_add_i32 s13, s13, s12
	s_mul_hi_u32 s12, s60, s13
	s_mul_i32 s12, s12, s33
	s_sub_i32 s12, s60, s12
	s_sub_i32 s13, s12, s33
	s_cmp_ge_u32 s12, s33
	s_cselect_b32 s12, s13, s12
	s_sub_i32 s13, s12, s33
	s_cmp_ge_u32 s12, s33
	s_cselect_b32 s54, s13, s12
	s_mov_b64 s[12:13], s[54:55]
.LBB189_200:                            ;   in Loop: Header=BB189_31 Depth=1
	s_sub_u32 s60, s60, s12
	s_subb_u32 s61, s75, s13
	v_cmp_gt_u64_e32 vcc, s[60:61], v[0:1]
	s_mov_b64 s[58:59], 0
	s_mov_b64 s[74:75], 0
                                        ; implicit-def: $vgpr10_vgpr11
	s_and_saveexec_b64 s[64:65], vcc
	s_cbranch_execz .LBB189_212
; %bb.201:                              ;   in Loop: Header=BB189_31 Depth=1
	v_mov_b32_e32 v39, v1
	v_mov_b32_e32 v18, v50
	;; [unrolled: 1-line block ×3, first 2 shown]
                                        ; implicit-def: $sgpr12_sgpr13
	s_branch .LBB189_205
.LBB189_202:                            ;   in Loop: Header=BB189_205 Depth=2
	s_or_b64 exec, exec, s[72:73]
	s_waitcnt lgkmcnt(0)
	s_barrier
	ds_read_b128 v[8:11], v19 offset:3072
	s_waitcnt lgkmcnt(0)
	s_barrier
	v_cmp_neq_f64_e32 vcc, 0, v[8:9]
	s_cbranch_vccnz .LBB189_208
; %bb.203:                              ;   in Loop: Header=BB189_205 Depth=2
	v_add_co_u32_e32 v38, vcc, s33, v38
	v_addc_co_u32_e32 v39, vcc, 0, v39, vcc
	v_cmp_le_u64_e32 vcc, s[60:61], v[38:39]
	v_add_u32_e32 v18, s1, v18
	s_mov_b64 s[72:73], 0
	s_orn2_b64 vcc, vcc, exec
.LBB189_204:                            ;   in Loop: Header=BB189_205 Depth=2
	s_and_b64 vcc, exec, vcc
	s_or_b64 s[74:75], vcc, s[74:75]
	s_andn2_b64 s[12:13], s[12:13], exec
	s_and_b64 s[72:73], s[72:73], exec
	s_or_b64 s[12:13], s[12:13], s[72:73]
	s_andn2_b64 exec, exec, s[74:75]
	s_cbranch_execz .LBB189_211
.LBB189_205:                            ;   Parent Loop BB189_31 Depth=1
                                        ; =>  This Inner Loop Header: Depth=2
	v_cmp_gt_u64_e32 vcc, s[56:57], v[38:39]
	s_and_saveexec_b64 s[72:73], vcc
	s_cbranch_execz .LBB189_202
; %bb.206:                              ;   in Loop: Header=BB189_205 Depth=2
	ds_read_b64 v[4:5], v18
	s_waitcnt lgkmcnt(0)
	v_cmp_o_f64_e32 vcc, v[4:5], v[4:5]
	v_ashrrev_i32_e32 v2, 31, v5
	v_or_b32_e32 v8, 0x80000000, v2
	v_xor_b32_e32 v8, v8, v5
	v_xor_b32_e32 v2, v2, v4
	v_cndmask_b32_e32 v8, -1, v8, vcc
	v_cndmask_b32_e32 v2, -1, v2, vcc
	v_and_b32_e32 v9, v8, v15
	v_and_b32_e32 v8, v2, v14
	v_cmp_eq_u64_e32 vcc, v[8:9], v[12:13]
	s_and_b64 exec, exec, vcc
	s_cbranch_execz .LBB189_202
; %bb.207:                              ;   in Loop: Header=BB189_205 Depth=2
	v_mov_b32_e32 v2, v19
	ds_write_b128 v19, v[2:5] offset:3072
	s_branch .LBB189_202
.LBB189_208:                            ;   in Loop: Header=BB189_205 Depth=2
	s_mov_b64 vcc, -1
                                        ; implicit-def: $vgpr38_vgpr39
                                        ; implicit-def: $vgpr18
	s_mov_b64 s[72:73], -1
	s_branch .LBB189_204
.LBB189_209:                            ;   in Loop: Header=BB189_31 Depth=1
                                        ; implicit-def: $sgpr56_sgpr57
	s_branch .LBB189_152
.LBB189_210:                            ;   in Loop: Header=BB189_31 Depth=1
                                        ; implicit-def: $sgpr36_sgpr37
	s_branch .LBB189_169
.LBB189_211:                            ;   in Loop: Header=BB189_31 Depth=1
	s_or_b64 exec, exec, s[74:75]
	s_and_b64 s[74:75], s[12:13], exec
.LBB189_212:                            ;   in Loop: Header=BB189_31 Depth=1
	s_or_b64 exec, exec, s[64:65]
	v_readlane_b32 s72, v59, 46
	v_readlane_b32 s73, v59, 47
.LBB189_213:                            ;   in Loop: Header=BB189_31 Depth=1
	s_and_b64 vcc, exec, s[58:59]
	s_cbranch_vccz .LBB189_226
; %bb.214:                              ;   in Loop: Header=BB189_31 Depth=1
	v_readlane_b32 s64, v59, 29
	v_readlane_b32 s65, v59, 30
	s_mov_b32 s64, s55
	s_cmp_lg_u64 s[64:65], 0
	v_writelane_b32 v59, s64, 29
	v_writelane_b32 v59, s65, 30
	s_cbranch_scc0 .LBB189_248
; %bb.215:                              ;   in Loop: Header=BB189_31 Depth=1
	v_cvt_f32_u32_e32 v2, s33
	s_sub_u32 s54, 0, s33
	s_subb_u32 s56, 0, 0
	v_mac_f32_e32 v2, 0, v55
	v_rcp_f32_e32 v2, v2
	v_mul_f32_e32 v2, 0x5f7ffffc, v2
	v_mul_f32_e32 v4, 0x2f800000, v2
	v_trunc_f32_e32 v4, v4
	v_mac_f32_e32 v2, 0xcf800000, v4
	v_cvt_u32_f32_e32 v4, v4
	v_cvt_u32_f32_e32 v2, v2
	v_readfirstlane_b32 s57, v4
	v_readfirstlane_b32 s12, v2
	s_mul_i32 s13, s54, s57
	s_mul_hi_u32 s59, s54, s12
	s_mul_i32 s58, s56, s12
	s_add_i32 s13, s59, s13
	s_mul_i32 s60, s54, s12
	s_add_i32 s13, s13, s58
	s_mul_hi_u32 s59, s12, s60
	s_mul_i32 s61, s12, s13
	s_mul_hi_u32 s58, s12, s13
	s_add_u32 s59, s59, s61
	s_addc_u32 s58, 0, s58
	s_mul_hi_u32 s64, s57, s60
	s_mul_i32 s60, s57, s60
	s_add_u32 s59, s59, s60
	s_mul_hi_u32 s61, s57, s13
	s_addc_u32 s58, s58, s64
	s_addc_u32 s59, s61, 0
	s_mul_i32 s13, s57, s13
	s_add_u32 s13, s58, s13
	s_addc_u32 s58, 0, s59
	s_add_u32 s59, s12, s13
	s_cselect_b64 s[12:13], -1, 0
	s_cmp_lg_u64 s[12:13], 0
	s_addc_u32 s57, s57, s58
	s_mul_i32 s12, s54, s57
	s_mul_hi_u32 s13, s54, s59
	s_add_i32 s12, s13, s12
	s_mul_i32 s56, s56, s59
	s_add_i32 s12, s12, s56
	s_mul_i32 s54, s54, s59
	s_mul_hi_u32 s56, s57, s54
	s_mul_i32 s58, s57, s54
	s_mul_i32 s61, s59, s12
	s_mul_hi_u32 s54, s59, s54
	s_mul_hi_u32 s60, s59, s12
	s_add_u32 s54, s54, s61
	s_addc_u32 s60, 0, s60
	s_add_u32 s54, s54, s58
	s_mul_hi_u32 s13, s57, s12
	s_addc_u32 s54, s60, s56
	s_addc_u32 s13, s13, 0
	s_mul_i32 s12, s57, s12
	s_add_u32 s12, s54, s12
	s_addc_u32 s54, 0, s13
	s_add_u32 s56, s59, s12
	s_cselect_b64 s[12:13], -1, 0
	s_cmp_lg_u64 s[12:13], 0
	s_addc_u32 s12, s57, s54
	v_readlane_b32 s59, v59, 27
	s_mul_i32 s54, s59, s12
	s_mul_hi_u32 s57, s59, s56
	s_mul_hi_u32 s13, s59, s12
	s_add_u32 s54, s57, s54
	s_addc_u32 s13, 0, s13
	s_mul_hi_u32 s58, s65, s56
	s_mul_i32 s56, s65, s56
	s_add_u32 s54, s54, s56
	s_mul_hi_u32 s57, s65, s12
	s_addc_u32 s13, s13, s58
	s_addc_u32 s54, s57, 0
	s_mul_i32 s12, s65, s12
	s_add_u32 s12, s13, s12
	s_addc_u32 s13, 0, s54
	s_mul_i32 s13, s33, s13
	s_mul_hi_u32 s54, s33, s12
	s_add_i32 s54, s54, s13
	s_mul_i32 s12, s33, s12
	s_sub_u32 s56, s59, s12
	s_cselect_b64 s[12:13], -1, 0
	s_cmp_lg_u64 s[12:13], 0
	s_subb_u32 s54, s65, s54
	s_sub_u32 s57, s56, s33
	s_cselect_b64 s[12:13], -1, 0
	s_cmp_lg_u64 s[12:13], 0
	s_subb_u32 s58, s54, 0
	;; [unrolled: 4-line block ×3, first 2 shown]
	s_cmp_ge_u32 s57, s33
	s_cselect_b32 s13, -1, 0
	s_cmp_eq_u32 s58, 0
	s_cselect_b32 s13, s13, -1
	s_cmp_lg_u32 s13, 0
	s_cselect_b32 s12, s12, s58
	s_cselect_b32 s57, s59, s57
	s_cmp_ge_u32 s56, s33
	s_cselect_b32 s13, -1, 0
	s_cmp_eq_u32 s54, 0
	s_cselect_b32 s13, s13, -1
	s_cmp_lg_u32 s13, 0
	s_cselect_b32 s13, s12, s54
	s_cselect_b32 s12, s57, s56
	s_cbranch_execnz .LBB189_217
.LBB189_216:                            ;   in Loop: Header=BB189_31 Depth=1
	v_cvt_f32_u32_e32 v2, s33
	s_sub_i32 s12, 0, s33
	v_readlane_b32 s54, v59, 27
	v_rcp_iflag_f32_e32 v2, v2
	v_mul_f32_e32 v2, 0x4f7ffffe, v2
	v_cvt_u32_f32_e32 v2, v2
	v_readfirstlane_b32 s13, v2
	s_mul_i32 s12, s12, s13
	s_mul_hi_u32 s12, s13, s12
	s_add_i32 s13, s13, s12
	s_mul_hi_u32 s12, s54, s13
	s_mul_i32 s12, s12, s33
	s_sub_i32 s12, s54, s12
	s_sub_i32 s13, s12, s33
	s_cmp_ge_u32 s12, s33
	s_cselect_b32 s12, s13, s12
	s_sub_i32 s13, s12, s33
	s_cmp_ge_u32 s12, s33
	s_cselect_b32 s54, s13, s12
	s_mov_b64 s[12:13], s[54:55]
.LBB189_217:                            ;   in Loop: Header=BB189_31 Depth=1
	v_readlane_b32 s54, v59, 27
	v_readlane_b32 s56, v59, 29
	s_sub_u32 s58, s54, s12
	v_readlane_b32 s57, v59, 30
	s_subb_u32 s59, s57, s13
	v_cmp_gt_u64_e32 vcc, s[58:59], v[0:1]
                                        ; implicit-def: $vgpr10_vgpr11
	s_and_saveexec_b64 s[56:57], vcc
	s_cbranch_execz .LBB189_228
; %bb.218:                              ;   in Loop: Header=BB189_31 Depth=1
	v_mov_b32_e32 v39, v33
	v_mov_b32_e32 v43, v1
	s_mov_b64 s[60:61], 0
	v_mov_b32_e32 v38, v32
	v_mov_b32_e32 v42, v0
                                        ; implicit-def: $sgpr64_sgpr65
	s_branch .LBB189_222
.LBB189_219:                            ;   in Loop: Header=BB189_222 Depth=2
	s_or_b64 exec, exec, s[12:13]
	s_waitcnt lgkmcnt(0)
	s_barrier
	ds_read_b128 v[8:11], v19 offset:3072
	s_waitcnt lgkmcnt(0)
	s_barrier
	v_cmp_eq_f64_e32 vcc, 0, v[8:9]
	s_cbranch_vccz .LBB189_225
; %bb.220:                              ;   in Loop: Header=BB189_222 Depth=2
	v_add_co_u32_e32 v42, vcc, s33, v42
	v_addc_co_u32_e32 v43, vcc, 0, v43, vcc
	v_mov_b32_e32 v2, s31
	v_add_co_u32_e32 v38, vcc, s30, v38
	v_addc_co_u32_e32 v39, vcc, v39, v2, vcc
	v_cmp_le_u64_e32 vcc, s[58:59], v[42:43]
	s_mov_b64 s[12:13], 0
	s_orn2_b64 s[72:73], vcc, exec
.LBB189_221:                            ;   in Loop: Header=BB189_222 Depth=2
	s_and_b64 s[72:73], exec, s[72:73]
	s_or_b64 s[60:61], s[72:73], s[60:61]
	s_andn2_b64 s[64:65], s[64:65], exec
	s_and_b64 s[12:13], s[12:13], exec
	s_or_b64 s[64:65], s[64:65], s[12:13]
	s_andn2_b64 exec, exec, s[60:61]
	s_cbranch_execz .LBB189_227
.LBB189_222:                            ;   Parent Loop BB189_31 Depth=1
                                        ; =>  This Inner Loop Header: Depth=2
	v_cmp_gt_u64_e32 vcc, s[24:25], v[42:43]
	s_and_saveexec_b64 s[12:13], vcc
	s_cbranch_execz .LBB189_219
; %bb.223:                              ;   in Loop: Header=BB189_222 Depth=2
	global_load_dwordx2 v[4:5], v[38:39], off
	s_waitcnt vmcnt(0)
	v_cmp_o_f64_e32 vcc, v[4:5], v[4:5]
	v_ashrrev_i32_e32 v2, 31, v5
	v_or_b32_e32 v8, 0x80000000, v2
	v_xor_b32_e32 v8, v8, v5
	v_xor_b32_e32 v2, v2, v4
	v_cndmask_b32_e32 v8, -1, v8, vcc
	v_cndmask_b32_e32 v2, -1, v2, vcc
	v_and_b32_e32 v9, v8, v15
	v_and_b32_e32 v8, v2, v14
	v_cmp_eq_u64_e32 vcc, v[8:9], v[12:13]
	s_and_b64 exec, exec, vcc
	s_cbranch_execz .LBB189_219
; %bb.224:                              ;   in Loop: Header=BB189_222 Depth=2
	v_mov_b32_e32 v2, v19
	ds_write_b128 v19, v[2:5] offset:3072
	s_branch .LBB189_219
.LBB189_225:                            ;   in Loop: Header=BB189_222 Depth=2
	s_mov_b64 s[72:73], -1
                                        ; implicit-def: $vgpr42_vgpr43
                                        ; implicit-def: $vgpr38_vgpr39
	s_mov_b64 s[12:13], -1
	s_branch .LBB189_221
.LBB189_226:                            ;   in Loop: Header=BB189_31 Depth=1
	s_mov_b64 s[58:59], -1
	s_mov_b64 s[64:65], 0
	s_branch .LBB189_229
.LBB189_227:                            ;   in Loop: Header=BB189_31 Depth=1
	s_or_b64 exec, exec, s[60:61]
	s_andn2_b64 s[12:13], s[74:75], exec
	s_and_b64 s[58:59], s[64:65], exec
	v_readlane_b32 s72, v59, 46
	s_or_b64 s[74:75], s[12:13], s[58:59]
	v_readlane_b32 s73, v59, 47
.LBB189_228:                            ;   in Loop: Header=BB189_31 Depth=1
	s_or_b64 exec, exec, s[56:57]
	s_mov_b64 s[58:59], 0
	s_mov_b64 s[64:65], -1
.LBB189_229:                            ;   in Loop: Header=BB189_31 Depth=1
	s_orn2_b64 s[12:13], s[74:75], exec
.LBB189_230:                            ;   in Loop: Header=BB189_31 Depth=1
	s_or_b64 exec, exec, s[4:5]
	s_mov_b64 s[56:57], 0
	s_and_saveexec_b64 s[4:5], s[12:13]
	v_readlane_b32 s60, v59, 54
	v_readlane_b32 s61, v59, 55
	s_cbranch_execz .LBB189_295
; %bb.231:                              ;   in Loop: Header=BB189_31 Depth=1
	v_writelane_b32 v59, s58, 58
	v_writelane_b32 v59, s59, 59
	v_readlane_b32 s12, v59, 52
	v_readlane_b32 s13, v59, 53
	v_mov_b32_e32 v38, 1
	s_xor_b64 s[58:59], s[12:13], -1
	v_mov_b32_e32 v44, 1
	v_mov_b32_e32 v39, 0
	s_and_saveexec_b64 s[12:13], s[58:59]
	s_cbranch_execz .LBB189_240
; %bb.232:                              ;   in Loop: Header=BB189_31 Depth=1
	v_cmp_ge_u64_e32 vcc, s[2:3], v[40:41]
	s_and_saveexec_b64 s[56:57], vcc
	s_xor_b64 s[56:57], exec, s[56:57]
	s_cbranch_execz .LBB189_237
; %bb.233:                              ;   in Loop: Header=BB189_31 Depth=1
	s_lshl_b64 s[58:59], 2, s88
	v_and_b32_e32 v4, s50, v12
	v_or_b32_e32 v12, s58, v4
	ds_read_b64 v[4:5], v19 offset:5120
	v_and_b32_e32 v2, s51, v13
	v_or_b32_e32 v13, s59, v2
	v_or_b32_e32 v15, s19, v15
	v_or_b32_e32 v14, s18, v14
	s_waitcnt lgkmcnt(0)
	v_cmp_ne_u64_e32 vcc, 0, v[4:5]
	s_cbranch_vccnz .LBB189_237
; %bb.234:                              ;   in Loop: Header=BB189_31 Depth=1
	s_mov_b64 s[58:59], exec
	v_readlane_b32 s60, v59, 8
	v_readlane_b32 s61, v59, 9
	s_and_b64 s[60:61], s[58:59], s[60:61]
	s_mov_b64 exec, s[60:61]
; %bb.235:                              ;   in Loop: Header=BB189_31 Depth=1
	v_mov_b32_e32 v5, s3
	v_mov_b32_e32 v4, s2
	ds_write_b64 v19, v[4:5] offset:5128
; %bb.236:                              ;   in Loop: Header=BB189_31 Depth=1
	s_or_b64 exec, exec, s[58:59]
	s_waitcnt lgkmcnt(0)
	s_barrier
.LBB189_237:                            ;   in Loop: Header=BB189_31 Depth=1
	s_or_saveexec_b64 s[56:57], s[56:57]
	s_mov_b64 s[58:59], 0
	v_mov_b32_e32 v44, 8
	s_xor_b64 exec, exec, s[56:57]
; %bb.238:                              ;   in Loop: Header=BB189_31 Depth=1
	v_subrev_co_u32_e32 v40, vcc, s2, v40
	v_mov_b32_e32 v2, s3
	v_subb_co_u32_e32 v41, vcc, v41, v2, vcc
	v_mov_b32_e32 v44, 0
	s_mov_b64 s[58:59], exec
; %bb.239:                              ;   in Loop: Header=BB189_31 Depth=1
	s_or_b64 exec, exec, s[56:57]
	v_mov_b32_e32 v38, v40
	v_readlane_b32 s60, v59, 54
	s_and_b64 s[56:57], s[58:59], exec
	v_mov_b32_e32 v39, v41
	v_readlane_b32 s61, v59, 55
.LBB189_240:                            ;   in Loop: Header=BB189_31 Depth=1
	s_or_b64 exec, exec, s[12:13]
	s_mov_b64 s[12:13], -1
                                        ; implicit-def: $vcc
                                        ; implicit-def: $sgpr74_sgpr75
	s_mov_b64 s[58:59], exec
	v_writelane_b32 v59, s58, 52
	s_and_b64 s[56:57], s[58:59], s[56:57]
	v_writelane_b32 v59, s59, 53
	s_mov_b64 exec, s[56:57]
	s_cbranch_execz .LBB189_294
; %bb.241:                              ;   in Loop: Header=BB189_31 Depth=1
	s_cmp_eq_u64 s[70:71], 1
	v_cmp_eq_u64_e32 vcc, 1, v[38:39]
	s_cselect_b64 s[12:13], -1, 0
	v_writelane_b32 v59, s64, 56
	s_and_b64 s[56:57], s[12:13], vcc
	s_mov_b64 s[12:13], -1
	v_writelane_b32 v59, s65, 57
                                        ; implicit-def: $vcc
                                        ; implicit-def: $sgpr74_sgpr75
	s_mov_b64 s[58:59], exec
	v_writelane_b32 v59, s56, 60
	v_writelane_b32 v59, s57, 61
	v_writelane_b32 v59, s58, 62
	s_and_b64 s[56:57], s[58:59], s[56:57]
	v_writelane_b32 v59, s59, 63
	s_mov_b64 exec, s[56:57]
	s_cbranch_execz .LBB189_282
; %bb.242:                              ;   in Loop: Header=BB189_31 Depth=1
	ds_read_b64 v[4:5], v19 offset:5120
	s_waitcnt lgkmcnt(0)
	s_barrier
	v_readfirstlane_b32 s56, v4
	v_readfirstlane_b32 s57, v5
	s_mov_b64 s[12:13], exec
	v_readlane_b32 s58, v59, 22
	v_readlane_b32 s59, v59, 23
	s_and_b64 s[58:59], s[12:13], s[58:59]
	s_mov_b64 exec, s[58:59]
; %bb.243:                              ;   in Loop: Header=BB189_31 Depth=1
	v_mov_b32_e32 v18, v19
	ds_write_b64 v54, v[18:19]
; %bb.244:                              ;   in Loop: Header=BB189_31 Depth=1
	s_or_b64 exec, exec, s[12:13]
	s_mov_b64 s[12:13], -1
                                        ; implicit-def: $vgpr58 : SGPR spill to VGPR lane
	v_or_b32_e32 v13, s19, v13
	v_or_b32_e32 v12, s18, v12
	;; [unrolled: 1-line block ×4, first 2 shown]
	v_writelane_b32 v58, s12, 0
	s_cmp_eq_u64 s[56:57], 0
	s_mov_b64 s[74:75], 0
	s_mov_b64 s[58:59], -1
	s_waitcnt lgkmcnt(0)
	s_barrier
	v_writelane_b32 v58, s13, 1
                                        ; implicit-def: $vgpr10_vgpr11
	s_cbranch_scc1 .LBB189_263
; %bb.245:                              ;   in Loop: Header=BB189_31 Depth=1
	v_readlane_b32 s12, v59, 26
	s_add_u32 s60, s56, s12
	v_readlane_b32 s12, v59, 28
	s_addc_u32 s75, s57, s12
	s_mov_b32 s74, s55
	s_cmp_lg_u64 s[74:75], 0
	s_cbranch_scc0 .LBB189_249
; %bb.246:                              ;   in Loop: Header=BB189_31 Depth=1
	v_cvt_f32_u32_e32 v2, s33
	s_sub_u32 s54, 0, s33
	s_subb_u32 s58, 0, 0
	v_mac_f32_e32 v2, 0, v55
	v_rcp_f32_e32 v2, v2
	v_mul_f32_e32 v2, 0x5f7ffffc, v2
	v_mul_f32_e32 v4, 0x2f800000, v2
	v_trunc_f32_e32 v4, v4
	v_mac_f32_e32 v2, 0xcf800000, v4
	v_cvt_u32_f32_e32 v4, v4
	v_cvt_u32_f32_e32 v2, v2
	v_readfirstlane_b32 s59, v4
	v_readfirstlane_b32 s12, v2
	s_mul_i32 s13, s54, s59
	s_mul_hi_u32 s64, s54, s12
	s_mul_i32 s61, s58, s12
	s_add_i32 s13, s64, s13
	s_mul_i32 s65, s54, s12
	s_add_i32 s13, s13, s61
	s_mul_hi_u32 s64, s12, s65
	s_mul_i32 s72, s12, s13
	s_mul_hi_u32 s61, s12, s13
	s_add_u32 s64, s64, s72
	s_addc_u32 s61, 0, s61
	s_mul_hi_u32 s73, s59, s65
	s_mul_i32 s65, s59, s65
	s_add_u32 s64, s64, s65
	s_mul_hi_u32 s72, s59, s13
	s_addc_u32 s61, s61, s73
	s_addc_u32 s64, s72, 0
	s_mul_i32 s13, s59, s13
	s_add_u32 s13, s61, s13
	s_addc_u32 s61, 0, s64
	s_add_u32 s64, s12, s13
	s_cselect_b64 s[12:13], -1, 0
	s_cmp_lg_u64 s[12:13], 0
	s_addc_u32 s59, s59, s61
	s_mul_i32 s12, s54, s59
	s_mul_hi_u32 s13, s54, s64
	s_add_i32 s12, s13, s12
	s_mul_i32 s58, s58, s64
	s_add_i32 s12, s12, s58
	s_mul_i32 s54, s54, s64
	s_mul_hi_u32 s58, s59, s54
	s_mul_i32 s61, s59, s54
	s_mul_i32 s72, s64, s12
	s_mul_hi_u32 s54, s64, s54
	s_mul_hi_u32 s65, s64, s12
	s_add_u32 s54, s54, s72
	s_addc_u32 s65, 0, s65
	s_add_u32 s54, s54, s61
	s_mul_hi_u32 s13, s59, s12
	s_addc_u32 s54, s65, s58
	s_addc_u32 s13, s13, 0
	s_mul_i32 s12, s59, s12
	s_add_u32 s12, s54, s12
	s_addc_u32 s54, 0, s13
	s_add_u32 s58, s64, s12
	s_cselect_b64 s[12:13], -1, 0
	s_cmp_lg_u64 s[12:13], 0
	s_addc_u32 s12, s59, s54
	s_mul_i32 s54, s60, s12
	s_mul_hi_u32 s59, s60, s58
	s_mul_hi_u32 s13, s60, s12
	s_add_u32 s54, s59, s54
	s_addc_u32 s13, 0, s13
	s_mul_hi_u32 s61, s75, s58
	s_mul_i32 s58, s75, s58
	s_add_u32 s54, s54, s58
	s_mul_hi_u32 s59, s75, s12
	s_addc_u32 s13, s13, s61
	s_addc_u32 s54, s59, 0
	s_mul_i32 s12, s75, s12
	s_add_u32 s12, s13, s12
	s_addc_u32 s13, 0, s54
	s_mul_i32 s13, s33, s13
	s_mul_hi_u32 s54, s33, s12
	s_add_i32 s54, s54, s13
	s_mul_i32 s12, s33, s12
	s_sub_u32 s58, s60, s12
	s_cselect_b64 s[12:13], -1, 0
	s_cmp_lg_u64 s[12:13], 0
	s_subb_u32 s54, s75, s54
	s_sub_u32 s59, s58, s33
	s_cselect_b64 s[12:13], -1, 0
	s_cmp_lg_u64 s[12:13], 0
	s_subb_u32 s61, s54, 0
	;; [unrolled: 4-line block ×3, first 2 shown]
	s_cmp_ge_u32 s59, s33
	s_cselect_b32 s13, -1, 0
	s_cmp_eq_u32 s61, 0
	s_cselect_b32 s13, s13, -1
	s_cmp_lg_u32 s13, 0
	s_cselect_b32 s12, s12, s61
	s_cselect_b32 s59, s64, s59
	s_cmp_ge_u32 s58, s33
	s_cselect_b32 s13, -1, 0
	s_cmp_eq_u32 s54, 0
	s_cselect_b32 s13, s13, -1
	s_cmp_lg_u32 s13, 0
	s_cselect_b32 s13, s12, s54
	s_cselect_b32 s12, s59, s58
	s_mov_b64 s[58:59], 0
	s_branch .LBB189_250
.LBB189_247:                            ;   in Loop: Header=BB189_31 Depth=1
                                        ; implicit-def: $sgpr12_sgpr13
	s_andn2_b64 vcc, exec, s[58:59]
	s_cbranch_vccz .LBB189_199
	s_branch .LBB189_200
.LBB189_248:                            ;   in Loop: Header=BB189_31 Depth=1
                                        ; implicit-def: $sgpr12_sgpr13
	s_branch .LBB189_216
.LBB189_249:                            ;   in Loop: Header=BB189_31 Depth=1
                                        ; implicit-def: $sgpr12_sgpr13
.LBB189_250:                            ;   in Loop: Header=BB189_31 Depth=1
	s_andn2_b64 vcc, exec, s[58:59]
	s_cbranch_vccnz .LBB189_252
; %bb.251:                              ;   in Loop: Header=BB189_31 Depth=1
	v_cvt_f32_u32_e32 v2, s33
	s_sub_i32 s12, 0, s33
	v_rcp_iflag_f32_e32 v2, v2
	v_mul_f32_e32 v2, 0x4f7ffffe, v2
	v_cvt_u32_f32_e32 v2, v2
	v_readfirstlane_b32 s13, v2
	s_mul_i32 s12, s12, s13
	s_mul_hi_u32 s12, s13, s12
	s_add_i32 s13, s13, s12
	s_mul_hi_u32 s12, s60, s13
	s_mul_i32 s12, s12, s33
	s_sub_i32 s12, s60, s12
	s_sub_i32 s13, s12, s33
	s_cmp_ge_u32 s12, s33
	s_cselect_b32 s12, s13, s12
	s_sub_i32 s13, s12, s33
	s_cmp_ge_u32 s12, s33
	s_cselect_b32 s54, s13, s12
	s_mov_b64 s[12:13], s[54:55]
.LBB189_252:                            ;   in Loop: Header=BB189_31 Depth=1
	s_sub_u32 s60, s60, s12
	s_subb_u32 s61, s75, s13
	v_cmp_gt_u64_e32 vcc, s[60:61], v[0:1]
	s_mov_b64 s[58:59], 0
	s_mov_b64 s[74:75], 0
                                        ; implicit-def: $vgpr10_vgpr11
	s_and_saveexec_b64 s[64:65], vcc
	s_cbranch_execz .LBB189_262
; %bb.253:                              ;   in Loop: Header=BB189_31 Depth=1
	v_mov_b32_e32 v41, v1
	v_mov_b32_e32 v18, v50
	;; [unrolled: 1-line block ×3, first 2 shown]
                                        ; implicit-def: $sgpr12_sgpr13
	s_branch .LBB189_257
.LBB189_254:                            ;   in Loop: Header=BB189_257 Depth=2
	s_or_b64 exec, exec, s[72:73]
	s_waitcnt lgkmcnt(0)
	s_barrier
	ds_read_b128 v[8:11], v19 offset:3072
	s_waitcnt lgkmcnt(0)
	s_barrier
	v_cmp_neq_f64_e32 vcc, 0, v[8:9]
	s_cbranch_vccnz .LBB189_260
; %bb.255:                              ;   in Loop: Header=BB189_257 Depth=2
	v_add_co_u32_e32 v40, vcc, s33, v40
	v_addc_co_u32_e32 v41, vcc, 0, v41, vcc
	v_cmp_le_u64_e32 vcc, s[60:61], v[40:41]
	v_add_u32_e32 v18, s1, v18
	s_mov_b64 s[72:73], 0
	s_orn2_b64 vcc, vcc, exec
.LBB189_256:                            ;   in Loop: Header=BB189_257 Depth=2
	s_and_b64 vcc, exec, vcc
	s_or_b64 s[74:75], vcc, s[74:75]
	s_andn2_b64 s[12:13], s[12:13], exec
	s_and_b64 s[72:73], s[72:73], exec
	s_or_b64 s[12:13], s[12:13], s[72:73]
	s_andn2_b64 exec, exec, s[74:75]
	s_cbranch_execz .LBB189_261
.LBB189_257:                            ;   Parent Loop BB189_31 Depth=1
                                        ; =>  This Inner Loop Header: Depth=2
	v_cmp_gt_u64_e32 vcc, s[56:57], v[40:41]
	s_and_saveexec_b64 s[72:73], vcc
	s_cbranch_execz .LBB189_254
; %bb.258:                              ;   in Loop: Header=BB189_257 Depth=2
	ds_read_b64 v[4:5], v18
	s_waitcnt lgkmcnt(0)
	v_cmp_o_f64_e32 vcc, v[4:5], v[4:5]
	v_ashrrev_i32_e32 v2, 31, v5
	v_or_b32_e32 v8, 0x80000000, v2
	v_xor_b32_e32 v8, v8, v5
	v_xor_b32_e32 v2, v2, v4
	v_cndmask_b32_e32 v8, -1, v8, vcc
	v_cndmask_b32_e32 v2, -1, v2, vcc
	v_and_b32_e32 v9, v8, v15
	v_and_b32_e32 v8, v2, v14
	v_cmp_eq_u64_e32 vcc, v[8:9], v[12:13]
	s_and_b64 exec, exec, vcc
	s_cbranch_execz .LBB189_254
; %bb.259:                              ;   in Loop: Header=BB189_257 Depth=2
	v_mov_b32_e32 v2, v19
	ds_write_b128 v19, v[2:5] offset:3072
	s_branch .LBB189_254
.LBB189_260:                            ;   in Loop: Header=BB189_257 Depth=2
	s_mov_b64 vcc, -1
                                        ; implicit-def: $vgpr40_vgpr41
                                        ; implicit-def: $vgpr18
	s_mov_b64 s[72:73], -1
	s_branch .LBB189_256
.LBB189_261:                            ;   in Loop: Header=BB189_31 Depth=1
	s_or_b64 exec, exec, s[74:75]
	s_and_b64 s[74:75], s[12:13], exec
.LBB189_262:                            ;   in Loop: Header=BB189_31 Depth=1
	s_or_b64 exec, exec, s[64:65]
	v_readlane_b32 s72, v59, 46
	v_readlane_b32 s73, v59, 47
.LBB189_263:                            ;   in Loop: Header=BB189_31 Depth=1
	s_and_b64 vcc, exec, s[58:59]
	s_cbranch_vccz .LBB189_266
; %bb.264:                              ;   in Loop: Header=BB189_31 Depth=1
	v_readlane_b32 s64, v59, 29
	v_readlane_b32 s65, v59, 30
	s_mov_b32 s64, s55
	s_cmp_lg_u64 s[64:65], 0
	v_writelane_b32 v59, s64, 29
	v_writelane_b32 v59, s65, 30
	s_cbranch_scc0 .LBB189_267
; %bb.265:                              ;   in Loop: Header=BB189_31 Depth=1
	v_cvt_f32_u32_e32 v2, s33
	s_sub_u32 s54, 0, s33
	s_subb_u32 s56, 0, 0
	v_mac_f32_e32 v2, 0, v55
	v_rcp_f32_e32 v2, v2
	v_mul_f32_e32 v2, 0x5f7ffffc, v2
	v_mul_f32_e32 v4, 0x2f800000, v2
	v_trunc_f32_e32 v4, v4
	v_mac_f32_e32 v2, 0xcf800000, v4
	v_cvt_u32_f32_e32 v4, v4
	v_cvt_u32_f32_e32 v2, v2
	v_readfirstlane_b32 s57, v4
	v_readfirstlane_b32 s12, v2
	s_mul_i32 s13, s54, s57
	s_mul_hi_u32 s59, s54, s12
	s_mul_i32 s58, s56, s12
	s_add_i32 s13, s59, s13
	s_mul_i32 s60, s54, s12
	s_add_i32 s13, s13, s58
	s_mul_hi_u32 s59, s12, s60
	s_mul_i32 s61, s12, s13
	s_mul_hi_u32 s58, s12, s13
	s_add_u32 s59, s59, s61
	s_addc_u32 s58, 0, s58
	s_mul_hi_u32 s64, s57, s60
	s_mul_i32 s60, s57, s60
	s_add_u32 s59, s59, s60
	s_mul_hi_u32 s61, s57, s13
	s_addc_u32 s58, s58, s64
	s_addc_u32 s59, s61, 0
	s_mul_i32 s13, s57, s13
	s_add_u32 s13, s58, s13
	s_addc_u32 s58, 0, s59
	s_add_u32 s59, s12, s13
	s_cselect_b64 s[12:13], -1, 0
	s_cmp_lg_u64 s[12:13], 0
	s_addc_u32 s57, s57, s58
	s_mul_i32 s12, s54, s57
	s_mul_hi_u32 s13, s54, s59
	s_add_i32 s12, s13, s12
	s_mul_i32 s56, s56, s59
	s_add_i32 s12, s12, s56
	s_mul_i32 s54, s54, s59
	s_mul_hi_u32 s56, s57, s54
	s_mul_i32 s58, s57, s54
	s_mul_i32 s61, s59, s12
	s_mul_hi_u32 s54, s59, s54
	s_mul_hi_u32 s60, s59, s12
	s_add_u32 s54, s54, s61
	s_addc_u32 s60, 0, s60
	s_add_u32 s54, s54, s58
	s_mul_hi_u32 s13, s57, s12
	s_addc_u32 s54, s60, s56
	s_addc_u32 s13, s13, 0
	s_mul_i32 s12, s57, s12
	s_add_u32 s12, s54, s12
	s_addc_u32 s54, 0, s13
	s_add_u32 s56, s59, s12
	s_cselect_b64 s[12:13], -1, 0
	s_cmp_lg_u64 s[12:13], 0
	s_addc_u32 s12, s57, s54
	v_readlane_b32 s59, v59, 27
	s_mul_i32 s54, s59, s12
	s_mul_hi_u32 s57, s59, s56
	s_mul_hi_u32 s13, s59, s12
	s_add_u32 s54, s57, s54
	s_addc_u32 s13, 0, s13
	s_mul_hi_u32 s58, s65, s56
	s_mul_i32 s56, s65, s56
	s_add_u32 s54, s54, s56
	s_mul_hi_u32 s57, s65, s12
	s_addc_u32 s13, s13, s58
	s_addc_u32 s54, s57, 0
	s_mul_i32 s12, s65, s12
	s_add_u32 s12, s13, s12
	s_addc_u32 s13, 0, s54
	s_mul_i32 s13, s33, s13
	s_mul_hi_u32 s54, s33, s12
	s_add_i32 s54, s54, s13
	s_mul_i32 s12, s33, s12
	s_sub_u32 s56, s59, s12
	s_cselect_b64 s[12:13], -1, 0
	s_cmp_lg_u64 s[12:13], 0
	s_subb_u32 s54, s65, s54
	s_sub_u32 s57, s56, s33
	s_cselect_b64 s[12:13], -1, 0
	s_cmp_lg_u64 s[12:13], 0
	s_subb_u32 s58, s54, 0
	;; [unrolled: 4-line block ×3, first 2 shown]
	s_cmp_ge_u32 s57, s33
	s_cselect_b32 s13, -1, 0
	s_cmp_eq_u32 s58, 0
	s_cselect_b32 s13, s13, -1
	s_cmp_lg_u32 s13, 0
	s_cselect_b32 s12, s12, s58
	s_cselect_b32 s57, s59, s57
	s_cmp_ge_u32 s56, s33
	s_cselect_b32 s13, -1, 0
	s_cmp_eq_u32 s54, 0
	s_cselect_b32 s13, s13, -1
	s_cmp_lg_u32 s13, 0
	s_cselect_b32 s13, s12, s54
	s_cselect_b32 s12, s57, s56
	s_mov_b64 s[56:57], 0
	s_branch .LBB189_268
.LBB189_266:                            ;   in Loop: Header=BB189_31 Depth=1
	s_mov_b64 vcc, 0
	s_branch .LBB189_281
.LBB189_267:                            ;   in Loop: Header=BB189_31 Depth=1
	s_mov_b64 s[56:57], -1
                                        ; implicit-def: $sgpr12_sgpr13
.LBB189_268:                            ;   in Loop: Header=BB189_31 Depth=1
	s_andn2_b64 vcc, exec, s[56:57]
	s_cbranch_vccnz .LBB189_270
; %bb.269:                              ;   in Loop: Header=BB189_31 Depth=1
	v_cvt_f32_u32_e32 v2, s33
	s_sub_i32 s12, 0, s33
	v_readlane_b32 s54, v59, 27
	v_rcp_iflag_f32_e32 v2, v2
	v_mul_f32_e32 v2, 0x4f7ffffe, v2
	v_cvt_u32_f32_e32 v2, v2
	v_readfirstlane_b32 s13, v2
	s_mul_i32 s12, s12, s13
	s_mul_hi_u32 s12, s13, s12
	s_add_i32 s13, s13, s12
	s_mul_hi_u32 s12, s54, s13
	s_mul_i32 s12, s12, s33
	s_sub_i32 s12, s54, s12
	s_sub_i32 s13, s12, s33
	s_cmp_ge_u32 s12, s33
	s_cselect_b32 s12, s13, s12
	s_sub_i32 s13, s12, s33
	s_cmp_ge_u32 s12, s33
	s_cselect_b32 s54, s13, s12
	s_mov_b64 s[12:13], s[54:55]
.LBB189_270:                            ;   in Loop: Header=BB189_31 Depth=1
	v_readlane_b32 s54, v59, 27
	v_readlane_b32 s58, v59, 29
	s_sub_u32 s56, s54, s12
	v_readlane_b32 s59, v59, 30
	s_subb_u32 s57, s59, s13
	v_cmp_gt_u64_e32 vcc, s[56:57], v[0:1]
                                        ; implicit-def: $vgpr10_vgpr11
	s_and_saveexec_b64 s[12:13], vcc
	s_cbranch_execz .LBB189_280
; %bb.271:                              ;   in Loop: Header=BB189_31 Depth=1
	v_mov_b32_e32 v41, v33
	v_mov_b32_e32 v43, v1
	s_mov_b64 s[58:59], 0
	v_mov_b32_e32 v40, v32
	v_mov_b32_e32 v42, v0
                                        ; implicit-def: $sgpr60_sgpr61
	s_branch .LBB189_275
.LBB189_272:                            ;   in Loop: Header=BB189_275 Depth=2
	s_or_b64 exec, exec, s[64:65]
	s_waitcnt lgkmcnt(0)
	s_barrier
	ds_read_b128 v[8:11], v19 offset:3072
	s_waitcnt lgkmcnt(0)
	s_barrier
	v_cmp_eq_f64_e32 vcc, 0, v[8:9]
	s_cbranch_vccz .LBB189_278
; %bb.273:                              ;   in Loop: Header=BB189_275 Depth=2
	v_add_co_u32_e32 v42, vcc, s33, v42
	v_addc_co_u32_e32 v43, vcc, 0, v43, vcc
	v_mov_b32_e32 v2, s31
	v_add_co_u32_e32 v40, vcc, s30, v40
	v_addc_co_u32_e32 v41, vcc, v41, v2, vcc
	v_cmp_le_u64_e32 vcc, s[56:57], v[42:43]
	s_mov_b64 s[64:65], 0
	s_orn2_b64 s[72:73], vcc, exec
.LBB189_274:                            ;   in Loop: Header=BB189_275 Depth=2
	s_and_b64 s[72:73], exec, s[72:73]
	s_or_b64 s[58:59], s[72:73], s[58:59]
	s_andn2_b64 s[60:61], s[60:61], exec
	s_and_b64 s[64:65], s[64:65], exec
	s_or_b64 s[60:61], s[60:61], s[64:65]
	s_andn2_b64 exec, exec, s[58:59]
	s_cbranch_execz .LBB189_279
.LBB189_275:                            ;   Parent Loop BB189_31 Depth=1
                                        ; =>  This Inner Loop Header: Depth=2
	v_cmp_gt_u64_e32 vcc, s[24:25], v[42:43]
	s_and_saveexec_b64 s[64:65], vcc
	s_cbranch_execz .LBB189_272
; %bb.276:                              ;   in Loop: Header=BB189_275 Depth=2
	global_load_dwordx2 v[4:5], v[40:41], off
	s_waitcnt vmcnt(0)
	v_cmp_o_f64_e32 vcc, v[4:5], v[4:5]
	v_ashrrev_i32_e32 v2, 31, v5
	v_or_b32_e32 v8, 0x80000000, v2
	v_xor_b32_e32 v8, v8, v5
	v_xor_b32_e32 v2, v2, v4
	v_cndmask_b32_e32 v8, -1, v8, vcc
	v_cndmask_b32_e32 v2, -1, v2, vcc
	v_and_b32_e32 v9, v8, v15
	v_and_b32_e32 v8, v2, v14
	v_cmp_eq_u64_e32 vcc, v[8:9], v[12:13]
	s_and_b64 exec, exec, vcc
	s_cbranch_execz .LBB189_272
; %bb.277:                              ;   in Loop: Header=BB189_275 Depth=2
	v_mov_b32_e32 v2, v19
	ds_write_b128 v19, v[2:5] offset:3072
	s_branch .LBB189_272
.LBB189_278:                            ;   in Loop: Header=BB189_275 Depth=2
	s_mov_b64 s[72:73], -1
                                        ; implicit-def: $vgpr42_vgpr43
                                        ; implicit-def: $vgpr40_vgpr41
	s_mov_b64 s[64:65], -1
	s_branch .LBB189_274
.LBB189_279:                            ;   in Loop: Header=BB189_31 Depth=1
	s_or_b64 exec, exec, s[58:59]
	s_andn2_b64 s[56:57], s[74:75], exec
	s_and_b64 s[58:59], s[60:61], exec
	v_readlane_b32 s72, v59, 46
	s_or_b64 s[74:75], s[56:57], s[58:59]
	v_readlane_b32 s73, v59, 47
.LBB189_280:                            ;   in Loop: Header=BB189_31 Depth=1
	s_or_b64 exec, exec, s[12:13]
	s_mov_b64 s[12:13], 0
	v_writelane_b32 v58, s12, 0
	v_writelane_b32 v58, s13, 1
	s_mov_b64 vcc, -1
.LBB189_281:                            ;   in Loop: Header=BB189_31 Depth=1
	s_orn2_b64 s[12:13], s[74:75], exec
	v_readlane_b32 s74, v58, 0
	v_readlane_b32 s75, v58, 1
.LBB189_282:                            ;   in Loop: Header=BB189_31 Depth=1
	v_readlane_b32 s56, v59, 62
	v_readlane_b32 s57, v59, 63
	s_or_b64 exec, exec, s[56:57]
	s_mov_b64 s[58:59], 0
	s_and_saveexec_b64 s[56:57], s[12:13]
	v_readlane_b32 s60, v59, 54
	v_readlane_b32 s64, v59, 56
	;; [unrolled: 1-line block ×4, first 2 shown]
	s_cbranch_execz .LBB189_293
; %bb.283:                              ;   in Loop: Header=BB189_31 Depth=1
	v_readlane_b32 s12, v59, 60
	v_readlane_b32 s13, v59, 61
	v_mov_b32_e32 v4, 1
	s_xor_b64 s[58:59], s[12:13], -1
	v_mov_b32_e32 v5, 0
	v_mov_b32_e32 v44, 1
	s_and_saveexec_b64 s[12:13], s[58:59]
	s_cbranch_execz .LBB189_292
; %bb.284:                              ;   in Loop: Header=BB189_31 Depth=1
	v_writelane_b32 v59, vcc_lo, 62
	v_writelane_b32 v59, vcc_hi, 63
	v_cmp_ge_u64_e32 vcc, s[70:71], v[38:39]
	s_and_saveexec_b64 s[58:59], vcc
	s_xor_b64 s[58:59], exec, s[58:59]
	s_cbranch_execz .LBB189_289
; %bb.285:                              ;   in Loop: Header=BB189_31 Depth=1
	ds_read_b64 v[4:5], v19 offset:5120
	v_or_b32_e32 v13, s19, v13
	v_or_b32_e32 v12, s18, v12
	;; [unrolled: 1-line block ×4, first 2 shown]
	s_waitcnt lgkmcnt(0)
	v_cmp_ne_u64_e32 vcc, 0, v[4:5]
	s_cbranch_vccnz .LBB189_289
; %bb.286:                              ;   in Loop: Header=BB189_31 Depth=1
	s_mov_b64 s[60:61], exec
	v_readlane_b32 s64, v59, 8
	v_readlane_b32 s65, v59, 9
	s_and_b64 s[64:65], s[60:61], s[64:65]
	s_mov_b64 exec, s[64:65]
; %bb.287:                              ;   in Loop: Header=BB189_31 Depth=1
	v_mov_b32_e32 v4, s70
	v_mov_b32_e32 v5, s71
	ds_write_b64 v19, v[4:5] offset:5128
; %bb.288:                              ;   in Loop: Header=BB189_31 Depth=1
	s_or_b64 exec, exec, s[60:61]
	s_waitcnt lgkmcnt(0)
	s_barrier
.LBB189_289:                            ;   in Loop: Header=BB189_31 Depth=1
	s_andn2_saveexec_b64 s[58:59], s[58:59]
; %bb.290:                              ;   in Loop: Header=BB189_31 Depth=1
	v_mov_b32_e32 v2, s71
	v_subrev_co_u32_e32 v38, vcc, s70, v38
	v_subb_co_u32_e32 v39, vcc, v39, v2, vcc
; %bb.291:                              ;   in Loop: Header=BB189_31 Depth=1
	s_or_b64 exec, exec, s[58:59]
	v_mov_b32_e32 v4, v38
	v_readlane_b32 s60, v59, 54
	v_readlane_b32 s64, v59, 56
	v_readlane_b32 vcc_lo, v59, 62
	v_mov_b32_e32 v44, 8
	v_mov_b32_e32 v5, v39
	v_readlane_b32 s61, v59, 55
	v_readlane_b32 s65, v59, 57
	v_readlane_b32 vcc_hi, v59, 63
.LBB189_292:                            ;   in Loop: Header=BB189_31 Depth=1
	s_or_b64 exec, exec, s[12:13]
	v_mov_b32_e32 v39, v5
	s_mov_b64 s[58:59], exec
	v_mov_b32_e32 v38, v4
.LBB189_293:                            ;   in Loop: Header=BB189_31 Depth=1
	s_or_b64 exec, exec, s[56:57]
	s_orn2_b64 s[12:13], s[58:59], exec
.LBB189_294:                            ;   in Loop: Header=BB189_31 Depth=1
	v_readlane_b32 s56, v59, 52
	v_readlane_b32 s57, v59, 53
	s_or_b64 exec, exec, s[56:57]
	s_andn2_b64 s[56:57], s[64:65], exec
	s_and_b64 s[58:59], vcc, exec
	s_or_b64 s[64:65], s[56:57], s[58:59]
	v_readlane_b32 s56, v59, 58
	v_readlane_b32 s57, v59, 59
	s_andn2_b64 s[56:57], s[56:57], exec
	s_and_b64 s[58:59], s[74:75], exec
	v_mov_b32_e32 v41, v39
	s_or_b64 s[58:59], s[56:57], s[58:59]
	s_and_b64 s[56:57], s[12:13], exec
	v_mov_b32_e32 v40, v38
.LBB189_295:                            ;   in Loop: Header=BB189_31 Depth=1
	s_or_b64 exec, exec, s[4:5]
	s_orn2_b64 s[4:5], s[56:57], exec
.LBB189_296:                            ;   in Loop: Header=BB189_31 Depth=1
	s_or_b64 exec, exec, s[60:61]
	s_andn2_b64 s[12:13], s[38:39], exec
	s_and_b64 s[38:39], s[64:65], exec
	s_or_b64 s[38:39], s[12:13], s[38:39]
	s_andn2_b64 s[12:13], s[36:37], exec
	s_and_b64 s[36:37], s[58:59], exec
	v_mov_b32_e32 v38, v40
	s_or_b64 s[36:37], s[12:13], s[36:37]
	s_and_b64 s[56:57], s[4:5], exec
	v_mov_b32_e32 v39, v41
.LBB189_297:                            ;   in Loop: Header=BB189_31 Depth=1
	s_or_b64 exec, exec, s[10:11]
	s_orn2_b64 s[4:5], s[56:57], exec
.LBB189_298:                            ;   in Loop: Header=BB189_31 Depth=1
	s_or_b64 exec, exec, s[6:7]
	s_mov_b64 s[6:7], 0
	s_mov_b64 s[10:11], 0
	s_and_saveexec_b64 s[12:13], s[4:5]
	s_xor_b64 s[4:5], exec, s[12:13]
; %bb.299:                              ;   in Loop: Header=BB189_31 Depth=1
	v_cmp_eq_u32_e32 vcc, 8, v44
	v_cmp_ne_u32_e64 s[6:7], 8, v44
	s_and_b64 s[10:11], s[6:7], exec
	s_and_b64 s[6:7], vcc, exec
; %bb.300:                              ;   in Loop: Header=BB189_31 Depth=1
	s_or_b64 exec, exec, s[4:5]
	s_andn2_b64 s[4:5], s[68:69], exec
	s_and_b64 s[12:13], s[38:39], exec
	s_or_b64 s[68:69], s[4:5], s[12:13]
	s_andn2_b64 s[4:5], s[66:67], exec
	s_and_b64 s[12:13], s[36:37], exec
	s_or_b64 s[66:67], s[4:5], s[12:13]
	s_and_b64 s[36:37], s[10:11], exec
	s_and_b64 s[38:39], s[6:7], exec
.LBB189_301:                            ;   in Loop: Header=BB189_31 Depth=1
	s_or_b64 exec, exec, s[8:9]
.LBB189_302:                            ;   in Loop: Header=BB189_31 Depth=1
	s_and_b64 vcc, exec, s[20:21]
	s_cbranch_vccz .LBB189_319
; %bb.303:                              ;   in Loop: Header=BB189_31 Depth=1
	s_cmp_eq_u64 s[70:71], 1
	s_cselect_b64 s[4:5], -1, 0
	s_and_b64 s[4:5], s[4:5], s[14:15]
	s_mov_b64 s[8:9], -1
                                        ; implicit-def: $sgpr14_sgpr15
                                        ; implicit-def: $sgpr52_sgpr53
	s_and_saveexec_b64 s[6:7], s[4:5]
	s_cbranch_execz .LBB189_338
; %bb.304:                              ;   in Loop: Header=BB189_31 Depth=1
	ds_read_b64 v[4:5], v19 offset:5120
	s_waitcnt lgkmcnt(0)
	s_barrier
	v_readfirstlane_b32 s10, v4
	v_readfirstlane_b32 s11, v5
	s_mov_b64 s[8:9], exec
	v_readlane_b32 s12, v59, 22
	v_readlane_b32 s13, v59, 23
	s_and_b64 s[12:13], s[8:9], s[12:13]
	s_mov_b64 exec, s[12:13]
; %bb.305:                              ;   in Loop: Header=BB189_31 Depth=1
	v_mov_b32_e32 v18, v19
	ds_write_b64 v54, v[18:19]
; %bb.306:                              ;   in Loop: Header=BB189_31 Depth=1
	s_or_b64 exec, exec, s[8:9]
	v_or_b32_e32 v31, s19, v31
	v_or_b32_e32 v30, s18, v30
	v_or_b32_e32 v35, s19, v35
	v_or_b32_e32 v34, s18, v34
	s_mov_b64 s[52:53], -1
	s_mov_b64 s[14:15], 0
	s_cmp_eq_u64 s[10:11], 0
	s_mov_b64 s[8:9], 0
	s_mov_b64 s[12:13], -1
	s_waitcnt lgkmcnt(0)
	s_barrier
                                        ; implicit-def: $vgpr6_vgpr7
	s_cbranch_scc1 .LBB189_322
; %bb.307:                              ;   in Loop: Header=BB189_31 Depth=1
	v_readlane_b32 s8, v59, 26
	s_add_u32 s56, s10, s8
	v_readlane_b32 s8, v59, 28
	s_addc_u32 s9, s11, s8
	s_mov_b32 s8, s55
	s_cmp_lg_u64 s[8:9], 0
	s_cbranch_scc0 .LBB189_365
; %bb.308:                              ;   in Loop: Header=BB189_31 Depth=1
	v_cvt_f32_u32_e32 v2, s33
	s_sub_u32 s8, 0, s33
	s_subb_u32 s20, 0, 0
	v_mac_f32_e32 v2, 0, v55
	v_rcp_f32_e32 v2, v2
	v_mul_f32_e32 v2, 0x5f7ffffc, v2
	v_mul_f32_e32 v4, 0x2f800000, v2
	v_trunc_f32_e32 v4, v4
	v_mac_f32_e32 v2, 0xcf800000, v4
	v_cvt_u32_f32_e32 v4, v4
	v_cvt_u32_f32_e32 v2, v2
	v_readfirstlane_b32 s21, v4
	v_readfirstlane_b32 s12, v2
	s_mul_i32 s13, s8, s21
	s_mul_hi_u32 s57, s8, s12
	s_mul_i32 s54, s20, s12
	s_add_i32 s13, s57, s13
	s_mul_i32 s58, s8, s12
	s_add_i32 s13, s13, s54
	s_mul_hi_u32 s57, s12, s58
	s_mul_i32 s59, s12, s13
	s_mul_hi_u32 s54, s12, s13
	s_add_u32 s57, s57, s59
	s_addc_u32 s54, 0, s54
	s_mul_hi_u32 s60, s21, s58
	s_mul_i32 s58, s21, s58
	s_add_u32 s57, s57, s58
	s_mul_hi_u32 s59, s21, s13
	s_addc_u32 s54, s54, s60
	s_addc_u32 s57, s59, 0
	s_mul_i32 s13, s21, s13
	s_add_u32 s13, s54, s13
	s_addc_u32 s54, 0, s57
	s_add_u32 s57, s12, s13
	s_cselect_b64 s[12:13], -1, 0
	s_cmp_lg_u64 s[12:13], 0
	s_addc_u32 s21, s21, s54
	s_mul_i32 s12, s8, s21
	s_mul_hi_u32 s13, s8, s57
	s_add_i32 s12, s13, s12
	s_mul_i32 s20, s20, s57
	s_add_i32 s12, s12, s20
	s_mul_i32 s8, s8, s57
	s_mul_hi_u32 s20, s21, s8
	s_mul_i32 s54, s21, s8
	s_mul_i32 s59, s57, s12
	s_mul_hi_u32 s8, s57, s8
	s_mul_hi_u32 s58, s57, s12
	s_add_u32 s8, s8, s59
	s_addc_u32 s58, 0, s58
	s_add_u32 s8, s8, s54
	s_mul_hi_u32 s13, s21, s12
	s_addc_u32 s8, s58, s20
	s_addc_u32 s13, s13, 0
	s_mul_i32 s12, s21, s12
	s_add_u32 s8, s8, s12
	s_addc_u32 s20, 0, s13
	s_add_u32 s8, s57, s8
	s_cselect_b64 s[12:13], -1, 0
	s_cmp_lg_u64 s[12:13], 0
	s_addc_u32 s12, s21, s20
	s_mul_i32 s20, s56, s12
	s_mul_hi_u32 s21, s56, s8
	s_mul_hi_u32 s13, s56, s12
	s_add_u32 s20, s21, s20
	s_addc_u32 s13, 0, s13
	s_mul_hi_u32 s54, s9, s8
	s_mul_i32 s8, s9, s8
	s_add_u32 s8, s20, s8
	s_mul_hi_u32 s21, s9, s12
	s_addc_u32 s8, s13, s54
	s_addc_u32 s13, s21, 0
	s_mul_i32 s12, s9, s12
	s_add_u32 s8, s8, s12
	s_addc_u32 s12, 0, s13
	s_mul_i32 s12, s33, s12
	s_mul_hi_u32 s13, s33, s8
	s_add_i32 s20, s13, s12
	s_mul_i32 s8, s33, s8
	s_sub_u32 s8, s56, s8
	s_cselect_b64 s[12:13], -1, 0
	s_cmp_lg_u64 s[12:13], 0
	s_subb_u32 s20, s9, s20
	s_sub_u32 s21, s8, s33
	s_cselect_b64 s[12:13], -1, 0
	s_cmp_lg_u64 s[12:13], 0
	s_subb_u32 s54, s20, 0
	;; [unrolled: 4-line block ×3, first 2 shown]
	s_cmp_ge_u32 s21, s33
	s_cselect_b32 s13, -1, 0
	s_cmp_eq_u32 s54, 0
	s_cselect_b32 s13, s13, -1
	s_cmp_lg_u32 s13, 0
	s_cselect_b32 s12, s12, s54
	s_cselect_b32 s21, s57, s21
	s_cmp_ge_u32 s8, s33
	s_cselect_b32 s13, -1, 0
	s_cmp_eq_u32 s20, 0
	s_cselect_b32 s13, s13, -1
	s_cmp_lg_u32 s13, 0
	s_cselect_b32 s13, s12, s20
	s_cselect_b32 s12, s21, s8
	s_cbranch_execnz .LBB189_310
.LBB189_309:                            ;   in Loop: Header=BB189_31 Depth=1
	v_cvt_f32_u32_e32 v2, s33
	s_sub_i32 s8, 0, s33
	v_rcp_iflag_f32_e32 v2, v2
	v_mul_f32_e32 v2, 0x4f7ffffe, v2
	v_cvt_u32_f32_e32 v2, v2
	v_readfirstlane_b32 s12, v2
	s_mul_i32 s8, s8, s12
	s_mul_hi_u32 s8, s12, s8
	s_add_i32 s12, s12, s8
	s_mul_hi_u32 s8, s56, s12
	s_mul_i32 s8, s8, s33
	s_sub_i32 s8, s56, s8
	s_sub_i32 s12, s8, s33
	s_cmp_ge_u32 s8, s33
	s_cselect_b32 s8, s12, s8
	s_sub_i32 s12, s8, s33
	s_cmp_ge_u32 s8, s33
	s_cselect_b32 s54, s12, s8
	s_mov_b64 s[12:13], s[54:55]
.LBB189_310:                            ;   in Loop: Header=BB189_31 Depth=1
	s_sub_u32 s56, s56, s12
	s_subb_u32 s57, s9, s13
	v_cmp_gt_u64_e32 vcc, s[56:57], v[0:1]
	s_mov_b64 s[12:13], 0
	s_mov_b64 s[8:9], 0
                                        ; implicit-def: $vgpr6_vgpr7
	s_and_saveexec_b64 s[20:21], vcc
	s_cbranch_execz .LBB189_321
; %bb.311:                              ;   in Loop: Header=BB189_31 Depth=1
	v_mov_b32_e32 v9, v1
	v_mov_b32_e32 v10, v50
	;; [unrolled: 1-line block ×3, first 2 shown]
                                        ; implicit-def: $sgpr58_sgpr59
	s_branch .LBB189_315
.LBB189_312:                            ;   in Loop: Header=BB189_315 Depth=2
	s_or_b64 exec, exec, s[60:61]
	s_waitcnt lgkmcnt(0)
	s_barrier
	ds_read_b128 v[4:7], v19 offset:3072
	s_waitcnt lgkmcnt(0)
	s_barrier
	v_cmp_neq_f64_e32 vcc, 0, v[4:5]
	s_cbranch_vccnz .LBB189_318
; %bb.313:                              ;   in Loop: Header=BB189_315 Depth=2
	v_add_co_u32_e32 v8, vcc, s33, v8
	v_addc_co_u32_e32 v9, vcc, 0, v9, vcc
	v_cmp_le_u64_e32 vcc, s[56:57], v[8:9]
	v_add_u32_e32 v10, s1, v10
	s_mov_b64 s[60:61], 0
	s_orn2_b64 s[64:65], vcc, exec
.LBB189_314:                            ;   in Loop: Header=BB189_315 Depth=2
	s_and_b64 s[64:65], exec, s[64:65]
	s_or_b64 s[8:9], s[64:65], s[8:9]
	s_andn2_b64 s[58:59], s[58:59], exec
	s_and_b64 s[60:61], s[60:61], exec
	s_or_b64 s[58:59], s[58:59], s[60:61]
	s_andn2_b64 exec, exec, s[8:9]
	s_cbranch_execz .LBB189_320
.LBB189_315:                            ;   Parent Loop BB189_31 Depth=1
                                        ; =>  This Inner Loop Header: Depth=2
	v_cmp_gt_u64_e32 vcc, s[10:11], v[8:9]
	s_and_saveexec_b64 s[60:61], vcc
	s_cbranch_execz .LBB189_312
; %bb.316:                              ;   in Loop: Header=BB189_315 Depth=2
	ds_read_b64 v[4:5], v10
	s_waitcnt lgkmcnt(0)
	v_cmp_o_f64_e32 vcc, v[4:5], v[4:5]
	v_ashrrev_i32_e32 v2, 31, v5
	v_or_b32_e32 v6, 0x80000000, v2
	v_xor_b32_e32 v6, v6, v5
	v_xor_b32_e32 v2, v2, v4
	v_cndmask_b32_e32 v6, -1, v6, vcc
	v_cndmask_b32_e32 v2, -1, v2, vcc
	v_and_b32_e32 v7, v6, v35
	v_and_b32_e32 v6, v2, v34
	v_cmp_eq_u64_e32 vcc, v[6:7], v[30:31]
	s_and_b64 exec, exec, vcc
	s_cbranch_execz .LBB189_312
; %bb.317:                              ;   in Loop: Header=BB189_315 Depth=2
	v_mov_b32_e32 v2, v19
	ds_write_b128 v19, v[2:5] offset:3072
	s_branch .LBB189_312
.LBB189_318:                            ;   in Loop: Header=BB189_315 Depth=2
	s_mov_b64 s[64:65], -1
                                        ; implicit-def: $vgpr8_vgpr9
                                        ; implicit-def: $vgpr10
	s_mov_b64 s[60:61], -1
	s_branch .LBB189_314
.LBB189_319:                            ;   in Loop: Header=BB189_31 Depth=1
	v_mov_b32_e32 v31, v13
	v_mov_b32_e32 v35, v15
	;; [unrolled: 1-line block ×3, first 2 shown]
	s_mov_b64 s[14:15], 0
	v_mov_b32_e32 v30, v12
	v_mov_b32_e32 v34, v14
	;; [unrolled: 1-line block ×3, first 2 shown]
	s_and_saveexec_b64 s[2:3], s[38:39]
	s_cbranch_execnz .LBB189_504
	s_branch .LBB189_505
.LBB189_320:                            ;   in Loop: Header=BB189_31 Depth=1
	s_or_b64 exec, exec, s[8:9]
	s_and_b64 s[8:9], s[58:59], exec
.LBB189_321:                            ;   in Loop: Header=BB189_31 Depth=1
	s_or_b64 exec, exec, s[20:21]
.LBB189_322:                            ;   in Loop: Header=BB189_31 Depth=1
	s_and_b64 vcc, exec, s[12:13]
	s_cbranch_vccz .LBB189_337
; %bb.323:                              ;   in Loop: Header=BB189_31 Depth=1
	v_readlane_b32 s56, v59, 29
	v_readlane_b32 s57, v59, 30
	s_mov_b32 s56, s55
	s_cmp_lg_u64 s[56:57], 0
	v_writelane_b32 v59, s56, 29
	v_writelane_b32 v59, s57, 30
	s_cbranch_scc0 .LBB189_366
; %bb.324:                              ;   in Loop: Header=BB189_31 Depth=1
	v_cvt_f32_u32_e32 v2, s33
	s_sub_u32 s12, 0, s33
	s_subb_u32 s13, 0, 0
	v_mac_f32_e32 v2, 0, v55
	v_rcp_f32_e32 v2, v2
	v_mul_f32_e32 v2, 0x5f7ffffc, v2
	v_mul_f32_e32 v4, 0x2f800000, v2
	v_trunc_f32_e32 v4, v4
	v_mac_f32_e32 v2, 0xcf800000, v4
	v_cvt_u32_f32_e32 v4, v4
	v_cvt_u32_f32_e32 v2, v2
	v_readfirstlane_b32 s14, v4
	v_readfirstlane_b32 s10, v2
	s_mul_i32 s11, s12, s14
	s_mul_hi_u32 s20, s12, s10
	s_mul_i32 s15, s13, s10
	s_add_i32 s11, s20, s11
	s_mul_i32 s21, s12, s10
	s_add_i32 s11, s11, s15
	s_mul_hi_u32 s20, s10, s21
	s_mul_i32 s52, s10, s11
	s_mul_hi_u32 s15, s10, s11
	s_add_u32 s20, s20, s52
	s_addc_u32 s15, 0, s15
	s_mul_hi_u32 s53, s14, s21
	s_mul_i32 s21, s14, s21
	s_add_u32 s20, s20, s21
	s_mul_hi_u32 s52, s14, s11
	s_addc_u32 s15, s15, s53
	s_addc_u32 s20, s52, 0
	s_mul_i32 s11, s14, s11
	s_add_u32 s11, s15, s11
	s_addc_u32 s15, 0, s20
	s_add_u32 s20, s10, s11
	s_cselect_b64 s[10:11], -1, 0
	s_cmp_lg_u64 s[10:11], 0
	s_addc_u32 s14, s14, s15
	s_mul_i32 s10, s12, s14
	s_mul_hi_u32 s11, s12, s20
	s_add_i32 s10, s11, s10
	s_mul_i32 s13, s13, s20
	s_add_i32 s10, s10, s13
	s_mul_i32 s12, s12, s20
	s_mul_hi_u32 s13, s14, s12
	s_mul_i32 s15, s14, s12
	s_mul_i32 s52, s20, s10
	s_mul_hi_u32 s12, s20, s12
	s_mul_hi_u32 s21, s20, s10
	s_add_u32 s12, s12, s52
	s_addc_u32 s21, 0, s21
	s_add_u32 s12, s12, s15
	s_mul_hi_u32 s11, s14, s10
	s_addc_u32 s12, s21, s13
	s_addc_u32 s11, s11, 0
	s_mul_i32 s10, s14, s10
	s_add_u32 s10, s12, s10
	s_addc_u32 s12, 0, s11
	s_add_u32 s13, s20, s10
	s_cselect_b64 s[10:11], -1, 0
	s_cmp_lg_u64 s[10:11], 0
	s_addc_u32 s10, s14, s12
	v_readlane_b32 s20, v59, 27
	s_mul_i32 s12, s20, s10
	s_mul_hi_u32 s14, s20, s13
	s_mul_hi_u32 s11, s20, s10
	s_add_u32 s12, s14, s12
	s_addc_u32 s11, 0, s11
	s_mul_hi_u32 s15, s57, s13
	s_mul_i32 s13, s57, s13
	s_add_u32 s12, s12, s13
	s_mul_hi_u32 s14, s57, s10
	s_addc_u32 s11, s11, s15
	s_addc_u32 s12, s14, 0
	s_mul_i32 s10, s57, s10
	s_add_u32 s10, s11, s10
	s_addc_u32 s11, 0, s12
	s_mul_i32 s11, s33, s11
	s_mul_hi_u32 s12, s33, s10
	s_add_i32 s12, s12, s11
	s_mul_i32 s10, s33, s10
	s_sub_u32 s13, s20, s10
	s_cselect_b64 s[10:11], -1, 0
	s_cmp_lg_u64 s[10:11], 0
	s_subb_u32 s12, s57, s12
	s_sub_u32 s14, s13, s33
	s_cselect_b64 s[10:11], -1, 0
	s_cmp_lg_u64 s[10:11], 0
	s_subb_u32 s15, s12, 0
	s_sub_u32 s20, s14, s33
	s_cselect_b64 s[10:11], -1, 0
	s_cmp_lg_u64 s[10:11], 0
	s_subb_u32 s10, s15, 0
	s_cmp_ge_u32 s14, s33
	s_cselect_b32 s11, -1, 0
	s_cmp_eq_u32 s15, 0
	s_cselect_b32 s11, s11, -1
	s_cmp_lg_u32 s11, 0
	s_cselect_b32 s10, s10, s15
	s_cselect_b32 s14, s20, s14
	s_cmp_ge_u32 s13, s33
	s_cselect_b32 s11, -1, 0
	s_cmp_eq_u32 s12, 0
	s_cselect_b32 s11, s11, -1
	s_cmp_lg_u32 s11, 0
	s_cselect_b32 s11, s10, s12
	s_cselect_b32 s10, s14, s13
	s_cbranch_execnz .LBB189_326
.LBB189_325:                            ;   in Loop: Header=BB189_31 Depth=1
	v_cvt_f32_u32_e32 v2, s33
	s_sub_i32 s10, 0, s33
	v_readlane_b32 s12, v59, 27
	v_rcp_iflag_f32_e32 v2, v2
	v_mul_f32_e32 v2, 0x4f7ffffe, v2
	v_cvt_u32_f32_e32 v2, v2
	v_readfirstlane_b32 s11, v2
	s_mul_i32 s10, s10, s11
	s_mul_hi_u32 s10, s11, s10
	s_add_i32 s11, s11, s10
	s_mul_hi_u32 s10, s12, s11
	s_mul_i32 s10, s10, s33
	s_sub_i32 s10, s12, s10
	s_sub_i32 s11, s10, s33
	s_cmp_ge_u32 s10, s33
	s_cselect_b32 s10, s11, s10
	s_sub_i32 s11, s10, s33
	s_cmp_ge_u32 s10, s33
	s_cselect_b32 s54, s11, s10
	s_mov_b64 s[10:11], s[54:55]
.LBB189_326:                            ;   in Loop: Header=BB189_31 Depth=1
	v_readlane_b32 s12, v59, 27
	v_readlane_b32 s14, v59, 29
	s_sub_u32 s12, s12, s10
	v_readlane_b32 s15, v59, 30
	s_subb_u32 s13, s15, s11
	v_cmp_gt_u64_e32 vcc, s[12:13], v[0:1]
                                        ; implicit-def: $vgpr6_vgpr7
	s_and_saveexec_b64 s[10:11], vcc
	s_cbranch_execz .LBB189_336
; %bb.327:                              ;   in Loop: Header=BB189_31 Depth=1
	v_mov_b32_e32 v8, v32
	v_mov_b32_e32 v11, v1
	s_mov_b64 s[20:21], 0
	v_mov_b32_e32 v9, v33
	v_mov_b32_e32 v10, v0
                                        ; implicit-def: $sgpr14_sgpr15
	s_branch .LBB189_331
.LBB189_328:                            ;   in Loop: Header=BB189_331 Depth=2
	s_or_b64 exec, exec, s[52:53]
	s_waitcnt lgkmcnt(0)
	s_barrier
	ds_read_b128 v[4:7], v19 offset:3072
	s_waitcnt lgkmcnt(0)
	s_barrier
	v_cmp_neq_f64_e32 vcc, 0, v[4:5]
	s_cbranch_vccnz .LBB189_334
; %bb.329:                              ;   in Loop: Header=BB189_331 Depth=2
	v_add_co_u32_e32 v10, vcc, s33, v10
	v_addc_co_u32_e32 v11, vcc, 0, v11, vcc
	v_mov_b32_e32 v2, s31
	v_add_co_u32_e32 v8, vcc, s30, v8
	v_addc_co_u32_e32 v9, vcc, v9, v2, vcc
	v_cmp_le_u64_e32 vcc, s[12:13], v[10:11]
	s_mov_b64 s[52:53], 0
	s_orn2_b64 s[56:57], vcc, exec
.LBB189_330:                            ;   in Loop: Header=BB189_331 Depth=2
	s_and_b64 s[56:57], exec, s[56:57]
	s_or_b64 s[20:21], s[56:57], s[20:21]
	s_andn2_b64 s[14:15], s[14:15], exec
	s_and_b64 s[52:53], s[52:53], exec
	s_or_b64 s[14:15], s[14:15], s[52:53]
	s_andn2_b64 exec, exec, s[20:21]
	s_cbranch_execz .LBB189_335
.LBB189_331:                            ;   Parent Loop BB189_31 Depth=1
                                        ; =>  This Inner Loop Header: Depth=2
	v_cmp_gt_u64_e32 vcc, s[24:25], v[10:11]
	s_and_saveexec_b64 s[52:53], vcc
	s_cbranch_execz .LBB189_328
; %bb.332:                              ;   in Loop: Header=BB189_331 Depth=2
	global_load_dwordx2 v[4:5], v[8:9], off
	s_waitcnt vmcnt(0)
	v_cmp_o_f64_e32 vcc, v[4:5], v[4:5]
	v_ashrrev_i32_e32 v2, 31, v5
	v_or_b32_e32 v6, 0x80000000, v2
	v_xor_b32_e32 v6, v6, v5
	v_xor_b32_e32 v2, v2, v4
	v_cndmask_b32_e32 v6, -1, v6, vcc
	v_cndmask_b32_e32 v2, -1, v2, vcc
	v_and_b32_e32 v7, v6, v35
	v_and_b32_e32 v6, v2, v34
	v_cmp_eq_u64_e32 vcc, v[6:7], v[30:31]
	s_and_b64 exec, exec, vcc
	s_cbranch_execz .LBB189_328
; %bb.333:                              ;   in Loop: Header=BB189_331 Depth=2
	v_mov_b32_e32 v2, v19
	ds_write_b128 v19, v[2:5] offset:3072
	s_branch .LBB189_328
.LBB189_334:                            ;   in Loop: Header=BB189_331 Depth=2
	s_mov_b64 s[56:57], -1
                                        ; implicit-def: $vgpr10_vgpr11
                                        ; implicit-def: $vgpr8_vgpr9
	s_mov_b64 s[52:53], -1
	s_branch .LBB189_330
.LBB189_335:                            ;   in Loop: Header=BB189_31 Depth=1
	s_or_b64 exec, exec, s[20:21]
	s_andn2_b64 s[8:9], s[8:9], exec
	s_and_b64 s[12:13], s[14:15], exec
	s_or_b64 s[8:9], s[8:9], s[12:13]
.LBB189_336:                            ;   in Loop: Header=BB189_31 Depth=1
	s_or_b64 exec, exec, s[10:11]
	s_mov_b64 s[52:53], 0
	s_mov_b64 s[14:15], -1
.LBB189_337:                            ;   in Loop: Header=BB189_31 Depth=1
	s_orn2_b64 s[8:9], s[8:9], exec
.LBB189_338:                            ;   in Loop: Header=BB189_31 Depth=1
	s_or_b64 exec, exec, s[6:7]
                                        ; implicit-def: $vgpr38_vgpr39
                                        ; implicit-def: $vgpr44
	s_and_saveexec_b64 s[20:21], s[8:9]
	s_cbranch_execz .LBB189_503
; %bb.339:                              ;   in Loop: Header=BB189_31 Depth=1
	v_mov_b32_e32 v38, 1
	s_xor_b64 s[8:9], s[4:5], -1
	v_mov_b32_e32 v44, 1
	v_mov_b32_e32 v39, 0
	s_mov_b64 s[6:7], 0
	s_and_saveexec_b64 s[4:5], s[8:9]
	s_cbranch_execz .LBB189_348
; %bb.340:                              ;   in Loop: Header=BB189_31 Depth=1
	v_cmp_ge_u64_e32 vcc, s[70:71], v[36:37]
	s_and_saveexec_b64 s[6:7], vcc
	s_xor_b64 s[6:7], exec, s[6:7]
	s_cbranch_execz .LBB189_345
; %bb.341:                              ;   in Loop: Header=BB189_31 Depth=1
	ds_read_b64 v[4:5], v19 offset:5120
	v_or_b32_e32 v31, s19, v31
	v_or_b32_e32 v30, s18, v30
	;; [unrolled: 1-line block ×4, first 2 shown]
	s_waitcnt lgkmcnt(0)
	v_cmp_ne_u64_e32 vcc, 0, v[4:5]
	s_cbranch_vccnz .LBB189_345
; %bb.342:                              ;   in Loop: Header=BB189_31 Depth=1
	s_mov_b64 s[8:9], exec
	v_readlane_b32 s10, v59, 8
	v_readlane_b32 s11, v59, 9
	s_and_b64 s[10:11], s[8:9], s[10:11]
	s_mov_b64 exec, s[10:11]
; %bb.343:                              ;   in Loop: Header=BB189_31 Depth=1
	v_mov_b32_e32 v4, s70
	v_mov_b32_e32 v5, s71
	ds_write_b64 v19, v[4:5] offset:5128
; %bb.344:                              ;   in Loop: Header=BB189_31 Depth=1
	s_or_b64 exec, exec, s[8:9]
	s_waitcnt lgkmcnt(0)
	s_barrier
.LBB189_345:                            ;   in Loop: Header=BB189_31 Depth=1
	s_or_saveexec_b64 s[6:7], s[6:7]
	s_mov_b64 s[8:9], 0
	v_mov_b32_e32 v44, 5
	s_xor_b64 exec, exec, s[6:7]
; %bb.346:                              ;   in Loop: Header=BB189_31 Depth=1
	v_subrev_co_u32_e32 v36, vcc, s70, v36
	v_mov_b32_e32 v2, s71
	v_subb_co_u32_e32 v37, vcc, v37, v2, vcc
	v_mov_b32_e32 v44, 0
	s_mov_b64 s[8:9], exec
; %bb.347:                              ;   in Loop: Header=BB189_31 Depth=1
	s_or_b64 exec, exec, s[6:7]
	v_mov_b32_e32 v39, v37
	s_and_b64 s[6:7], s[8:9], exec
	v_mov_b32_e32 v38, v36
.LBB189_348:                            ;   in Loop: Header=BB189_31 Depth=1
	s_or_b64 exec, exec, s[4:5]
	s_mov_b64 s[4:5], -1
                                        ; implicit-def: $sgpr8_sgpr9
                                        ; implicit-def: $sgpr66_sgpr67
	s_and_saveexec_b64 s[10:11], s[6:7]
	s_xor_b64 s[6:7], exec, s[10:11]
	s_cbranch_execz .LBB189_500
; %bb.349:                              ;   in Loop: Header=BB189_31 Depth=1
	s_cmp_eq_u64 s[2:3], 1
	v_cmp_eq_u64_e32 vcc, 1, v[38:39]
	s_cselect_b64 s[4:5], -1, 0
	s_and_b64 s[4:5], s[4:5], vcc
	s_mov_b64 s[12:13], -1
                                        ; implicit-def: $sgpr66_sgpr67
                                        ; implicit-def: $sgpr8_sgpr9
	s_and_saveexec_b64 s[10:11], s[4:5]
	s_cbranch_execz .LBB189_385
; %bb.350:                              ;   in Loop: Header=BB189_31 Depth=1
	ds_read_b64 v[4:5], v19 offset:5120
	s_waitcnt lgkmcnt(0)
	s_barrier
	v_readfirstlane_b32 s60, v4
	v_readfirstlane_b32 s61, v5
	s_mov_b64 s[8:9], exec
	v_readlane_b32 s12, v59, 22
	v_readlane_b32 s13, v59, 23
	s_and_b64 s[12:13], s[8:9], s[12:13]
	s_mov_b64 exec, s[12:13]
; %bb.351:                              ;   in Loop: Header=BB189_31 Depth=1
	v_mov_b32_e32 v18, v19
	ds_write_b64 v54, v[18:19]
; %bb.352:                              ;   in Loop: Header=BB189_31 Depth=1
	s_or_b64 exec, exec, s[8:9]
	s_lshl_b64 s[8:9], 2, s88
	v_and_b32_e32 v2, s51, v31
	v_and_b32_e32 v4, s50, v30
	v_or_b32_e32 v31, s9, v2
	v_or_b32_e32 v30, s8, v4
	;; [unrolled: 1-line block ×4, first 2 shown]
	s_mov_b64 s[8:9], -1
	s_mov_b64 s[66:67], 0
	s_cmp_eq_u64 s[60:61], 0
	s_mov_b64 s[12:13], 0
	s_mov_b64 s[56:57], -1
	s_waitcnt lgkmcnt(0)
	s_barrier
                                        ; implicit-def: $vgpr6_vgpr7
	s_cbranch_scc1 .LBB189_369
; %bb.353:                              ;   in Loop: Header=BB189_31 Depth=1
	v_readlane_b32 s12, v59, 26
	s_add_u32 s64, s60, s12
	v_readlane_b32 s12, v59, 28
	s_addc_u32 s13, s61, s12
	s_mov_b32 s12, s55
	s_cmp_lg_u64 s[12:13], 0
	s_cbranch_scc0 .LBB189_412
; %bb.354:                              ;   in Loop: Header=BB189_31 Depth=1
	v_cvt_f32_u32_e32 v2, s33
	s_sub_u32 s12, 0, s33
	s_subb_u32 s54, 0, 0
	v_mac_f32_e32 v2, 0, v55
	v_rcp_f32_e32 v2, v2
	v_mul_f32_e32 v2, 0x5f7ffffc, v2
	v_mul_f32_e32 v4, 0x2f800000, v2
	v_trunc_f32_e32 v4, v4
	v_mac_f32_e32 v2, 0xcf800000, v4
	v_cvt_u32_f32_e32 v4, v4
	v_cvt_u32_f32_e32 v2, v2
	v_readfirstlane_b32 s58, v4
	v_readfirstlane_b32 s56, v2
	s_mul_i32 s57, s12, s58
	s_mul_hi_u32 s65, s12, s56
	s_mul_i32 s59, s54, s56
	s_add_i32 s57, s65, s57
	s_mul_i32 s68, s12, s56
	s_add_i32 s57, s57, s59
	s_mul_hi_u32 s65, s56, s68
	s_mul_i32 s69, s56, s57
	s_mul_hi_u32 s59, s56, s57
	s_add_u32 s65, s65, s69
	s_addc_u32 s59, 0, s59
	s_mul_hi_u32 s70, s58, s68
	s_mul_i32 s68, s58, s68
	s_add_u32 s65, s65, s68
	s_mul_hi_u32 s69, s58, s57
	s_addc_u32 s59, s59, s70
	s_addc_u32 s65, s69, 0
	s_mul_i32 s57, s58, s57
	s_add_u32 s57, s59, s57
	s_addc_u32 s59, 0, s65
	s_add_u32 s65, s56, s57
	s_cselect_b64 s[56:57], -1, 0
	s_cmp_lg_u64 s[56:57], 0
	s_addc_u32 s58, s58, s59
	s_mul_i32 s56, s12, s58
	s_mul_hi_u32 s57, s12, s65
	s_add_i32 s56, s57, s56
	s_mul_i32 s54, s54, s65
	s_add_i32 s56, s56, s54
	s_mul_i32 s12, s12, s65
	s_mul_hi_u32 s57, s58, s12
	s_mul_i32 s59, s58, s12
	s_mul_i32 s69, s65, s56
	s_mul_hi_u32 s12, s65, s12
	s_mul_hi_u32 s68, s65, s56
	s_add_u32 s12, s12, s69
	s_addc_u32 s68, 0, s68
	s_add_u32 s12, s12, s59
	s_mul_hi_u32 s54, s58, s56
	s_addc_u32 s12, s68, s57
	s_addc_u32 s54, s54, 0
	s_mul_i32 s56, s58, s56
	s_add_u32 s12, s12, s56
	s_addc_u32 s54, 0, s54
	s_add_u32 s12, s65, s12
	s_cselect_b64 s[56:57], -1, 0
	s_cmp_lg_u64 s[56:57], 0
	s_addc_u32 s54, s58, s54
	s_mul_i32 s57, s64, s54
	s_mul_hi_u32 s58, s64, s12
	s_mul_hi_u32 s56, s64, s54
	s_add_u32 s57, s58, s57
	s_addc_u32 s56, 0, s56
	s_mul_hi_u32 s59, s13, s12
	s_mul_i32 s12, s13, s12
	s_add_u32 s12, s57, s12
	s_mul_hi_u32 s58, s13, s54
	s_addc_u32 s12, s56, s59
	s_addc_u32 s56, s58, 0
	s_mul_i32 s54, s13, s54
	s_add_u32 s12, s12, s54
	s_addc_u32 s54, 0, s56
	s_mul_i32 s54, s33, s54
	s_mul_hi_u32 s56, s33, s12
	s_add_i32 s54, s56, s54
	s_mul_i32 s12, s33, s12
	s_sub_u32 s12, s64, s12
	s_cselect_b64 s[56:57], -1, 0
	s_cmp_lg_u64 s[56:57], 0
	s_subb_u32 s54, s13, s54
	s_sub_u32 s58, s12, s33
	s_cselect_b64 s[56:57], -1, 0
	s_cmp_lg_u64 s[56:57], 0
	s_subb_u32 s59, s54, 0
	;; [unrolled: 4-line block ×3, first 2 shown]
	s_cmp_ge_u32 s58, s33
	s_cselect_b32 s57, -1, 0
	s_cmp_eq_u32 s59, 0
	s_cselect_b32 s57, s57, -1
	s_cmp_lg_u32 s57, 0
	s_cselect_b32 s56, s56, s59
	s_cselect_b32 s58, s65, s58
	s_cmp_ge_u32 s12, s33
	s_cselect_b32 s57, -1, 0
	s_cmp_eq_u32 s54, 0
	s_cselect_b32 s57, s57, -1
	s_cmp_lg_u32 s57, 0
	s_cselect_b32 s57, s56, s54
	s_cselect_b32 s56, s58, s12
	s_cbranch_execnz .LBB189_356
.LBB189_355:                            ;   in Loop: Header=BB189_31 Depth=1
	v_cvt_f32_u32_e32 v2, s33
	s_sub_i32 s12, 0, s33
	v_rcp_iflag_f32_e32 v2, v2
	v_mul_f32_e32 v2, 0x4f7ffffe, v2
	v_cvt_u32_f32_e32 v2, v2
	v_readfirstlane_b32 s54, v2
	s_mul_i32 s12, s12, s54
	s_mul_hi_u32 s12, s54, s12
	s_add_i32 s54, s54, s12
	s_mul_hi_u32 s12, s64, s54
	s_mul_i32 s12, s12, s33
	s_sub_i32 s12, s64, s12
	s_sub_i32 s54, s12, s33
	s_cmp_ge_u32 s12, s33
	s_cselect_b32 s12, s54, s12
	s_sub_i32 s54, s12, s33
	s_cmp_ge_u32 s12, s33
	s_cselect_b32 s54, s54, s12
	s_mov_b64 s[56:57], s[54:55]
.LBB189_356:                            ;   in Loop: Header=BB189_31 Depth=1
	s_sub_u32 s64, s64, s56
	s_subb_u32 s65, s13, s57
	v_cmp_gt_u64_e32 vcc, s[64:65], v[0:1]
	s_mov_b64 s[56:57], 0
	s_mov_b64 s[12:13], 0
                                        ; implicit-def: $vgpr6_vgpr7
	s_and_saveexec_b64 s[58:59], vcc
	s_cbranch_execz .LBB189_368
; %bb.357:                              ;   in Loop: Header=BB189_31 Depth=1
	v_mov_b32_e32 v9, v1
	v_mov_b32_e32 v10, v50
	;; [unrolled: 1-line block ×3, first 2 shown]
                                        ; implicit-def: $sgpr68_sgpr69
	s_branch .LBB189_361
.LBB189_358:                            ;   in Loop: Header=BB189_361 Depth=2
	s_or_b64 exec, exec, s[70:71]
	s_waitcnt lgkmcnt(0)
	s_barrier
	ds_read_b128 v[4:7], v19 offset:3072
	s_waitcnt lgkmcnt(0)
	s_barrier
	v_cmp_neq_f64_e32 vcc, 0, v[4:5]
	s_cbranch_vccnz .LBB189_364
; %bb.359:                              ;   in Loop: Header=BB189_361 Depth=2
	v_add_co_u32_e32 v8, vcc, s33, v8
	v_addc_co_u32_e32 v9, vcc, 0, v9, vcc
	v_cmp_le_u64_e32 vcc, s[64:65], v[8:9]
	v_add_u32_e32 v10, s1, v10
	s_mov_b64 s[70:71], 0
	s_orn2_b64 s[72:73], vcc, exec
.LBB189_360:                            ;   in Loop: Header=BB189_361 Depth=2
	s_and_b64 s[72:73], exec, s[72:73]
	s_or_b64 s[12:13], s[72:73], s[12:13]
	s_andn2_b64 s[68:69], s[68:69], exec
	s_and_b64 s[70:71], s[70:71], exec
	s_or_b64 s[68:69], s[68:69], s[70:71]
	s_andn2_b64 exec, exec, s[12:13]
	s_cbranch_execz .LBB189_367
.LBB189_361:                            ;   Parent Loop BB189_31 Depth=1
                                        ; =>  This Inner Loop Header: Depth=2
	v_cmp_gt_u64_e32 vcc, s[60:61], v[8:9]
	s_and_saveexec_b64 s[70:71], vcc
	s_cbranch_execz .LBB189_358
; %bb.362:                              ;   in Loop: Header=BB189_361 Depth=2
	ds_read_b64 v[4:5], v10
	s_waitcnt lgkmcnt(0)
	v_cmp_o_f64_e32 vcc, v[4:5], v[4:5]
	v_ashrrev_i32_e32 v2, 31, v5
	v_or_b32_e32 v6, 0x80000000, v2
	v_xor_b32_e32 v6, v6, v5
	v_xor_b32_e32 v2, v2, v4
	v_cndmask_b32_e32 v6, -1, v6, vcc
	v_cndmask_b32_e32 v2, -1, v2, vcc
	v_and_b32_e32 v7, v6, v35
	v_and_b32_e32 v6, v2, v34
	v_cmp_eq_u64_e32 vcc, v[6:7], v[30:31]
	s_and_b64 exec, exec, vcc
	s_cbranch_execz .LBB189_358
; %bb.363:                              ;   in Loop: Header=BB189_361 Depth=2
	v_mov_b32_e32 v2, v19
	ds_write_b128 v19, v[2:5] offset:3072
	s_branch .LBB189_358
.LBB189_364:                            ;   in Loop: Header=BB189_361 Depth=2
	s_mov_b64 s[72:73], -1
                                        ; implicit-def: $vgpr8_vgpr9
                                        ; implicit-def: $vgpr10
	s_mov_b64 s[70:71], -1
	s_branch .LBB189_360
.LBB189_365:                            ;   in Loop: Header=BB189_31 Depth=1
                                        ; implicit-def: $sgpr12_sgpr13
	s_branch .LBB189_309
.LBB189_366:                            ;   in Loop: Header=BB189_31 Depth=1
                                        ; implicit-def: $sgpr10_sgpr11
	s_branch .LBB189_325
.LBB189_367:                            ;   in Loop: Header=BB189_31 Depth=1
	s_or_b64 exec, exec, s[12:13]
	v_readlane_b32 s72, v59, 46
	s_and_b64 s[12:13], s[68:69], exec
	v_readlane_b32 s73, v59, 47
.LBB189_368:                            ;   in Loop: Header=BB189_31 Depth=1
	s_or_b64 exec, exec, s[58:59]
.LBB189_369:                            ;   in Loop: Header=BB189_31 Depth=1
	s_and_b64 vcc, exec, s[56:57]
	s_cbranch_vccz .LBB189_384
; %bb.370:                              ;   in Loop: Header=BB189_31 Depth=1
	v_readlane_b32 s64, v59, 29
	v_readlane_b32 s65, v59, 30
	s_mov_b32 s64, s55
	s_cmp_lg_u64 s[64:65], 0
	v_writelane_b32 v59, s64, 29
	v_writelane_b32 v59, s65, 30
	s_cbranch_scc0 .LBB189_413
; %bb.371:                              ;   in Loop: Header=BB189_31 Depth=1
	v_cvt_f32_u32_e32 v2, s33
	s_sub_u32 s54, 0, s33
	s_subb_u32 s56, 0, 0
	v_mac_f32_e32 v2, 0, v55
	v_rcp_f32_e32 v2, v2
	v_mul_f32_e32 v2, 0x5f7ffffc, v2
	v_mul_f32_e32 v4, 0x2f800000, v2
	v_trunc_f32_e32 v4, v4
	v_mac_f32_e32 v2, 0xcf800000, v4
	v_cvt_u32_f32_e32 v4, v4
	v_cvt_u32_f32_e32 v2, v2
	v_readfirstlane_b32 s57, v4
	v_readfirstlane_b32 s8, v2
	s_mul_i32 s9, s54, s57
	s_mul_hi_u32 s59, s54, s8
	s_mul_i32 s58, s56, s8
	s_add_i32 s9, s59, s9
	s_mul_i32 s60, s54, s8
	s_add_i32 s9, s9, s58
	s_mul_hi_u32 s59, s8, s60
	s_mul_i32 s61, s8, s9
	s_mul_hi_u32 s58, s8, s9
	s_add_u32 s59, s59, s61
	s_addc_u32 s58, 0, s58
	s_mul_hi_u32 s64, s57, s60
	s_mul_i32 s60, s57, s60
	s_add_u32 s59, s59, s60
	s_mul_hi_u32 s61, s57, s9
	s_addc_u32 s58, s58, s64
	s_addc_u32 s59, s61, 0
	s_mul_i32 s9, s57, s9
	s_add_u32 s9, s58, s9
	s_addc_u32 s58, 0, s59
	s_add_u32 s59, s8, s9
	s_cselect_b64 s[8:9], -1, 0
	s_cmp_lg_u64 s[8:9], 0
	s_addc_u32 s57, s57, s58
	s_mul_i32 s8, s54, s57
	s_mul_hi_u32 s9, s54, s59
	s_add_i32 s8, s9, s8
	s_mul_i32 s56, s56, s59
	s_add_i32 s8, s8, s56
	s_mul_i32 s54, s54, s59
	s_mul_hi_u32 s56, s57, s54
	s_mul_i32 s58, s57, s54
	s_mul_i32 s61, s59, s8
	s_mul_hi_u32 s54, s59, s54
	s_mul_hi_u32 s60, s59, s8
	s_add_u32 s54, s54, s61
	s_addc_u32 s60, 0, s60
	s_add_u32 s54, s54, s58
	s_mul_hi_u32 s9, s57, s8
	s_addc_u32 s54, s60, s56
	s_addc_u32 s9, s9, 0
	s_mul_i32 s8, s57, s8
	s_add_u32 s8, s54, s8
	s_addc_u32 s54, 0, s9
	s_add_u32 s56, s59, s8
	s_cselect_b64 s[8:9], -1, 0
	s_cmp_lg_u64 s[8:9], 0
	s_addc_u32 s8, s57, s54
	v_readlane_b32 s59, v59, 27
	s_mul_i32 s54, s59, s8
	s_mul_hi_u32 s57, s59, s56
	s_mul_hi_u32 s9, s59, s8
	s_add_u32 s54, s57, s54
	s_addc_u32 s9, 0, s9
	s_mul_hi_u32 s58, s65, s56
	s_mul_i32 s56, s65, s56
	s_add_u32 s54, s54, s56
	s_mul_hi_u32 s57, s65, s8
	s_addc_u32 s9, s9, s58
	s_addc_u32 s54, s57, 0
	s_mul_i32 s8, s65, s8
	s_add_u32 s8, s9, s8
	s_addc_u32 s9, 0, s54
	s_mul_i32 s9, s33, s9
	s_mul_hi_u32 s54, s33, s8
	s_add_i32 s54, s54, s9
	s_mul_i32 s8, s33, s8
	s_sub_u32 s56, s59, s8
	s_cselect_b64 s[8:9], -1, 0
	s_cmp_lg_u64 s[8:9], 0
	s_subb_u32 s54, s65, s54
	s_sub_u32 s57, s56, s33
	s_cselect_b64 s[8:9], -1, 0
	s_cmp_lg_u64 s[8:9], 0
	s_subb_u32 s58, s54, 0
	;; [unrolled: 4-line block ×3, first 2 shown]
	s_cmp_ge_u32 s57, s33
	s_cselect_b32 s9, -1, 0
	s_cmp_eq_u32 s58, 0
	s_cselect_b32 s9, s9, -1
	s_cmp_lg_u32 s9, 0
	s_cselect_b32 s8, s8, s58
	s_cselect_b32 s57, s59, s57
	s_cmp_ge_u32 s56, s33
	s_cselect_b32 s9, -1, 0
	s_cmp_eq_u32 s54, 0
	s_cselect_b32 s9, s9, -1
	s_cmp_lg_u32 s9, 0
	s_cselect_b32 s9, s8, s54
	s_cselect_b32 s8, s57, s56
	s_cbranch_execnz .LBB189_373
.LBB189_372:                            ;   in Loop: Header=BB189_31 Depth=1
	v_cvt_f32_u32_e32 v2, s33
	s_sub_i32 s8, 0, s33
	v_readlane_b32 s54, v59, 27
	v_rcp_iflag_f32_e32 v2, v2
	v_mul_f32_e32 v2, 0x4f7ffffe, v2
	v_cvt_u32_f32_e32 v2, v2
	v_readfirstlane_b32 s9, v2
	s_mul_i32 s8, s8, s9
	s_mul_hi_u32 s8, s9, s8
	s_add_i32 s9, s9, s8
	s_mul_hi_u32 s8, s54, s9
	s_mul_i32 s8, s8, s33
	s_sub_i32 s8, s54, s8
	s_sub_i32 s9, s8, s33
	s_cmp_ge_u32 s8, s33
	s_cselect_b32 s8, s9, s8
	s_sub_i32 s9, s8, s33
	s_cmp_ge_u32 s8, s33
	s_cselect_b32 s54, s9, s8
	s_mov_b64 s[8:9], s[54:55]
.LBB189_373:                            ;   in Loop: Header=BB189_31 Depth=1
	v_readlane_b32 s54, v59, 27
	v_readlane_b32 s58, v59, 29
	s_sub_u32 s56, s54, s8
	v_readlane_b32 s59, v59, 30
	s_subb_u32 s57, s59, s9
	v_cmp_gt_u64_e32 vcc, s[56:57], v[0:1]
                                        ; implicit-def: $vgpr6_vgpr7
	s_and_saveexec_b64 s[8:9], vcc
	s_cbranch_execz .LBB189_383
; %bb.374:                              ;   in Loop: Header=BB189_31 Depth=1
	v_mov_b32_e32 v8, v32
	v_mov_b32_e32 v11, v1
	s_mov_b64 s[58:59], 0
	v_mov_b32_e32 v9, v33
	v_mov_b32_e32 v10, v0
                                        ; implicit-def: $sgpr60_sgpr61
	s_branch .LBB189_378
.LBB189_375:                            ;   in Loop: Header=BB189_378 Depth=2
	s_or_b64 exec, exec, s[64:65]
	s_waitcnt lgkmcnt(0)
	s_barrier
	ds_read_b128 v[4:7], v19 offset:3072
	s_waitcnt lgkmcnt(0)
	s_barrier
	v_cmp_eq_f64_e32 vcc, 0, v[4:5]
	s_cbranch_vccz .LBB189_381
; %bb.376:                              ;   in Loop: Header=BB189_378 Depth=2
	v_add_co_u32_e32 v10, vcc, s33, v10
	v_addc_co_u32_e32 v11, vcc, 0, v11, vcc
	v_mov_b32_e32 v2, s31
	v_add_co_u32_e32 v8, vcc, s30, v8
	v_addc_co_u32_e32 v9, vcc, v9, v2, vcc
	v_cmp_le_u64_e32 vcc, s[56:57], v[10:11]
	s_mov_b64 s[64:65], 0
	s_orn2_b64 s[66:67], vcc, exec
.LBB189_377:                            ;   in Loop: Header=BB189_378 Depth=2
	s_and_b64 s[66:67], exec, s[66:67]
	s_or_b64 s[58:59], s[66:67], s[58:59]
	s_andn2_b64 s[60:61], s[60:61], exec
	s_and_b64 s[64:65], s[64:65], exec
	s_or_b64 s[60:61], s[60:61], s[64:65]
	s_andn2_b64 exec, exec, s[58:59]
	s_cbranch_execz .LBB189_382
.LBB189_378:                            ;   Parent Loop BB189_31 Depth=1
                                        ; =>  This Inner Loop Header: Depth=2
	v_cmp_gt_u64_e32 vcc, s[24:25], v[10:11]
	s_and_saveexec_b64 s[64:65], vcc
	s_cbranch_execz .LBB189_375
; %bb.379:                              ;   in Loop: Header=BB189_378 Depth=2
	global_load_dwordx2 v[4:5], v[8:9], off
	s_waitcnt vmcnt(0)
	v_cmp_o_f64_e32 vcc, v[4:5], v[4:5]
	v_ashrrev_i32_e32 v2, 31, v5
	v_or_b32_e32 v6, 0x80000000, v2
	v_xor_b32_e32 v6, v6, v5
	v_xor_b32_e32 v2, v2, v4
	v_cndmask_b32_e32 v6, -1, v6, vcc
	v_cndmask_b32_e32 v2, -1, v2, vcc
	v_and_b32_e32 v7, v6, v35
	v_and_b32_e32 v6, v2, v34
	v_cmp_eq_u64_e32 vcc, v[6:7], v[30:31]
	s_and_b64 exec, exec, vcc
	s_cbranch_execz .LBB189_375
; %bb.380:                              ;   in Loop: Header=BB189_378 Depth=2
	v_mov_b32_e32 v2, v19
	ds_write_b128 v19, v[2:5] offset:3072
	s_branch .LBB189_375
.LBB189_381:                            ;   in Loop: Header=BB189_378 Depth=2
	s_mov_b64 s[66:67], -1
                                        ; implicit-def: $vgpr10_vgpr11
                                        ; implicit-def: $vgpr8_vgpr9
	s_mov_b64 s[64:65], -1
	s_branch .LBB189_377
.LBB189_382:                            ;   in Loop: Header=BB189_31 Depth=1
	s_or_b64 exec, exec, s[58:59]
	s_andn2_b64 s[12:13], s[12:13], exec
	s_and_b64 s[56:57], s[60:61], exec
	s_or_b64 s[12:13], s[12:13], s[56:57]
.LBB189_383:                            ;   in Loop: Header=BB189_31 Depth=1
	s_or_b64 exec, exec, s[8:9]
	s_mov_b64 s[8:9], 0
	s_mov_b64 s[66:67], -1
.LBB189_384:                            ;   in Loop: Header=BB189_31 Depth=1
	s_orn2_b64 s[12:13], s[12:13], exec
.LBB189_385:                            ;   in Loop: Header=BB189_31 Depth=1
	s_or_b64 exec, exec, s[10:11]
	s_mov_b64 s[10:11], 0
	s_and_saveexec_b64 s[68:69], s[12:13]
	s_cbranch_execz .LBB189_499
; %bb.386:                              ;   in Loop: Header=BB189_31 Depth=1
	v_mov_b32_e32 v8, 1
	s_xor_b64 s[12:13], s[4:5], -1
	v_mov_b32_e32 v44, 1
	v_mov_b32_e32 v9, 0
	s_and_saveexec_b64 s[4:5], s[12:13]
	s_cbranch_execz .LBB189_395
; %bb.387:                              ;   in Loop: Header=BB189_31 Depth=1
	v_cmp_ge_u64_e32 vcc, s[2:3], v[38:39]
	s_and_saveexec_b64 s[10:11], vcc
	s_xor_b64 s[10:11], exec, s[10:11]
	s_cbranch_execz .LBB189_392
; %bb.388:                              ;   in Loop: Header=BB189_31 Depth=1
	s_lshl_b64 s[12:13], 2, s88
	v_and_b32_e32 v4, s50, v30
	v_or_b32_e32 v30, s12, v4
	ds_read_b64 v[4:5], v19 offset:5120
	v_and_b32_e32 v2, s51, v31
	v_or_b32_e32 v31, s13, v2
	v_or_b32_e32 v35, s19, v35
	v_or_b32_e32 v34, s18, v34
	s_waitcnt lgkmcnt(0)
	v_cmp_ne_u64_e32 vcc, 0, v[4:5]
	s_cbranch_vccnz .LBB189_392
; %bb.389:                              ;   in Loop: Header=BB189_31 Depth=1
	s_mov_b64 s[12:13], exec
	v_readlane_b32 s56, v59, 8
	v_readlane_b32 s57, v59, 9
	s_and_b64 s[56:57], s[12:13], s[56:57]
	s_mov_b64 exec, s[56:57]
; %bb.390:                              ;   in Loop: Header=BB189_31 Depth=1
	v_mov_b32_e32 v5, s3
	v_mov_b32_e32 v4, s2
	ds_write_b64 v19, v[4:5] offset:5128
; %bb.391:                              ;   in Loop: Header=BB189_31 Depth=1
	s_or_b64 exec, exec, s[12:13]
	s_waitcnt lgkmcnt(0)
	s_barrier
.LBB189_392:                            ;   in Loop: Header=BB189_31 Depth=1
	s_or_saveexec_b64 s[10:11], s[10:11]
	s_mov_b64 s[12:13], 0
	v_mov_b32_e32 v44, 5
	s_xor_b64 exec, exec, s[10:11]
; %bb.393:                              ;   in Loop: Header=BB189_31 Depth=1
	v_subrev_co_u32_e32 v38, vcc, s2, v38
	v_mov_b32_e32 v2, s3
	v_subb_co_u32_e32 v39, vcc, v39, v2, vcc
	v_mov_b32_e32 v44, 0
	s_mov_b64 s[12:13], exec
; %bb.394:                              ;   in Loop: Header=BB189_31 Depth=1
	s_or_b64 exec, exec, s[10:11]
	v_mov_b32_e32 v8, v38
	s_and_b64 s[10:11], s[12:13], exec
	v_mov_b32_e32 v9, v39
.LBB189_395:                            ;   in Loop: Header=BB189_31 Depth=1
	s_or_b64 exec, exec, s[4:5]
	s_mov_b64 s[4:5], -1
                                        ; implicit-def: $sgpr2_sgpr3
                                        ; kill: killed $sgpr2_sgpr3
                                        ; implicit-def: $sgpr2_sgpr3
                                        ; kill: killed $sgpr2_sgpr3
	s_and_saveexec_b64 s[2:3], s[10:11]
	s_cbranch_execz .LBB189_498
; %bb.396:                              ;   in Loop: Header=BB189_31 Depth=1
	s_cmp_eq_u64 s[44:45], 1
	v_cmp_eq_u64_e32 vcc, 1, v[8:9]
	s_cselect_b64 s[4:5], -1, 0
	s_and_b64 s[4:5], s[4:5], vcc
	s_mov_b64 s[10:11], -1
                                        ; implicit-def: $sgpr12_sgpr13
                                        ; kill: killed $sgpr12_sgpr13
                                        ; implicit-def: $sgpr12_sgpr13
                                        ; kill: killed $sgpr12_sgpr13
	s_and_saveexec_b64 s[60:61], s[4:5]
	s_cbranch_execz .LBB189_432
; %bb.397:                              ;   in Loop: Header=BB189_31 Depth=1
	ds_read_b64 v[4:5], v19 offset:5120
	s_waitcnt lgkmcnt(0)
	s_barrier
	v_readfirstlane_b32 s74, v4
	v_readfirstlane_b32 s75, v5
	s_mov_b64 s[10:11], exec
	v_readlane_b32 s12, v59, 22
	v_readlane_b32 s13, v59, 23
	s_and_b64 s[12:13], s[10:11], s[12:13]
	s_mov_b64 exec, s[12:13]
; %bb.398:                              ;   in Loop: Header=BB189_31 Depth=1
	v_mov_b32_e32 v18, v19
	ds_write_b64 v54, v[18:19]
; %bb.399:                              ;   in Loop: Header=BB189_31 Depth=1
	s_or_b64 exec, exec, s[10:11]
	s_lshl_b64 s[10:11], 1, s88
	v_and_b32_e32 v2, s51, v31
	v_and_b32_e32 v4, s50, v30
	v_or_b32_e32 v31, s11, v2
	v_or_b32_e32 v30, s10, v4
	s_mov_b64 s[10:11], -1
	v_writelane_b32 v59, s10, 54
	v_writelane_b32 v59, s11, 55
	s_mov_b64 s[10:11], 0
	v_or_b32_e32 v35, s19, v35
	v_or_b32_e32 v34, s18, v34
	v_writelane_b32 v59, s10, 52
	s_cmp_eq_u64 s[74:75], 0
	s_mov_b64 s[70:71], 0
	s_mov_b64 s[56:57], -1
	s_waitcnt lgkmcnt(0)
	s_barrier
	v_writelane_b32 v59, s11, 53
                                        ; implicit-def: $vgpr6_vgpr7
	s_cbranch_scc1 .LBB189_416
; %bb.400:                              ;   in Loop: Header=BB189_31 Depth=1
	v_readlane_b32 s10, v59, 26
	s_add_u32 s58, s74, s10
	v_readlane_b32 s10, v59, 28
	s_addc_u32 s57, s75, s10
	s_mov_b32 s56, s55
	s_cmp_lg_u64 s[56:57], 0
	s_cbranch_scc0 .LBB189_449
; %bb.401:                              ;   in Loop: Header=BB189_31 Depth=1
	v_cvt_f32_u32_e32 v2, s33
	s_sub_u32 s12, 0, s33
	s_subb_u32 s13, 0, 0
	v_mac_f32_e32 v2, 0, v55
	v_rcp_f32_e32 v2, v2
	v_mul_f32_e32 v2, 0x5f7ffffc, v2
	v_mul_f32_e32 v4, 0x2f800000, v2
	v_trunc_f32_e32 v4, v4
	v_mac_f32_e32 v2, 0xcf800000, v4
	v_cvt_u32_f32_e32 v4, v4
	v_cvt_u32_f32_e32 v2, v2
	v_readfirstlane_b32 s54, v4
	v_readfirstlane_b32 s10, v2
	s_mul_i32 s11, s12, s54
	s_mul_hi_u32 s59, s12, s10
	s_mul_i32 s56, s13, s10
	s_add_i32 s11, s59, s11
	s_mul_i32 s64, s12, s10
	s_add_i32 s11, s11, s56
	s_mul_hi_u32 s59, s10, s64
	s_mul_i32 s65, s10, s11
	s_mul_hi_u32 s56, s10, s11
	s_add_u32 s59, s59, s65
	s_addc_u32 s56, 0, s56
	s_mul_hi_u32 s70, s54, s64
	s_mul_i32 s64, s54, s64
	s_add_u32 s59, s59, s64
	s_mul_hi_u32 s65, s54, s11
	s_addc_u32 s56, s56, s70
	s_addc_u32 s59, s65, 0
	s_mul_i32 s11, s54, s11
	s_add_u32 s11, s56, s11
	s_addc_u32 s56, 0, s59
	s_add_u32 s59, s10, s11
	s_cselect_b64 s[10:11], -1, 0
	s_cmp_lg_u64 s[10:11], 0
	s_addc_u32 s54, s54, s56
	s_mul_i32 s10, s12, s54
	s_mul_hi_u32 s11, s12, s59
	s_add_i32 s10, s11, s10
	s_mul_i32 s13, s13, s59
	s_add_i32 s10, s10, s13
	s_mul_i32 s12, s12, s59
	s_mul_hi_u32 s13, s54, s12
	s_mul_i32 s56, s54, s12
	s_mul_i32 s65, s59, s10
	s_mul_hi_u32 s12, s59, s12
	s_mul_hi_u32 s64, s59, s10
	s_add_u32 s12, s12, s65
	s_addc_u32 s64, 0, s64
	s_add_u32 s12, s12, s56
	s_mul_hi_u32 s11, s54, s10
	s_addc_u32 s12, s64, s13
	s_addc_u32 s11, s11, 0
	s_mul_i32 s10, s54, s10
	s_add_u32 s10, s12, s10
	s_addc_u32 s12, 0, s11
	s_add_u32 s13, s59, s10
	s_cselect_b64 s[10:11], -1, 0
	s_cmp_lg_u64 s[10:11], 0
	s_addc_u32 s10, s54, s12
	s_mul_i32 s12, s58, s10
	s_mul_hi_u32 s54, s58, s13
	s_mul_hi_u32 s11, s58, s10
	s_add_u32 s12, s54, s12
	s_addc_u32 s11, 0, s11
	s_mul_hi_u32 s56, s57, s13
	s_mul_i32 s13, s57, s13
	s_add_u32 s12, s12, s13
	s_mul_hi_u32 s54, s57, s10
	s_addc_u32 s11, s11, s56
	s_addc_u32 s12, s54, 0
	s_mul_i32 s10, s57, s10
	s_add_u32 s10, s11, s10
	s_addc_u32 s11, 0, s12
	s_mul_i32 s11, s33, s11
	s_mul_hi_u32 s12, s33, s10
	s_add_i32 s12, s12, s11
	s_mul_i32 s10, s33, s10
	s_sub_u32 s13, s58, s10
	s_cselect_b64 s[10:11], -1, 0
	s_cmp_lg_u64 s[10:11], 0
	s_subb_u32 s12, s57, s12
	s_sub_u32 s54, s13, s33
	s_cselect_b64 s[10:11], -1, 0
	s_cmp_lg_u64 s[10:11], 0
	s_subb_u32 s56, s12, 0
	;; [unrolled: 4-line block ×3, first 2 shown]
	s_cmp_ge_u32 s54, s33
	s_cselect_b32 s11, -1, 0
	s_cmp_eq_u32 s56, 0
	s_cselect_b32 s11, s11, -1
	s_cmp_lg_u32 s11, 0
	s_cselect_b32 s10, s10, s56
	s_cselect_b32 s54, s59, s54
	s_cmp_ge_u32 s13, s33
	s_cselect_b32 s11, -1, 0
	s_cmp_eq_u32 s12, 0
	s_cselect_b32 s11, s11, -1
	s_cmp_lg_u32 s11, 0
	s_cselect_b32 s11, s10, s12
	s_cselect_b32 s10, s54, s13
	s_cbranch_execnz .LBB189_403
.LBB189_402:                            ;   in Loop: Header=BB189_31 Depth=1
	v_cvt_f32_u32_e32 v2, s33
	s_sub_i32 s10, 0, s33
	v_rcp_iflag_f32_e32 v2, v2
	v_mul_f32_e32 v2, 0x4f7ffffe, v2
	v_cvt_u32_f32_e32 v2, v2
	v_readfirstlane_b32 s11, v2
	s_mul_i32 s10, s10, s11
	s_mul_hi_u32 s10, s11, s10
	s_add_i32 s11, s11, s10
	s_mul_hi_u32 s10, s58, s11
	s_mul_i32 s10, s10, s33
	s_sub_i32 s10, s58, s10
	s_sub_i32 s11, s10, s33
	s_cmp_ge_u32 s10, s33
	s_cselect_b32 s10, s11, s10
	s_sub_i32 s11, s10, s33
	s_cmp_ge_u32 s10, s33
	s_cselect_b32 s54, s11, s10
	s_mov_b64 s[10:11], s[54:55]
.LBB189_403:                            ;   in Loop: Header=BB189_31 Depth=1
	s_sub_u32 s64, s58, s10
	s_subb_u32 s65, s57, s11
	v_cmp_gt_u64_e32 vcc, s[64:65], v[0:1]
	s_mov_b64 s[56:57], 0
	s_mov_b64 s[70:71], 0
                                        ; implicit-def: $vgpr6_vgpr7
	s_and_saveexec_b64 s[58:59], vcc
	s_cbranch_execz .LBB189_415
; %bb.404:                              ;   in Loop: Header=BB189_31 Depth=1
	v_mov_b32_e32 v11, v1
	v_mov_b32_e32 v12, v50
	;; [unrolled: 1-line block ×3, first 2 shown]
                                        ; implicit-def: $sgpr10_sgpr11
	s_branch .LBB189_408
.LBB189_405:                            ;   in Loop: Header=BB189_408 Depth=2
	s_or_b64 exec, exec, s[12:13]
	s_waitcnt lgkmcnt(0)
	s_barrier
	ds_read_b128 v[4:7], v19 offset:3072
	s_waitcnt lgkmcnt(0)
	s_barrier
	v_cmp_neq_f64_e32 vcc, 0, v[4:5]
	s_cbranch_vccnz .LBB189_411
; %bb.406:                              ;   in Loop: Header=BB189_408 Depth=2
	v_add_co_u32_e32 v10, vcc, s33, v10
	v_addc_co_u32_e32 v11, vcc, 0, v11, vcc
	v_cmp_le_u64_e32 vcc, s[64:65], v[10:11]
	v_add_u32_e32 v12, s1, v12
	s_mov_b64 s[12:13], 0
	s_orn2_b64 s[72:73], vcc, exec
.LBB189_407:                            ;   in Loop: Header=BB189_408 Depth=2
	s_and_b64 s[72:73], exec, s[72:73]
	s_or_b64 s[70:71], s[72:73], s[70:71]
	s_andn2_b64 s[10:11], s[10:11], exec
	s_and_b64 s[12:13], s[12:13], exec
	s_or_b64 s[10:11], s[10:11], s[12:13]
	s_andn2_b64 exec, exec, s[70:71]
	s_cbranch_execz .LBB189_414
.LBB189_408:                            ;   Parent Loop BB189_31 Depth=1
                                        ; =>  This Inner Loop Header: Depth=2
	v_cmp_gt_u64_e32 vcc, s[74:75], v[10:11]
	s_and_saveexec_b64 s[12:13], vcc
	s_cbranch_execz .LBB189_405
; %bb.409:                              ;   in Loop: Header=BB189_408 Depth=2
	ds_read_b64 v[4:5], v12
	s_waitcnt lgkmcnt(0)
	v_cmp_o_f64_e32 vcc, v[4:5], v[4:5]
	v_ashrrev_i32_e32 v2, 31, v5
	v_or_b32_e32 v6, 0x80000000, v2
	v_xor_b32_e32 v6, v6, v5
	v_xor_b32_e32 v2, v2, v4
	v_cndmask_b32_e32 v6, -1, v6, vcc
	v_cndmask_b32_e32 v2, -1, v2, vcc
	v_and_b32_e32 v7, v6, v35
	v_and_b32_e32 v6, v2, v34
	v_cmp_eq_u64_e32 vcc, v[6:7], v[30:31]
	s_and_b64 exec, exec, vcc
	s_cbranch_execz .LBB189_405
; %bb.410:                              ;   in Loop: Header=BB189_408 Depth=2
	v_mov_b32_e32 v2, v19
	ds_write_b128 v19, v[2:5] offset:3072
	s_branch .LBB189_405
.LBB189_411:                            ;   in Loop: Header=BB189_408 Depth=2
	s_mov_b64 s[72:73], -1
                                        ; implicit-def: $vgpr10_vgpr11
                                        ; implicit-def: $vgpr12
	s_mov_b64 s[12:13], -1
	s_branch .LBB189_407
.LBB189_412:                            ;   in Loop: Header=BB189_31 Depth=1
                                        ; implicit-def: $sgpr56_sgpr57
	s_branch .LBB189_355
.LBB189_413:                            ;   in Loop: Header=BB189_31 Depth=1
                                        ; implicit-def: $sgpr8_sgpr9
	s_branch .LBB189_372
.LBB189_414:                            ;   in Loop: Header=BB189_31 Depth=1
	s_or_b64 exec, exec, s[70:71]
	v_readlane_b32 s72, v59, 46
	s_and_b64 s[70:71], s[10:11], exec
	v_readlane_b32 s73, v59, 47
.LBB189_415:                            ;   in Loop: Header=BB189_31 Depth=1
	s_or_b64 exec, exec, s[58:59]
.LBB189_416:                            ;   in Loop: Header=BB189_31 Depth=1
	s_and_b64 vcc, exec, s[56:57]
	s_cbranch_vccz .LBB189_431
; %bb.417:                              ;   in Loop: Header=BB189_31 Depth=1
	v_readlane_b32 s64, v59, 29
	v_readlane_b32 s65, v59, 30
	s_mov_b32 s64, s55
	s_cmp_lg_u64 s[64:65], 0
	v_writelane_b32 v59, s64, 29
	v_writelane_b32 v59, s65, 30
	s_cbranch_scc0 .LBB189_450
; %bb.418:                              ;   in Loop: Header=BB189_31 Depth=1
	v_cvt_f32_u32_e32 v2, s33
	s_sub_u32 s12, 0, s33
	s_subb_u32 s13, 0, 0
	v_mac_f32_e32 v2, 0, v55
	v_rcp_f32_e32 v2, v2
	v_mul_f32_e32 v2, 0x5f7ffffc, v2
	v_mul_f32_e32 v4, 0x2f800000, v2
	v_trunc_f32_e32 v4, v4
	v_mac_f32_e32 v2, 0xcf800000, v4
	v_cvt_u32_f32_e32 v4, v4
	v_cvt_u32_f32_e32 v2, v2
	v_readfirstlane_b32 s54, v4
	v_readfirstlane_b32 s10, v2
	s_mul_i32 s11, s12, s54
	s_mul_hi_u32 s57, s12, s10
	s_mul_i32 s56, s13, s10
	s_add_i32 s11, s57, s11
	s_mul_i32 s58, s12, s10
	s_add_i32 s11, s11, s56
	s_mul_hi_u32 s57, s10, s58
	s_mul_i32 s59, s10, s11
	s_mul_hi_u32 s56, s10, s11
	s_add_u32 s57, s57, s59
	s_addc_u32 s56, 0, s56
	s_mul_hi_u32 s64, s54, s58
	s_mul_i32 s58, s54, s58
	s_add_u32 s57, s57, s58
	s_mul_hi_u32 s59, s54, s11
	s_addc_u32 s56, s56, s64
	s_addc_u32 s57, s59, 0
	s_mul_i32 s11, s54, s11
	s_add_u32 s11, s56, s11
	s_addc_u32 s56, 0, s57
	s_add_u32 s57, s10, s11
	s_cselect_b64 s[10:11], -1, 0
	s_cmp_lg_u64 s[10:11], 0
	s_addc_u32 s54, s54, s56
	s_mul_i32 s10, s12, s54
	s_mul_hi_u32 s11, s12, s57
	s_add_i32 s10, s11, s10
	s_mul_i32 s13, s13, s57
	s_add_i32 s10, s10, s13
	s_mul_i32 s12, s12, s57
	s_mul_hi_u32 s13, s54, s12
	s_mul_i32 s56, s54, s12
	s_mul_i32 s59, s57, s10
	s_mul_hi_u32 s12, s57, s12
	s_mul_hi_u32 s58, s57, s10
	s_add_u32 s12, s12, s59
	s_addc_u32 s58, 0, s58
	s_add_u32 s12, s12, s56
	s_mul_hi_u32 s11, s54, s10
	s_addc_u32 s12, s58, s13
	s_addc_u32 s11, s11, 0
	s_mul_i32 s10, s54, s10
	s_add_u32 s10, s12, s10
	s_addc_u32 s12, 0, s11
	s_add_u32 s13, s57, s10
	s_cselect_b64 s[10:11], -1, 0
	s_cmp_lg_u64 s[10:11], 0
	s_addc_u32 s10, s54, s12
	v_readlane_b32 s57, v59, 27
	s_mul_i32 s12, s57, s10
	s_mul_hi_u32 s54, s57, s13
	s_mul_hi_u32 s11, s57, s10
	s_add_u32 s12, s54, s12
	s_addc_u32 s11, 0, s11
	s_mul_hi_u32 s56, s65, s13
	s_mul_i32 s13, s65, s13
	s_add_u32 s12, s12, s13
	s_mul_hi_u32 s54, s65, s10
	s_addc_u32 s11, s11, s56
	s_addc_u32 s12, s54, 0
	s_mul_i32 s10, s65, s10
	s_add_u32 s10, s11, s10
	s_addc_u32 s11, 0, s12
	s_mul_i32 s11, s33, s11
	s_mul_hi_u32 s12, s33, s10
	s_add_i32 s12, s12, s11
	s_mul_i32 s10, s33, s10
	s_sub_u32 s13, s57, s10
	s_cselect_b64 s[10:11], -1, 0
	s_cmp_lg_u64 s[10:11], 0
	s_subb_u32 s12, s65, s12
	s_sub_u32 s54, s13, s33
	s_cselect_b64 s[10:11], -1, 0
	s_cmp_lg_u64 s[10:11], 0
	s_subb_u32 s56, s12, 0
	;; [unrolled: 4-line block ×3, first 2 shown]
	s_cmp_ge_u32 s54, s33
	s_cselect_b32 s11, -1, 0
	s_cmp_eq_u32 s56, 0
	s_cselect_b32 s11, s11, -1
	s_cmp_lg_u32 s11, 0
	s_cselect_b32 s10, s10, s56
	s_cselect_b32 s54, s57, s54
	s_cmp_ge_u32 s13, s33
	s_cselect_b32 s11, -1, 0
	s_cmp_eq_u32 s12, 0
	s_cselect_b32 s11, s11, -1
	s_cmp_lg_u32 s11, 0
	s_cselect_b32 s11, s10, s12
	s_cselect_b32 s10, s54, s13
	s_cbranch_execnz .LBB189_420
.LBB189_419:                            ;   in Loop: Header=BB189_31 Depth=1
	v_cvt_f32_u32_e32 v2, s33
	s_sub_i32 s10, 0, s33
	v_readlane_b32 s12, v59, 27
	v_rcp_iflag_f32_e32 v2, v2
	v_mul_f32_e32 v2, 0x4f7ffffe, v2
	v_cvt_u32_f32_e32 v2, v2
	v_readfirstlane_b32 s11, v2
	s_mul_i32 s10, s10, s11
	s_mul_hi_u32 s10, s11, s10
	s_add_i32 s11, s11, s10
	s_mul_hi_u32 s10, s12, s11
	s_mul_i32 s10, s10, s33
	s_sub_i32 s10, s12, s10
	s_sub_i32 s11, s10, s33
	s_cmp_ge_u32 s10, s33
	s_cselect_b32 s10, s11, s10
	s_sub_i32 s11, s10, s33
	s_cmp_ge_u32 s10, s33
	s_cselect_b32 s54, s11, s10
	s_mov_b64 s[10:11], s[54:55]
.LBB189_420:                            ;   in Loop: Header=BB189_31 Depth=1
	v_readlane_b32 s12, v59, 27
	v_readlane_b32 s56, v59, 29
	s_sub_u32 s12, s12, s10
	v_readlane_b32 s57, v59, 30
	s_subb_u32 s13, s57, s11
	v_cmp_gt_u64_e32 vcc, s[12:13], v[0:1]
                                        ; implicit-def: $vgpr6_vgpr7
	s_and_saveexec_b64 s[10:11], vcc
	s_cbranch_execz .LBB189_430
; %bb.421:                              ;   in Loop: Header=BB189_31 Depth=1
	v_mov_b32_e32 v10, v32
	v_mov_b32_e32 v13, v1
	s_mov_b64 s[56:57], 0
	v_mov_b32_e32 v11, v33
	v_mov_b32_e32 v12, v0
                                        ; implicit-def: $sgpr58_sgpr59
	s_branch .LBB189_425
.LBB189_422:                            ;   in Loop: Header=BB189_425 Depth=2
	s_or_b64 exec, exec, s[64:65]
	s_waitcnt lgkmcnt(0)
	s_barrier
	ds_read_b128 v[4:7], v19 offset:3072
	s_waitcnt lgkmcnt(0)
	s_barrier
	v_cmp_eq_f64_e32 vcc, 0, v[4:5]
	s_cbranch_vccz .LBB189_428
; %bb.423:                              ;   in Loop: Header=BB189_425 Depth=2
	v_add_co_u32_e32 v12, vcc, s33, v12
	v_addc_co_u32_e32 v13, vcc, 0, v13, vcc
	v_mov_b32_e32 v2, s31
	v_add_co_u32_e32 v10, vcc, s30, v10
	v_addc_co_u32_e32 v11, vcc, v11, v2, vcc
	v_cmp_le_u64_e32 vcc, s[12:13], v[12:13]
	s_mov_b64 s[64:65], 0
	s_orn2_b64 s[72:73], vcc, exec
.LBB189_424:                            ;   in Loop: Header=BB189_425 Depth=2
	s_and_b64 s[72:73], exec, s[72:73]
	s_or_b64 s[56:57], s[72:73], s[56:57]
	s_andn2_b64 s[58:59], s[58:59], exec
	s_and_b64 s[64:65], s[64:65], exec
	s_or_b64 s[58:59], s[58:59], s[64:65]
	s_andn2_b64 exec, exec, s[56:57]
	s_cbranch_execz .LBB189_429
.LBB189_425:                            ;   Parent Loop BB189_31 Depth=1
                                        ; =>  This Inner Loop Header: Depth=2
	v_cmp_gt_u64_e32 vcc, s[24:25], v[12:13]
	s_and_saveexec_b64 s[64:65], vcc
	s_cbranch_execz .LBB189_422
; %bb.426:                              ;   in Loop: Header=BB189_425 Depth=2
	global_load_dwordx2 v[4:5], v[10:11], off
	s_waitcnt vmcnt(0)
	v_cmp_o_f64_e32 vcc, v[4:5], v[4:5]
	v_ashrrev_i32_e32 v2, 31, v5
	v_or_b32_e32 v6, 0x80000000, v2
	v_xor_b32_e32 v6, v6, v5
	v_xor_b32_e32 v2, v2, v4
	v_cndmask_b32_e32 v6, -1, v6, vcc
	v_cndmask_b32_e32 v2, -1, v2, vcc
	v_and_b32_e32 v7, v6, v35
	v_and_b32_e32 v6, v2, v34
	v_cmp_eq_u64_e32 vcc, v[6:7], v[30:31]
	s_and_b64 exec, exec, vcc
	s_cbranch_execz .LBB189_422
; %bb.427:                              ;   in Loop: Header=BB189_425 Depth=2
	v_mov_b32_e32 v2, v19
	ds_write_b128 v19, v[2:5] offset:3072
	s_branch .LBB189_422
.LBB189_428:                            ;   in Loop: Header=BB189_425 Depth=2
	s_mov_b64 s[72:73], -1
                                        ; implicit-def: $vgpr12_vgpr13
                                        ; implicit-def: $vgpr10_vgpr11
	s_mov_b64 s[64:65], -1
	s_branch .LBB189_424
.LBB189_429:                            ;   in Loop: Header=BB189_31 Depth=1
	s_or_b64 exec, exec, s[56:57]
	s_andn2_b64 s[12:13], s[70:71], exec
	s_and_b64 s[56:57], s[58:59], exec
	v_readlane_b32 s72, v59, 46
	s_or_b64 s[70:71], s[12:13], s[56:57]
	v_readlane_b32 s73, v59, 47
.LBB189_430:                            ;   in Loop: Header=BB189_31 Depth=1
	s_or_b64 exec, exec, s[10:11]
	s_mov_b64 s[10:11], 0
	v_writelane_b32 v59, s10, 54
	v_writelane_b32 v59, s11, 55
	s_mov_b64 s[10:11], -1
	v_writelane_b32 v59, s10, 52
	v_writelane_b32 v59, s11, 53
.LBB189_431:                            ;   in Loop: Header=BB189_31 Depth=1
	s_orn2_b64 s[10:11], s[70:71], exec
.LBB189_432:                            ;   in Loop: Header=BB189_31 Depth=1
	s_or_b64 exec, exec, s[60:61]
	s_mov_b64 s[12:13], 0
	s_and_saveexec_b64 s[60:61], s[10:11]
	s_cbranch_execz .LBB189_497
; %bb.433:                              ;   in Loop: Header=BB189_31 Depth=1
	v_mov_b32_e32 v10, 1
	s_xor_b64 s[10:11], s[4:5], -1
	v_mov_b32_e32 v44, 1
	v_mov_b32_e32 v11, 0
	s_and_saveexec_b64 s[4:5], s[10:11]
	s_cbranch_execz .LBB189_442
; %bb.434:                              ;   in Loop: Header=BB189_31 Depth=1
	v_cmp_ge_u64_e32 vcc, s[44:45], v[8:9]
	s_and_saveexec_b64 s[10:11], vcc
	s_xor_b64 s[10:11], exec, s[10:11]
	s_cbranch_execz .LBB189_439
; %bb.435:                              ;   in Loop: Header=BB189_31 Depth=1
	s_lshl_b64 s[12:13], 1, s88
	v_and_b32_e32 v4, s50, v30
	v_or_b32_e32 v30, s12, v4
	ds_read_b64 v[4:5], v19 offset:5120
	v_and_b32_e32 v2, s51, v31
	v_or_b32_e32 v31, s13, v2
	v_or_b32_e32 v35, s19, v35
	v_or_b32_e32 v34, s18, v34
	s_waitcnt lgkmcnt(0)
	v_cmp_ne_u64_e32 vcc, 0, v[4:5]
	s_cbranch_vccnz .LBB189_439
; %bb.436:                              ;   in Loop: Header=BB189_31 Depth=1
	s_mov_b64 s[12:13], exec
	v_readlane_b32 s56, v59, 8
	v_readlane_b32 s57, v59, 9
	s_and_b64 s[56:57], s[12:13], s[56:57]
	s_mov_b64 exec, s[56:57]
; %bb.437:                              ;   in Loop: Header=BB189_31 Depth=1
	v_mov_b32_e32 v4, s44
	v_mov_b32_e32 v5, s45
	ds_write_b64 v19, v[4:5] offset:5128
; %bb.438:                              ;   in Loop: Header=BB189_31 Depth=1
	s_or_b64 exec, exec, s[12:13]
	s_waitcnt lgkmcnt(0)
	s_barrier
.LBB189_439:                            ;   in Loop: Header=BB189_31 Depth=1
	s_or_saveexec_b64 s[10:11], s[10:11]
	s_mov_b64 s[56:57], 0
	v_mov_b32_e32 v44, 5
	s_xor_b64 exec, exec, s[10:11]
; %bb.440:                              ;   in Loop: Header=BB189_31 Depth=1
	v_subrev_co_u32_e32 v8, vcc, s44, v8
	v_mov_b32_e32 v2, s45
	v_subb_co_u32_e32 v9, vcc, v9, v2, vcc
	v_mov_b32_e32 v44, 0
	s_mov_b64 s[56:57], exec
; %bb.441:                              ;   in Loop: Header=BB189_31 Depth=1
	s_or_b64 exec, exec, s[10:11]
	v_mov_b32_e32 v11, v9
	s_and_b64 s[12:13], s[56:57], exec
	v_mov_b32_e32 v10, v8
.LBB189_442:                            ;   in Loop: Header=BB189_31 Depth=1
	s_or_b64 exec, exec, s[4:5]
	s_mov_b64 s[10:11], -1
                                        ; implicit-def: $sgpr44_sgpr45
                                        ; implicit-def: $sgpr70_sgpr71
	s_and_saveexec_b64 s[4:5], s[12:13]
	s_cbranch_execz .LBB189_496
; %bb.443:                              ;   in Loop: Header=BB189_31 Depth=1
	s_cmp_eq_u64 s[16:17], 1
	v_cmp_eq_u64_e32 vcc, 1, v[10:11]
	s_cselect_b64 s[10:11], -1, 0
	s_and_b64 s[12:13], s[10:11], vcc
	s_mov_b64 s[10:11], -1
                                        ; implicit-def: $sgpr44_sgpr45
                                        ; implicit-def: $sgpr70_sgpr71
	s_mov_b64 s[56:57], exec
	v_writelane_b32 v59, s12, 56
	v_writelane_b32 v59, s13, 57
	v_writelane_b32 v59, s56, 58
	s_and_b64 s[12:13], s[56:57], s[12:13]
	v_writelane_b32 v59, s57, 59
	s_mov_b64 exec, s[12:13]
	s_cbranch_execz .LBB189_484
; %bb.444:                              ;   in Loop: Header=BB189_31 Depth=1
	ds_read_b64 v[4:5], v19 offset:5120
	s_waitcnt lgkmcnt(0)
	s_barrier
	v_readfirstlane_b32 s56, v4
	v_readfirstlane_b32 s57, v5
	s_mov_b64 s[10:11], exec
	v_readlane_b32 s12, v59, 22
	v_readlane_b32 s13, v59, 23
	s_and_b64 s[12:13], s[10:11], s[12:13]
	s_mov_b64 exec, s[12:13]
; %bb.445:                              ;   in Loop: Header=BB189_31 Depth=1
	v_mov_b32_e32 v18, v19
	ds_write_b64 v54, v[18:19]
; %bb.446:                              ;   in Loop: Header=BB189_31 Depth=1
	s_or_b64 exec, exec, s[10:11]
	v_and_b32_e32 v31, s51, v31
	v_and_b32_e32 v30, s50, v30
	v_or_b32_e32 v35, s19, v35
	v_or_b32_e32 v34, s18, v34
	s_mov_b64 s[44:45], 0
	s_cmp_eq_u64 s[56:57], 0
	s_mov_b64 s[74:75], 0
	s_mov_b64 s[70:71], -1
	s_waitcnt lgkmcnt(0)
	s_barrier
                                        ; implicit-def: $vgpr6_vgpr7
	s_cbranch_scc1 .LBB189_465
; %bb.447:                              ;   in Loop: Header=BB189_31 Depth=1
	v_readlane_b32 s10, v59, 26
	s_add_u32 s58, s56, s10
	v_readlane_b32 s10, v59, 28
	s_addc_u32 s71, s57, s10
	s_mov_b32 s70, s55
	s_cmp_lg_u64 s[70:71], 0
	s_cbranch_scc0 .LBB189_451
; %bb.448:                              ;   in Loop: Header=BB189_31 Depth=1
	v_cvt_f32_u32_e32 v2, s33
	s_sub_u32 s12, 0, s33
	s_subb_u32 s13, 0, 0
	v_mac_f32_e32 v2, 0, v55
	v_rcp_f32_e32 v2, v2
	v_mul_f32_e32 v2, 0x5f7ffffc, v2
	v_mul_f32_e32 v4, 0x2f800000, v2
	v_trunc_f32_e32 v4, v4
	v_mac_f32_e32 v2, 0xcf800000, v4
	v_cvt_u32_f32_e32 v4, v4
	v_cvt_u32_f32_e32 v2, v2
	v_readfirstlane_b32 s54, v4
	v_readfirstlane_b32 s10, v2
	s_mul_i32 s11, s12, s54
	s_mul_hi_u32 s64, s12, s10
	s_mul_i32 s59, s13, s10
	s_add_i32 s11, s64, s11
	s_mul_i32 s65, s12, s10
	s_add_i32 s11, s11, s59
	s_mul_hi_u32 s64, s10, s65
	s_mul_i32 s70, s10, s11
	s_mul_hi_u32 s59, s10, s11
	s_add_u32 s64, s64, s70
	s_addc_u32 s59, 0, s59
	s_mul_hi_u32 s72, s54, s65
	s_mul_i32 s65, s54, s65
	s_add_u32 s64, s64, s65
	s_mul_hi_u32 s70, s54, s11
	s_addc_u32 s59, s59, s72
	s_addc_u32 s64, s70, 0
	s_mul_i32 s11, s54, s11
	s_add_u32 s11, s59, s11
	s_addc_u32 s59, 0, s64
	s_add_u32 s64, s10, s11
	s_cselect_b64 s[10:11], -1, 0
	s_cmp_lg_u64 s[10:11], 0
	s_addc_u32 s54, s54, s59
	s_mul_i32 s10, s12, s54
	s_mul_hi_u32 s11, s12, s64
	s_add_i32 s10, s11, s10
	s_mul_i32 s13, s13, s64
	s_add_i32 s10, s10, s13
	s_mul_i32 s12, s12, s64
	s_mul_hi_u32 s13, s54, s12
	s_mul_i32 s59, s54, s12
	s_mul_i32 s70, s64, s10
	s_mul_hi_u32 s12, s64, s12
	s_mul_hi_u32 s65, s64, s10
	s_add_u32 s12, s12, s70
	s_addc_u32 s65, 0, s65
	s_add_u32 s12, s12, s59
	s_mul_hi_u32 s11, s54, s10
	s_addc_u32 s12, s65, s13
	s_addc_u32 s11, s11, 0
	s_mul_i32 s10, s54, s10
	s_add_u32 s10, s12, s10
	s_addc_u32 s12, 0, s11
	s_add_u32 s13, s64, s10
	s_cselect_b64 s[10:11], -1, 0
	s_cmp_lg_u64 s[10:11], 0
	s_addc_u32 s10, s54, s12
	s_mul_i32 s12, s58, s10
	s_mul_hi_u32 s54, s58, s13
	s_mul_hi_u32 s11, s58, s10
	s_add_u32 s12, s54, s12
	s_addc_u32 s11, 0, s11
	s_mul_hi_u32 s59, s71, s13
	s_mul_i32 s13, s71, s13
	s_add_u32 s12, s12, s13
	s_mul_hi_u32 s54, s71, s10
	s_addc_u32 s11, s11, s59
	s_addc_u32 s12, s54, 0
	s_mul_i32 s10, s71, s10
	s_add_u32 s10, s11, s10
	s_addc_u32 s11, 0, s12
	s_mul_i32 s11, s33, s11
	s_mul_hi_u32 s12, s33, s10
	s_add_i32 s12, s12, s11
	s_mul_i32 s10, s33, s10
	s_sub_u32 s13, s58, s10
	s_cselect_b64 s[10:11], -1, 0
	s_cmp_lg_u64 s[10:11], 0
	s_subb_u32 s12, s71, s12
	s_sub_u32 s54, s13, s33
	s_cselect_b64 s[10:11], -1, 0
	s_cmp_lg_u64 s[10:11], 0
	s_subb_u32 s59, s12, 0
	;; [unrolled: 4-line block ×3, first 2 shown]
	s_cmp_ge_u32 s54, s33
	s_cselect_b32 s11, -1, 0
	s_cmp_eq_u32 s59, 0
	s_cselect_b32 s11, s11, -1
	s_cmp_lg_u32 s11, 0
	s_cselect_b32 s10, s10, s59
	s_cselect_b32 s54, s64, s54
	s_cmp_ge_u32 s13, s33
	s_cselect_b32 s11, -1, 0
	s_cmp_eq_u32 s12, 0
	s_cselect_b32 s11, s11, -1
	s_cmp_lg_u32 s11, 0
	s_cselect_b32 s11, s10, s12
	s_cselect_b32 s10, s54, s13
	s_mov_b64 s[12:13], 0
	s_branch .LBB189_452
.LBB189_449:                            ;   in Loop: Header=BB189_31 Depth=1
                                        ; implicit-def: $sgpr10_sgpr11
	s_branch .LBB189_402
.LBB189_450:                            ;   in Loop: Header=BB189_31 Depth=1
                                        ; implicit-def: $sgpr10_sgpr11
	s_branch .LBB189_419
.LBB189_451:                            ;   in Loop: Header=BB189_31 Depth=1
	s_mov_b64 s[12:13], -1
                                        ; implicit-def: $sgpr10_sgpr11
.LBB189_452:                            ;   in Loop: Header=BB189_31 Depth=1
	s_andn2_b64 vcc, exec, s[12:13]
	s_cbranch_vccnz .LBB189_454
; %bb.453:                              ;   in Loop: Header=BB189_31 Depth=1
	v_cvt_f32_u32_e32 v2, s33
	s_sub_i32 s10, 0, s33
	v_rcp_iflag_f32_e32 v2, v2
	v_mul_f32_e32 v2, 0x4f7ffffe, v2
	v_cvt_u32_f32_e32 v2, v2
	v_readfirstlane_b32 s11, v2
	s_mul_i32 s10, s10, s11
	s_mul_hi_u32 s10, s11, s10
	s_add_i32 s11, s11, s10
	s_mul_hi_u32 s10, s58, s11
	s_mul_i32 s10, s10, s33
	s_sub_i32 s10, s58, s10
	s_sub_i32 s11, s10, s33
	s_cmp_ge_u32 s10, s33
	s_cselect_b32 s10, s11, s10
	s_sub_i32 s11, s10, s33
	s_cmp_ge_u32 s10, s33
	s_cselect_b32 s54, s11, s10
	s_mov_b64 s[10:11], s[54:55]
.LBB189_454:                            ;   in Loop: Header=BB189_31 Depth=1
	s_sub_u32 s64, s58, s10
	s_subb_u32 s65, s71, s11
	v_cmp_gt_u64_e32 vcc, s[64:65], v[0:1]
	s_mov_b64 s[70:71], 0
                                        ; implicit-def: $vgpr6_vgpr7
	s_and_saveexec_b64 s[58:59], vcc
	s_cbranch_execz .LBB189_464
; %bb.455:                              ;   in Loop: Header=BB189_31 Depth=1
	v_mov_b32_e32 v9, v1
	v_mov_b32_e32 v12, v50
	;; [unrolled: 1-line block ×3, first 2 shown]
                                        ; implicit-def: $sgpr10_sgpr11
	s_branch .LBB189_459
.LBB189_456:                            ;   in Loop: Header=BB189_459 Depth=2
	s_or_b64 exec, exec, s[12:13]
	s_waitcnt lgkmcnt(0)
	s_barrier
	ds_read_b128 v[4:7], v19 offset:3072
	s_waitcnt lgkmcnt(0)
	s_barrier
	v_cmp_neq_f64_e32 vcc, 0, v[4:5]
	s_cbranch_vccnz .LBB189_462
; %bb.457:                              ;   in Loop: Header=BB189_459 Depth=2
	v_add_co_u32_e32 v8, vcc, s33, v8
	v_addc_co_u32_e32 v9, vcc, 0, v9, vcc
	v_cmp_le_u64_e32 vcc, s[64:65], v[8:9]
	v_add_u32_e32 v12, s1, v12
	s_mov_b64 s[12:13], 0
	s_orn2_b64 s[72:73], vcc, exec
.LBB189_458:                            ;   in Loop: Header=BB189_459 Depth=2
	s_and_b64 s[72:73], exec, s[72:73]
	s_or_b64 s[74:75], s[72:73], s[74:75]
	s_andn2_b64 s[10:11], s[10:11], exec
	s_and_b64 s[12:13], s[12:13], exec
	s_or_b64 s[10:11], s[10:11], s[12:13]
	s_andn2_b64 exec, exec, s[74:75]
	s_cbranch_execz .LBB189_463
.LBB189_459:                            ;   Parent Loop BB189_31 Depth=1
                                        ; =>  This Inner Loop Header: Depth=2
	v_cmp_gt_u64_e32 vcc, s[56:57], v[8:9]
	s_and_saveexec_b64 s[12:13], vcc
	s_cbranch_execz .LBB189_456
; %bb.460:                              ;   in Loop: Header=BB189_459 Depth=2
	ds_read_b64 v[4:5], v12
	s_waitcnt lgkmcnt(0)
	v_cmp_o_f64_e32 vcc, v[4:5], v[4:5]
	v_ashrrev_i32_e32 v2, 31, v5
	v_or_b32_e32 v6, 0x80000000, v2
	v_xor_b32_e32 v6, v6, v5
	v_xor_b32_e32 v2, v2, v4
	v_cndmask_b32_e32 v6, -1, v6, vcc
	v_cndmask_b32_e32 v2, -1, v2, vcc
	v_and_b32_e32 v7, v6, v35
	v_and_b32_e32 v6, v2, v34
	v_cmp_eq_u64_e32 vcc, v[6:7], v[30:31]
	s_and_b64 exec, exec, vcc
	s_cbranch_execz .LBB189_456
; %bb.461:                              ;   in Loop: Header=BB189_459 Depth=2
	v_mov_b32_e32 v2, v19
	ds_write_b128 v19, v[2:5] offset:3072
	s_branch .LBB189_456
.LBB189_462:                            ;   in Loop: Header=BB189_459 Depth=2
	s_mov_b64 s[72:73], -1
                                        ; implicit-def: $vgpr8_vgpr9
                                        ; implicit-def: $vgpr12
	s_mov_b64 s[12:13], -1
	s_branch .LBB189_458
.LBB189_463:                            ;   in Loop: Header=BB189_31 Depth=1
	s_or_b64 exec, exec, s[74:75]
	s_and_b64 s[74:75], s[10:11], exec
.LBB189_464:                            ;   in Loop: Header=BB189_31 Depth=1
	s_or_b64 exec, exec, s[58:59]
	v_readlane_b32 s72, v59, 46
	v_readlane_b32 s73, v59, 47
.LBB189_465:                            ;   in Loop: Header=BB189_31 Depth=1
	s_and_b64 vcc, exec, s[70:71]
	s_cbranch_vccz .LBB189_468
; %bb.466:                              ;   in Loop: Header=BB189_31 Depth=1
	v_readlane_b32 s58, v59, 29
	v_readlane_b32 s59, v59, 30
	s_mov_b32 s58, s55
	s_cmp_lg_u64 s[58:59], 0
	v_writelane_b32 v59, s58, 29
	v_writelane_b32 v59, s59, 30
	s_cbranch_scc0 .LBB189_469
; %bb.467:                              ;   in Loop: Header=BB189_31 Depth=1
	v_cvt_f32_u32_e32 v2, s33
	s_sub_u32 s12, 0, s33
	s_subb_u32 s13, 0, 0
	v_mac_f32_e32 v2, 0, v55
	v_rcp_f32_e32 v2, v2
	v_mul_f32_e32 v2, 0x5f7ffffc, v2
	v_mul_f32_e32 v4, 0x2f800000, v2
	v_trunc_f32_e32 v4, v4
	v_mac_f32_e32 v2, 0xcf800000, v4
	v_cvt_u32_f32_e32 v4, v4
	v_cvt_u32_f32_e32 v2, v2
	v_readfirstlane_b32 s44, v4
	v_readfirstlane_b32 s10, v2
	s_mul_i32 s11, s12, s44
	s_mul_hi_u32 s54, s12, s10
	s_mul_i32 s45, s13, s10
	s_add_i32 s11, s54, s11
	s_mul_i32 s56, s12, s10
	s_add_i32 s11, s11, s45
	s_mul_hi_u32 s54, s10, s56
	s_mul_i32 s57, s10, s11
	s_mul_hi_u32 s45, s10, s11
	s_add_u32 s54, s54, s57
	s_addc_u32 s45, 0, s45
	s_mul_hi_u32 s58, s44, s56
	s_mul_i32 s56, s44, s56
	s_add_u32 s54, s54, s56
	s_mul_hi_u32 s57, s44, s11
	s_addc_u32 s45, s45, s58
	s_addc_u32 s54, s57, 0
	s_mul_i32 s11, s44, s11
	s_add_u32 s11, s45, s11
	s_addc_u32 s45, 0, s54
	s_add_u32 s54, s10, s11
	s_cselect_b64 s[10:11], -1, 0
	s_cmp_lg_u64 s[10:11], 0
	s_addc_u32 s44, s44, s45
	s_mul_i32 s10, s12, s44
	s_mul_hi_u32 s11, s12, s54
	s_add_i32 s10, s11, s10
	s_mul_i32 s13, s13, s54
	s_add_i32 s10, s10, s13
	s_mul_i32 s12, s12, s54
	s_mul_hi_u32 s13, s44, s12
	s_mul_i32 s45, s44, s12
	s_mul_i32 s57, s54, s10
	s_mul_hi_u32 s12, s54, s12
	s_mul_hi_u32 s56, s54, s10
	s_add_u32 s12, s12, s57
	s_addc_u32 s56, 0, s56
	s_add_u32 s12, s12, s45
	s_mul_hi_u32 s11, s44, s10
	s_addc_u32 s12, s56, s13
	s_addc_u32 s11, s11, 0
	s_mul_i32 s10, s44, s10
	s_add_u32 s10, s12, s10
	s_addc_u32 s12, 0, s11
	s_add_u32 s13, s54, s10
	s_cselect_b64 s[10:11], -1, 0
	s_cmp_lg_u64 s[10:11], 0
	s_addc_u32 s10, s44, s12
	v_readlane_b32 s54, v59, 27
	s_mul_i32 s12, s54, s10
	s_mul_hi_u32 s44, s54, s13
	s_mul_hi_u32 s11, s54, s10
	s_add_u32 s12, s44, s12
	s_addc_u32 s11, 0, s11
	s_mul_hi_u32 s45, s59, s13
	s_mul_i32 s13, s59, s13
	s_add_u32 s12, s12, s13
	s_mul_hi_u32 s44, s59, s10
	s_addc_u32 s11, s11, s45
	s_addc_u32 s12, s44, 0
	s_mul_i32 s10, s59, s10
	s_add_u32 s10, s11, s10
	s_addc_u32 s11, 0, s12
	s_mul_i32 s11, s33, s11
	s_mul_hi_u32 s12, s33, s10
	s_add_i32 s12, s12, s11
	s_mul_i32 s10, s33, s10
	s_sub_u32 s13, s54, s10
	s_cselect_b64 s[10:11], -1, 0
	s_cmp_lg_u64 s[10:11], 0
	s_subb_u32 s12, s59, s12
	s_sub_u32 s44, s13, s33
	s_cselect_b64 s[10:11], -1, 0
	s_cmp_lg_u64 s[10:11], 0
	s_subb_u32 s45, s12, 0
	;; [unrolled: 4-line block ×3, first 2 shown]
	s_cmp_ge_u32 s44, s33
	s_cselect_b32 s11, -1, 0
	s_cmp_eq_u32 s45, 0
	s_cselect_b32 s11, s11, -1
	s_cmp_lg_u32 s11, 0
	s_cselect_b32 s10, s10, s45
	s_cselect_b32 s44, s54, s44
	s_cmp_ge_u32 s13, s33
	s_cselect_b32 s11, -1, 0
	s_cmp_eq_u32 s12, 0
	s_cselect_b32 s11, s11, -1
	s_cmp_lg_u32 s11, 0
	s_cselect_b32 s11, s10, s12
	s_cselect_b32 s10, s44, s13
	s_mov_b64 s[12:13], 0
	s_branch .LBB189_470
.LBB189_468:                            ;   in Loop: Header=BB189_31 Depth=1
	s_mov_b64 s[70:71], -1
	s_branch .LBB189_483
.LBB189_469:                            ;   in Loop: Header=BB189_31 Depth=1
	s_mov_b64 s[12:13], -1
                                        ; implicit-def: $sgpr10_sgpr11
.LBB189_470:                            ;   in Loop: Header=BB189_31 Depth=1
	s_andn2_b64 vcc, exec, s[12:13]
	s_cbranch_vccnz .LBB189_472
; %bb.471:                              ;   in Loop: Header=BB189_31 Depth=1
	v_cvt_f32_u32_e32 v2, s33
	s_sub_i32 s10, 0, s33
	v_readlane_b32 s12, v59, 27
	v_rcp_iflag_f32_e32 v2, v2
	v_mul_f32_e32 v2, 0x4f7ffffe, v2
	v_cvt_u32_f32_e32 v2, v2
	v_readfirstlane_b32 s11, v2
	s_mul_i32 s10, s10, s11
	s_mul_hi_u32 s10, s11, s10
	s_add_i32 s11, s11, s10
	s_mul_hi_u32 s10, s12, s11
	s_mul_i32 s10, s10, s33
	s_sub_i32 s10, s12, s10
	s_sub_i32 s11, s10, s33
	s_cmp_ge_u32 s10, s33
	s_cselect_b32 s10, s11, s10
	s_sub_i32 s11, s10, s33
	s_cmp_ge_u32 s10, s33
	s_cselect_b32 s54, s11, s10
	s_mov_b64 s[10:11], s[54:55]
.LBB189_472:                            ;   in Loop: Header=BB189_31 Depth=1
	v_readlane_b32 s12, v59, 27
	s_sub_u32 s56, s12, s10
	v_readlane_b32 s12, v59, 29
	v_readlane_b32 s13, v59, 30
	s_subb_u32 s57, s13, s11
	v_cmp_gt_u64_e32 vcc, s[56:57], v[0:1]
                                        ; implicit-def: $vgpr6_vgpr7
	s_and_saveexec_b64 s[44:45], vcc
	s_cbranch_execz .LBB189_482
; %bb.473:                              ;   in Loop: Header=BB189_31 Depth=1
	v_mov_b32_e32 v8, v32
	v_mov_b32_e32 v13, v1
	s_mov_b64 s[58:59], 0
	v_mov_b32_e32 v9, v33
	v_mov_b32_e32 v12, v0
                                        ; implicit-def: $sgpr64_sgpr65
	s_branch .LBB189_477
.LBB189_474:                            ;   in Loop: Header=BB189_477 Depth=2
	s_or_b64 exec, exec, s[10:11]
	s_waitcnt lgkmcnt(0)
	s_barrier
	ds_read_b128 v[4:7], v19 offset:3072
	s_waitcnt lgkmcnt(0)
	s_barrier
	v_cmp_eq_f64_e32 vcc, 0, v[4:5]
	s_cbranch_vccz .LBB189_480
; %bb.475:                              ;   in Loop: Header=BB189_477 Depth=2
	v_add_co_u32_e32 v12, vcc, s33, v12
	v_addc_co_u32_e32 v13, vcc, 0, v13, vcc
	v_mov_b32_e32 v2, s31
	v_add_co_u32_e32 v8, vcc, s30, v8
	v_addc_co_u32_e32 v9, vcc, v9, v2, vcc
	v_cmp_le_u64_e32 vcc, s[56:57], v[12:13]
	s_mov_b64 s[10:11], 0
	s_orn2_b64 s[12:13], vcc, exec
.LBB189_476:                            ;   in Loop: Header=BB189_477 Depth=2
	s_and_b64 s[12:13], exec, s[12:13]
	s_or_b64 s[58:59], s[12:13], s[58:59]
	s_andn2_b64 s[12:13], s[64:65], exec
	s_and_b64 s[10:11], s[10:11], exec
	s_or_b64 s[64:65], s[12:13], s[10:11]
	s_andn2_b64 exec, exec, s[58:59]
	s_cbranch_execz .LBB189_481
.LBB189_477:                            ;   Parent Loop BB189_31 Depth=1
                                        ; =>  This Inner Loop Header: Depth=2
	v_cmp_gt_u64_e32 vcc, s[24:25], v[12:13]
	s_and_saveexec_b64 s[10:11], vcc
	s_cbranch_execz .LBB189_474
; %bb.478:                              ;   in Loop: Header=BB189_477 Depth=2
	global_load_dwordx2 v[4:5], v[8:9], off
	s_waitcnt vmcnt(0)
	v_cmp_o_f64_e32 vcc, v[4:5], v[4:5]
	v_ashrrev_i32_e32 v2, 31, v5
	v_or_b32_e32 v6, 0x80000000, v2
	v_xor_b32_e32 v6, v6, v5
	v_xor_b32_e32 v2, v2, v4
	v_cndmask_b32_e32 v6, -1, v6, vcc
	v_cndmask_b32_e32 v2, -1, v2, vcc
	v_and_b32_e32 v7, v6, v35
	v_and_b32_e32 v6, v2, v34
	v_cmp_eq_u64_e32 vcc, v[6:7], v[30:31]
	s_and_b64 exec, exec, vcc
	s_cbranch_execz .LBB189_474
; %bb.479:                              ;   in Loop: Header=BB189_477 Depth=2
	v_mov_b32_e32 v2, v19
	ds_write_b128 v19, v[2:5] offset:3072
	s_branch .LBB189_474
.LBB189_480:                            ;   in Loop: Header=BB189_477 Depth=2
	s_mov_b64 s[12:13], -1
                                        ; implicit-def: $vgpr12_vgpr13
                                        ; implicit-def: $vgpr8_vgpr9
	s_mov_b64 s[10:11], -1
	s_branch .LBB189_476
.LBB189_481:                            ;   in Loop: Header=BB189_31 Depth=1
	s_or_b64 exec, exec, s[58:59]
	s_andn2_b64 s[10:11], s[74:75], exec
	s_and_b64 s[12:13], s[64:65], exec
	s_or_b64 s[74:75], s[10:11], s[12:13]
.LBB189_482:                            ;   in Loop: Header=BB189_31 Depth=1
	s_or_b64 exec, exec, s[44:45]
	s_mov_b64 s[70:71], 0
	s_mov_b64 s[44:45], -1
.LBB189_483:                            ;   in Loop: Header=BB189_31 Depth=1
	s_orn2_b64 s[10:11], s[74:75], exec
.LBB189_484:                            ;   in Loop: Header=BB189_31 Depth=1
	v_readlane_b32 s12, v59, 58
	v_readlane_b32 s13, v59, 59
	s_or_b64 exec, exec, s[12:13]
	s_mov_b64 s[12:13], 0
	s_and_saveexec_b64 s[56:57], s[10:11]
	s_cbranch_execz .LBB189_495
; %bb.485:                              ;   in Loop: Header=BB189_31 Depth=1
	v_readlane_b32 s10, v59, 56
	v_readlane_b32 s11, v59, 57
	v_mov_b32_e32 v4, 1
	s_xor_b64 s[12:13], s[10:11], -1
	v_mov_b32_e32 v5, 0
	v_mov_b32_e32 v44, 1
	s_and_saveexec_b64 s[10:11], s[12:13]
	s_cbranch_execz .LBB189_494
; %bb.486:                              ;   in Loop: Header=BB189_31 Depth=1
	v_cmp_ge_u64_e32 vcc, s[16:17], v[10:11]
	s_and_saveexec_b64 s[12:13], vcc
	s_xor_b64 s[58:59], exec, s[12:13]
	s_cbranch_execz .LBB189_491
; %bb.487:                              ;   in Loop: Header=BB189_31 Depth=1
	ds_read_b64 v[4:5], v19 offset:5120
	v_and_b32_e32 v31, s51, v31
	v_and_b32_e32 v30, s50, v30
	v_or_b32_e32 v35, s19, v35
	v_or_b32_e32 v34, s18, v34
	s_waitcnt lgkmcnt(0)
	v_cmp_ne_u64_e32 vcc, 0, v[4:5]
	s_cbranch_vccnz .LBB189_491
; %bb.488:                              ;   in Loop: Header=BB189_31 Depth=1
	s_mov_b64 s[12:13], exec
	v_readlane_b32 s18, v59, 8
	v_readlane_b32 s19, v59, 9
	s_and_b64 s[18:19], s[12:13], s[18:19]
	s_mov_b64 exec, s[18:19]
; %bb.489:                              ;   in Loop: Header=BB189_31 Depth=1
	v_mov_b32_e32 v4, s16
	v_mov_b32_e32 v5, s17
	ds_write_b64 v19, v[4:5] offset:5128
; %bb.490:                              ;   in Loop: Header=BB189_31 Depth=1
	s_or_b64 exec, exec, s[12:13]
	s_waitcnt lgkmcnt(0)
	s_barrier
.LBB189_491:                            ;   in Loop: Header=BB189_31 Depth=1
	s_andn2_saveexec_b64 s[12:13], s[58:59]
; %bb.492:                              ;   in Loop: Header=BB189_31 Depth=1
	v_mov_b32_e32 v2, s17
	v_subrev_co_u32_e32 v10, vcc, s16, v10
	v_subb_co_u32_e32 v11, vcc, v11, v2, vcc
; %bb.493:                              ;   in Loop: Header=BB189_31 Depth=1
	s_or_b64 exec, exec, s[12:13]
	v_mov_b32_e32 v4, v10
	v_mov_b32_e32 v44, 5
	;; [unrolled: 1-line block ×3, first 2 shown]
.LBB189_494:                            ;   in Loop: Header=BB189_31 Depth=1
	s_or_b64 exec, exec, s[10:11]
	v_mov_b32_e32 v11, v5
	s_mov_b64 s[12:13], exec
	v_mov_b32_e32 v10, v4
.LBB189_495:                            ;   in Loop: Header=BB189_31 Depth=1
	s_or_b64 exec, exec, s[56:57]
	s_orn2_b64 s[10:11], s[12:13], exec
.LBB189_496:                            ;   in Loop: Header=BB189_31 Depth=1
	s_or_b64 exec, exec, s[4:5]
	v_readlane_b32 s4, v59, 52
	v_readlane_b32 s5, v59, 53
	s_andn2_b64 s[4:5], s[4:5], exec
	s_and_b64 s[12:13], s[44:45], exec
	s_or_b64 s[4:5], s[4:5], s[12:13]
	v_writelane_b32 v59, s4, 52
	v_writelane_b32 v59, s5, 53
	v_readlane_b32 s4, v59, 54
	v_readlane_b32 s5, v59, 55
	s_andn2_b64 s[4:5], s[4:5], exec
	s_and_b64 s[12:13], s[70:71], exec
	s_or_b64 s[4:5], s[4:5], s[12:13]
	v_writelane_b32 v59, s4, 54
	v_mov_b32_e32 v8, v10
	v_writelane_b32 v59, s5, 55
	s_and_b64 s[12:13], s[10:11], exec
	v_mov_b32_e32 v9, v11
.LBB189_497:                            ;   in Loop: Header=BB189_31 Depth=1
	s_or_b64 exec, exec, s[60:61]
	s_orn2_b64 s[4:5], s[12:13], exec
.LBB189_498:                            ;   in Loop: Header=BB189_31 Depth=1
	s_or_b64 exec, exec, s[2:3]
	v_readlane_b32 s10, v59, 52
	v_readlane_b32 s11, v59, 53
	s_andn2_b64 s[2:3], s[66:67], exec
	s_and_b64 s[10:11], s[10:11], exec
	s_or_b64 s[66:67], s[2:3], s[10:11]
	s_andn2_b64 s[2:3], s[8:9], exec
	v_readlane_b32 s8, v59, 54
	v_readlane_b32 s9, v59, 55
	s_and_b64 s[8:9], s[8:9], exec
	v_mov_b32_e32 v39, v9
	s_or_b64 s[8:9], s[2:3], s[8:9]
	s_and_b64 s[10:11], s[4:5], exec
	v_mov_b32_e32 v38, v8
.LBB189_499:                            ;   in Loop: Header=BB189_31 Depth=1
	s_or_b64 exec, exec, s[68:69]
	s_orn2_b64 s[4:5], s[10:11], exec
.LBB189_500:                            ;   in Loop: Header=BB189_31 Depth=1
	s_or_b64 exec, exec, s[6:7]
	s_mov_b64 s[2:3], s[38:39]
	s_mov_b64 s[6:7], s[36:37]
	s_and_saveexec_b64 s[10:11], s[4:5]
; %bb.501:                              ;   in Loop: Header=BB189_31 Depth=1
	v_cmp_ne_u32_e64 s[6:7], 5, v44
	v_cmp_eq_u32_e32 vcc, 5, v44
	s_andn2_b64 s[2:3], s[36:37], exec
	s_and_b64 s[4:5], s[6:7], exec
	s_or_b64 s[6:7], s[2:3], s[4:5]
	s_andn2_b64 s[2:3], s[38:39], exec
	s_and_b64 s[4:5], vcc, exec
	s_or_b64 s[2:3], s[2:3], s[4:5]
; %bb.502:                              ;   in Loop: Header=BB189_31 Depth=1
	s_or_b64 exec, exec, s[10:11]
	s_andn2_b64 s[4:5], s[14:15], exec
	s_and_b64 s[10:11], s[66:67], exec
	s_or_b64 s[14:15], s[4:5], s[10:11]
	s_andn2_b64 s[4:5], s[52:53], exec
	s_and_b64 s[8:9], s[8:9], exec
	s_or_b64 s[52:53], s[4:5], s[8:9]
	;; [unrolled: 3-line block ×4, first 2 shown]
.LBB189_503:                            ;   in Loop: Header=BB189_31 Depth=1
	s_or_b64 exec, exec, s[20:21]
	s_mov_b64 s[66:67], 0
	s_mov_b64 s[68:69], 0
	s_and_saveexec_b64 s[2:3], s[38:39]
.LBB189_504:                            ;   in Loop: Header=BB189_31 Depth=1
	v_mov_b32_e32 v44, 0
	s_or_b64 s[36:37], s[36:37], exec
.LBB189_505:                            ;   in Loop: Header=BB189_31 Depth=1
	s_or_b64 exec, exec, s[2:3]
	s_andn2_b64 s[2:3], s[94:95], exec
	s_and_b64 s[6:7], s[14:15], exec
	s_or_b64 s[94:95], s[2:3], s[6:7]
	s_andn2_b64 s[2:3], s[92:93], exec
	s_and_b64 s[6:7], s[52:53], exec
	s_or_b64 s[92:93], s[2:3], s[6:7]
	;; [unrolled: 3-line block ×3, first 2 shown]
	v_readlane_b32 s2, v59, 50
	v_readlane_b32 s3, v59, 51
	s_andn2_b64 s[2:3], s[2:3], exec
	s_and_b64 s[6:7], s[66:67], exec
	v_mov_b32_e32 v36, v38
	s_mov_b64 s[4:5], -1
	s_andn2_b64 s[48:49], s[48:49], exec
	s_or_b64 s[64:65], s[2:3], s[6:7]
	v_mov_b32_e32 v37, v39
	s_and_saveexec_b64 s[2:3], s[36:37]
	v_readlane_b32 s36, v59, 48
	s_xor_b64 s[2:3], exec, s[2:3]
	v_readlane_b32 s37, v59, 49
	s_cbranch_execz .LBB189_30
; %bb.506:                              ;   in Loop: Header=BB189_31 Depth=1
	v_cmp_eq_u32_e32 vcc, 0, v44
	s_mov_b64 s[6:7], -1
	s_and_saveexec_b64 s[8:9], vcc
	s_cbranch_execz .LBB189_29
; %bb.507:                              ;   in Loop: Header=BB189_31 Depth=1
	s_xor_b32 s89, s89, 1
	s_add_i32 s10, s88, -2
	s_cmp_eq_u32 s88, 0
	s_cselect_b64 s[4:5], -1, 0
	s_xor_b64 s[6:7], exec, -1
	s_orn2_b64 s[4:5], s[4:5], exec
	s_mov_b32 s88, s10
	s_branch .LBB189_29
.LBB189_508:
	s_or_b64 exec, exec, s[76:77]
	s_xor_b64 s[4:5], s[86:87], -1
	s_xor_b64 s[12:13], s[84:85], -1
	;; [unrolled: 1-line block ×5, first 2 shown]
	s_mov_b64 s[6:7], 0
	s_and_saveexec_b64 s[8:9], s[0:1]
	s_xor_b64 s[8:9], exec, s[8:9]
	s_cbranch_execnz .LBB189_513
; %bb.509:
	s_andn2_saveexec_b64 s[0:1], s[8:9]
	s_cbranch_execnz .LBB189_532
.LBB189_510:
	s_or_b64 exec, exec, s[0:1]
	s_and_saveexec_b64 s[0:1], s[6:7]
.LBB189_511:
	; divergent unreachable
.LBB189_512:
	s_endpgm
.LBB189_513:
	s_and_saveexec_b64 s[0:1], s[10:11]
	s_xor_b64 s[10:11], exec, s[0:1]
	s_cbranch_execz .LBB189_530
; %bb.514:
	s_and_saveexec_b64 s[0:1], s[12:13]
	s_xor_b64 s[12:13], exec, s[0:1]
	s_cbranch_execz .LBB189_528
; %bb.515:
	;; [unrolled: 4-line block ×3, first 2 shown]
	s_and_saveexec_b64 s[0:1], s[2:3]
	s_xor_b64 s[2:3], exec, s[0:1]
; %bb.517:
	v_lshrrev_b32_e32 v2, 31, v31
	v_add_co_u32_e32 v2, vcc, -1, v2
	v_addc_co_u32_e64 v3, s[0:1], 0, -1, vcc
	v_or_b32_e32 v3, 0x80000000, v3
	v_xor_b32_e32 v7, v3, v31
	v_xor_b32_e32 v6, v2, v30
; %bb.518:
	s_or_b64 exec, exec, s[2:3]
	s_mov_b64 s[2:3], exec
	v_readlane_b32 s0, v59, 8
	v_readlane_b32 s1, v59, 9
	;; [unrolled: 1-line block ×4, first 2 shown]
	s_and_b64 s[0:1], s[2:3], s[0:1]
	v_readlane_b32 s53, v59, 43
	v_readlane_b32 s55, v59, 13
	s_mov_b64 exec, s[0:1]
; %bb.519:
	v_mov_b32_e32 v2, 0
	v_mov_b32_e32 v3, v2
	ds_write_b64 v2, v[2:3] offset:5136
; %bb.520:
	s_or_b64 exec, exec, s[2:3]
	v_mov_b32_e32 v4, 0
	v_mov_b32_e32 v5, 0
	s_waitcnt lgkmcnt(0)
	s_barrier
	s_mov_b64 s[2:3], exec
	v_readlane_b32 s0, v59, 20
	v_readlane_b32 s1, v59, 21
	s_and_b64 s[0:1], s[2:3], s[0:1]
	s_mov_b64 exec, s[0:1]
	s_cbranch_execz .LBB189_522
; %bb.521:
	global_load_dwordx2 v[4:5], v[16:17], off
.LBB189_522:
	s_or_b64 exec, exec, s[2:3]
	s_add_u32 s0, s24, 63
	v_readlane_b32 s2, v59, 0
	v_readlane_b32 s3, v59, 1
	s_mul_i32 s1, s2, s35
	s_addc_u32 s17, s25, 0
	s_and_b32 s16, s0, 0xffffffc0
	s_mul_hi_u32 s0, s2, s34
	s_add_i32 s0, s0, s1
	s_mul_i32 s1, s3, s34
	v_readlane_b32 s4, v59, 2
	s_add_i32 s1, s0, s1
	s_mul_i32 s0, s2, s34
	v_readlane_b32 s5, v59, 3
	s_mul_i32 s2, s4, s47
	s_mul_hi_u32 s3, s4, s46
	s_add_i32 s2, s3, s2
	s_mul_i32 s3, s5, s46
	s_add_i32 s3, s2, s3
	s_mul_i32 s2, s4, s46
	s_lshl_b64 s[0:1], s[0:1], 3
	v_readlane_b32 s4, v59, 4
	v_readlane_b32 s5, v59, 5
	s_add_u32 s4, s4, s0
	s_addc_u32 s5, s5, s1
	s_lshl_b64 s[0:1], s[28:29], 3
	s_add_u32 s0, s4, s0
	s_addc_u32 s1, s5, s1
	s_lshl_b64 s[2:3], s[2:3], 3
	v_readlane_b32 s4, v59, 6
	v_cmp_o_f64_e32 vcc, v[6:7], v[6:7]
	v_readlane_b32 s5, v59, 7
	s_add_u32 s4, s4, s2
	s_addc_u32 s5, s5, s3
	s_lshl_b64 s[2:3], s[42:43], 3
	s_add_u32 s48, s4, s2
	s_addc_u32 s49, s5, s3
	v_readlane_b32 s2, v59, 10
	v_readlane_b32 s3, v59, 11
	v_ashrrev_i32_e32 v2, 31, v7
	s_load_dwordx2 s[18:19], s[2:3], 0x368
	s_load_dwordx2 s[20:21], s[2:3], 0x510
	v_or_b32_e32 v3, 0x80000000, v2
	v_xor_b32_e32 v3, v3, v7
	v_xor_b32_e32 v2, v2, v6
	v_cndmask_b32_e32 v3, -1, v3, vcc
	v_cndmask_b32_e32 v2, -1, v2, vcc
	v_cmp_gt_u64_e32 vcc, s[16:17], v[0:1]
	s_mov_b64 s[34:35], -1
	s_mov_b64 s[2:3], 0
	s_mov_b64 s[4:5], 0
	s_and_saveexec_b64 s[28:29], vcc
	s_cbranch_execnz .LBB189_533
; %bb.523:
	s_or_b64 exec, exec, s[28:29]
	s_and_saveexec_b64 s[6:7], s[34:35]
	s_cbranch_execnz .LBB189_550
.LBB189_524:
	s_or_b64 exec, exec, s[6:7]
	s_and_saveexec_b64 s[0:1], s[4:5]
	s_xor_b64 s[0:1], exec, s[0:1]
	s_cbranch_execnz .LBB189_575
.LBB189_525:
	s_or_b64 exec, exec, s[0:1]
	s_and_b64 s[6:7], s[2:3], exec
.LBB189_526:
	s_andn2_saveexec_b64 s[0:1], s[14:15]
	s_cbranch_execnz .LBB189_577
.LBB189_527:
	s_or_b64 exec, exec, s[0:1]
	s_and_b64 s[6:7], s[6:7], exec
.LBB189_528:
	s_andn2_saveexec_b64 s[0:1], s[12:13]
	s_cbranch_execnz .LBB189_576
.LBB189_529:
	s_or_b64 exec, exec, s[0:1]
	s_and_b64 s[6:7], s[6:7], exec
.LBB189_530:
	s_andn2_saveexec_b64 s[0:1], s[10:11]
	s_cbranch_execnz .LBB189_571
.LBB189_531:
	s_or_b64 exec, exec, s[0:1]
	s_and_b64 s[6:7], s[6:7], exec
	s_andn2_saveexec_b64 s[0:1], s[8:9]
	s_cbranch_execz .LBB189_510
.LBB189_532:
	s_or_b64 s[6:7], s[6:7], exec
	s_trap 2
	s_or_b64 exec, exec, s[0:1]
	s_and_saveexec_b64 s[0:1], s[6:7]
	s_cbranch_execnz .LBB189_511
	s_branch .LBB189_512
.LBB189_533:
	v_add_u32_e32 v8, s33, v0
	v_mad_u64_u32 v[6:7], s[4:5], s22, v8, 0
	s_add_u32 s6, s52, s40
	v_readlane_b32 s34, v59, 44
	v_mad_u64_u32 v[7:8], s[4:5], s23, v8, v[7:8]
	s_addc_u32 s4, s53, s41
	v_readlane_b32 s35, v59, 45
	s_add_u32 s5, s6, s34
	v_lshlrev_b64 v[6:7], 3, v[6:7]
	s_addc_u32 s4, s4, s35
	v_mov_b32_e32 v8, s4
	v_add_co_u32_e64 v6, s[4:5], s5, v6
	v_mov_b32_e32 v19, v1
	v_addc_co_u32_e64 v7, s[4:5], v8, v7, s[4:5]
	s_mov_b64 s[34:35], 0
	v_mov_b32_e32 v9, 0
	v_mov_b32_e32 v18, v0
                                        ; implicit-def: $sgpr36_sgpr37
                                        ; implicit-def: $vgpr14_vgpr15
	s_branch .LBB189_535
.LBB189_534:                            ;   in Loop: Header=BB189_535 Depth=1
	s_or_b64 exec, exec, s[38:39]
	s_xor_b64 s[4:5], s[42:43], -1
	s_and_b64 s[6:7], exec, s[6:7]
	s_or_b64 s[34:35], s[6:7], s[34:35]
	s_andn2_b64 s[6:7], s[36:37], exec
	s_and_b64 s[4:5], s[4:5], exec
	s_waitcnt vmcnt(0)
	v_mov_b32_e32 v4, v12
	v_mov_b32_e32 v19, v11
	s_or_b64 s[36:37], s[6:7], s[4:5]
	v_mov_b32_e32 v5, v13
	v_mov_b32_e32 v18, v10
	s_andn2_b64 exec, exec, s[34:35]
	s_cbranch_execz .LBB189_549
.LBB189_535:                            ; =>This Inner Loop Header: Depth=1
	v_add_co_u32_e64 v10, s[4:5], s33, v18
	v_addc_co_u32_e64 v11, s[4:5], 0, v19, s[4:5]
	v_cmp_gt_u64_e64 s[4:5], s[24:25], v[10:11]
	v_mov_b32_e32 v12, 0
	v_mov_b32_e32 v13, 0
	s_and_saveexec_b64 s[6:7], s[4:5]
	s_cbranch_execz .LBB189_537
; %bb.536:                              ;   in Loop: Header=BB189_535 Depth=1
	global_load_dwordx2 v[12:13], v[6:7], off
.LBB189_537:                            ;   in Loop: Header=BB189_535 Depth=1
	s_or_b64 exec, exec, s[6:7]
	v_cmp_gt_u64_e64 s[4:5], s[24:25], v[18:19]
	s_mov_b64 s[38:39], 0
	s_and_saveexec_b64 s[6:7], s[4:5]
	s_cbranch_execz .LBB189_539
; %bb.538:                              ;   in Loop: Header=BB189_535 Depth=1
	s_waitcnt vmcnt(0)
	v_cmp_o_f64_e64 s[4:5], v[4:5], v[4:5]
	v_ashrrev_i32_e32 v8, 31, v5
	v_or_b32_e32 v20, 0x80000000, v8
	v_xor_b32_e32 v20, v20, v5
	v_xor_b32_e32 v8, v8, v4
	v_cndmask_b32_e64 v21, -1, v20, s[4:5]
	v_cndmask_b32_e64 v20, -1, v8, s[4:5]
	v_cmp_gt_u64_e64 s[4:5], v[20:21], v[2:3]
	v_cndmask_b32_e64 v8, 0, 1, s[4:5]
	v_cmp_lt_u64_e64 s[4:5], v[20:21], v[2:3]
	v_cndmask_b32_e64 v20, 0, 1, s[4:5]
	v_cndmask_b32_e64 v8, v20, v8, s[54:55]
	v_and_b32_e32 v8, 1, v8
	v_cmp_eq_u32_e64 s[4:5], 1, v8
	s_and_b64 s[38:39], s[4:5], exec
.LBB189_539:                            ;   in Loop: Header=BB189_535 Depth=1
	s_or_b64 exec, exec, s[6:7]
	v_cndmask_b32_e64 v8, 0, 1, s[38:39]
	v_cmp_ne_u32_e64 s[4:5], 0, v8
	s_cmp_lg_u64 s[4:5], 0
	s_cselect_b64 s[6:7], -1, 0
	s_and_b64 s[6:7], s[72:73], s[6:7]
	s_and_saveexec_b64 s[42:43], s[6:7]
	s_cbranch_execz .LBB189_543
; %bb.540:                              ;   in Loop: Header=BB189_535 Depth=1
	s_mov_b64 s[46:47], exec
	v_mbcnt_lo_u32_b32 v8, s46, 0
	v_mbcnt_hi_u32_b32 v20, s47, v8
	s_bcnt1_i32_b64 s50, s[4:5]
	v_cmp_eq_u32_e64 s[6:7], 0, v20
                                        ; implicit-def: $vgpr14_vgpr15
	s_and_saveexec_b64 s[44:45], s[6:7]
	s_cbranch_execz .LBB189_542
; %bb.541:                              ;   in Loop: Header=BB189_535 Depth=1
	s_bcnt1_i32_b64 s6, s[46:47]
	s_mul_i32 s6, s50, s6
	v_mov_b32_e32 v8, s6
	s_waitcnt lgkmcnt(0)
	ds_add_rtn_u64 v[14:15], v9, v[8:9] offset:5136
.LBB189_542:                            ;   in Loop: Header=BB189_535 Depth=1
	s_or_b64 exec, exec, s[44:45]
	s_waitcnt lgkmcnt(0)
	v_readfirstlane_b32 s6, v15
	v_readfirstlane_b32 s7, v14
	v_mov_b32_e32 v14, s7
	v_mov_b32_e32 v15, s6
	v_mad_u64_u32 v[14:15], s[6:7], s50, v20, v[14:15]
.LBB189_543:                            ;   in Loop: Header=BB189_535 Depth=1
	s_or_b64 exec, exec, s[42:43]
	s_waitcnt lgkmcnt(0)
	ds_bpermute_b32 v14, v46, v14
	ds_bpermute_b32 v15, v46, v15
	s_mov_b64 s[6:7], -1
	s_mov_b64 s[44:45], -1
	s_and_saveexec_b64 s[42:43], s[38:39]
	s_cbranch_execz .LBB189_547
; %bb.544:                              ;   in Loop: Header=BB189_535 Depth=1
	v_and_b32_e32 v20, s4, v48
	v_and_b32_e32 v8, s5, v47
	v_bcnt_u32_b32 v20, v20, 0
	v_bcnt_u32_b32 v8, v8, v20
	s_waitcnt lgkmcnt(0)
	v_add_co_u32_e64 v20, s[4:5], v14, v8
	v_addc_co_u32_e64 v21, s[4:5], 0, v15, s[4:5]
	v_cmp_gt_u64_e64 s[4:5], s[26:27], v[20:21]
	s_mov_b64 s[38:39], 0
	s_and_saveexec_b64 s[44:45], s[4:5]
	s_cbranch_execz .LBB189_546
; %bb.545:                              ;   in Loop: Header=BB189_535 Depth=1
	v_mul_lo_u32 v8, v21, s18
	v_mul_lo_u32 v24, v20, s19
	v_mad_u64_u32 v[22:23], s[4:5], v20, s18, 0
	v_mul_lo_u32 v25, v21, s20
	v_mul_lo_u32 v26, v20, s21
	v_mad_u64_u32 v[20:21], s[4:5], v20, s20, 0
	v_add3_u32 v23, v23, v24, v8
	v_lshlrev_b64 v[22:23], 3, v[22:23]
	v_mov_b32_e32 v8, s1
	v_add_co_u32_e64 v22, s[4:5], s0, v22
	v_add3_u32 v21, v21, v26, v25
	v_addc_co_u32_e64 v23, s[4:5], v8, v23, s[4:5]
	s_waitcnt vmcnt(0)
	global_store_dwordx2 v[22:23], v[4:5], off
	v_lshlrev_b64 v[4:5], 3, v[20:21]
	v_mov_b32_e32 v8, s49
	v_add_co_u32_e64 v4, s[4:5], s48, v4
	s_mov_b64 s[38:39], exec
	v_addc_co_u32_e64 v5, s[4:5], v8, v5, s[4:5]
	global_store_dwordx2 v[4:5], v[18:19], off
.LBB189_546:                            ;   in Loop: Header=BB189_535 Depth=1
	s_or_b64 exec, exec, s[44:45]
	s_orn2_b64 s[44:45], s[38:39], exec
.LBB189_547:                            ;   in Loop: Header=BB189_535 Depth=1
	s_or_b64 exec, exec, s[42:43]
	s_mov_b64 s[42:43], -1
	s_and_saveexec_b64 s[38:39], s[44:45]
	s_cbranch_execz .LBB189_534
; %bb.548:                              ;   in Loop: Header=BB189_535 Depth=1
	s_waitcnt vmcnt(0)
	v_mov_b32_e32 v4, s31
	v_add_co_u32_e64 v6, s[4:5], s30, v6
	v_addc_co_u32_e64 v7, s[4:5], v7, v4, s[4:5]
	v_cmp_le_u64_e64 s[4:5], s[16:17], v[10:11]
	s_xor_b64 s[42:43], exec, -1
	s_orn2_b64 s[6:7], s[4:5], exec
	s_branch .LBB189_534
.LBB189_549:
	s_or_b64 exec, exec, s[34:35]
	s_mov_b64 s[4:5], exec
	s_orn2_b64 s[34:35], s[36:37], exec
	s_or_b64 exec, exec, s[28:29]
	s_and_saveexec_b64 s[6:7], s[34:35]
	s_cbranch_execz .LBB189_524
.LBB189_550:
	v_mov_b32_e32 v10, 0
	v_mov_b32_e32 v11, 0
	s_waitcnt vmcnt(0) lgkmcnt(0)
	s_barrier
	s_mov_b64 s[2:3], exec
	v_readlane_b32 s28, v59, 20
	v_readlane_b32 s29, v59, 21
	s_and_b64 s[28:29], s[2:3], s[28:29]
	s_mov_b64 exec, s[28:29]
	s_cbranch_execz .LBB189_552
; %bb.551:
	global_load_dwordx2 v[10:11], v[16:17], off
.LBB189_552:
	s_or_b64 exec, exec, s[2:3]
	s_mov_b64 s[2:3], 0
	s_and_saveexec_b64 s[28:29], vcc
	s_cbranch_execz .LBB189_574
; %bb.553:
	v_add_u32_e32 v6, s33, v0
	v_mad_u64_u32 v[4:5], s[2:3], s22, v6, 0
	s_add_u32 s22, s52, s40
	v_readlane_b32 s34, v59, 44
	v_mad_u64_u32 v[5:6], s[2:3], s23, v6, v[5:6]
	s_addc_u32 s2, s53, s41
	v_readlane_b32 s35, v59, 45
	s_add_u32 s3, s22, s34
	v_lshlrev_b64 v[4:5], 3, v[4:5]
	s_addc_u32 s2, s2, s35
	v_mov_b32_e32 v6, s2
	v_add_co_u32_e32 v4, vcc, s3, v4
	v_addc_co_u32_e32 v5, vcc, v6, v5, vcc
	s_mov_b64 s[22:23], 0
	v_mov_b32_e32 v7, 0
                                        ; implicit-def: $sgpr34_sgpr35
                                        ; implicit-def: $vgpr14_vgpr15
	s_branch .LBB189_556
.LBB189_554:                            ;   in Loop: Header=BB189_556 Depth=1
	s_or_b64 exec, exec, s[38:39]
	s_orn2_b64 s[40:41], s[42:43], exec
	s_orn2_b64 s[38:39], s[36:37], exec
.LBB189_555:                            ;   in Loop: Header=BB189_556 Depth=1
	s_or_b64 exec, exec, s[2:3]
	s_xor_b64 s[2:3], s[40:41], -1
	s_and_b64 s[36:37], exec, s[38:39]
	s_or_b64 s[22:23], s[36:37], s[22:23]
	s_andn2_b64 s[34:35], s[34:35], exec
	s_and_b64 s[2:3], s[2:3], exec
	v_mov_b32_e32 v0, v8
	s_waitcnt vmcnt(0)
	v_mov_b32_e32 v10, v12
	s_or_b64 s[34:35], s[34:35], s[2:3]
	v_mov_b32_e32 v1, v9
	v_mov_b32_e32 v11, v13
	s_andn2_b64 exec, exec, s[22:23]
	s_cbranch_execz .LBB189_572
.LBB189_556:                            ; =>This Inner Loop Header: Depth=1
	v_add_co_u32_e32 v8, vcc, s33, v0
	v_addc_co_u32_e32 v9, vcc, 0, v1, vcc
	v_cmp_gt_u64_e32 vcc, s[24:25], v[8:9]
	v_mov_b32_e32 v12, 0
	v_mov_b32_e32 v13, 0
	s_and_saveexec_b64 s[2:3], vcc
	s_cbranch_execz .LBB189_558
; %bb.557:                              ;   in Loop: Header=BB189_556 Depth=1
	global_load_dwordx2 v[12:13], v[4:5], off
.LBB189_558:                            ;   in Loop: Header=BB189_556 Depth=1
	s_or_b64 exec, exec, s[2:3]
	v_cmp_gt_u64_e32 vcc, s[24:25], v[0:1]
	s_mov_b64 s[36:37], 0
	s_and_saveexec_b64 s[2:3], vcc
	s_cbranch_execz .LBB189_560
; %bb.559:                              ;   in Loop: Header=BB189_556 Depth=1
	s_waitcnt vmcnt(0)
	v_cmp_o_f64_e32 vcc, v[10:11], v[10:11]
	v_ashrrev_i32_e32 v6, 31, v11
	v_or_b32_e32 v16, 0x80000000, v6
	v_xor_b32_e32 v16, v16, v11
	v_xor_b32_e32 v6, v6, v10
	v_cndmask_b32_e32 v17, -1, v16, vcc
	v_cndmask_b32_e32 v16, -1, v6, vcc
	v_cmp_eq_u64_e32 vcc, v[16:17], v[2:3]
	s_and_b64 s[36:37], vcc, exec
.LBB189_560:                            ;   in Loop: Header=BB189_556 Depth=1
	s_or_b64 exec, exec, s[2:3]
	v_cndmask_b32_e64 v6, 0, 1, s[36:37]
	v_cmp_ne_u32_e32 vcc, 0, v6
	s_cmp_lg_u64 vcc, 0
	s_cselect_b64 s[2:3], -1, 0
	s_and_b64 s[2:3], s[72:73], s[2:3]
	s_and_saveexec_b64 s[38:39], s[2:3]
	s_cbranch_execz .LBB189_564
; %bb.561:                              ;   in Loop: Header=BB189_556 Depth=1
	s_mov_b64 s[42:43], exec
	v_mbcnt_lo_u32_b32 v6, s42, 0
	v_mbcnt_hi_u32_b32 v16, s43, v6
	s_bcnt1_i32_b64 s44, vcc
	v_cmp_eq_u32_e64 s[2:3], 0, v16
                                        ; implicit-def: $vgpr14_vgpr15
	s_and_saveexec_b64 s[40:41], s[2:3]
; %bb.562:                              ;   in Loop: Header=BB189_556 Depth=1
	s_bcnt1_i32_b64 s2, s[42:43]
	s_mul_i32 s2, s44, s2
	v_mov_b32_e32 v6, s2
	ds_add_rtn_u64 v[14:15], v7, v[6:7] offset:5136
; %bb.563:                              ;   in Loop: Header=BB189_556 Depth=1
	s_or_b64 exec, exec, s[40:41]
	s_waitcnt lgkmcnt(0)
	v_readfirstlane_b32 s2, v15
	v_readfirstlane_b32 s3, v14
	v_mov_b32_e32 v14, s3
	v_mov_b32_e32 v15, s2
	v_mad_u64_u32 v[14:15], s[2:3], s44, v16, v[14:15]
.LBB189_564:                            ;   in Loop: Header=BB189_556 Depth=1
	s_or_b64 exec, exec, s[38:39]
	ds_bpermute_b32 v14, v46, v14
	ds_bpermute_b32 v15, v46, v15
	s_cmp_eq_u64 vcc, 0
	s_cselect_b64 s[40:41], -1, 0
	s_mov_b64 s[38:39], -1
	s_waitcnt lgkmcnt(0)
	v_cmp_gt_u64_e64 s[2:3], s[26:27], v[14:15]
	s_or_b64 s[42:43], s[40:41], s[2:3]
	s_mov_b64 s[40:41], -1
	s_and_saveexec_b64 s[2:3], s[42:43]
	s_cbranch_execz .LBB189_555
; %bb.565:                              ;   in Loop: Header=BB189_556 Depth=1
	v_and_b32_e32 v16, vcc_lo, v48
	v_and_b32_e32 v6, vcc_hi, v47
	v_bcnt_u32_b32 v16, v16, 0
	v_bcnt_u32_b32 v6, v6, v16
	v_mov_b32_e32 v17, s27
	v_sub_co_u32_e32 v16, vcc, s26, v14
	v_subb_co_u32_e32 v17, vcc, v17, v15, vcc
	v_cmp_gt_u64_e32 vcc, v[16:17], v[6:7]
	s_mov_b64 s[42:43], -1
	s_and_b64 s[44:45], s[36:37], vcc
	s_mov_b64 s[36:37], -1
	s_and_saveexec_b64 s[38:39], s[44:45]
	s_cbranch_execz .LBB189_569
; %bb.566:                              ;   in Loop: Header=BB189_556 Depth=1
	v_add_co_u32_e32 v16, vcc, v14, v6
	v_addc_co_u32_e32 v17, vcc, 0, v15, vcc
	v_cmp_gt_u64_e32 vcc, s[26:27], v[16:17]
	s_mov_b64 s[40:41], 0
	s_and_saveexec_b64 s[42:43], vcc
	s_cbranch_execz .LBB189_568
; %bb.567:                              ;   in Loop: Header=BB189_556 Depth=1
	v_mul_lo_u32 v6, v17, s18
	v_mul_lo_u32 v20, v16, s19
	v_mad_u64_u32 v[18:19], s[44:45], v16, s18, 0
	v_mul_lo_u32 v21, v17, s20
	v_mul_lo_u32 v22, v16, s21
	v_mad_u64_u32 v[16:17], s[44:45], v16, s20, 0
	v_add3_u32 v19, v19, v20, v6
	v_lshlrev_b64 v[18:19], 3, v[18:19]
	v_mov_b32_e32 v6, s1
	v_add_co_u32_e32 v18, vcc, s0, v18
	v_add3_u32 v17, v17, v22, v21
	v_addc_co_u32_e32 v19, vcc, v6, v19, vcc
	s_waitcnt vmcnt(0)
	global_store_dwordx2 v[18:19], v[10:11], off
	v_lshlrev_b64 v[10:11], 3, v[16:17]
	v_mov_b32_e32 v6, s49
	v_add_co_u32_e32 v10, vcc, s48, v10
	s_mov_b64 s[40:41], exec
	v_addc_co_u32_e32 v11, vcc, v6, v11, vcc
	global_store_dwordx2 v[10:11], v[0:1], off
.LBB189_568:                            ;   in Loop: Header=BB189_556 Depth=1
	s_or_b64 exec, exec, s[42:43]
	s_xor_b64 s[42:43], exec, -1
	s_orn2_b64 s[40:41], s[40:41], exec
.LBB189_569:                            ;   in Loop: Header=BB189_556 Depth=1
	s_or_b64 exec, exec, s[38:39]
	s_and_saveexec_b64 s[38:39], s[40:41]
	s_cbranch_execz .LBB189_554
; %bb.570:                              ;   in Loop: Header=BB189_556 Depth=1
	v_mov_b32_e32 v0, s31
	v_add_co_u32_e32 v4, vcc, s30, v4
	v_addc_co_u32_e32 v5, vcc, v5, v0, vcc
	v_cmp_le_u64_e32 vcc, s[16:17], v[8:9]
	s_or_b64 s[42:43], s[42:43], exec
	s_orn2_b64 s[36:37], vcc, exec
	s_branch .LBB189_554
.LBB189_571:
	s_or_b64 s[6:7], s[6:7], exec
	s_trap 2
	s_branch .LBB189_531
.LBB189_572:
	s_or_b64 exec, exec, s[22:23]
	s_mov_b64 s[0:1], 0
	s_and_saveexec_b64 s[2:3], s[34:35]
	s_xor_b64 s[2:3], exec, s[2:3]
	s_cbranch_execnz .LBB189_578
.LBB189_573:
	s_or_b64 exec, exec, s[2:3]
	s_and_b64 s[2:3], s[0:1], exec
.LBB189_574:
	s_or_b64 exec, exec, s[28:29]
	s_and_b64 s[2:3], s[2:3], exec
	s_andn2_b64 s[4:5], s[4:5], exec
	s_or_b64 exec, exec, s[6:7]
	s_and_saveexec_b64 s[0:1], s[4:5]
	s_xor_b64 s[0:1], exec, s[0:1]
	s_cbranch_execz .LBB189_525
.LBB189_575:
	s_trap 2
	s_or_b64 s[2:3], s[2:3], exec
	s_branch .LBB189_525
.LBB189_576:
	s_or_b64 s[6:7], s[6:7], exec
	s_trap 2
	s_branch .LBB189_529
.LBB189_577:
	s_trap 2
	s_or_b64 s[6:7], s[6:7], exec
	s_branch .LBB189_527
.LBB189_578:
	s_mov_b64 s[0:1], exec
	s_trap 2
	s_branch .LBB189_573
	.section	.rodata,"a",@progbits
	.p2align	6, 0x0
	.amdhsa_kernel _ZN2at6native6sbtopk10gatherTopKIdmLin1ELb0EEEvNS_4cuda6detail10TensorInfoIKT_T0_EES8_S8_bS8_S8_NS5_IS6_S8_EES8_NS5_IlS8_EES8_PS6_
		.amdhsa_group_segment_fixed_size 5152
		.amdhsa_private_segment_fixed_size 0
		.amdhsa_kernarg_size 1568
		.amdhsa_user_sgpr_count 6
		.amdhsa_user_sgpr_private_segment_buffer 1
		.amdhsa_user_sgpr_dispatch_ptr 0
		.amdhsa_user_sgpr_queue_ptr 0
		.amdhsa_user_sgpr_kernarg_segment_ptr 1
		.amdhsa_user_sgpr_dispatch_id 0
		.amdhsa_user_sgpr_flat_scratch_init 0
		.amdhsa_user_sgpr_private_segment_size 0
		.amdhsa_uses_dynamic_stack 0
		.amdhsa_system_sgpr_private_segment_wavefront_offset 0
		.amdhsa_system_sgpr_workgroup_id_x 1
		.amdhsa_system_sgpr_workgroup_id_y 1
		.amdhsa_system_sgpr_workgroup_id_z 1
		.amdhsa_system_sgpr_workgroup_info 0
		.amdhsa_system_vgpr_workitem_id 0
		.amdhsa_next_free_vgpr 60
		.amdhsa_next_free_sgpr 96
		.amdhsa_reserve_vcc 1
		.amdhsa_reserve_flat_scratch 0
		.amdhsa_float_round_mode_32 0
		.amdhsa_float_round_mode_16_64 0
		.amdhsa_float_denorm_mode_32 3
		.amdhsa_float_denorm_mode_16_64 3
		.amdhsa_dx10_clamp 1
		.amdhsa_ieee_mode 1
		.amdhsa_fp16_overflow 0
		.amdhsa_exception_fp_ieee_invalid_op 0
		.amdhsa_exception_fp_denorm_src 0
		.amdhsa_exception_fp_ieee_div_zero 0
		.amdhsa_exception_fp_ieee_overflow 0
		.amdhsa_exception_fp_ieee_underflow 0
		.amdhsa_exception_fp_ieee_inexact 0
		.amdhsa_exception_int_div_zero 0
	.end_amdhsa_kernel
	.section	.text._ZN2at6native6sbtopk10gatherTopKIdmLin1ELb0EEEvNS_4cuda6detail10TensorInfoIKT_T0_EES8_S8_bS8_S8_NS5_IS6_S8_EES8_NS5_IlS8_EES8_PS6_,"axG",@progbits,_ZN2at6native6sbtopk10gatherTopKIdmLin1ELb0EEEvNS_4cuda6detail10TensorInfoIKT_T0_EES8_S8_bS8_S8_NS5_IS6_S8_EES8_NS5_IlS8_EES8_PS6_,comdat
.Lfunc_end189:
	.size	_ZN2at6native6sbtopk10gatherTopKIdmLin1ELb0EEEvNS_4cuda6detail10TensorInfoIKT_T0_EES8_S8_bS8_S8_NS5_IS6_S8_EES8_NS5_IlS8_EES8_PS6_, .Lfunc_end189-_ZN2at6native6sbtopk10gatherTopKIdmLin1ELb0EEEvNS_4cuda6detail10TensorInfoIKT_T0_EES8_S8_bS8_S8_NS5_IS6_S8_EES8_NS5_IlS8_EES8_PS6_
                                        ; -- End function
	.set _ZN2at6native6sbtopk10gatherTopKIdmLin1ELb0EEEvNS_4cuda6detail10TensorInfoIKT_T0_EES8_S8_bS8_S8_NS5_IS6_S8_EES8_NS5_IlS8_EES8_PS6_.num_vgpr, 60
	.set _ZN2at6native6sbtopk10gatherTopKIdmLin1ELb0EEEvNS_4cuda6detail10TensorInfoIKT_T0_EES8_S8_bS8_S8_NS5_IS6_S8_EES8_NS5_IlS8_EES8_PS6_.num_agpr, 0
	.set _ZN2at6native6sbtopk10gatherTopKIdmLin1ELb0EEEvNS_4cuda6detail10TensorInfoIKT_T0_EES8_S8_bS8_S8_NS5_IS6_S8_EES8_NS5_IlS8_EES8_PS6_.numbered_sgpr, 96
	.set _ZN2at6native6sbtopk10gatherTopKIdmLin1ELb0EEEvNS_4cuda6detail10TensorInfoIKT_T0_EES8_S8_bS8_S8_NS5_IS6_S8_EES8_NS5_IlS8_EES8_PS6_.num_named_barrier, 0
	.set _ZN2at6native6sbtopk10gatherTopKIdmLin1ELb0EEEvNS_4cuda6detail10TensorInfoIKT_T0_EES8_S8_bS8_S8_NS5_IS6_S8_EES8_NS5_IlS8_EES8_PS6_.private_seg_size, 0
	.set _ZN2at6native6sbtopk10gatherTopKIdmLin1ELb0EEEvNS_4cuda6detail10TensorInfoIKT_T0_EES8_S8_bS8_S8_NS5_IS6_S8_EES8_NS5_IlS8_EES8_PS6_.uses_vcc, 1
	.set _ZN2at6native6sbtopk10gatherTopKIdmLin1ELb0EEEvNS_4cuda6detail10TensorInfoIKT_T0_EES8_S8_bS8_S8_NS5_IS6_S8_EES8_NS5_IlS8_EES8_PS6_.uses_flat_scratch, 0
	.set _ZN2at6native6sbtopk10gatherTopKIdmLin1ELb0EEEvNS_4cuda6detail10TensorInfoIKT_T0_EES8_S8_bS8_S8_NS5_IS6_S8_EES8_NS5_IlS8_EES8_PS6_.has_dyn_sized_stack, 0
	.set _ZN2at6native6sbtopk10gatherTopKIdmLin1ELb0EEEvNS_4cuda6detail10TensorInfoIKT_T0_EES8_S8_bS8_S8_NS5_IS6_S8_EES8_NS5_IlS8_EES8_PS6_.has_recursion, 0
	.set _ZN2at6native6sbtopk10gatherTopKIdmLin1ELb0EEEvNS_4cuda6detail10TensorInfoIKT_T0_EES8_S8_bS8_S8_NS5_IS6_S8_EES8_NS5_IlS8_EES8_PS6_.has_indirect_call, 0
	.section	.AMDGPU.csdata,"",@progbits
; Kernel info:
; codeLenInByte = 29500
; TotalNumSgprs: 100
; NumVgprs: 60
; ScratchSize: 0
; MemoryBound: 0
; FloatMode: 240
; IeeeMode: 1
; LDSByteSize: 5152 bytes/workgroup (compile time only)
; SGPRBlocks: 12
; VGPRBlocks: 14
; NumSGPRsForWavesPerEU: 100
; NumVGPRsForWavesPerEU: 60
; Occupancy: 4
; WaveLimiterHint : 1
; COMPUTE_PGM_RSRC2:SCRATCH_EN: 0
; COMPUTE_PGM_RSRC2:USER_SGPR: 6
; COMPUTE_PGM_RSRC2:TRAP_HANDLER: 0
; COMPUTE_PGM_RSRC2:TGID_X_EN: 1
; COMPUTE_PGM_RSRC2:TGID_Y_EN: 1
; COMPUTE_PGM_RSRC2:TGID_Z_EN: 1
; COMPUTE_PGM_RSRC2:TIDIG_COMP_CNT: 0
	.section	.text._ZN2at6native6mbtopk23computeBlockDigitCountsIfmjLi1EEEvNS_4cuda6detail10TensorInfoIKT_T0_EEjPjjS8_iijT1_PSB_Ps,"axG",@progbits,_ZN2at6native6mbtopk23computeBlockDigitCountsIfmjLi1EEEvNS_4cuda6detail10TensorInfoIKT_T0_EEjPjjS8_iijT1_PSB_Ps,comdat
	.protected	_ZN2at6native6mbtopk23computeBlockDigitCountsIfmjLi1EEEvNS_4cuda6detail10TensorInfoIKT_T0_EEjPjjS8_iijT1_PSB_Ps ; -- Begin function _ZN2at6native6mbtopk23computeBlockDigitCountsIfmjLi1EEEvNS_4cuda6detail10TensorInfoIKT_T0_EEjPjjS8_iijT1_PSB_Ps
	.globl	_ZN2at6native6mbtopk23computeBlockDigitCountsIfmjLi1EEEvNS_4cuda6detail10TensorInfoIKT_T0_EEjPjjS8_iijT1_PSB_Ps
	.p2align	8
	.type	_ZN2at6native6mbtopk23computeBlockDigitCountsIfmjLi1EEEvNS_4cuda6detail10TensorInfoIKT_T0_EEjPjjS8_iijT1_PSB_Ps,@function
_ZN2at6native6mbtopk23computeBlockDigitCountsIfmjLi1EEEvNS_4cuda6detail10TensorInfoIKT_T0_EEjPjjS8_iijT1_PSB_Ps: ; @_ZN2at6native6mbtopk23computeBlockDigitCountsIfmjLi1EEEvNS_4cuda6detail10TensorInfoIKT_T0_EEjPjjS8_iijT1_PSB_Ps
; %bb.0:
	s_load_dwordx4 s[0:3], s[4:5], 0x1c0
	s_load_dword s9, s[4:5], 0x1b0
	s_load_dwordx2 s[10:11], s[4:5], 0x1e0
	s_mov_b32 s13, 0
	s_waitcnt lgkmcnt(0)
	v_cvt_f32_u32_e32 v1, s2
	s_mul_i32 s8, s11, s8
	s_add_i32 s7, s8, s7
	v_rcp_iflag_f32_e32 v1, v1
	s_mul_i32 s14, s7, s10
	s_sub_i32 s11, 0, s2
	s_add_i32 s14, s14, s6
	v_mul_f32_e32 v1, 0x4f7ffffe, v1
	v_cvt_u32_f32_e32 v1, v1
	v_readfirstlane_b32 s6, v1
	s_mul_i32 s11, s11, s6
	s_mul_hi_u32 s7, s6, s11
	s_add_i32 s6, s6, s7
	s_mul_hi_u32 s6, s14, s6
	s_mul_i32 s7, s6, s2
	s_sub_i32 s7, s14, s7
	s_add_i32 s8, s6, 1
	s_sub_i32 s10, s7, s2
	s_cmp_ge_u32 s7, s2
	s_cselect_b32 s6, s8, s6
	s_cselect_b32 s7, s10, s7
	s_add_i32 s8, s6, 1
	s_cmp_ge_u32 s7, s2
	s_cselect_b32 s12, s8, s6
	s_cmp_ge_u32 s12, s9
	s_cbranch_scc1 .LBB190_21
; %bb.1:
	s_load_dwordx4 s[8:11], s[4:5], 0x1d0
	s_lshl_b64 s[6:7], s[12:13], 2
	s_movk_i32 s13, 0x100
	v_cmp_gt_u32_e32 vcc, s13, v0
	v_lshlrev_b32_e32 v1, 2, v0
	s_waitcnt lgkmcnt(0)
	s_add_u32 s8, s8, s6
	s_addc_u32 s9, s9, s7
	s_and_saveexec_b64 s[6:7], vcc
; %bb.2:
	v_mov_b32_e32 v2, 0
	ds_write_b32 v1, v2
; %bb.3:
	s_or_b64 exec, exec, s[6:7]
	s_load_dword s13, s[4:5], 0x1a0
	s_mul_i32 s6, s12, s2
	s_sub_i32 s6, s14, s6
	s_add_i32 s15, s6, 1
	s_mul_i32 s6, s1, s6
	s_lshl_b32 s16, s6, 8
	s_waitcnt lgkmcnt(0)
	s_sub_i32 s6, s13, s16
	s_add_u32 s6, s6, 0xff
	s_addc_u32 s7, 0, 0
	s_lshr_b64 s[6:7], s[6:7], 8
	s_cmp_lt_u32 s15, s2
	s_cselect_b32 s15, s1, s6
	s_cmp_lt_i32 s15, 1
	s_mov_b32 s1, 0
	s_barrier
	s_cbranch_scc1 .LBB190_19
; %bb.4:
	s_load_dwordx2 s[18:19], s[4:5], 0xd0
	s_load_dwordx2 s[6:7], s[4:5], 0x1b8
	;; [unrolled: 1-line block ×3, first 2 shown]
	s_load_dword s2, s[8:9], 0x0
	v_add_u32_e32 v2, s16, v0
	s_waitcnt lgkmcnt(0)
	s_mul_i32 s4, s19, s12
	s_mul_hi_u32 s5, s18, s12
	s_add_i32 s5, s5, s4
	s_mul_i32 s4, s18, s12
	s_lshl_b64 s[4:5], s[4:5], 2
	s_add_u32 s9, s20, s4
	s_addc_u32 s12, s21, s5
	s_and_b32 s8, s0, 0xff
	s_cmp_eq_u32 s15, 1
	s_cbranch_scc1 .LBB190_14
; %bb.5:
	s_and_b32 s16, s15, 0x7ffffffe
	s_mov_b32 s17, 0
	v_mov_b32_e32 v3, 1
	v_bfrev_b32_e32 v4, 1
	v_mov_b32_e32 v5, v2
	s_branch .LBB190_7
.LBB190_6:                              ;   in Loop: Header=BB190_7 Depth=1
	s_or_b64 exec, exec, s[4:5]
	s_add_i32 s17, s17, 2
	s_cmp_eq_u32 s16, s17
	v_add_u32_e32 v5, 0x200, v5
	s_cbranch_scc1 .LBB190_13
.LBB190_7:                              ; =>This Inner Loop Header: Depth=1
	v_cmp_gt_u32_e64 s[0:1], s13, v5
	s_and_saveexec_b64 s[4:5], s[0:1]
	s_cbranch_execz .LBB190_10
; %bb.8:                                ;   in Loop: Header=BB190_7 Depth=1
	v_mad_u64_u32 v[6:7], s[0:1], s6, v5, 0
	v_mad_u64_u32 v[7:8], s[0:1], s7, v5, v[7:8]
	v_mov_b32_e32 v8, s12
	v_lshlrev_b64 v[6:7], 2, v[6:7]
	v_add_co_u32_e64 v6, s[0:1], s9, v6
	v_addc_co_u32_e64 v7, s[0:1], v8, v7, s[0:1]
	global_load_dword v6, v[6:7], off
	s_waitcnt vmcnt(0)
	v_cmp_lt_i32_e64 s[0:1], -1, v6
	v_cndmask_b32_e64 v7, -1, v4, s[0:1]
	v_xor_b32_e32 v7, v7, v6
	v_cmp_o_f32_e64 s[0:1], v6, v6
	v_cndmask_b32_e64 v6, -1, v7, s[0:1]
	v_xor_b32_e32 v7, s2, v6
	v_and_b32_e32 v7, s3, v7
	v_cmp_eq_u32_e64 s[0:1], 0, v7
	s_and_b64 exec, exec, s[0:1]
; %bb.9:                                ;   in Loop: Header=BB190_7 Depth=1
	v_bfe_u32 v6, v6, s8, 8
	v_lshlrev_b32_e32 v6, 2, v6
	ds_add_u32 v6, v3
.LBB190_10:                             ;   in Loop: Header=BB190_7 Depth=1
	s_or_b64 exec, exec, s[4:5]
	v_add_u32_e32 v6, 0x100, v5
	v_cmp_gt_u32_e64 s[0:1], s13, v6
	s_and_saveexec_b64 s[4:5], s[0:1]
	s_cbranch_execz .LBB190_6
; %bb.11:                               ;   in Loop: Header=BB190_7 Depth=1
	v_mad_u64_u32 v[7:8], s[0:1], s6, v6, 0
	v_mad_u64_u32 v[8:9], s[0:1], s7, v6, v[8:9]
	v_mov_b32_e32 v9, s12
	v_lshlrev_b64 v[6:7], 2, v[7:8]
	v_add_co_u32_e64 v6, s[0:1], s9, v6
	v_addc_co_u32_e64 v7, s[0:1], v9, v7, s[0:1]
	global_load_dword v6, v[6:7], off
	s_waitcnt vmcnt(0)
	v_cmp_lt_i32_e64 s[0:1], -1, v6
	v_cndmask_b32_e64 v7, -1, v4, s[0:1]
	v_xor_b32_e32 v7, v7, v6
	v_cmp_o_f32_e64 s[0:1], v6, v6
	v_cndmask_b32_e64 v6, -1, v7, s[0:1]
	v_xor_b32_e32 v7, s2, v6
	v_and_b32_e32 v7, s3, v7
	v_cmp_eq_u32_e64 s[0:1], 0, v7
	s_and_b64 exec, exec, s[0:1]
	s_cbranch_execz .LBB190_6
; %bb.12:                               ;   in Loop: Header=BB190_7 Depth=1
	v_bfe_u32 v6, v6, s8, 8
	v_lshlrev_b32_e32 v6, 2, v6
	ds_add_u32 v6, v3
	s_branch .LBB190_6
.LBB190_13:
	s_lshl_b32 s1, s16, 8
.LBB190_14:
	s_bitcmp0_b32 s15, 0
	s_cbranch_scc1 .LBB190_19
; %bb.15:
	v_add_u32_e32 v2, s1, v2
	v_cmp_gt_u32_e64 s[0:1], s13, v2
	s_and_saveexec_b64 s[4:5], s[0:1]
	s_cbranch_execz .LBB190_18
; %bb.16:
	v_mad_u64_u32 v[3:4], s[0:1], s6, v2, 0
	v_mad_u64_u32 v[4:5], s[0:1], s7, v2, v[4:5]
	v_mov_b32_e32 v5, s12
	v_lshlrev_b64 v[2:3], 2, v[3:4]
	v_add_co_u32_e64 v2, s[0:1], s9, v2
	v_addc_co_u32_e64 v3, s[0:1], v5, v3, s[0:1]
	global_load_dword v2, v[2:3], off
	v_bfrev_b32_e32 v3, 1
	s_waitcnt vmcnt(0)
	v_cmp_lt_i32_e64 s[0:1], -1, v2
	v_cndmask_b32_e64 v3, -1, v3, s[0:1]
	v_xor_b32_e32 v3, v3, v2
	v_cmp_o_f32_e64 s[0:1], v2, v2
	v_cndmask_b32_e64 v2, -1, v3, s[0:1]
	v_xor_b32_e32 v3, s2, v2
	v_and_b32_e32 v3, s3, v3
	v_cmp_eq_u32_e64 s[0:1], 0, v3
	s_and_b64 exec, exec, s[0:1]
; %bb.17:
	v_bfe_u32 v2, v2, s8, 8
	v_lshlrev_b32_e32 v2, 2, v2
	v_mov_b32_e32 v3, 1
	ds_add_u32 v2, v3
.LBB190_18:
	s_or_b64 exec, exec, s[4:5]
.LBB190_19:
	s_waitcnt lgkmcnt(0)
	s_barrier
	s_and_saveexec_b64 s[0:1], vcc
	s_cbranch_execz .LBB190_21
; %bb.20:
	v_lshl_or_b32 v2, s14, 8, v0
	v_mov_b32_e32 v3, 0
	ds_read_b32 v5, v1
	v_lshlrev_b64 v[2:3], 1, v[2:3]
	v_mov_b32_e32 v4, s11
	v_add_co_u32_e32 v0, vcc, s10, v2
	v_addc_co_u32_e32 v1, vcc, v4, v3, vcc
	s_waitcnt lgkmcnt(0)
	global_store_short v[0:1], v5, off
.LBB190_21:
	s_endpgm
	.section	.rodata,"a",@progbits
	.p2align	6, 0x0
	.amdhsa_kernel _ZN2at6native6mbtopk23computeBlockDigitCountsIfmjLi1EEEvNS_4cuda6detail10TensorInfoIKT_T0_EEjPjjS8_iijT1_PSB_Ps
		.amdhsa_group_segment_fixed_size 1024
		.amdhsa_private_segment_fixed_size 0
		.amdhsa_kernarg_size 736
		.amdhsa_user_sgpr_count 6
		.amdhsa_user_sgpr_private_segment_buffer 1
		.amdhsa_user_sgpr_dispatch_ptr 0
		.amdhsa_user_sgpr_queue_ptr 0
		.amdhsa_user_sgpr_kernarg_segment_ptr 1
		.amdhsa_user_sgpr_dispatch_id 0
		.amdhsa_user_sgpr_flat_scratch_init 0
		.amdhsa_user_sgpr_private_segment_size 0
		.amdhsa_uses_dynamic_stack 0
		.amdhsa_system_sgpr_private_segment_wavefront_offset 0
		.amdhsa_system_sgpr_workgroup_id_x 1
		.amdhsa_system_sgpr_workgroup_id_y 1
		.amdhsa_system_sgpr_workgroup_id_z 1
		.amdhsa_system_sgpr_workgroup_info 0
		.amdhsa_system_vgpr_workitem_id 0
		.amdhsa_next_free_vgpr 10
		.amdhsa_next_free_sgpr 22
		.amdhsa_reserve_vcc 1
		.amdhsa_reserve_flat_scratch 0
		.amdhsa_float_round_mode_32 0
		.amdhsa_float_round_mode_16_64 0
		.amdhsa_float_denorm_mode_32 3
		.amdhsa_float_denorm_mode_16_64 3
		.amdhsa_dx10_clamp 1
		.amdhsa_ieee_mode 1
		.amdhsa_fp16_overflow 0
		.amdhsa_exception_fp_ieee_invalid_op 0
		.amdhsa_exception_fp_denorm_src 0
		.amdhsa_exception_fp_ieee_div_zero 0
		.amdhsa_exception_fp_ieee_overflow 0
		.amdhsa_exception_fp_ieee_underflow 0
		.amdhsa_exception_fp_ieee_inexact 0
		.amdhsa_exception_int_div_zero 0
	.end_amdhsa_kernel
	.section	.text._ZN2at6native6mbtopk23computeBlockDigitCountsIfmjLi1EEEvNS_4cuda6detail10TensorInfoIKT_T0_EEjPjjS8_iijT1_PSB_Ps,"axG",@progbits,_ZN2at6native6mbtopk23computeBlockDigitCountsIfmjLi1EEEvNS_4cuda6detail10TensorInfoIKT_T0_EEjPjjS8_iijT1_PSB_Ps,comdat
.Lfunc_end190:
	.size	_ZN2at6native6mbtopk23computeBlockDigitCountsIfmjLi1EEEvNS_4cuda6detail10TensorInfoIKT_T0_EEjPjjS8_iijT1_PSB_Ps, .Lfunc_end190-_ZN2at6native6mbtopk23computeBlockDigitCountsIfmjLi1EEEvNS_4cuda6detail10TensorInfoIKT_T0_EEjPjjS8_iijT1_PSB_Ps
                                        ; -- End function
	.set _ZN2at6native6mbtopk23computeBlockDigitCountsIfmjLi1EEEvNS_4cuda6detail10TensorInfoIKT_T0_EEjPjjS8_iijT1_PSB_Ps.num_vgpr, 10
	.set _ZN2at6native6mbtopk23computeBlockDigitCountsIfmjLi1EEEvNS_4cuda6detail10TensorInfoIKT_T0_EEjPjjS8_iijT1_PSB_Ps.num_agpr, 0
	.set _ZN2at6native6mbtopk23computeBlockDigitCountsIfmjLi1EEEvNS_4cuda6detail10TensorInfoIKT_T0_EEjPjjS8_iijT1_PSB_Ps.numbered_sgpr, 22
	.set _ZN2at6native6mbtopk23computeBlockDigitCountsIfmjLi1EEEvNS_4cuda6detail10TensorInfoIKT_T0_EEjPjjS8_iijT1_PSB_Ps.num_named_barrier, 0
	.set _ZN2at6native6mbtopk23computeBlockDigitCountsIfmjLi1EEEvNS_4cuda6detail10TensorInfoIKT_T0_EEjPjjS8_iijT1_PSB_Ps.private_seg_size, 0
	.set _ZN2at6native6mbtopk23computeBlockDigitCountsIfmjLi1EEEvNS_4cuda6detail10TensorInfoIKT_T0_EEjPjjS8_iijT1_PSB_Ps.uses_vcc, 1
	.set _ZN2at6native6mbtopk23computeBlockDigitCountsIfmjLi1EEEvNS_4cuda6detail10TensorInfoIKT_T0_EEjPjjS8_iijT1_PSB_Ps.uses_flat_scratch, 0
	.set _ZN2at6native6mbtopk23computeBlockDigitCountsIfmjLi1EEEvNS_4cuda6detail10TensorInfoIKT_T0_EEjPjjS8_iijT1_PSB_Ps.has_dyn_sized_stack, 0
	.set _ZN2at6native6mbtopk23computeBlockDigitCountsIfmjLi1EEEvNS_4cuda6detail10TensorInfoIKT_T0_EEjPjjS8_iijT1_PSB_Ps.has_recursion, 0
	.set _ZN2at6native6mbtopk23computeBlockDigitCountsIfmjLi1EEEvNS_4cuda6detail10TensorInfoIKT_T0_EEjPjjS8_iijT1_PSB_Ps.has_indirect_call, 0
	.section	.AMDGPU.csdata,"",@progbits
; Kernel info:
; codeLenInByte = 972
; TotalNumSgprs: 26
; NumVgprs: 10
; ScratchSize: 0
; MemoryBound: 0
; FloatMode: 240
; IeeeMode: 1
; LDSByteSize: 1024 bytes/workgroup (compile time only)
; SGPRBlocks: 3
; VGPRBlocks: 2
; NumSGPRsForWavesPerEU: 26
; NumVGPRsForWavesPerEU: 10
; Occupancy: 10
; WaveLimiterHint : 1
; COMPUTE_PGM_RSRC2:SCRATCH_EN: 0
; COMPUTE_PGM_RSRC2:USER_SGPR: 6
; COMPUTE_PGM_RSRC2:TRAP_HANDLER: 0
; COMPUTE_PGM_RSRC2:TGID_X_EN: 1
; COMPUTE_PGM_RSRC2:TGID_Y_EN: 1
; COMPUTE_PGM_RSRC2:TGID_Z_EN: 1
; COMPUTE_PGM_RSRC2:TIDIG_COMP_CNT: 0
	.section	.text._ZN2at6native6mbtopk10gatherTopKIfmLi1EEEvNS_4cuda6detail10TensorInfoIKT_T0_EES8_S8_bjS8_NS5_IS6_S8_EES8_NS5_IlS8_EES8_jjPS6_PjSD_j,"axG",@progbits,_ZN2at6native6mbtopk10gatherTopKIfmLi1EEEvNS_4cuda6detail10TensorInfoIKT_T0_EES8_S8_bjS8_NS5_IS6_S8_EES8_NS5_IlS8_EES8_jjPS6_PjSD_j,comdat
	.protected	_ZN2at6native6mbtopk10gatherTopKIfmLi1EEEvNS_4cuda6detail10TensorInfoIKT_T0_EES8_S8_bjS8_NS5_IS6_S8_EES8_NS5_IlS8_EES8_jjPS6_PjSD_j ; -- Begin function _ZN2at6native6mbtopk10gatherTopKIfmLi1EEEvNS_4cuda6detail10TensorInfoIKT_T0_EES8_S8_bjS8_NS5_IS6_S8_EES8_NS5_IlS8_EES8_jjPS6_PjSD_j
	.globl	_ZN2at6native6mbtopk10gatherTopKIfmLi1EEEvNS_4cuda6detail10TensorInfoIKT_T0_EES8_S8_bjS8_NS5_IS6_S8_EES8_NS5_IlS8_EES8_jjPS6_PjSD_j
	.p2align	8
	.type	_ZN2at6native6mbtopk10gatherTopKIfmLi1EEEvNS_4cuda6detail10TensorInfoIKT_T0_EES8_S8_bjS8_NS5_IS6_S8_EES8_NS5_IlS8_EES8_jjPS6_PjSD_j,@function
_ZN2at6native6mbtopk10gatherTopKIfmLi1EEEvNS_4cuda6detail10TensorInfoIKT_T0_EES8_S8_bjS8_NS5_IS6_S8_EES8_NS5_IlS8_EES8_jjPS6_PjSD_j: ; @_ZN2at6native6mbtopk10gatherTopKIfmLi1EEEvNS_4cuda6detail10TensorInfoIKT_T0_EES8_S8_bjS8_NS5_IS6_S8_EES8_NS5_IlS8_EES8_jjPS6_PjSD_j
; %bb.0:
	s_load_dwordx2 s[0:1], s[4:5], 0x538
	s_load_dword s2, s[4:5], 0x530
	s_waitcnt lgkmcnt(0)
	s_mul_i32 s1, s1, s8
	s_add_i32 s1, s1, s7
	s_mul_i32 s0, s1, s0
	s_add_i32 s0, s0, s6
	s_cmp_ge_u32 s0, s2
	s_cbranch_scc1 .LBB191_42
; %bb.1:
	s_load_dwordx2 s[20:21], s[4:5], 0x510
	s_load_dwordx4 s[8:11], s[4:5], 0x1a0
	s_mov_b32 s7, 0
	s_waitcnt lgkmcnt(0)
	v_cvt_f32_u32_e32 v1, s21
	s_sub_i32 s2, 0, s21
	s_lshl_b32 s1, s20, 8
	v_rcp_iflag_f32_e32 v1, v1
	v_mul_f32_e32 v1, 0x4f7ffffe, v1
	v_cvt_u32_f32_e32 v1, v1
	v_readfirstlane_b32 s3, v1
	s_mul_i32 s2, s2, s3
	s_mul_hi_u32 s2, s3, s2
	s_add_i32 s3, s3, s2
	s_mul_hi_u32 s2, s0, s3
	s_mul_i32 s3, s2, s21
	s_sub_i32 s3, s0, s3
	s_add_i32 s6, s2, 1
	s_sub_i32 s12, s3, s21
	s_cmp_ge_u32 s3, s21
	s_cselect_b32 s2, s6, s2
	s_cselect_b32 s3, s12, s3
	s_add_i32 s6, s2, 1
	s_cmp_ge_u32 s3, s21
	s_cselect_b32 s6, s6, s2
	s_mul_i32 s28, s6, s21
	s_sub_i32 s40, s0, s28
	s_add_i32 s0, s40, 1
	s_cmp_lt_u32 s0, s21
	s_mul_i32 s33, s40, s1
	s_cbranch_scc1 .LBB191_3
; %bb.2:
	s_sub_u32 s0, s8, s33
	s_subb_u32 s1, s9, 0
	s_add_u32 s0, s0, 0xff
	s_addc_u32 s1, s1, 0
	s_ashr_i32 s2, s1, 31
	s_lshr_b32 s2, s2, 24
	s_add_u32 s0, s0, s2
	s_addc_u32 s1, s1, 0
	s_lshr_b64 s[0:1], s[0:1], 8
	s_mov_b32 s20, s0
.LBB191_3:
	s_load_dwordx4 s[12:15], s[4:5], 0x518
	s_load_dwordx2 s[22:23], s[4:5], 0x0
	s_load_dwordx2 s[30:31], s[4:5], 0xd0
	;; [unrolled: 1-line block ×4, first 2 shown]
	s_lshl_b64 s[0:1], s[6:7], 2
	s_waitcnt lgkmcnt(0)
	s_add_u32 s0, s12, s0
	s_addc_u32 s1, s13, s1
	s_load_dword s7, s[0:1], 0x0
	v_cmp_ne_u32_e64 s[0:1], 0, v0
	v_cmp_eq_u32_e64 s[2:3], 0, v0
	s_and_saveexec_b64 s[12:13], s[2:3]
	s_cbranch_execz .LBB191_19
; %bb.4:
	s_load_dwordx2 s[34:35], s[4:5], 0x528
	s_mov_b32 s29, 0
	s_lshl_b64 s[36:37], s[28:29], 2
	s_add_u32 s16, s14, s36
	s_addc_u32 s17, s15, s37
	s_waitcnt lgkmcnt(0)
	s_add_u32 s18, s34, s36
	s_addc_u32 s19, s35, s37
	s_mov_b32 s28, 0
	s_mov_b32 s41, 0
	s_cmp_lt_u32 s21, 4
	s_cbranch_scc1 .LBB191_16
; %bb.5:
	s_mov_b32 s42, 0
.LBB191_6:                              ; =>This Inner Loop Header: Depth=1
	s_add_u32 s38, s14, s36
	s_addc_u32 s39, s15, s37
	s_load_dwordx4 s[16:19], s[38:39], 0x0
	s_add_u32 s38, s34, s36
	s_addc_u32 s39, s35, s37
	s_cmp_ge_u32 s42, s40
	s_cbranch_scc0 .LBB191_13
; %bb.7:                                ;   in Loop: Header=BB191_6 Depth=1
	s_add_i32 s43, s42, 1
	s_cmp_ge_u32 s43, s40
	s_cbranch_scc0 .LBB191_14
.LBB191_8:                              ;   in Loop: Header=BB191_6 Depth=1
	s_add_i32 s43, s43, 1
	s_cmp_ge_u32 s43, s40
	s_cbranch_scc0 .LBB191_15
.LBB191_9:                              ;   in Loop: Header=BB191_6 Depth=1
	s_add_i32 s43, s43, 1
	s_cmp_ge_u32 s43, s40
	s_cbranch_scc1 .LBB191_11
.LBB191_10:                             ;   in Loop: Header=BB191_6 Depth=1
	s_load_dword s38, s[38:39], 0xc
	s_waitcnt lgkmcnt(0)
	s_add_i32 s29, s29, s19
	s_add_i32 s28, s38, s28
.LBB191_11:                             ;   in Loop: Header=BB191_6 Depth=1
	s_waitcnt lgkmcnt(0)
	s_add_i32 s16, s16, s41
	s_add_i32 s16, s16, s17
	;; [unrolled: 1-line block ×4, first 2 shown]
	s_add_u32 s14, s14, 16
	s_addc_u32 s15, s15, 0
	s_add_u32 s34, s34, 16
	s_addc_u32 s35, s35, 0
	s_add_i32 s39, s43, 4
	s_add_u32 s18, s34, s36
	s_addc_u32 s19, s35, s37
	s_add_u32 s16, s14, s36
	s_addc_u32 s17, s15, s37
	s_add_i32 s38, s43, 1
	s_cmp_ge_u32 s39, s21
	s_cbranch_scc1 .LBB191_17
; %bb.12:                               ;   in Loop: Header=BB191_6 Depth=1
	s_mov_b32 s42, s38
	s_branch .LBB191_6
.LBB191_13:                             ;   in Loop: Header=BB191_6 Depth=1
	s_load_dword s43, s[38:39], 0x0
	s_waitcnt lgkmcnt(0)
	s_add_i32 s29, s16, s29
	s_add_i32 s28, s43, s28
	;; [unrolled: 1-line block ×3, first 2 shown]
	s_cmp_ge_u32 s43, s40
	s_cbranch_scc1 .LBB191_8
.LBB191_14:                             ;   in Loop: Header=BB191_6 Depth=1
	s_load_dword s44, s[38:39], 0x4
	s_waitcnt lgkmcnt(0)
	s_add_i32 s29, s29, s17
	s_add_i32 s28, s44, s28
	;; [unrolled: 1-line block ×3, first 2 shown]
	s_cmp_ge_u32 s43, s40
	s_cbranch_scc1 .LBB191_9
.LBB191_15:                             ;   in Loop: Header=BB191_6 Depth=1
	s_load_dword s44, s[38:39], 0x8
	s_waitcnt lgkmcnt(0)
	s_add_i32 s29, s29, s18
	s_add_i32 s28, s44, s28
	;; [unrolled: 1-line block ×3, first 2 shown]
	s_cmp_ge_u32 s43, s40
	s_cbranch_scc0 .LBB191_10
	s_branch .LBB191_11
.LBB191_16:
	s_mov_b32 s14, 0
	s_cmp_ge_u32 s14, s21
	s_cbranch_scc0 .LBB191_40
	s_branch .LBB191_18
.LBB191_17:
	s_add_i32 s14, s42, 4
	s_cmp_ge_u32 s14, s21
	s_cbranch_scc0 .LBB191_40
.LBB191_18:
	v_mov_b32_e32 v1, s28
	v_mov_b32_e32 v2, s41
	;; [unrolled: 1-line block ×4, first 2 shown]
	ds_write_b96 v4, v[1:3] offset:1056
.LBB191_19:
	s_or_b64 exec, exec, s[12:13]
	s_load_dwordx4 s[12:15], s[4:5], 0x1b8
	s_load_dwordx4 s[16:19], s[4:5], 0x360
	s_cmp_eq_u32 s20, 0
	s_waitcnt lgkmcnt(0)
	s_barrier
	s_cbranch_scc1 .LBB191_42
; %bb.20:
	s_mul_i32 s21, s31, s6
	s_mul_hi_u32 s28, s30, s6
	s_add_i32 s29, s28, s21
	s_mul_i32 s21, s27, s6
	s_mul_hi_u32 s27, s26, s6
	s_mul_i32 s28, s30, s6
	s_add_i32 s27, s27, s21
	s_mul_i32 s21, s25, s6
	s_mul_hi_u32 s25, s24, s6
	s_add_i32 s31, s25, s21
	s_mul_i32 s30, s24, s6
	s_lshl_b64 s[24:25], s[28:29], 2
	s_mul_i32 s26, s26, s6
	s_add_u32 s21, s22, s24
	s_addc_u32 s22, s23, s25
	s_lshl_b64 s[24:25], s[26:27], 2
	s_add_u32 s23, s14, s24
	s_addc_u32 s24, s15, s25
	s_lshl_b64 s[14:15], s[30:31], 3
	v_mov_b32_e32 v5, 0
	s_add_u32 s25, s18, s14
	ds_read_b96 v[1:3], v5 offset:1056
	s_addc_u32 s26, s19, s15
	s_cmp_gt_i32 s7, -1
	s_cselect_b32 s6, 0x80000000, -1
	v_cmp_o_f32_e64 s[14:15], s7, s7
	s_xor_b32 s18, s6, s7
	s_and_b64 s[6:7], s[14:15], exec
	s_waitcnt lgkmcnt(0)
	v_add_u32_e32 v1, v1, v2
	v_lshrrev_b32_e32 v2, 3, v0
	s_load_dword s6, s[4:5], 0x1b0
	s_load_dwordx2 s[14:15], s[4:5], 0x508
	v_and_b32_e32 v2, 28, v2
	v_lshl_add_u32 v8, v0, 2, v2
	v_lshrrev_b32_e32 v2, 1, v0
	v_and_b32_e32 v9, 0x7c, v2
	v_add_u32_e32 v2, -1, v0
	v_lshrrev_b32_e32 v4, 3, v2
	v_and_b32_e32 v4, 0x1ffffffc, v4
	s_cselect_b32 s27, s18, -1
	s_waitcnt lgkmcnt(0)
	s_bitcmp1_b32 s6, 0
	v_lshl_add_u32 v11, v2, 2, v4
	v_mbcnt_lo_u32_b32 v2, -1, 0
	s_cselect_b64 s[4:5], -1, 0
	v_cmp_gt_u32_e64 s[6:7], 64, v0
	v_lshlrev_b32_e32 v10, 4, v0
	v_add_u32_e32 v4, s33, v0
	v_bfrev_b32_e32 v0, 1
	v_mbcnt_hi_u32_b32 v12, -1, v2
                                        ; implicit-def: $vgpr13
	s_branch .LBB191_23
.LBB191_21:                             ;   in Loop: Header=BB191_23 Depth=1
	s_or_b64 exec, exec, s[18:19]
	v_add_u32_e32 v1, v2, v1
.LBB191_22:                             ;   in Loop: Header=BB191_23 Depth=1
	s_add_i32 s20, s20, -1
	v_add_u32_e32 v3, v14, v3
	s_cmp_lg_u32 s20, 0
	v_add_u32_e32 v4, 0x100, v4
	s_cbranch_scc0 .LBB191_42
.LBB191_23:                             ; =>This Inner Loop Header: Depth=1
	v_cmp_gt_u64_e32 vcc, s[8:9], v[4:5]
	v_mov_b32_e32 v2, v5
	v_mov_b32_e32 v6, v5
	s_and_saveexec_b64 s[18:19], vcc
	s_cbranch_execz .LBB191_25
; %bb.24:                               ;   in Loop: Header=BB191_23 Depth=1
	v_mad_u64_u32 v[6:7], s[28:29], s12, v4, 0
	v_mov_b32_e32 v2, v7
	v_mad_u64_u32 v[13:14], s[28:29], s13, v4, v[2:3]
	v_mov_b32_e32 v2, s22
	v_mov_b32_e32 v7, v13
	v_lshlrev_b64 v[6:7], 2, v[6:7]
	v_add_co_u32_e32 v6, vcc, s21, v6
	v_addc_co_u32_e32 v7, vcc, v2, v7, vcc
	global_load_dword v13, v[6:7], off
	s_waitcnt vmcnt(0)
	v_cmp_lt_i32_e32 vcc, -1, v13
	v_cndmask_b32_e32 v2, -1, v0, vcc
	v_xor_b32_e32 v2, v2, v13
	v_cmp_o_f32_e32 vcc, v13, v13
	v_cndmask_b32_e32 v6, -1, v2, vcc
	v_cmp_lt_u32_e32 vcc, s27, v6
	v_cndmask_b32_e64 v2, 0, 1, vcc
	v_cmp_gt_u32_e32 vcc, s27, v6
	v_cndmask_b32_e64 v7, 0, 1, vcc
	v_cndmask_b32_e64 v2, v7, v2, s[4:5]
	v_cmp_eq_u32_e32 vcc, s27, v6
	v_and_b32_e32 v2, 1, v2
	v_cndmask_b32_e64 v6, 0, 1, vcc
.LBB191_25:                             ;   in Loop: Header=BB191_23 Depth=1
	s_or_b64 exec, exec, s[18:19]
	ds_write_b32 v8, v2
	s_waitcnt vmcnt(0) lgkmcnt(0)
	s_barrier
	s_and_saveexec_b64 s[18:19], s[6:7]
	s_cbranch_execz .LBB191_27
; %bb.26:                               ;   in Loop: Header=BB191_23 Depth=1
	v_add_u32_e32 v7, v9, v10
	ds_read2_b32 v[14:15], v7 offset1:1
	ds_read2_b32 v[16:17], v7 offset0:2 offset1:3
	v_and_b32_e32 v18, 15, v12
	v_cmp_ne_u32_e32 vcc, 0, v18
	s_waitcnt lgkmcnt(1)
	v_add_u32_e32 v15, v15, v14
	s_waitcnt lgkmcnt(0)
	v_add3_u32 v15, v15, v16, v17
	v_bfe_i32 v17, v12, 4, 1
	; wave barrier
	s_nop 0
	v_mov_b32_dpp v16, v15 row_shr:1 row_mask:0xf bank_mask:0xf
	v_cndmask_b32_e32 v16, 0, v16, vcc
	v_add_u32_e32 v15, v16, v15
	v_cmp_lt_u32_e32 vcc, 1, v18
	s_nop 0
	v_mov_b32_dpp v16, v15 row_shr:2 row_mask:0xf bank_mask:0xf
	v_cndmask_b32_e32 v16, 0, v16, vcc
	v_add_u32_e32 v15, v15, v16
	v_cmp_lt_u32_e32 vcc, 3, v18
	;; [unrolled: 5-line block ×4, first 2 shown]
	s_nop 0
	v_mov_b32_dpp v16, v15 row_bcast:15 row_mask:0xf bank_mask:0xf
	v_and_b32_e32 v16, v17, v16
	v_add_u32_e32 v15, v15, v16
	v_and_b32_e32 v17, 64, v12
	s_nop 0
	v_mov_b32_dpp v16, v15 row_bcast:31 row_mask:0xf bank_mask:0xf
	v_cndmask_b32_e32 v16, 0, v16, vcc
	v_add_u32_e32 v15, v15, v16
	v_add_u32_e32 v16, -1, v12
	v_cmp_lt_i32_e32 vcc, v16, v17
	v_cndmask_b32_e32 v16, v16, v12, vcc
	v_lshlrev_b32_e32 v16, 2, v16
	ds_bpermute_b32 v15, v16, v15
	s_waitcnt lgkmcnt(0)
	v_add_u32_e32 v14, v15, v14
	v_cndmask_b32_e64 v16, v14, v2, s[2:3]
	ds_write_b32 v7, v16
	; wave barrier
	ds_read2_b32 v[14:15], v7 offset0:1 offset1:2
	ds_read_b32 v17, v7 offset:12
	s_waitcnt lgkmcnt(1)
	v_add_u32_e32 v14, v14, v16
	v_add_u32_e32 v15, v15, v14
	ds_write2_b32 v7, v14, v15 offset0:1 offset1:2
	s_waitcnt lgkmcnt(1)
	v_add_u32_e32 v14, v17, v15
	ds_write_b32 v7, v14 offset:12
.LBB191_27:                             ;   in Loop: Header=BB191_23 Depth=1
	s_or_b64 exec, exec, s[18:19]
	v_mov_b32_e32 v7, 0
	s_waitcnt lgkmcnt(0)
	s_barrier
	s_and_saveexec_b64 s[18:19], s[0:1]
; %bb.28:                               ;   in Loop: Header=BB191_23 Depth=1
	ds_read_b32 v7, v11
; %bb.29:                               ;   in Loop: Header=BB191_23 Depth=1
	s_or_b64 exec, exec, s[18:19]
	ds_read_b32 v14, v5 offset:1048
	v_cmp_ne_u32_e32 vcc, 0, v2
	s_waitcnt lgkmcnt(0)
	s_barrier
	s_and_saveexec_b64 s[18:19], vcc
	s_cbranch_execz .LBB191_31
; %bb.30:                               ;   in Loop: Header=BB191_23 Depth=1
	v_add_u32_e32 v7, v7, v3
	v_mad_u64_u32 v[15:16], s[28:29], s16, v7, 0
	v_mad_u64_u32 v[17:18], s[28:29], s14, v7, 0
	v_mov_b32_e32 v2, v16
	v_mad_u64_u32 v[19:20], s[28:29], s17, v7, v[2:3]
	v_mov_b32_e32 v2, v18
	v_mov_b32_e32 v20, s24
	;; [unrolled: 1-line block ×3, first 2 shown]
	v_lshlrev_b64 v[15:16], 2, v[15:16]
	v_mad_u64_u32 v[18:19], s[28:29], s15, v7, v[2:3]
	v_add_co_u32_e32 v15, vcc, s23, v15
	v_addc_co_u32_e32 v16, vcc, v20, v16, vcc
	global_store_dword v[15:16], v13, off
	v_lshlrev_b64 v[15:16], 3, v[17:18]
	v_mov_b32_e32 v2, s26
	v_add_co_u32_e32 v15, vcc, s25, v15
	v_addc_co_u32_e32 v16, vcc, v2, v16, vcc
	global_store_dwordx2 v[15:16], v[4:5], off
.LBB191_31:                             ;   in Loop: Header=BB191_23 Depth=1
	s_or_b64 exec, exec, s[18:19]
	v_mov_b32_e32 v2, v5
	v_cmp_le_u64_e32 vcc, s[10:11], v[1:2]
	s_cbranch_vccnz .LBB191_22
; %bb.32:                               ;   in Loop: Header=BB191_23 Depth=1
	ds_write_b32 v8, v6
	s_waitcnt vmcnt(0) lgkmcnt(0)
	s_barrier
	s_and_saveexec_b64 s[18:19], s[6:7]
	s_cbranch_execz .LBB191_34
; %bb.33:                               ;   in Loop: Header=BB191_23 Depth=1
	v_add_u32_e32 v2, v9, v10
	ds_read2_b32 v[15:16], v2 offset1:1
	ds_read2_b32 v[17:18], v2 offset0:2 offset1:3
	v_and_b32_e32 v7, 15, v12
	v_cmp_ne_u32_e32 vcc, 0, v7
	s_waitcnt lgkmcnt(1)
	v_add_u32_e32 v16, v16, v15
	s_waitcnt lgkmcnt(0)
	v_add3_u32 v16, v16, v17, v18
	; wave barrier
	s_nop 1
	v_mov_b32_dpp v17, v16 row_shr:1 row_mask:0xf bank_mask:0xf
	v_cndmask_b32_e32 v17, 0, v17, vcc
	v_add_u32_e32 v16, v17, v16
	v_cmp_lt_u32_e32 vcc, 1, v7
	s_nop 0
	v_mov_b32_dpp v17, v16 row_shr:2 row_mask:0xf bank_mask:0xf
	v_cndmask_b32_e32 v17, 0, v17, vcc
	v_add_u32_e32 v16, v16, v17
	v_cmp_lt_u32_e32 vcc, 3, v7
	;; [unrolled: 5-line block ×3, first 2 shown]
	s_nop 0
	v_mov_b32_dpp v17, v16 row_shr:8 row_mask:0xf bank_mask:0xf
	v_cndmask_b32_e32 v7, 0, v17, vcc
	v_add_u32_e32 v7, v16, v7
	v_bfe_i32 v17, v12, 4, 1
	v_cmp_lt_u32_e32 vcc, 31, v12
	v_mov_b32_dpp v16, v7 row_bcast:15 row_mask:0xf bank_mask:0xf
	v_and_b32_e32 v16, v17, v16
	v_add_u32_e32 v7, v7, v16
	v_and_b32_e32 v17, 64, v12
	s_nop 0
	v_mov_b32_dpp v16, v7 row_bcast:31 row_mask:0xf bank_mask:0xf
	v_cndmask_b32_e32 v16, 0, v16, vcc
	v_add_u32_e32 v7, v7, v16
	v_add_u32_e32 v16, -1, v12
	v_cmp_lt_i32_e32 vcc, v16, v17
	v_cndmask_b32_e32 v16, v16, v12, vcc
	v_lshlrev_b32_e32 v16, 2, v16
	ds_bpermute_b32 v7, v16, v7
	s_waitcnt lgkmcnt(0)
	v_add_u32_e32 v7, v7, v15
	v_cndmask_b32_e64 v7, v7, v6, s[2:3]
	ds_write_b32 v2, v7
	; wave barrier
	ds_read2_b32 v[15:16], v2 offset0:1 offset1:2
	ds_read_b32 v17, v2 offset:12
	s_waitcnt lgkmcnt(1)
	v_add_u32_e32 v7, v15, v7
	v_add_u32_e32 v15, v16, v7
	ds_write2_b32 v2, v7, v15 offset0:1 offset1:2
	s_waitcnt lgkmcnt(1)
	v_add_u32_e32 v7, v17, v15
	ds_write_b32 v2, v7 offset:12
.LBB191_34:                             ;   in Loop: Header=BB191_23 Depth=1
	s_or_b64 exec, exec, s[18:19]
	v_mov_b32_e32 v7, 0
	s_waitcnt lgkmcnt(0)
	s_barrier
	s_and_saveexec_b64 s[18:19], s[0:1]
; %bb.35:                               ;   in Loop: Header=BB191_23 Depth=1
	ds_read_b32 v7, v11
; %bb.36:                               ;   in Loop: Header=BB191_23 Depth=1
	s_or_b64 exec, exec, s[18:19]
	ds_read_b32 v2, v5 offset:1048
	v_cmp_ne_u32_e32 vcc, 0, v6
	s_waitcnt lgkmcnt(0)
	s_barrier
	s_and_saveexec_b64 s[18:19], vcc
	s_cbranch_execz .LBB191_21
; %bb.37:                               ;   in Loop: Header=BB191_23 Depth=1
	v_add_u32_e32 v6, v7, v1
	v_mov_b32_e32 v7, v5
	v_cmp_gt_u64_e32 vcc, s[10:11], v[6:7]
	s_and_b64 exec, exec, vcc
	s_cbranch_execz .LBB191_21
; %bb.38:                               ;   in Loop: Header=BB191_23 Depth=1
	v_mad_u64_u32 v[15:16], s[28:29], s16, v6, 0
	v_mad_u64_u32 v[17:18], s[28:29], s14, v6, 0
	v_mov_b32_e32 v7, v16
	v_mad_u64_u32 v[19:20], s[28:29], s17, v6, v[7:8]
	v_mov_b32_e32 v7, v18
	;; [unrolled: 2-line block ×3, first 2 shown]
	v_lshlrev_b64 v[15:16], 2, v[15:16]
	v_mov_b32_e32 v18, v6
	v_mov_b32_e32 v20, s24
	v_add_co_u32_e32 v15, vcc, s23, v15
	v_lshlrev_b64 v[6:7], 3, v[17:18]
	v_addc_co_u32_e32 v16, vcc, v20, v16, vcc
	global_store_dword v[15:16], v13, off
	v_mov_b32_e32 v15, s26
	v_add_co_u32_e32 v6, vcc, s25, v6
	v_addc_co_u32_e32 v7, vcc, v15, v7, vcc
	global_store_dwordx2 v[6:7], v[4:5], off
	s_branch .LBB191_21
.LBB191_39:                             ;   in Loop: Header=BB191_40 Depth=1
	s_add_u32 s16, s16, 4
	s_addc_u32 s17, s17, 0
	s_waitcnt lgkmcnt(0)
	s_add_i32 s41, s15, s41
	s_add_u32 s18, s18, 4
	s_addc_u32 s19, s19, 0
	s_add_i32 s14, s14, 1
	s_cmp_lt_u32 s14, s21
	s_cbranch_scc0 .LBB191_18
.LBB191_40:                             ; =>This Inner Loop Header: Depth=1
	s_load_dword s15, s[16:17], 0x0
	s_cmp_ge_u32 s14, s40
	s_cbranch_scc1 .LBB191_39
; %bb.41:                               ;   in Loop: Header=BB191_40 Depth=1
	s_load_dword s34, s[18:19], 0x0
	s_waitcnt lgkmcnt(0)
	s_add_i32 s29, s15, s29
	s_add_i32 s28, s34, s28
	s_branch .LBB191_39
.LBB191_42:
	s_endpgm
	.section	.rodata,"a",@progbits
	.p2align	6, 0x0
	.amdhsa_kernel _ZN2at6native6mbtopk10gatherTopKIfmLi1EEEvNS_4cuda6detail10TensorInfoIKT_T0_EES8_S8_bjS8_NS5_IS6_S8_EES8_NS5_IlS8_EES8_jjPS6_PjSD_j
		.amdhsa_group_segment_fixed_size 1068
		.amdhsa_private_segment_fixed_size 0
		.amdhsa_kernarg_size 1592
		.amdhsa_user_sgpr_count 6
		.amdhsa_user_sgpr_private_segment_buffer 1
		.amdhsa_user_sgpr_dispatch_ptr 0
		.amdhsa_user_sgpr_queue_ptr 0
		.amdhsa_user_sgpr_kernarg_segment_ptr 1
		.amdhsa_user_sgpr_dispatch_id 0
		.amdhsa_user_sgpr_flat_scratch_init 0
		.amdhsa_user_sgpr_private_segment_size 0
		.amdhsa_uses_dynamic_stack 0
		.amdhsa_system_sgpr_private_segment_wavefront_offset 0
		.amdhsa_system_sgpr_workgroup_id_x 1
		.amdhsa_system_sgpr_workgroup_id_y 1
		.amdhsa_system_sgpr_workgroup_id_z 1
		.amdhsa_system_sgpr_workgroup_info 0
		.amdhsa_system_vgpr_workitem_id 0
		.amdhsa_next_free_vgpr 21
		.amdhsa_next_free_sgpr 45
		.amdhsa_reserve_vcc 1
		.amdhsa_reserve_flat_scratch 0
		.amdhsa_float_round_mode_32 0
		.amdhsa_float_round_mode_16_64 0
		.amdhsa_float_denorm_mode_32 3
		.amdhsa_float_denorm_mode_16_64 3
		.amdhsa_dx10_clamp 1
		.amdhsa_ieee_mode 1
		.amdhsa_fp16_overflow 0
		.amdhsa_exception_fp_ieee_invalid_op 0
		.amdhsa_exception_fp_denorm_src 0
		.amdhsa_exception_fp_ieee_div_zero 0
		.amdhsa_exception_fp_ieee_overflow 0
		.amdhsa_exception_fp_ieee_underflow 0
		.amdhsa_exception_fp_ieee_inexact 0
		.amdhsa_exception_int_div_zero 0
	.end_amdhsa_kernel
	.section	.text._ZN2at6native6mbtopk10gatherTopKIfmLi1EEEvNS_4cuda6detail10TensorInfoIKT_T0_EES8_S8_bjS8_NS5_IS6_S8_EES8_NS5_IlS8_EES8_jjPS6_PjSD_j,"axG",@progbits,_ZN2at6native6mbtopk10gatherTopKIfmLi1EEEvNS_4cuda6detail10TensorInfoIKT_T0_EES8_S8_bjS8_NS5_IS6_S8_EES8_NS5_IlS8_EES8_jjPS6_PjSD_j,comdat
.Lfunc_end191:
	.size	_ZN2at6native6mbtopk10gatherTopKIfmLi1EEEvNS_4cuda6detail10TensorInfoIKT_T0_EES8_S8_bjS8_NS5_IS6_S8_EES8_NS5_IlS8_EES8_jjPS6_PjSD_j, .Lfunc_end191-_ZN2at6native6mbtopk10gatherTopKIfmLi1EEEvNS_4cuda6detail10TensorInfoIKT_T0_EES8_S8_bjS8_NS5_IS6_S8_EES8_NS5_IlS8_EES8_jjPS6_PjSD_j
                                        ; -- End function
	.set _ZN2at6native6mbtopk10gatherTopKIfmLi1EEEvNS_4cuda6detail10TensorInfoIKT_T0_EES8_S8_bjS8_NS5_IS6_S8_EES8_NS5_IlS8_EES8_jjPS6_PjSD_j.num_vgpr, 21
	.set _ZN2at6native6mbtopk10gatherTopKIfmLi1EEEvNS_4cuda6detail10TensorInfoIKT_T0_EES8_S8_bjS8_NS5_IS6_S8_EES8_NS5_IlS8_EES8_jjPS6_PjSD_j.num_agpr, 0
	.set _ZN2at6native6mbtopk10gatherTopKIfmLi1EEEvNS_4cuda6detail10TensorInfoIKT_T0_EES8_S8_bjS8_NS5_IS6_S8_EES8_NS5_IlS8_EES8_jjPS6_PjSD_j.numbered_sgpr, 45
	.set _ZN2at6native6mbtopk10gatherTopKIfmLi1EEEvNS_4cuda6detail10TensorInfoIKT_T0_EES8_S8_bjS8_NS5_IS6_S8_EES8_NS5_IlS8_EES8_jjPS6_PjSD_j.num_named_barrier, 0
	.set _ZN2at6native6mbtopk10gatherTopKIfmLi1EEEvNS_4cuda6detail10TensorInfoIKT_T0_EES8_S8_bjS8_NS5_IS6_S8_EES8_NS5_IlS8_EES8_jjPS6_PjSD_j.private_seg_size, 0
	.set _ZN2at6native6mbtopk10gatherTopKIfmLi1EEEvNS_4cuda6detail10TensorInfoIKT_T0_EES8_S8_bjS8_NS5_IS6_S8_EES8_NS5_IlS8_EES8_jjPS6_PjSD_j.uses_vcc, 1
	.set _ZN2at6native6mbtopk10gatherTopKIfmLi1EEEvNS_4cuda6detail10TensorInfoIKT_T0_EES8_S8_bjS8_NS5_IS6_S8_EES8_NS5_IlS8_EES8_jjPS6_PjSD_j.uses_flat_scratch, 0
	.set _ZN2at6native6mbtopk10gatherTopKIfmLi1EEEvNS_4cuda6detail10TensorInfoIKT_T0_EES8_S8_bjS8_NS5_IS6_S8_EES8_NS5_IlS8_EES8_jjPS6_PjSD_j.has_dyn_sized_stack, 0
	.set _ZN2at6native6mbtopk10gatherTopKIfmLi1EEEvNS_4cuda6detail10TensorInfoIKT_T0_EES8_S8_bjS8_NS5_IS6_S8_EES8_NS5_IlS8_EES8_jjPS6_PjSD_j.has_recursion, 0
	.set _ZN2at6native6mbtopk10gatherTopKIfmLi1EEEvNS_4cuda6detail10TensorInfoIKT_T0_EES8_S8_bjS8_NS5_IS6_S8_EES8_NS5_IlS8_EES8_jjPS6_PjSD_j.has_indirect_call, 0
	.section	.AMDGPU.csdata,"",@progbits
; Kernel info:
; codeLenInByte = 2240
; TotalNumSgprs: 49
; NumVgprs: 21
; ScratchSize: 0
; MemoryBound: 0
; FloatMode: 240
; IeeeMode: 1
; LDSByteSize: 1068 bytes/workgroup (compile time only)
; SGPRBlocks: 6
; VGPRBlocks: 5
; NumSGPRsForWavesPerEU: 49
; NumVGPRsForWavesPerEU: 21
; Occupancy: 10
; WaveLimiterHint : 1
; COMPUTE_PGM_RSRC2:SCRATCH_EN: 0
; COMPUTE_PGM_RSRC2:USER_SGPR: 6
; COMPUTE_PGM_RSRC2:TRAP_HANDLER: 0
; COMPUTE_PGM_RSRC2:TGID_X_EN: 1
; COMPUTE_PGM_RSRC2:TGID_Y_EN: 1
; COMPUTE_PGM_RSRC2:TGID_Z_EN: 1
; COMPUTE_PGM_RSRC2:TIDIG_COMP_CNT: 0
	.section	.text._ZN2at6native6sbtopk10gatherTopKIfmLi1ELb0EEEvNS_4cuda6detail10TensorInfoIKT_T0_EES8_S8_bS8_S8_NS5_IS6_S8_EES8_NS5_IlS8_EES8_PS6_,"axG",@progbits,_ZN2at6native6sbtopk10gatherTopKIfmLi1ELb0EEEvNS_4cuda6detail10TensorInfoIKT_T0_EES8_S8_bS8_S8_NS5_IS6_S8_EES8_NS5_IlS8_EES8_PS6_,comdat
	.protected	_ZN2at6native6sbtopk10gatherTopKIfmLi1ELb0EEEvNS_4cuda6detail10TensorInfoIKT_T0_EES8_S8_bS8_S8_NS5_IS6_S8_EES8_NS5_IlS8_EES8_PS6_ ; -- Begin function _ZN2at6native6sbtopk10gatherTopKIfmLi1ELb0EEEvNS_4cuda6detail10TensorInfoIKT_T0_EES8_S8_bS8_S8_NS5_IS6_S8_EES8_NS5_IlS8_EES8_PS6_
	.globl	_ZN2at6native6sbtopk10gatherTopKIfmLi1ELb0EEEvNS_4cuda6detail10TensorInfoIKT_T0_EES8_S8_bS8_S8_NS5_IS6_S8_EES8_NS5_IlS8_EES8_PS6_
	.p2align	8
	.type	_ZN2at6native6sbtopk10gatherTopKIfmLi1ELb0EEEvNS_4cuda6detail10TensorInfoIKT_T0_EES8_S8_bS8_S8_NS5_IS6_S8_EES8_NS5_IlS8_EES8_PS6_,@function
_ZN2at6native6sbtopk10gatherTopKIfmLi1ELb0EEEvNS_4cuda6detail10TensorInfoIKT_T0_EES8_S8_bS8_S8_NS5_IS6_S8_EES8_NS5_IlS8_EES8_PS6_: ; @_ZN2at6native6sbtopk10gatherTopKIfmLi1ELb0EEEvNS_4cuda6detail10TensorInfoIKT_T0_EES8_S8_bS8_S8_NS5_IS6_S8_EES8_NS5_IlS8_EES8_PS6_
; %bb.0:
	s_load_dwordx2 s[2:3], s[4:5], 0x520
	s_load_dwordx4 s[60:63], s[4:5], 0x1b8
	s_add_u32 s0, s4, 0x520
	s_addc_u32 s1, s5, 0
	s_mov_b32 s17, 0
	s_waitcnt lgkmcnt(0)
	s_mul_i32 s3, s3, s8
	s_add_i32 s3, s3, s7
	s_mul_i32 s3, s3, s2
	s_add_i32 s16, s3, s6
	v_mov_b32_e32 v1, s16
	v_mov_b32_e32 v2, s17
	v_cmp_le_u64_e32 vcc, s[60:61], v[1:2]
	s_cbranch_vccnz .LBB192_484
; %bb.1:
	s_load_dwordx2 s[8:9], s[4:5], 0x440
                                        ; implicit-def: $vgpr55 : SGPR spill to VGPR lane
	v_cmp_eq_u32_e64 s[10:11], 0, v0
	s_waitcnt lgkmcnt(0)
	v_writelane_b32 v55, s8, 0
	v_writelane_b32 v55, s9, 1
	s_load_dwordx2 s[8:9], s[4:5], 0x370
	s_waitcnt lgkmcnt(0)
	v_writelane_b32 v55, s8, 2
	v_writelane_b32 v55, s9, 3
	s_load_dwordx2 s[8:9], s[4:5], 0x298
	s_waitcnt lgkmcnt(0)
	v_writelane_b32 v55, s8, 4
	v_writelane_b32 v55, s9, 5
	s_load_dwordx4 s[56:59], s[4:5], 0x1a0
	s_load_dwordx2 s[8:9], s[4:5], 0x1c8
	s_load_dwordx2 s[14:15], s[4:5], 0xd0
	;; [unrolled: 1-line block ×3, first 2 shown]
	s_waitcnt lgkmcnt(0)
	v_writelane_b32 v55, s8, 6
	v_writelane_b32 v55, s9, 7
	s_mov_b64 s[8:9], exec
	v_writelane_b32 v55, s10, 8
	v_writelane_b32 v55, s11, 9
	s_and_b64 s[10:11], s[8:9], s[10:11]
	s_mov_b64 exec, s[10:11]
	s_cbranch_execz .LBB192_3
; %bb.2:
	v_mov_b32_e32 v1, 0
	v_mov_b32_e32 v3, s56
	;; [unrolled: 1-line block ×4, first 2 shown]
	ds_write_b32 v1, v1 offset:5144
	ds_write_b128 v1, v[1:4] offset:5120
.LBB192_3:
	s_or_b64 exec, exec, s[8:9]
	s_mul_i32 s3, s15, s16
	s_mul_hi_u32 s7, s14, s16
	v_writelane_b32 v55, s4, 10
	s_add_i32 s9, s7, s3
	v_writelane_b32 v55, s5, 11
	s_load_dword s3, s[4:5], 0x1b0
	s_mov_b32 s4, s16
	v_writelane_b32 v55, s4, 12
	s_mul_i32 s8, s14, s16
	v_writelane_b32 v55, s5, 13
	s_lshl_b64 s[4:5], s[8:9], 2
	s_add_u32 s80, s12, s4
	v_writelane_b32 v55, s4, 14
	s_addc_u32 s81, s13, s5
	s_waitcnt lgkmcnt(0)
	s_bitcmp1_b32 s3, 0
	v_writelane_b32 v55, s5, 15
	s_cselect_b64 s[4:5], -1, 0
	v_mbcnt_lo_u32_b32 v1, -1, 0
	v_writelane_b32 v55, s4, 16
	v_mbcnt_hi_u32_b32 v32, -1, v1
	v_writelane_b32 v55, s5, 17
	s_xor_b64 s[88:89], s[4:5], -1
	v_cmp_gt_u32_e32 vcc, 64, v0
	v_cmp_gt_i32_e64 s[10:11], 4, v32
	v_mad_u64_u32 v[2:3], s[4:5], s62, v0, 0
	v_mov_b32_e32 v4, 0x300
	s_and_b64 s[4:5], vcc, s[10:11]
	v_mov_b32_e32 v5, 0
	v_writelane_b32 v55, s4, 18
	v_writelane_b32 v55, s5, 19
	v_cmp_gt_u64_e64 s[4:5], s[56:57], v[4:5]
	v_mov_b32_e32 v1, v3
	v_writelane_b32 v55, s4, 20
	v_writelane_b32 v55, s5, 21
	v_mad_u64_u32 v[3:4], s[4:5], s63, v0, v[1:2]
	v_mov_b32_e32 v13, 0
	v_mov_b32_e32 v1, v13
	v_lshlrev_b64 v[4:5], 2, v[2:3]
	v_cmp_gt_u64_e64 s[4:5], s[56:57], v[0:1]
	s_barrier
	v_mov_b32_e32 v6, s81
	v_add_co_u32_e32 v10, vcc, s80, v4
	s_load_dword s3, s[0:1], 0xc
	v_writelane_b32 v55, s4, 22
	v_addc_co_u32_e32 v11, vcc, v6, v5, vcc
	v_lshlrev_b64 v[4:5], v32, -1
	v_writelane_b32 v55, s5, 23
	v_cmp_gt_u32_e64 s[4:5], 2, v0
	v_lshlrev_b32_e32 v34, 4, v0
	v_writelane_b32 v55, s4, 24
	v_not_b32_e32 v30, v5
	v_or_b32_e32 v5, 12, v34
	v_writelane_b32 v55, s5, 25
	v_mad_u64_u32 v[16:17], s[4:5], s62, v5, 0
	s_waitcnt lgkmcnt(0)
	s_and_b32 s33, s3, 0xffff
	s_bfe_u32 s3, s3, 0xa0006
	s_cmp_gt_u32 s33, 63
	s_cselect_b64 s[4:5], -1, 0
	v_not_b32_e32 v31, v4
	v_writelane_b32 v55, s4, 26
	v_mov_b32_e32 v4, v17
	v_writelane_b32 v55, s5, 27
	s_add_u32 s7, s33, -1
	v_mad_u64_u32 v[4:5], s[4:5], s63, v5, v[4:5]
	s_addc_u32 s4, 0, -1
	v_writelane_b32 v55, s7, 28
	s_add_u32 s5, s7, s56
	v_writelane_b32 v55, s5, 29
	v_writelane_b32 v55, s4, 30
	s_addc_u32 s5, s4, s57
	v_writelane_b32 v55, s4, 31
	v_or_b32_e32 v5, 8, v34
	v_lshlrev_b32_e32 v6, 2, v32
	v_writelane_b32 v55, s5, 32
	v_mad_u64_u32 v[17:18], s[4:5], s62, v5, 0
	s_cmp_lt_u32 s6, s2
	v_and_b32_e32 v29, 0x100, v6
	v_or_b32_e32 v6, 4, v34
	s_cselect_b32 s2, 12, 18
	v_mad_u64_u32 v[19:20], s[4:5], s62, v6, 0
	s_add_u32 s0, s0, s2
	s_addc_u32 s1, s1, 0
	v_mov_b32_e32 v35, v4
	v_mov_b32_e32 v4, v18
	v_writelane_b32 v55, s0, 33
	v_mad_u64_u32 v[4:5], s[4:5], s63, v5, v[4:5]
	v_writelane_b32 v55, s1, 34
	s_add_i32 s0, s3, -1
	v_mov_b32_e32 v5, v20
	s_bfe_u32 s1, s33, 0x30006
	s_and_b32 s0, s0, 0xffff
	v_mad_u64_u32 v[5:6], s[4:5], s63, v6, v[5:6]
	s_cmp_gt_u32 s0, 6
	s_cselect_b64 s[4:5], -1, 0
	v_writelane_b32 v55, s4, 35
	s_and_b32 s94, s3, 0x3f8
	v_writelane_b32 v55, s5, 36
	s_cmp_lg_u32 s1, 0
	v_writelane_b32 v55, s1, 37
	s_cselect_b64 s[0:1], -1, 0
	v_writelane_b32 v55, s0, 38
	v_writelane_b32 v55, s1, 39
	s_lshl_b64 s[0:1], s[62:63], 2
	v_writelane_b32 v55, s0, 40
	v_writelane_b32 v55, s1, 41
	s_mul_i32 s0, s63, s33
	s_mul_hi_u32 s1, s62, s33
	s_add_i32 s1, s1, s0
	s_mul_i32 s0, s62, s33
	v_lshrrev_b32_e32 v6, 1, v0
	s_lshl_b64 s[60:61], s[0:1], 2
	s_mov_b32 s0, 0
	v_lshlrev_b32_e32 v14, 2, v0
	v_and_b32_e32 v6, 0x1e0, v6
	v_lshlrev_b64 v[20:21], 4, v[2:3]
	v_mov_b32_e32 v2, 0xc00
	v_mov_b32_e32 v25, s58
	v_writelane_b32 v55, s0, 42
	s_mov_b32 s83, 0
	v_cmp_eq_u32_e64 s[68:69], 0, v32
	v_mov_b32_e32 v15, v13
	v_add_u32_e32 v33, 0xc00, v14
	v_or_b32_e32 v18, 0xc00, v6
	s_lshl_b64 s[72:73], s[62:63], 4
	v_mov_b32_e32 v37, v4
	v_mov_b32_e32 v38, v5
	v_lshl_or_b32 v39, v32, 3, v2
	s_lshl_b32 s95, s33, 2
	s_mov_b32 s30, 30
	s_mov_b64 s[74:75], 0
	v_bfrev_b32_e32 v40, 1
	v_mov_b32_e32 v41, 0x4f800000
	v_mov_b32_e32 v36, 0
	;; [unrolled: 1-line block ×3, first 2 shown]
	v_mov_b32_e32 v22, 1.0
	v_mov_b32_e32 v42, 0
	v_mov_b32_e32 v24, 0
	v_writelane_b32 v55, s88, 43
                                        ; implicit-def: $sgpr76_sgpr77
                                        ; implicit-def: $sgpr2_sgpr3
                                        ; implicit-def: $sgpr66_sgpr67
                                        ; implicit-def: $sgpr92_sgpr93
                                        ; implicit-def: $sgpr64_sgpr65
                                        ; implicit-def: $sgpr28_sgpr29
                                        ; implicit-def: $sgpr36_sgpr37
                                        ; implicit-def: $sgpr26_sgpr27
                                        ; implicit-def: $sgpr34_sgpr35
                                        ; implicit-def: $sgpr10_sgpr11
	v_writelane_b32 v55, s89, 44
	s_branch .LBB192_6
.LBB192_4:                              ;   in Loop: Header=BB192_6 Depth=1
	s_or_b64 exec, exec, s[12:13]
	s_andn2_b64 s[10:11], s[10:11], exec
	s_and_b64 s[6:7], s[6:7], exec
	v_mov_b32_e32 v26, v3
	s_or_b64 s[10:11], s[10:11], s[6:7]
	s_andn2_b64 s[34:35], s[34:35], exec
	s_andn2_b64 s[26:27], s[26:27], exec
	;; [unrolled: 1-line block ×4, first 2 shown]
	s_orn2_b64 s[4:5], s[4:5], exec
	v_mov_b32_e32 v25, v2
.LBB192_5:                              ;   in Loop: Header=BB192_6 Depth=1
	s_or_b64 exec, exec, s[0:1]
	s_and_b64 s[0:1], exec, s[4:5]
	s_or_b64 s[74:75], s[0:1], s[74:75]
	s_andn2_b64 s[0:1], s[64:65], exec
	s_and_b64 s[4:5], s[10:11], exec
	s_or_b64 s[64:65], s[0:1], s[4:5]
	s_andn2_b64 s[0:1], s[92:93], exec
	s_and_b64 s[4:5], s[34:35], exec
	;; [unrolled: 3-line block ×5, first 2 shown]
	s_or_b64 s[76:77], s[0:1], s[4:5]
	s_andn2_b64 exec, exec, s[74:75]
	s_cbranch_execz .LBB192_480
.LBB192_6:                              ; =>This Loop Header: Depth=1
                                        ;     Child Loop BB192_12 Depth 2
                                        ;     Child Loop BB192_25 Depth 2
                                        ;     Child Loop BB192_39 Depth 2
                                        ;     Child Loop BB192_44 Depth 2
                                        ;     Child Loop BB192_51 Depth 2
                                        ;     Child Loop BB192_55 Depth 2
                                        ;     Child Loop BB192_64 Depth 2
                                        ;     Child Loop BB192_70 Depth 2
                                        ;     Child Loop BB192_85 Depth 2
                                        ;     Child Loop BB192_103 Depth 2
                                        ;     Child Loop BB192_133 Depth 2
                                        ;     Child Loop BB192_150 Depth 2
                                        ;     Child Loop BB192_180 Depth 2
                                        ;     Child Loop BB192_197 Depth 2
                                        ;     Child Loop BB192_231 Depth 2
                                        ;     Child Loop BB192_248 Depth 2
                                        ;     Child Loop BB192_288 Depth 2
                                        ;     Child Loop BB192_304 Depth 2
                                        ;     Child Loop BB192_334 Depth 2
                                        ;     Child Loop BB192_351 Depth 2
                                        ;     Child Loop BB192_381 Depth 2
                                        ;     Child Loop BB192_398 Depth 2
                                        ;     Child Loop BB192_432 Depth 2
                                        ;     Child Loop BB192_449 Depth 2
	ds_read_b128 v[2:5], v13 offset:5120
	s_waitcnt lgkmcnt(0)
	v_readfirstlane_b32 s71, v3
	v_readfirstlane_b32 s70, v2
	s_cmp_lg_u64 s[70:71], 0
	s_cbranch_scc1 .LBB192_33
; %bb.7:                                ;   in Loop: Header=BB192_6 Depth=1
	v_readlane_b32 s0, v55, 20
	v_readlane_b32 s1, v55, 21
	s_and_b64 vcc, exec, s[0:1]
	s_cbranch_vccz .LBB192_20
; %bb.8:                                ;   in Loop: Header=BB192_6 Depth=1
	s_mov_b64 s[0:1], 0x301
	v_cmp_gt_u64_e32 vcc, s[0:1], v[4:5]
	s_mov_b64 s[0:1], 0
	s_mov_b64 s[4:5], 0
	s_cbranch_vccz .LBB192_21
; %bb.9:                                ;   in Loop: Header=BB192_6 Depth=1
	s_mov_b64 s[4:5], exec
	v_readlane_b32 s6, v55, 22
	v_readlane_b32 s7, v55, 23
	s_and_b64 s[6:7], s[4:5], s[6:7]
	s_mov_b64 exec, s[6:7]
	s_cbranch_execz .LBB192_89
; %bb.10:                               ;   in Loop: Header=BB192_6 Depth=1
	v_readlane_b32 s6, v55, 33
	v_readlane_b32 s7, v55, 34
	s_nop 4
	global_load_ushort v6, v13, s[6:7]
	global_load_dword v7, v[10:11], off
	v_mov_b32_e32 v2, s80
	v_mov_b32_e32 v3, s81
	v_readlane_b32 s8, v55, 40
	v_readlane_b32 s9, v55, 41
	s_mov_b64 s[12:13], 0
	s_waitcnt vmcnt(1)
	v_readfirstlane_b32 s6, v6
	s_and_b32 s14, 0xffff, s6
	v_add_u32_e32 v4, s14, v0
	v_mad_u64_u32 v[2:3], s[6:7], s8, v4, v[2:3]
	s_mul_i32 s15, s9, s14
	s_mul_i32 s22, s8, s14
	v_mad_u64_u32 v[3:4], s[6:7], s9, v4, v[3:4]
	s_mul_hi_u32 s6, s8, s14
	v_mov_b32_e32 v5, v1
	s_add_i32 s23, s6, s15
	v_mov_b32_e32 v4, v0
	s_branch .LBB192_12
.LBB192_11:                             ;   in Loop: Header=BB192_12 Depth=2
	s_or_b64 exec, exec, s[6:7]
	v_mov_b32_e32 v7, s23
	v_add_co_u32_e32 v2, vcc, s22, v2
	v_addc_co_u32_e32 v3, vcc, v3, v7, vcc
	v_mov_b32_e32 v7, v8
	s_andn2_b64 exec, exec, s[12:13]
	s_cbranch_execz .LBB192_89
.LBB192_12:                             ;   Parent Loop BB192_6 Depth=1
                                        ; =>  This Inner Loop Header: Depth=2
	v_add_co_u32_sdwa v4, vcc, v4, v6 dst_sel:DWORD dst_unused:UNUSED_PAD src0_sel:DWORD src1_sel:WORD_0
	v_addc_co_u32_e32 v5, vcc, 0, v5, vcc
	v_cmp_gt_u64_e64 s[6:7], s[56:57], v[4:5]
	v_cmp_le_u64_e32 vcc, s[56:57], v[4:5]
	s_waitcnt lgkmcnt(0)
	v_mov_b32_e32 v9, 0
	v_mov_b32_e32 v8, 0
	s_and_saveexec_b64 s[14:15], s[6:7]
	s_cbranch_execz .LBB192_14
; %bb.13:                               ;   in Loop: Header=BB192_12 Depth=2
	global_load_dword v8, v[2:3], off
.LBB192_14:                             ;   in Loop: Header=BB192_12 Depth=2
	s_or_b64 exec, exec, s[14:15]
	s_waitcnt vmcnt(0)
	v_cmp_lt_i32_e64 s[6:7], -1, v7
	v_cndmask_b32_e64 v12, -1, v40, s[6:7]
	v_xor_b32_e32 v12, v12, v7
	v_cmp_o_f32_e64 s[6:7], v7, v7
	v_cndmask_b32_e64 v12, -1, v12, s[6:7]
	v_and_b32_e32 v12, v12, v42
	v_cmp_eq_u32_e64 s[14:15], v12, v36
	s_cmp_lg_u64 s[14:15], 0
	s_cselect_b64 s[6:7], -1, 0
	s_and_b64 s[6:7], s[68:69], s[6:7]
	s_and_saveexec_b64 s[16:17], s[6:7]
	s_cbranch_execz .LBB192_18
; %bb.15:                               ;   in Loop: Header=BB192_12 Depth=2
	s_mov_b64 s[20:21], exec
	v_mbcnt_lo_u32_b32 v9, s20, 0
	v_mbcnt_hi_u32_b32 v9, s21, v9
	s_bcnt1_i32_b64 s24, s[14:15]
	v_cmp_eq_u32_e64 s[6:7], 0, v9
                                        ; implicit-def: $vgpr12
	s_and_saveexec_b64 s[18:19], s[6:7]
; %bb.16:                               ;   in Loop: Header=BB192_12 Depth=2
	s_bcnt1_i32_b64 s6, s[20:21]
	s_mul_i32 s6, s24, s6
	v_mov_b32_e32 v12, s6
	ds_add_rtn_u32 v12, v13, v12 offset:5144
; %bb.17:                               ;   in Loop: Header=BB192_12 Depth=2
	s_or_b64 exec, exec, s[18:19]
	s_waitcnt lgkmcnt(0)
	v_readfirstlane_b32 s6, v12
	v_mov_b32_e32 v12, s6
	v_mad_u32_u24 v9, s24, v9, v12
.LBB192_18:                             ;   in Loop: Header=BB192_12 Depth=2
	s_or_b64 exec, exec, s[16:17]
	ds_bpermute_b32 v9, v29, v9
	s_and_b64 s[6:7], exec, vcc
	s_or_b64 s[12:13], s[6:7], s[12:13]
	s_and_saveexec_b64 s[6:7], s[14:15]
	s_cbranch_execz .LBB192_11
; %bb.19:                               ;   in Loop: Header=BB192_12 Depth=2
	v_and_b32_e32 v23, s14, v31
	v_and_b32_e32 v12, s15, v30
	v_bcnt_u32_b32 v23, v23, 0
	v_bcnt_u32_b32 v12, v12, v23
	v_lshlrev_b32_e32 v12, 2, v12
	s_waitcnt lgkmcnt(0)
	v_lshl_add_u32 v9, v9, 2, v12
	ds_write_b32 v9, v7
	s_branch .LBB192_11
.LBB192_20:                             ;   in Loop: Header=BB192_6 Depth=1
	s_mov_b64 s[0:1], -1
	s_mov_b64 s[4:5], 0
.LBB192_21:                             ;   in Loop: Header=BB192_6 Depth=1
	s_and_b64 vcc, exec, s[0:1]
	s_cbranch_vccz .LBB192_31
.LBB192_22:                             ;   in Loop: Header=BB192_6 Depth=1
	s_mov_b64 s[0:1], exec
	v_readlane_b32 s4, v55, 22
	v_readlane_b32 s5, v55, 23
	s_and_b64 s[4:5], s[0:1], s[4:5]
	s_mov_b64 exec, s[4:5]
	s_cbranch_execz .LBB192_28
; %bb.23:                               ;   in Loop: Header=BB192_6 Depth=1
	v_readlane_b32 s4, v55, 33
	v_readlane_b32 s5, v55, 34
	s_nop 4
	global_load_ushort v2, v13, s[4:5]
	global_load_dword v8, v[10:11], off
	s_waitcnt vmcnt(1)
	v_add_u32_sdwa v12, v2, v0 dst_sel:DWORD dst_unused:UNUSED_PAD src0_sel:WORD_0 src1_sel:DWORD
	v_cmp_gt_u64_e32 vcc, s[56:57], v[12:13]
	v_readfirstlane_b32 s6, v2
	v_mov_b32_e32 v2, v0
	s_and_saveexec_b64 s[4:5], vcc
	s_cbranch_execz .LBB192_27
; %bb.24:                               ;   in Loop: Header=BB192_6 Depth=1
	v_mov_b32_e32 v2, s80
	v_mov_b32_e32 v3, s81
	v_readlane_b32 s8, v55, 40
	v_mad_u64_u32 v[2:3], s[12:13], s8, v12, v[2:3]
	v_readlane_b32 s9, v55, 41
	s_and_b32 s12, s6, 0xffff
	v_mad_u64_u32 v[3:4], s[6:7], s9, v12, v[3:4]
	s_mul_i32 s6, s9, s12
	s_mul_hi_u32 s7, s8, s12
	v_mov_b32_e32 v4, v12
	v_mov_b32_e32 v7, v1
	s_add_i32 s13, s7, s6
	s_mul_i32 s14, s8, s12
	s_mov_b64 s[6:7], 0
	v_mov_b32_e32 v5, v13
	v_mov_b32_e32 v6, v0
.LBB192_25:                             ;   Parent Loop BB192_6 Depth=1
                                        ; =>  This Inner Loop Header: Depth=2
	global_load_dword v9, v[2:3], off
	v_mov_b32_e32 v28, v5
	v_mov_b32_e32 v27, v4
	;; [unrolled: 1-line block ×3, first 2 shown]
	v_add_co_u32_e32 v2, vcc, s14, v2
	v_lshlrev_b32_e32 v4, 2, v6
	v_addc_co_u32_e32 v3, vcc, v3, v5, vcc
	s_waitcnt vmcnt(1)
	ds_write_b32 v4, v8
	v_add_co_u32_e32 v4, vcc, s12, v27
	v_addc_co_u32_e32 v5, vcc, 0, v28, vcc
	v_cmp_le_u64_e32 vcc, s[56:57], v[4:5]
	v_mov_b32_e32 v6, v27
	s_or_b64 s[6:7], vcc, s[6:7]
	v_mov_b32_e32 v7, v28
	s_waitcnt vmcnt(0)
	v_mov_b32_e32 v8, v9
	s_andn2_b64 exec, exec, s[6:7]
	s_cbranch_execnz .LBB192_25
; %bb.26:                               ;   in Loop: Header=BB192_6 Depth=1
	s_or_b64 exec, exec, s[6:7]
	v_subrev_u32_e32 v2, s12, v4
	v_mov_b32_e32 v8, v9
.LBB192_27:                             ;   in Loop: Header=BB192_6 Depth=1
	s_or_b64 exec, exec, s[4:5]
	v_lshlrev_b32_e32 v2, 2, v2
	s_waitcnt vmcnt(0)
	ds_write_b32 v2, v8
.LBB192_28:                             ;   in Loop: Header=BB192_6 Depth=1
	s_or_b64 exec, exec, s[0:1]
	s_waitcnt lgkmcnt(0)
	s_barrier
	s_mov_b64 s[0:1], exec
	v_readlane_b32 s4, v55, 8
	v_readlane_b32 s5, v55, 9
	s_and_b64 s[4:5], s[0:1], s[4:5]
	s_mov_b64 exec, s[4:5]
; %bb.29:                               ;   in Loop: Header=BB192_6 Depth=1
	v_mov_b32_e32 v2, s56
	v_mov_b32_e32 v3, s57
	ds_write_b64 v13, v[2:3] offset:5120
; %bb.30:                               ;   in Loop: Header=BB192_6 Depth=1
	s_or_b64 exec, exec, s[0:1]
	s_mov_b64 s[4:5], -1
	s_waitcnt lgkmcnt(0)
	s_barrier
.LBB192_31:                             ;   in Loop: Header=BB192_6 Depth=1
	s_mov_b64 s[70:71], 0
	s_and_b64 vcc, exec, s[4:5]
	s_cbranch_vccz .LBB192_33
; %bb.32:                               ;   in Loop: Header=BB192_6 Depth=1
	ds_read_b64 v[2:3], v13 offset:5120
	s_waitcnt lgkmcnt(0)
	v_readfirstlane_b32 s70, v2
.LBB192_33:                             ;   in Loop: Header=BB192_6 Depth=1
	v_writelane_b32 v55, s28, 45
	v_writelane_b32 v55, s29, 46
	;; [unrolled: 1-line block ×6, first 2 shown]
	s_cmp_lt_i32 s70, 1
	s_mov_b64 s[0:1], -1
	v_writelane_b32 v55, s34, 51
                                        ; implicit-def: $vgpr2_vgpr3
                                        ; implicit-def: $vgpr6_vgpr7
	v_writelane_b32 v55, s35, 52
	s_cbranch_scc0 .LBB192_48
; %bb.34:                               ;   in Loop: Header=BB192_6 Depth=1
	v_readlane_b32 s0, v55, 33
	v_readlane_b32 s1, v55, 34
	s_nop 4
	global_load_ushort v2, v13, s[0:1]
	s_mov_b32 s0, s83
	s_waitcnt vmcnt(0)
	v_readfirstlane_b32 s1, v2
	s_and_b32 s31, s1, 0xffff
	s_lshl_b32 s71, s31, 2
	s_mov_b32 s1, s57
	s_cmp_lg_u64 s[0:1], 0
	s_cbranch_scc0 .LBB192_66
; %bb.35:                               ;   in Loop: Header=BB192_6 Depth=1
	v_cvt_f32_u32_e32 v2, s71
	s_sub_u32 s4, 0, s71
	s_subb_u32 s5, 0, 0
	v_mac_f32_e32 v2, 0, v41
	v_rcp_f32_e32 v2, v2
	v_mul_f32_e32 v2, 0x5f7ffffc, v2
	v_mul_f32_e32 v3, 0x2f800000, v2
	v_trunc_f32_e32 v3, v3
	v_mac_f32_e32 v2, 0xcf800000, v3
	v_cvt_u32_f32_e32 v3, v3
	v_cvt_u32_f32_e32 v2, v2
	v_readfirstlane_b32 s6, v3
	v_readfirstlane_b32 s0, v2
	s_mul_i32 s1, s4, s6
	s_mul_hi_u32 s12, s4, s0
	s_mul_i32 s7, s5, s0
	s_add_i32 s1, s12, s1
	s_mul_i32 s13, s4, s0
	s_add_i32 s1, s1, s7
	s_mul_hi_u32 s12, s0, s13
	s_mul_i32 s14, s0, s1
	s_mul_hi_u32 s7, s0, s1
	s_add_u32 s12, s12, s14
	s_addc_u32 s7, 0, s7
	s_mul_hi_u32 s15, s6, s13
	s_mul_i32 s13, s6, s13
	s_add_u32 s12, s12, s13
	s_mul_hi_u32 s14, s6, s1
	s_addc_u32 s7, s7, s15
	s_addc_u32 s12, s14, 0
	s_mul_i32 s1, s6, s1
	s_add_u32 s1, s7, s1
	s_addc_u32 s7, 0, s12
	s_add_u32 s12, s0, s1
	s_cselect_b64 s[0:1], -1, 0
	s_cmp_lg_u64 s[0:1], 0
	s_addc_u32 s6, s6, s7
	s_mul_i32 s0, s4, s6
	s_mul_hi_u32 s1, s4, s12
	s_add_i32 s0, s1, s0
	s_mul_i32 s5, s5, s12
	s_add_i32 s0, s0, s5
	s_mul_i32 s4, s4, s12
	s_mul_hi_u32 s5, s6, s4
	s_mul_i32 s7, s6, s4
	s_mul_i32 s14, s12, s0
	s_mul_hi_u32 s4, s12, s4
	s_mul_hi_u32 s13, s12, s0
	s_add_u32 s4, s4, s14
	s_addc_u32 s13, 0, s13
	s_add_u32 s4, s4, s7
	s_mul_hi_u32 s1, s6, s0
	s_addc_u32 s4, s13, s5
	s_addc_u32 s1, s1, 0
	s_mul_i32 s0, s6, s0
	s_add_u32 s0, s4, s0
	s_addc_u32 s4, 0, s1
	s_add_u32 s5, s12, s0
	s_cselect_b64 s[0:1], -1, 0
	s_cmp_lg_u64 s[0:1], 0
	s_addc_u32 s0, s6, s4
	s_mul_i32 s4, s56, s0
	s_mul_hi_u32 s6, s56, s5
	s_mul_hi_u32 s1, s56, s0
	s_add_u32 s4, s6, s4
	s_addc_u32 s1, 0, s1
	s_mul_hi_u32 s7, s57, s5
	s_mul_i32 s5, s57, s5
	s_add_u32 s4, s4, s5
	s_mul_hi_u32 s6, s57, s0
	s_addc_u32 s1, s1, s7
	s_addc_u32 s4, s6, 0
	s_mul_i32 s0, s57, s0
	s_add_u32 s0, s1, s0
	s_addc_u32 s1, 0, s4
	s_mul_i32 s1, s71, s1
	s_mul_hi_u32 s4, s71, s0
	s_add_i32 s4, s4, s1
	s_mul_i32 s0, s71, s0
	s_sub_u32 s5, s56, s0
	s_cselect_b64 s[0:1], -1, 0
	s_cmp_lg_u64 s[0:1], 0
	s_subb_u32 s4, s57, s4
	s_sub_u32 s6, s5, s71
	s_cselect_b64 s[0:1], -1, 0
	s_cmp_lg_u64 s[0:1], 0
	s_subb_u32 s7, s4, 0
	;; [unrolled: 4-line block ×3, first 2 shown]
	s_cmp_ge_u32 s6, s71
	s_cselect_b32 s1, -1, 0
	s_cmp_eq_u32 s7, 0
	s_cselect_b32 s1, s1, -1
	s_cmp_lg_u32 s1, 0
	s_cselect_b32 s0, s0, s7
	s_cselect_b32 s6, s12, s6
	s_cmp_ge_u32 s5, s71
	s_cselect_b32 s1, -1, 0
	s_cmp_eq_u32 s4, 0
	s_cselect_b32 s1, s1, -1
	s_cmp_lg_u32 s1, 0
	s_cselect_b32 s1, s0, s4
	s_cselect_b32 s0, s6, s5
	s_cbranch_execnz .LBB192_37
.LBB192_36:                             ;   in Loop: Header=BB192_6 Depth=1
	v_cvt_f32_u32_e32 v2, s71
	s_sub_i32 s0, 0, s71
	v_rcp_iflag_f32_e32 v2, v2
	v_mul_f32_e32 v2, 0x4f7ffffe, v2
	v_cvt_u32_f32_e32 v2, v2
	v_readfirstlane_b32 s1, v2
	s_mul_i32 s0, s0, s1
	s_mul_hi_u32 s0, s1, s0
	s_add_i32 s1, s1, s0
	s_mul_hi_u32 s0, s56, s1
	s_mul_i32 s0, s0, s71
	s_sub_i32 s0, s56, s0
	s_sub_i32 s1, s0, s71
	s_cmp_ge_u32 s0, s71
	s_cselect_b32 s0, s1, s0
	s_sub_i32 s1, s0, s71
	s_cmp_ge_u32 s0, s71
	s_cselect_b32 s82, s1, s0
	s_mov_b64 s[0:1], s[82:83]
.LBB192_37:                             ;   in Loop: Header=BB192_6 Depth=1
	s_sub_u32 s86, s56, s0
	s_subb_u32 s87, s57, s1
	v_cmp_gt_u64_e32 vcc, s[86:87], v[14:15]
	v_mov_b32_e32 v2, 0
	v_mov_b32_e32 v4, 0
	;; [unrolled: 1-line block ×8, first 2 shown]
	s_and_saveexec_b64 s[12:13], vcc
	s_cbranch_execz .LBB192_41
; %bb.38:                               ;   in Loop: Header=BB192_6 Depth=1
	s_mul_i32 s0, s73, s31
	s_mul_hi_u32 s1, s72, s31
	v_mov_b32_e32 v28, v15
	s_mov_b64 s[8:9], s[68:69]
	s_add_i32 s82, s1, s0
	s_mov_b64 s[4:5], 0
	s_mov_b64 s[78:79], s[80:81]
	;; [unrolled: 1-line block ×6, first 2 shown]
	v_mov_b32_e32 v27, v14
.LBB192_39:                             ;   Parent Loop BB192_6 Depth=1
                                        ; =>  This Inner Loop Header: Depth=2
	v_add_co_u32_e64 v27, s[6:7], s71, v27
	v_addc_co_u32_e64 v28, s[6:7], 0, v28, s[6:7]
	v_mov_b32_e32 v7, s79
	v_add_co_u32_e32 v2, vcc, s78, v19
	v_add_co_u32_e64 v8, s[6:7], s78, v20
	v_add_co_u32_e64 v4, s[14:15], s78, v17
	;; [unrolled: 1-line block ×3, first 2 shown]
	v_addc_co_u32_e64 v9, s[6:7], v7, v21, s[6:7]
	v_addc_co_u32_e32 v3, vcc, v7, v38, vcc
	v_addc_co_u32_e64 v5, vcc, v7, v37, s[14:15]
	v_addc_co_u32_e64 v7, vcc, v7, v35, s[16:17]
	global_load_dword v8, v[8:9], off
	s_nop 0
	global_load_dword v2, v[2:3], off
	s_nop 0
	;; [unrolled: 2-line block ×3, first 2 shown]
	global_load_dword v4, v[6:7], off
	s_mul_i32 s68, s72, s31
	v_cmp_le_u64_e32 vcc, s[86:87], v[27:28]
	s_waitcnt vmcnt(3)
	v_cmp_lt_i32_e64 s[6:7], -1, v8
	v_cndmask_b32_e64 v5, -1, v40, s[6:7]
	s_waitcnt vmcnt(2)
	v_cmp_lt_i32_e64 s[6:7], -1, v2
	v_cndmask_b32_e64 v6, -1, v40, s[6:7]
	;; [unrolled: 3-line block ×4, first 2 shown]
	v_xor_b32_e32 v6, v6, v2
	v_cmp_o_f32_e64 s[6:7], v2, v2
	v_xor_b32_e32 v2, v7, v3
	v_cmp_o_f32_e64 s[14:15], v3, v3
	;; [unrolled: 2-line block ×4, first 2 shown]
	v_cndmask_b32_e64 v4, -1, v4, s[18:19]
	v_cndmask_b32_e64 v5, -1, v6, s[6:7]
	v_and_b32_e32 v6, v4, v42
	v_bfe_u32 v4, v4, s30, 2
	v_cndmask_b32_e64 v2, -1, v2, s[14:15]
	v_and_b32_e32 v7, v5, v42
	v_bfe_u32 v5, v5, s30, 2
	v_cmp_eq_u32_e64 s[6:7], v6, v36
	v_cmp_eq_u32_e64 s[20:21], 0, v4
	v_cndmask_b32_e64 v3, -1, v3, s[16:17]
	v_and_b32_e32 v8, v2, v42
	v_bfe_u32 v2, v2, s30, 2
	v_cmp_eq_u32_e64 s[16:17], v7, v36
	v_cmp_eq_u32_e64 s[22:23], 0, v5
	s_and_b64 s[20:21], s[6:7], s[20:21]
	v_and_b32_e32 v9, v3, v42
	v_bfe_u32 v3, v3, s30, 2
	v_cmp_eq_u32_e64 s[18:19], v8, v36
	v_cmp_eq_u32_e64 s[24:25], 0, v2
	;; [unrolled: 1-line block ×5, first 2 shown]
	v_cndmask_b32_e64 v2, 0, 1, s[20:21]
	s_and_b64 s[20:21], s[16:17], s[22:23]
	v_cmp_eq_u32_e64 s[14:15], v9, v36
	v_cmp_eq_u32_e64 s[26:27], 0, v3
	;; [unrolled: 1-line block ×5, first 2 shown]
	v_cndmask_b32_e64 v3, 0, 1, s[20:21]
	s_and_b64 s[20:21], s[18:19], s[24:25]
	v_cmp_eq_u32_e64 s[28:29], 1, v4
	v_cmp_eq_u32_e64 s[40:41], 2, v4
	;; [unrolled: 1-line block ×3, first 2 shown]
	v_cndmask_b32_e64 v4, 0, 1, s[20:21]
	s_and_b64 s[20:21], s[14:15], s[26:27]
	v_cmp_eq_u32_e64 s[34:35], 1, v5
	v_cmp_eq_u32_e64 s[42:43], 2, v5
	;; [unrolled: 1-line block ×3, first 2 shown]
	v_cndmask_b32_e64 v5, 0, 1, s[20:21]
	v_cmp_ne_u32_e64 s[20:21], 0, v2
	v_cmp_ne_u32_e64 s[22:23], 0, v3
	v_cmp_ne_u32_e64 s[24:25], 0, v4
	v_cmp_ne_u32_e64 s[26:27], 0, v5
	s_bcnt1_i32_b64 s20, s[20:21]
	s_bcnt1_i32_b64 s21, s[22:23]
	s_bcnt1_i32_b64 s22, s[24:25]
	s_bcnt1_i32_b64 s23, s[26:27]
	s_add_u32 s20, s20, s88
	s_addc_u32 s24, 0, s89
	s_add_u32 s20, s20, s21
	s_addc_u32 s21, s24, 0
	s_add_u32 s20, s20, s22
	s_addc_u32 s21, s21, 0
	s_add_u32 s88, s20, s23
	s_addc_u32 s89, s21, 0
	s_and_b64 s[20:21], s[6:7], s[28:29]
	v_cndmask_b32_e64 v4, 0, 1, s[20:21]
	s_and_b64 s[20:21], s[16:17], s[34:35]
	v_cndmask_b32_e64 v5, 0, 1, s[20:21]
	s_and_b64 s[20:21], s[18:19], s[36:37]
	v_cndmask_b32_e64 v6, 0, 1, s[20:21]
	s_and_b64 s[20:21], s[14:15], s[38:39]
	v_cndmask_b32_e64 v7, 0, 1, s[20:21]
	v_cmp_ne_u32_e64 s[20:21], 0, v4
	v_cmp_ne_u32_e64 s[22:23], 0, v5
	v_cmp_ne_u32_e64 s[24:25], 0, v6
	v_cmp_ne_u32_e64 s[26:27], 0, v7
	s_bcnt1_i32_b64 s20, s[20:21]
	s_bcnt1_i32_b64 s21, s[22:23]
	s_bcnt1_i32_b64 s22, s[24:25]
	s_bcnt1_i32_b64 s23, s[26:27]
	s_add_u32 s0, s20, s0
	s_addc_u32 s1, 0, s1
	s_add_u32 s0, s0, s21
	s_addc_u32 s1, s1, 0
	s_add_u32 s0, s0, s22
	s_addc_u32 s1, s1, 0
	s_add_u32 s0, s0, s23
	s_addc_u32 s1, s1, 0
	s_and_b64 s[20:21], s[6:7], s[40:41]
	v_cndmask_b32_e64 v6, 0, 1, s[20:21]
	s_and_b64 s[20:21], s[16:17], s[42:43]
	v_cndmask_b32_e64 v7, 0, 1, s[20:21]
	s_and_b64 s[20:21], s[18:19], s[44:45]
	v_cndmask_b32_e64 v8, 0, 1, s[20:21]
	s_and_b64 s[20:21], s[14:15], s[46:47]
	;; [unrolled: 24-line block ×3, first 2 shown]
	v_cndmask_b32_e64 v23, 0, 1, s[6:7]
	v_cmp_ne_u32_e64 s[6:7], 0, v8
	v_cmp_ne_u32_e64 s[14:15], 0, v9
	;; [unrolled: 1-line block ×4, first 2 shown]
	s_bcnt1_i32_b64 s6, s[6:7]
	s_bcnt1_i32_b64 s7, s[14:15]
	;; [unrolled: 1-line block ×4, first 2 shown]
	s_add_u32 s6, s6, s84
	s_addc_u32 s16, 0, s85
	s_add_u32 s6, s6, s7
	s_addc_u32 s7, s16, 0
	;; [unrolled: 2-line block ×4, first 2 shown]
	s_add_u32 s78, s78, s68
	v_mov_b32_e32 v2, s88
	v_mov_b32_e32 v5, s1
	;; [unrolled: 1-line block ×3, first 2 shown]
	s_addc_u32 s79, s79, s82
	v_mov_b32_e32 v8, s84
	v_mov_b32_e32 v3, s89
	;; [unrolled: 1-line block ×4, first 2 shown]
	s_or_b64 s[4:5], vcc, s[4:5]
	v_mov_b32_e32 v9, s85
	s_andn2_b64 exec, exec, s[4:5]
	s_cbranch_execnz .LBB192_39
; %bb.40:                               ;   in Loop: Header=BB192_6 Depth=1
	s_or_b64 exec, exec, s[4:5]
	v_readlane_b32 s88, v55, 43
	s_mov_b64 s[68:69], s[8:9]
	v_readlane_b32 s89, v55, 44
.LBB192_41:                             ;   in Loop: Header=BB192_6 Depth=1
	s_or_b64 exec, exec, s[12:13]
	v_mov_b32_e32 v12, s87
	v_add_co_u32_e32 v27, vcc, s86, v0
	v_addc_co_u32_e32 v28, vcc, 0, v12, vcc
	v_cmp_gt_u64_e32 vcc, s[56:57], v[27:28]
	s_and_saveexec_b64 s[0:1], vcc
	s_cbranch_execz .LBB192_47
; %bb.42:                               ;   in Loop: Header=BB192_6 Depth=1
	v_mul_lo_u32 v12, v28, s62
	v_mul_lo_u32 v23, v27, s63
	v_mad_u64_u32 v[43:44], s[4:5], v27, s62, 0
	s_mov_b64 s[4:5], 0
	v_add3_u32 v44, v44, v23, v12
	v_lshlrev_b64 v[43:44], 2, v[43:44]
	v_mov_b32_e32 v12, s81
	v_add_co_u32_e32 v43, vcc, s80, v43
	v_addc_co_u32_e32 v44, vcc, v12, v44, vcc
	global_load_dword v23, v[43:44], off
	s_branch .LBB192_44
.LBB192_43:                             ;   in Loop: Header=BB192_44 Depth=2
	s_or_b64 exec, exec, s[12:13]
	s_and_b64 s[6:7], exec, vcc
	s_waitcnt vmcnt(0)
	v_cmp_lt_i32_e32 vcc, -1, v23
	v_cndmask_b32_e32 v43, -1, v40, vcc
	v_xor_b32_e32 v43, v43, v23
	v_cmp_o_f32_e32 vcc, v23, v23
	v_cndmask_b32_e32 v23, -1, v43, vcc
	v_and_b32_e32 v43, v23, v42
	v_bfe_u32 v23, v23, s30, 2
	s_or_b64 s[4:5], s[6:7], s[4:5]
	v_cmp_eq_u32_e32 vcc, v43, v36
	v_cmp_eq_u32_e64 s[6:7], 0, v23
	s_and_b64 s[6:7], vcc, s[6:7]
	v_cndmask_b32_e64 v43, 0, 1, s[6:7]
	v_cmp_ne_u32_e64 s[6:7], 0, v43
	s_bcnt1_i32_b64 s6, s[6:7]
	v_add_co_u32_e64 v2, s[6:7], s6, v2
	v_addc_co_u32_e64 v3, s[6:7], 0, v3, s[6:7]
	v_cmp_eq_u32_e64 s[6:7], 1, v23
	s_and_b64 s[6:7], vcc, s[6:7]
	v_cndmask_b32_e64 v43, 0, 1, s[6:7]
	v_cmp_ne_u32_e64 s[6:7], 0, v43
	s_bcnt1_i32_b64 s6, s[6:7]
	v_add_co_u32_e64 v4, s[6:7], s6, v4
	v_addc_co_u32_e64 v5, s[6:7], 0, v5, s[6:7]
	;; [unrolled: 7-line block ×3, first 2 shown]
	v_cmp_eq_u32_e64 s[6:7], 3, v23
	s_and_b64 s[6:7], vcc, s[6:7]
	v_cndmask_b32_e64 v23, 0, 1, s[6:7]
	v_cmp_ne_u32_e32 vcc, 0, v23
	s_bcnt1_i32_b64 s6, vcc
	v_add_co_u32_e32 v8, vcc, s6, v8
	v_addc_co_u32_e32 v9, vcc, 0, v9, vcc
	v_mov_b32_e32 v23, v12
	s_andn2_b64 exec, exec, s[4:5]
	s_cbranch_execz .LBB192_46
.LBB192_44:                             ;   Parent Loop BB192_6 Depth=1
                                        ; =>  This Inner Loop Header: Depth=2
	v_add_co_u32_e32 v27, vcc, s31, v27
	v_addc_co_u32_e32 v28, vcc, 0, v28, vcc
	v_cmp_gt_u64_e64 s[6:7], s[56:57], v[27:28]
	v_cmp_le_u64_e32 vcc, s[56:57], v[27:28]
	v_mov_b32_e32 v12, 0
	s_and_saveexec_b64 s[12:13], s[6:7]
	s_cbranch_execz .LBB192_43
; %bb.45:                               ;   in Loop: Header=BB192_44 Depth=2
	v_mul_lo_u32 v12, v28, s62
	v_mul_lo_u32 v45, v27, s63
	v_mad_u64_u32 v[43:44], s[6:7], v27, s62, 0
	v_add3_u32 v44, v44, v45, v12
	v_lshlrev_b64 v[43:44], 2, v[43:44]
	v_mov_b32_e32 v12, s81
	v_add_co_u32_e64 v43, s[6:7], s80, v43
	v_addc_co_u32_e64 v44, s[6:7], v12, v44, s[6:7]
	global_load_dword v12, v[43:44], off
	s_branch .LBB192_43
.LBB192_46:                             ;   in Loop: Header=BB192_6 Depth=1
	s_or_b64 exec, exec, s[4:5]
.LBB192_47:                             ;   in Loop: Header=BB192_6 Depth=1
	s_or_b64 exec, exec, s[0:1]
	s_mov_b64 s[0:1], 0
.LBB192_48:                             ;   in Loop: Header=BB192_6 Depth=1
	s_and_b64 vcc, exec, s[0:1]
	s_cbranch_vccz .LBB192_58
; %bb.49:                               ;   in Loop: Header=BB192_6 Depth=1
	v_readlane_b32 s0, v55, 33
	v_readlane_b32 s1, v55, 34
	v_mov_b32_e32 v6, 0
	v_mov_b32_e32 v7, 0
	s_nop 2
	global_load_ushort v12, v13, s[0:1]
	s_waitcnt vmcnt(0)
	v_readfirstlane_b32 s0, v12
	s_and_b32 s6, 0xffff, s0
	s_lshl_b32 s31, s6, 2
	v_cvt_f32_u32_e32 v2, s31
	s_sub_i32 s0, 0, s31
	v_rcp_iflag_f32_e32 v4, v2
	v_mov_b32_e32 v2, 0
	v_mov_b32_e32 v3, 0
	v_mul_f32_e32 v4, 0x4f7ffffe, v4
	v_cvt_u32_f32_e32 v8, v4
	v_mov_b32_e32 v4, 0
	v_mov_b32_e32 v5, 0
	v_readfirstlane_b32 s1, v8
	s_mul_i32 s0, s0, s1
	s_mul_hi_u32 s0, s1, s0
	s_add_i32 s1, s1, s0
	s_mul_hi_u32 s0, s70, s1
	s_mul_i32 s1, s0, s31
	s_sub_i32 s1, s70, s1
	s_add_i32 s4, s0, 1
	s_sub_i32 s5, s1, s31
	s_cmp_ge_u32 s1, s31
	s_cselect_b32 s0, s4, s0
	s_cselect_b32 s1, s5, s1
	s_add_i32 s4, s0, 1
	s_cmp_ge_u32 s1, s31
	s_cselect_b32 s0, s4, s0
	s_mul_hi_u32 s1, s6, s0
	s_mul_i32 s0, s6, s0
	s_lshl_b64 s[4:5], s[0:1], 2
	v_cmp_gt_u64_e32 vcc, s[4:5], v[14:15]
	v_mov_b32_e32 v8, 0
	v_mov_b32_e32 v9, 0
	s_and_saveexec_b64 s[12:13], vcc
	s_cbranch_execz .LBB192_53
; %bb.50:                               ;   in Loop: Header=BB192_6 Depth=1
	v_mov_b32_e32 v28, v15
	s_lshl_b32 s1, s6, 4
	s_mov_b64 s[78:79], 0
	v_mov_b32_e32 v23, v34
	s_mov_b64 s[84:85], 0
	s_mov_b64 s[86:87], 0
	;; [unrolled: 1-line block ×4, first 2 shown]
	v_mov_b32_e32 v27, v14
.LBB192_51:                             ;   Parent Loop BB192_6 Depth=1
                                        ; =>  This Inner Loop Header: Depth=2
	ds_read_b128 v[2:5], v23
	v_add_co_u32_e32 v27, vcc, s31, v27
	v_addc_co_u32_e32 v28, vcc, 0, v28, vcc
	s_waitcnt lgkmcnt(0)
	v_cmp_lt_i32_e64 s[6:7], -1, v2
	v_cndmask_b32_e64 v6, -1, v40, s[6:7]
	v_cmp_lt_i32_e64 s[6:7], -1, v3
	v_cndmask_b32_e64 v7, -1, v40, s[6:7]
	;; [unrolled: 2-line block ×4, first 2 shown]
	v_xor_b32_e32 v7, v7, v3
	v_cmp_o_f32_e64 s[6:7], v3, v3
	v_xor_b32_e32 v3, v8, v4
	v_cmp_o_f32_e64 s[14:15], v4, v4
	;; [unrolled: 2-line block ×4, first 2 shown]
	v_cndmask_b32_e64 v2, -1, v5, s[18:19]
	v_cndmask_b32_e64 v5, -1, v7, s[6:7]
	v_and_b32_e32 v6, v2, v42
	v_bfe_u32 v2, v2, s30, 2
	v_cndmask_b32_e64 v3, -1, v3, s[14:15]
	v_and_b32_e32 v7, v5, v42
	v_bfe_u32 v5, v5, s30, 2
	v_cmp_eq_u32_e64 s[20:21], v6, v36
	v_cmp_eq_u32_e64 s[6:7], 0, v2
	v_cndmask_b32_e64 v4, -1, v4, s[16:17]
	v_and_b32_e32 v8, v3, v42
	v_bfe_u32 v3, v3, s30, 2
	v_cmp_eq_u32_e64 s[18:19], v7, v36
	v_cmp_eq_u32_e64 s[34:35], 0, v5
	s_and_b64 s[6:7], s[20:21], s[6:7]
	v_and_b32_e32 v9, v4, v42
	v_bfe_u32 v4, v4, s30, 2
	v_cmp_eq_u32_e64 s[16:17], v8, v36
	v_cmp_eq_u32_e64 s[36:37], 0, v3
	;; [unrolled: 1-line block ×5, first 2 shown]
	v_cndmask_b32_e64 v2, 0, 1, s[6:7]
	s_and_b64 s[6:7], s[18:19], s[34:35]
	v_cmp_eq_u32_e64 s[14:15], v9, v36
	v_cmp_eq_u32_e64 s[38:39], 0, v4
	;; [unrolled: 1-line block ×5, first 2 shown]
	v_cndmask_b32_e64 v3, 0, 1, s[6:7]
	s_and_b64 s[6:7], s[16:17], s[36:37]
	v_cmp_eq_u32_e64 s[46:47], 1, v4
	v_cmp_eq_u32_e64 s[54:55], 2, v4
	;; [unrolled: 1-line block ×3, first 2 shown]
	v_cndmask_b32_e64 v4, 0, 1, s[6:7]
	s_and_b64 s[6:7], s[14:15], s[38:39]
	v_cmp_eq_u32_e64 s[42:43], 1, v5
	v_cmp_eq_u32_e64 s[50:51], 2, v5
	;; [unrolled: 1-line block ×3, first 2 shown]
	v_cndmask_b32_e64 v5, 0, 1, s[6:7]
	v_cmp_ne_u32_e64 s[6:7], 0, v2
	v_cmp_ne_u32_e64 s[34:35], 0, v3
	v_cmp_ne_u32_e64 s[36:37], 0, v4
	v_cmp_ne_u32_e64 s[38:39], 0, v5
	s_bcnt1_i32_b64 s6, s[6:7]
	s_bcnt1_i32_b64 s7, s[34:35]
	s_bcnt1_i32_b64 s34, s[36:37]
	s_bcnt1_i32_b64 s35, s[38:39]
	s_add_u32 s6, s6, s90
	s_addc_u32 s36, 0, s91
	s_add_u32 s6, s6, s7
	s_addc_u32 s7, s36, 0
	s_add_u32 s6, s6, s34
	s_addc_u32 s7, s7, 0
	s_add_u32 s90, s6, s35
	s_addc_u32 s91, s7, 0
	s_and_b64 s[6:7], s[20:21], s[40:41]
	v_cndmask_b32_e64 v4, 0, 1, s[6:7]
	s_and_b64 s[6:7], s[18:19], s[42:43]
	v_cndmask_b32_e64 v5, 0, 1, s[6:7]
	s_and_b64 s[6:7], s[16:17], s[44:45]
	v_cndmask_b32_e64 v6, 0, 1, s[6:7]
	s_and_b64 s[6:7], s[14:15], s[46:47]
	v_cndmask_b32_e64 v7, 0, 1, s[6:7]
	v_cmp_ne_u32_e64 s[6:7], 0, v4
	v_cmp_ne_u32_e64 s[34:35], 0, v5
	v_cmp_ne_u32_e64 s[36:37], 0, v6
	v_cmp_ne_u32_e64 s[38:39], 0, v7
	s_bcnt1_i32_b64 s6, s[6:7]
	s_bcnt1_i32_b64 s7, s[34:35]
	s_bcnt1_i32_b64 s34, s[36:37]
	s_bcnt1_i32_b64 s35, s[38:39]
	s_add_u32 s6, s6, s88
	s_addc_u32 s36, 0, s89
	s_add_u32 s6, s6, s7
	s_addc_u32 s7, s36, 0
	s_add_u32 s6, s6, s34
	s_addc_u32 s7, s7, 0
	s_add_u32 s88, s6, s35
	s_addc_u32 s89, s7, 0
	s_and_b64 s[6:7], s[20:21], s[48:49]
	v_cndmask_b32_e64 v6, 0, 1, s[6:7]
	s_and_b64 s[6:7], s[18:19], s[50:51]
	v_cndmask_b32_e64 v7, 0, 1, s[6:7]
	s_and_b64 s[6:7], s[16:17], s[52:53]
	v_cndmask_b32_e64 v8, 0, 1, s[6:7]
	s_and_b64 s[6:7], s[14:15], s[54:55]
	v_cndmask_b32_e64 v9, 0, 1, s[6:7]
	v_cmp_ne_u32_e64 s[6:7], 0, v6
	v_cmp_ne_u32_e64 s[34:35], 0, v7
	v_cmp_ne_u32_e64 s[36:37], 0, v8
	v_cmp_ne_u32_e64 s[38:39], 0, v9
	s_bcnt1_i32_b64 s6, s[6:7]
	s_bcnt1_i32_b64 s7, s[34:35]
	s_bcnt1_i32_b64 s34, s[36:37]
	s_bcnt1_i32_b64 s35, s[38:39]
	s_add_u32 s6, s6, s86
	s_addc_u32 s36, 0, s87
	s_add_u32 s6, s6, s7
	s_addc_u32 s7, s36, 0
	s_add_u32 s6, s6, s34
	s_addc_u32 s7, s7, 0
	s_add_u32 s86, s6, s35
	s_addc_u32 s87, s7, 0
	s_and_b64 s[6:7], s[20:21], s[28:29]
	v_cndmask_b32_e64 v8, 0, 1, s[6:7]
	s_and_b64 s[6:7], s[18:19], s[26:27]
	v_cndmask_b32_e64 v9, 0, 1, s[6:7]
	s_and_b64 s[6:7], s[16:17], s[24:25]
	v_cndmask_b32_e64 v43, 0, 1, s[6:7]
	s_and_b64 s[6:7], s[14:15], s[22:23]
	v_cndmask_b32_e64 v44, 0, 1, s[6:7]
	v_cmp_ne_u32_e64 s[6:7], 0, v8
	v_cmp_ne_u32_e64 s[14:15], 0, v9
	;; [unrolled: 1-line block ×4, first 2 shown]
	s_bcnt1_i32_b64 s6, s[6:7]
	s_bcnt1_i32_b64 s7, s[14:15]
	s_bcnt1_i32_b64 s14, s[16:17]
	s_bcnt1_i32_b64 s15, s[18:19]
	s_add_u32 s6, s6, s84
	s_addc_u32 s16, 0, s85
	s_add_u32 s6, s6, s7
	s_addc_u32 s7, s16, 0
	;; [unrolled: 2-line block ×3, first 2 shown]
	v_cmp_le_u64_e32 vcc, s[4:5], v[27:28]
	s_add_u32 s84, s6, s15
	v_mov_b32_e32 v2, s90
	v_mov_b32_e32 v4, s88
	;; [unrolled: 1-line block ×3, first 2 shown]
	s_addc_u32 s85, s7, 0
	v_mov_b32_e32 v8, s84
	v_add_u32_e32 v23, s1, v23
	v_mov_b32_e32 v3, s91
	v_mov_b32_e32 v5, s89
	;; [unrolled: 1-line block ×3, first 2 shown]
	s_or_b64 s[78:79], vcc, s[78:79]
	v_mov_b32_e32 v9, s85
	s_andn2_b64 exec, exec, s[78:79]
	s_cbranch_execnz .LBB192_51
; %bb.52:                               ;   in Loop: Header=BB192_6 Depth=1
	s_or_b64 exec, exec, s[78:79]
	v_readlane_b32 s88, v55, 43
	v_readlane_b32 s89, v55, 44
.LBB192_53:                             ;   in Loop: Header=BB192_6 Depth=1
	s_or_b64 exec, exec, s[12:13]
	v_mov_b32_e32 v23, s5
	v_add_co_u32_e32 v27, vcc, s4, v0
	s_and_b32 s82, s70, 0x7fffffff
	v_addc_co_u32_e32 v28, vcc, 0, v23, vcc
	v_cmp_gt_u64_e32 vcc, s[82:83], v[27:28]
	s_and_saveexec_b64 s[4:5], vcc
	s_cbranch_execz .LBB192_57
; %bb.54:                               ;   in Loop: Header=BB192_6 Depth=1
	v_lshl_add_u32 v23, s0, 4, v14
	s_mov_b64 s[0:1], 0
.LBB192_55:                             ;   Parent Loop BB192_6 Depth=1
                                        ; =>  This Inner Loop Header: Depth=2
	ds_read_b32 v43, v23
	v_add_co_u32_sdwa v27, vcc, v27, v12 dst_sel:DWORD dst_unused:UNUSED_PAD src0_sel:DWORD src1_sel:WORD_0
	v_addc_co_u32_e32 v28, vcc, 0, v28, vcc
	s_waitcnt lgkmcnt(0)
	v_cmp_lt_i32_e64 s[6:7], -1, v43
	v_cndmask_b32_e64 v44, -1, v40, s[6:7]
	v_xor_b32_e32 v44, v44, v43
	v_cmp_o_f32_e64 s[6:7], v43, v43
	v_cndmask_b32_e64 v43, -1, v44, s[6:7]
	v_and_b32_e32 v44, v43, v42
	v_bfe_u32 v43, v43, s30, 2
	v_cmp_eq_u32_e64 s[6:7], v44, v36
	v_cmp_eq_u32_e64 s[14:15], 0, v43
	;; [unrolled: 1-line block ×3, first 2 shown]
	s_and_b64 s[12:13], s[6:7], s[14:15]
	v_cmp_eq_u32_e64 s[18:19], 2, v43
	v_cmp_eq_u32_e64 s[20:21], 3, v43
	v_cndmask_b32_e64 v43, 0, 1, s[12:13]
	s_and_b64 s[12:13], s[6:7], s[16:17]
	v_cndmask_b32_e64 v44, 0, 1, s[12:13]
	s_and_b64 s[12:13], s[6:7], s[18:19]
	s_and_b64 s[6:7], s[6:7], s[20:21]
	v_cndmask_b32_e64 v45, 0, 1, s[12:13]
	v_cndmask_b32_e64 v46, 0, 1, s[6:7]
	v_cmp_le_u64_e32 vcc, s[82:83], v[27:28]
	v_cmp_ne_u32_e64 s[6:7], 0, v43
	v_cmp_ne_u32_e64 s[14:15], 0, v44
	;; [unrolled: 1-line block ×4, first 2 shown]
	s_bcnt1_i32_b64 s6, s[6:7]
	s_bcnt1_i32_b64 s7, s[14:15]
	;; [unrolled: 1-line block ×4, first 2 shown]
	s_or_b64 s[0:1], vcc, s[0:1]
	v_add_co_u32_e32 v2, vcc, s6, v2
	v_addc_co_u32_e32 v3, vcc, 0, v3, vcc
	v_add_co_u32_e32 v4, vcc, s7, v4
	v_addc_co_u32_e32 v5, vcc, 0, v5, vcc
	;; [unrolled: 2-line block ×3, first 2 shown]
	v_add_co_u32_e32 v8, vcc, s13, v8
	v_add_u32_e32 v23, s31, v23
	v_addc_co_u32_e32 v9, vcc, 0, v9, vcc
	s_andn2_b64 exec, exec, s[0:1]
	s_cbranch_execnz .LBB192_55
; %bb.56:                               ;   in Loop: Header=BB192_6 Depth=1
	s_or_b64 exec, exec, s[0:1]
.LBB192_57:                             ;   in Loop: Header=BB192_6 Depth=1
	s_or_b64 exec, exec, s[4:5]
.LBB192_58:                             ;   in Loop: Header=BB192_6 Depth=1
	v_readlane_b32 s0, v55, 42
	s_lshl_b32 s4, s0, 6
	s_and_saveexec_b64 s[0:1], s[68:69]
	s_cbranch_execz .LBB192_60
; %bb.59:                               ;   in Loop: Header=BB192_6 Depth=1
	v_lshl_add_u32 v12, s4, 3, v18
	ds_write_b128 v12, v[2:5]
	ds_write_b128 v12, v[6:9] offset:16
.LBB192_60:                             ;   in Loop: Header=BB192_6 Depth=1
	s_or_b64 exec, exec, s[0:1]
	s_waitcnt lgkmcnt(0)
	s_barrier
	s_mov_b64 s[0:1], exec
	v_readlane_b32 s6, v55, 18
	v_readlane_b32 s7, v55, 19
	s_and_b64 s[6:7], s[0:1], s[6:7]
	s_mov_b64 exec, s[6:7]
	s_cbranch_execz .LBB192_72
; %bb.61:                               ;   in Loop: Header=BB192_6 Depth=1
	v_readlane_b32 s6, v55, 26
	v_mov_b32_e32 v2, 0
	v_readlane_b32 s7, v55, 27
	v_mov_b32_e32 v3, 0
	s_andn2_b64 vcc, exec, s[6:7]
	s_cbranch_vccnz .LBB192_71
; %bb.62:                               ;   in Loop: Header=BB192_6 Depth=1
	v_readlane_b32 s6, v55, 35
	v_readlane_b32 s7, v55, 36
	s_andn2_b64 vcc, exec, s[6:7]
	s_cbranch_vccnz .LBB192_67
; %bb.63:                               ;   in Loop: Header=BB192_6 Depth=1
	v_readlane_b32 s5, v55, 42
	v_mov_b32_e32 v2, 0
	v_lshl_add_u32 v4, s5, 9, v39
	v_mov_b32_e32 v3, 0
	s_mov_b32 s5, 0
.LBB192_64:                             ;   Parent Loop BB192_6 Depth=1
                                        ; =>  This Inner Loop Header: Depth=2
	ds_read2_b64 v[5:8], v4 offset1:4
	ds_read2_b64 v[43:46], v4 offset0:8 offset1:12
	ds_read2_b64 v[47:50], v4 offset0:16 offset1:20
	ds_read2_b64 v[51:54], v4 offset0:24 offset1:28
	s_add_i32 s5, s5, 8
	s_waitcnt lgkmcnt(3)
	v_add_co_u32_e32 v2, vcc, v5, v2
	v_addc_co_u32_e32 v3, vcc, v6, v3, vcc
	v_add_co_u32_e32 v2, vcc, v7, v2
	v_addc_co_u32_e32 v3, vcc, v8, v3, vcc
	s_waitcnt lgkmcnt(2)
	v_add_co_u32_e32 v2, vcc, v43, v2
	v_addc_co_u32_e32 v3, vcc, v44, v3, vcc
	v_add_co_u32_e32 v2, vcc, v45, v2
	v_addc_co_u32_e32 v3, vcc, v46, v3, vcc
	;; [unrolled: 5-line block ×3, first 2 shown]
	s_waitcnt lgkmcnt(0)
	v_add_co_u32_e32 v2, vcc, v51, v2
	v_addc_co_u32_e32 v3, vcc, v52, v3, vcc
	v_add_co_u32_e32 v2, vcc, v53, v2
	v_add_u32_e32 v4, 0x100, v4
	s_cmp_eq_u32 s94, s5
	v_addc_co_u32_e32 v3, vcc, v54, v3, vcc
	s_cbranch_scc0 .LBB192_64
; %bb.65:                               ;   in Loop: Header=BB192_6 Depth=1
	s_mov_b32 s5, s94
	s_branch .LBB192_68
.LBB192_66:                             ;   in Loop: Header=BB192_6 Depth=1
                                        ; implicit-def: $sgpr0_sgpr1
	s_branch .LBB192_36
.LBB192_67:                             ;   in Loop: Header=BB192_6 Depth=1
	v_mov_b32_e32 v2, 0
	v_mov_b32_e32 v3, 0
	s_mov_b32 s5, 0
.LBB192_68:                             ;   in Loop: Header=BB192_6 Depth=1
	v_readlane_b32 s6, v55, 38
	v_readlane_b32 s7, v55, 39
	s_andn2_b64 vcc, exec, s[6:7]
	s_cbranch_vccnz .LBB192_71
; %bb.69:                               ;   in Loop: Header=BB192_6 Depth=1
	v_readlane_b32 s6, v55, 42
	s_lshl_b32 s6, s6, 9
	s_lshl_b32 s5, s5, 5
	s_add_i32 s6, s6, s5
	v_add_u32_e32 v4, s6, v39
	v_readlane_b32 s5, v55, 37
.LBB192_70:                             ;   Parent Loop BB192_6 Depth=1
                                        ; =>  This Inner Loop Header: Depth=2
	ds_read_b64 v[5:6], v4
	s_add_i32 s5, s5, -1
	v_add_u32_e32 v4, 32, v4
	s_cmp_lg_u32 s5, 0
	s_waitcnt lgkmcnt(0)
	v_add_co_u32_e32 v2, vcc, v5, v2
	v_addc_co_u32_e32 v3, vcc, v6, v3, vcc
	s_cbranch_scc1 .LBB192_70
.LBB192_71:                             ;   in Loop: Header=BB192_6 Depth=1
	v_add_lshl_u32 v4, s4, v32, 3
	ds_write_b64 v4, v[2:3] offset:3072
.LBB192_72:                             ;   in Loop: Header=BB192_6 Depth=1
	s_or_b64 exec, exec, s[0:1]
	s_lshl_b32 s0, s4, 3
	v_mov_b32_e32 v6, s0
	s_waitcnt lgkmcnt(0)
	s_barrier
	ds_read_b128 v[2:5], v6 offset:3072
	ds_read_b128 v[6:9], v6 offset:3088
	s_lshl_b32 s31, 3, s30
	v_cmp_eq_u64_e64 s[14:15], 1, v[25:26]
	s_not_b32 s82, s31
	s_waitcnt lgkmcnt(1)
	v_readfirstlane_b32 s17, v3
	v_readfirstlane_b32 s16, v2
	;; [unrolled: 1-line block ×4, first 2 shown]
	s_waitcnt lgkmcnt(0)
	v_readfirstlane_b32 s23, v7
	v_readfirstlane_b32 s22, v6
	;; [unrolled: 1-line block ×4, first 2 shown]
	s_mov_b64 s[38:39], -1
	s_mov_b64 s[18:19], 0
	s_andn2_b64 vcc, exec, s[88:89]
	s_mov_b64 s[28:29], 0
	s_mov_b64 s[26:27], 0
                                        ; implicit-def: $sgpr34_sgpr35
                                        ; implicit-def: $sgpr36_sgpr37
                                        ; implicit-def: $vgpr2_vgpr3
                                        ; implicit-def: $vgpr12
                                        ; implicit-def: $vgpr28
                                        ; implicit-def: $vgpr27
                                        ; implicit-def: $vgpr5
	s_cbranch_vccnz .LBB192_275
; %bb.73:                               ;   in Loop: Header=BB192_6 Depth=1
	s_cmp_eq_u64 s[16:17], 1
	s_cselect_b64 s[0:1], -1, 0
	s_and_b64 s[6:7], s[0:1], s[14:15]
	s_mov_b64 s[0:1], -1
	v_mov_b32_e32 v28, v36
	v_mov_b32_e32 v27, v42
	;; [unrolled: 1-line block ×3, first 2 shown]
                                        ; implicit-def: $sgpr36_sgpr37
                                        ; implicit-def: $sgpr34_sgpr35
	s_and_saveexec_b64 s[26:27], s[6:7]
	s_cbranch_execz .LBB192_110
; %bb.74:                               ;   in Loop: Header=BB192_6 Depth=1
	ds_read_b64 v[2:3], v13 offset:5120
	v_readlane_b32 s8, v55, 24
	v_readlane_b32 s9, v55, 25
	s_waitcnt lgkmcnt(0)
	s_barrier
	v_readfirstlane_b32 s4, v2
	v_readfirstlane_b32 s5, v3
	s_and_saveexec_b64 s[0:1], s[8:9]
; %bb.75:                               ;   in Loop: Header=BB192_6 Depth=1
	ds_write_b32 v33, v13
; %bb.76:                               ;   in Loop: Header=BB192_6 Depth=1
	s_or_b64 exec, exec, s[0:1]
	v_and_b32_e32 v28, s82, v36
	v_or_b32_e32 v27, s31, v42
	s_mov_b64 s[34:35], -1
	s_mov_b64 s[36:37], 0
	s_cmp_eq_u64 s[4:5], 0
	s_mov_b64 s[0:1], 0
	s_mov_b64 s[12:13], -1
	s_waitcnt lgkmcnt(0)
	s_barrier
                                        ; implicit-def: $vgpr5
	s_cbranch_scc1 .LBB192_94
; %bb.77:                               ;   in Loop: Header=BB192_6 Depth=1
	v_readlane_b32 s0, v55, 28
	s_add_u32 s38, s4, s0
	v_readlane_b32 s0, v55, 30
	s_addc_u32 s1, s5, s0
	s_mov_b32 s0, s83
	s_cmp_lg_u64 s[0:1], 0
	s_cbranch_scc0 .LBB192_137
; %bb.78:                               ;   in Loop: Header=BB192_6 Depth=1
	v_cvt_f32_u32_e32 v2, s33
	s_sub_u32 s0, 0, s33
	s_subb_u32 s28, 0, 0
	v_mac_f32_e32 v2, 0, v41
	v_rcp_f32_e32 v2, v2
	v_mul_f32_e32 v2, 0x5f7ffffc, v2
	v_mul_f32_e32 v3, 0x2f800000, v2
	v_trunc_f32_e32 v3, v3
	v_mac_f32_e32 v2, 0xcf800000, v3
	v_cvt_u32_f32_e32 v3, v3
	v_cvt_u32_f32_e32 v2, v2
	v_readfirstlane_b32 s29, v3
	v_readfirstlane_b32 s12, v2
	s_mul_i32 s13, s0, s29
	s_mul_hi_u32 s40, s0, s12
	s_mul_i32 s39, s28, s12
	s_add_i32 s13, s40, s13
	s_mul_i32 s41, s0, s12
	s_add_i32 s13, s13, s39
	s_mul_hi_u32 s40, s12, s41
	s_mul_i32 s42, s12, s13
	s_mul_hi_u32 s39, s12, s13
	s_add_u32 s40, s40, s42
	s_addc_u32 s39, 0, s39
	s_mul_hi_u32 s43, s29, s41
	s_mul_i32 s41, s29, s41
	s_add_u32 s40, s40, s41
	s_mul_hi_u32 s42, s29, s13
	s_addc_u32 s39, s39, s43
	s_addc_u32 s40, s42, 0
	s_mul_i32 s13, s29, s13
	s_add_u32 s13, s39, s13
	s_addc_u32 s39, 0, s40
	s_add_u32 s40, s12, s13
	s_cselect_b64 s[12:13], -1, 0
	s_cmp_lg_u64 s[12:13], 0
	s_addc_u32 s29, s29, s39
	s_mul_i32 s12, s0, s29
	s_mul_hi_u32 s13, s0, s40
	s_add_i32 s12, s13, s12
	s_mul_i32 s28, s28, s40
	s_add_i32 s12, s12, s28
	s_mul_i32 s0, s0, s40
	s_mul_hi_u32 s28, s29, s0
	s_mul_i32 s39, s29, s0
	s_mul_i32 s42, s40, s12
	s_mul_hi_u32 s0, s40, s0
	s_mul_hi_u32 s41, s40, s12
	s_add_u32 s0, s0, s42
	s_addc_u32 s41, 0, s41
	s_add_u32 s0, s0, s39
	s_mul_hi_u32 s13, s29, s12
	s_addc_u32 s0, s41, s28
	s_addc_u32 s13, s13, 0
	s_mul_i32 s12, s29, s12
	s_add_u32 s0, s0, s12
	s_addc_u32 s28, 0, s13
	s_add_u32 s0, s40, s0
	s_cselect_b64 s[12:13], -1, 0
	s_cmp_lg_u64 s[12:13], 0
	s_addc_u32 s12, s29, s28
	s_mul_i32 s28, s38, s12
	s_mul_hi_u32 s29, s38, s0
	s_mul_hi_u32 s13, s38, s12
	s_add_u32 s28, s29, s28
	s_addc_u32 s13, 0, s13
	s_mul_hi_u32 s39, s1, s0
	s_mul_i32 s0, s1, s0
	s_add_u32 s0, s28, s0
	s_mul_hi_u32 s29, s1, s12
	s_addc_u32 s0, s13, s39
	s_addc_u32 s13, s29, 0
	s_mul_i32 s12, s1, s12
	s_add_u32 s0, s0, s12
	s_addc_u32 s12, 0, s13
	s_mul_i32 s12, s33, s12
	s_mul_hi_u32 s13, s33, s0
	s_add_i32 s28, s13, s12
	s_mul_i32 s0, s33, s0
	s_sub_u32 s0, s38, s0
	s_cselect_b64 s[12:13], -1, 0
	s_cmp_lg_u64 s[12:13], 0
	s_subb_u32 s28, s1, s28
	s_sub_u32 s29, s0, s33
	s_cselect_b64 s[12:13], -1, 0
	s_cmp_lg_u64 s[12:13], 0
	s_subb_u32 s39, s28, 0
	;; [unrolled: 4-line block ×3, first 2 shown]
	s_cmp_ge_u32 s29, s33
	s_cselect_b32 s13, -1, 0
	s_cmp_eq_u32 s39, 0
	s_cselect_b32 s13, s13, -1
	s_cmp_lg_u32 s13, 0
	s_cselect_b32 s12, s12, s39
	s_cselect_b32 s29, s40, s29
	s_cmp_ge_u32 s0, s33
	s_cselect_b32 s13, -1, 0
	s_cmp_eq_u32 s28, 0
	s_cselect_b32 s13, s13, -1
	s_cmp_lg_u32 s13, 0
	s_cselect_b32 s13, s12, s28
	s_cselect_b32 s12, s29, s0
	s_cbranch_execnz .LBB192_80
.LBB192_79:                             ;   in Loop: Header=BB192_6 Depth=1
	v_cvt_f32_u32_e32 v2, s33
	s_sub_i32 s0, 0, s33
	s_mov_b32 s8, s82
	v_rcp_iflag_f32_e32 v2, v2
	v_mul_f32_e32 v2, 0x4f7ffffe, v2
	v_cvt_u32_f32_e32 v2, v2
	v_readfirstlane_b32 s12, v2
	s_mul_i32 s0, s0, s12
	s_mul_hi_u32 s0, s12, s0
	s_add_i32 s12, s12, s0
	s_mul_hi_u32 s0, s38, s12
	s_mul_i32 s0, s0, s33
	s_sub_i32 s0, s38, s0
	s_sub_i32 s12, s0, s33
	s_cmp_ge_u32 s0, s33
	s_cselect_b32 s0, s12, s0
	s_sub_i32 s12, s0, s33
	s_cmp_ge_u32 s0, s33
	s_cselect_b32 s82, s12, s0
	s_mov_b64 s[12:13], s[82:83]
	s_mov_b32 s82, s8
.LBB192_80:                             ;   in Loop: Header=BB192_6 Depth=1
	s_sub_u32 s38, s38, s12
	s_subb_u32 s39, s1, s13
	v_cmp_gt_u64_e32 vcc, s[38:39], v[0:1]
	s_mov_b64 s[12:13], 0
	s_mov_b64 s[0:1], 0
                                        ; implicit-def: $vgpr5
	s_and_saveexec_b64 s[28:29], vcc
	s_cbranch_execz .LBB192_93
; %bb.81:                               ;   in Loop: Header=BB192_6 Depth=1
	v_mov_b32_e32 v3, v1
	v_mov_b32_e32 v6, v14
	;; [unrolled: 1-line block ×3, first 2 shown]
                                        ; implicit-def: $sgpr40_sgpr41
	s_branch .LBB192_85
.LBB192_82:                             ;   in Loop: Header=BB192_85 Depth=2
	s_or_b64 exec, exec, s[42:43]
	s_waitcnt lgkmcnt(0)
	s_barrier
	ds_read_b64 v[4:5], v13 offset:3072
	s_waitcnt lgkmcnt(0)
	s_barrier
	v_cmp_neq_f32_e32 vcc, 0, v4
	s_cbranch_vccnz .LBB192_88
; %bb.83:                               ;   in Loop: Header=BB192_85 Depth=2
	v_add_co_u32_e32 v2, vcc, s33, v2
	v_addc_co_u32_e32 v3, vcc, 0, v3, vcc
	v_cmp_le_u64_e32 vcc, s[38:39], v[2:3]
	v_add_u32_e32 v6, s95, v6
	s_mov_b64 s[42:43], 0
	s_orn2_b64 s[44:45], vcc, exec
.LBB192_84:                             ;   in Loop: Header=BB192_85 Depth=2
	s_and_b64 s[44:45], exec, s[44:45]
	s_or_b64 s[0:1], s[44:45], s[0:1]
	s_andn2_b64 s[40:41], s[40:41], exec
	s_and_b64 s[42:43], s[42:43], exec
	s_or_b64 s[40:41], s[40:41], s[42:43]
	s_andn2_b64 exec, exec, s[0:1]
	s_cbranch_execz .LBB192_92
.LBB192_85:                             ;   Parent Loop BB192_6 Depth=1
                                        ; =>  This Inner Loop Header: Depth=2
	v_cmp_gt_u64_e32 vcc, s[4:5], v[2:3]
	s_and_saveexec_b64 s[42:43], vcc
	s_cbranch_execz .LBB192_82
; %bb.86:                               ;   in Loop: Header=BB192_85 Depth=2
	ds_read_b32 v23, v6
	s_waitcnt lgkmcnt(0)
	v_cmp_lt_i32_e32 vcc, -1, v23
	v_cndmask_b32_e32 v4, -1, v40, vcc
	v_xor_b32_e32 v4, v4, v23
	v_cmp_o_f32_e32 vcc, v23, v23
	v_cndmask_b32_e32 v4, -1, v4, vcc
	v_and_b32_e32 v4, v4, v27
	v_cmp_eq_u32_e32 vcc, v4, v28
	s_and_b64 exec, exec, vcc
	s_cbranch_execz .LBB192_82
; %bb.87:                               ;   in Loop: Header=BB192_85 Depth=2
	ds_write_b64 v13, v[22:23] offset:3072
	s_branch .LBB192_82
.LBB192_88:                             ;   in Loop: Header=BB192_85 Depth=2
	s_mov_b64 s[44:45], -1
                                        ; implicit-def: $vgpr2_vgpr3
                                        ; implicit-def: $vgpr6
	s_mov_b64 s[42:43], -1
	s_branch .LBB192_84
.LBB192_89:                             ;   in Loop: Header=BB192_6 Depth=1
	s_or_b64 exec, exec, s[4:5]
	s_waitcnt lgkmcnt(0)
	s_barrier
	s_mov_b64 s[4:5], exec
	v_readlane_b32 s6, v55, 8
	v_readlane_b32 s7, v55, 9
	s_and_b64 s[6:7], s[4:5], s[6:7]
	s_mov_b64 exec, s[6:7]
	s_cbranch_execz .LBB192_91
; %bb.90:                               ;   in Loop: Header=BB192_6 Depth=1
	ds_read_b32 v2, v13 offset:5144
	s_waitcnt lgkmcnt(0)
	v_ashrrev_i32_e32 v3, 31, v2
	ds_write_b64 v13, v[2:3] offset:5120
.LBB192_91:                             ;   in Loop: Header=BB192_6 Depth=1
	s_or_b64 exec, exec, s[4:5]
	s_waitcnt lgkmcnt(0)
	s_barrier
	s_mov_b64 s[4:5], -1
	s_and_b64 vcc, exec, s[0:1]
	s_cbranch_vccnz .LBB192_22
	s_branch .LBB192_31
.LBB192_92:                             ;   in Loop: Header=BB192_6 Depth=1
	s_or_b64 exec, exec, s[0:1]
	s_and_b64 s[0:1], s[40:41], exec
.LBB192_93:                             ;   in Loop: Header=BB192_6 Depth=1
	s_or_b64 exec, exec, s[28:29]
.LBB192_94:                             ;   in Loop: Header=BB192_6 Depth=1
	s_and_b64 vcc, exec, s[12:13]
	s_cbranch_vccz .LBB192_109
; %bb.95:                               ;   in Loop: Header=BB192_6 Depth=1
	v_readlane_b32 s8, v55, 31
	v_readlane_b32 s9, v55, 32
	s_mov_b32 s8, s83
	s_cmp_lg_u64 s[8:9], 0
	v_writelane_b32 v55, s8, 31
	v_writelane_b32 v55, s9, 32
	s_cbranch_scc0 .LBB192_138
; %bb.96:                               ;   in Loop: Header=BB192_6 Depth=1
	v_cvt_f32_u32_e32 v2, s33
	s_sub_u32 s12, 0, s33
	s_subb_u32 s13, 0, 0
	v_readlane_b32 s8, v55, 29
	v_mac_f32_e32 v2, 0, v41
	v_rcp_f32_e32 v2, v2
	v_mul_f32_e32 v2, 0x5f7ffffc, v2
	v_mul_f32_e32 v3, 0x2f800000, v2
	v_trunc_f32_e32 v3, v3
	v_mac_f32_e32 v2, 0xcf800000, v3
	v_cvt_u32_f32_e32 v3, v3
	v_cvt_u32_f32_e32 v2, v2
	v_readfirstlane_b32 s28, v3
	v_readfirstlane_b32 s4, v2
	s_mul_i32 s5, s12, s28
	s_mul_hi_u32 s34, s12, s4
	s_mul_i32 s29, s13, s4
	s_add_i32 s5, s34, s5
	s_mul_i32 s35, s12, s4
	s_add_i32 s5, s5, s29
	s_mul_hi_u32 s34, s4, s35
	s_mul_i32 s36, s4, s5
	s_mul_hi_u32 s29, s4, s5
	s_add_u32 s34, s34, s36
	s_addc_u32 s29, 0, s29
	s_mul_hi_u32 s37, s28, s35
	s_mul_i32 s35, s28, s35
	s_add_u32 s34, s34, s35
	s_mul_hi_u32 s36, s28, s5
	s_addc_u32 s29, s29, s37
	s_addc_u32 s34, s36, 0
	s_mul_i32 s5, s28, s5
	s_add_u32 s5, s29, s5
	s_addc_u32 s29, 0, s34
	s_add_u32 s34, s4, s5
	s_cselect_b64 s[4:5], -1, 0
	s_cmp_lg_u64 s[4:5], 0
	s_addc_u32 s28, s28, s29
	s_mul_i32 s4, s12, s28
	s_mul_hi_u32 s5, s12, s34
	s_add_i32 s4, s5, s4
	s_mul_i32 s13, s13, s34
	s_add_i32 s4, s4, s13
	s_mul_i32 s12, s12, s34
	s_mul_hi_u32 s13, s28, s12
	s_mul_i32 s29, s28, s12
	s_mul_i32 s36, s34, s4
	s_mul_hi_u32 s12, s34, s12
	s_mul_hi_u32 s35, s34, s4
	s_add_u32 s12, s12, s36
	s_addc_u32 s35, 0, s35
	s_add_u32 s12, s12, s29
	s_mul_hi_u32 s5, s28, s4
	s_addc_u32 s12, s35, s13
	s_addc_u32 s5, s5, 0
	s_mul_i32 s4, s28, s4
	s_add_u32 s4, s12, s4
	s_addc_u32 s12, 0, s5
	s_add_u32 s13, s34, s4
	s_cselect_b64 s[4:5], -1, 0
	s_cmp_lg_u64 s[4:5], 0
	s_addc_u32 s4, s28, s12
	s_mul_i32 s12, s8, s4
	s_mul_hi_u32 s28, s8, s13
	s_mul_hi_u32 s5, s8, s4
	s_add_u32 s12, s28, s12
	s_addc_u32 s5, 0, s5
	s_mul_hi_u32 s29, s9, s13
	s_mul_i32 s13, s9, s13
	s_add_u32 s12, s12, s13
	s_mul_hi_u32 s28, s9, s4
	s_addc_u32 s5, s5, s29
	s_addc_u32 s12, s28, 0
	s_mul_i32 s4, s9, s4
	s_add_u32 s4, s5, s4
	s_addc_u32 s5, 0, s12
	s_mul_i32 s5, s33, s5
	s_mul_hi_u32 s12, s33, s4
	s_add_i32 s12, s12, s5
	s_mul_i32 s4, s33, s4
	s_sub_u32 s13, s8, s4
	s_cselect_b64 s[4:5], -1, 0
	s_cmp_lg_u64 s[4:5], 0
	s_subb_u32 s12, s9, s12
	s_sub_u32 s28, s13, s33
	s_cselect_b64 s[4:5], -1, 0
	s_cmp_lg_u64 s[4:5], 0
	s_subb_u32 s29, s12, 0
	;; [unrolled: 4-line block ×3, first 2 shown]
	s_cmp_ge_u32 s28, s33
	s_cselect_b32 s5, -1, 0
	s_cmp_eq_u32 s29, 0
	s_cselect_b32 s5, s5, -1
	s_cmp_lg_u32 s5, 0
	s_cselect_b32 s4, s4, s29
	s_cselect_b32 s28, s34, s28
	s_cmp_ge_u32 s13, s33
	s_cselect_b32 s5, -1, 0
	s_cmp_eq_u32 s12, 0
	s_cselect_b32 s5, s5, -1
	s_cmp_lg_u32 s5, 0
	s_cselect_b32 s5, s4, s12
	s_cselect_b32 s4, s28, s13
	s_cbranch_execnz .LBB192_98
.LBB192_97:                             ;   in Loop: Header=BB192_6 Depth=1
	v_cvt_f32_u32_e32 v2, s33
	s_sub_i32 s4, 0, s33
	v_readlane_b32 s8, v55, 29
	v_rcp_iflag_f32_e32 v2, v2
	v_mul_f32_e32 v2, 0x4f7ffffe, v2
	v_cvt_u32_f32_e32 v2, v2
	v_readfirstlane_b32 s5, v2
	s_mul_i32 s4, s4, s5
	s_mul_hi_u32 s4, s5, s4
	s_add_i32 s5, s5, s4
	s_mul_hi_u32 s4, s8, s5
	s_mul_i32 s4, s4, s33
	s_sub_i32 s4, s8, s4
	s_sub_i32 s5, s4, s33
	s_cmp_ge_u32 s4, s33
	s_cselect_b32 s4, s5, s4
	s_sub_i32 s5, s4, s33
	s_cmp_ge_u32 s4, s33
	s_mov_b32 s8, s82
	s_cselect_b32 s82, s5, s4
	s_mov_b64 s[4:5], s[82:83]
	s_mov_b32 s82, s8
.LBB192_98:                             ;   in Loop: Header=BB192_6 Depth=1
	v_readlane_b32 s8, v55, 29
	s_sub_u32 s12, s8, s4
	v_readlane_b32 s8, v55, 31
	v_readlane_b32 s9, v55, 32
	s_subb_u32 s13, s9, s5
	v_cmp_gt_u64_e32 vcc, s[12:13], v[0:1]
                                        ; implicit-def: $vgpr5
	s_and_saveexec_b64 s[4:5], vcc
	s_cbranch_execz .LBB192_108
; %bb.99:                               ;   in Loop: Header=BB192_6 Depth=1
	v_mov_b32_e32 v2, v10
	v_mov_b32_e32 v7, v1
	s_mov_b64 s[28:29], 0
	v_mov_b32_e32 v3, v11
	v_mov_b32_e32 v6, v0
                                        ; implicit-def: $sgpr34_sgpr35
	s_branch .LBB192_103
.LBB192_100:                            ;   in Loop: Header=BB192_103 Depth=2
	s_or_b64 exec, exec, s[36:37]
	s_waitcnt lgkmcnt(0)
	s_barrier
	ds_read_b64 v[4:5], v13 offset:3072
	s_waitcnt lgkmcnt(0)
	s_barrier
	v_cmp_neq_f32_e32 vcc, 0, v4
	s_cbranch_vccnz .LBB192_106
; %bb.101:                              ;   in Loop: Header=BB192_103 Depth=2
	v_add_co_u32_e32 v6, vcc, s33, v6
	v_addc_co_u32_e32 v7, vcc, 0, v7, vcc
	v_mov_b32_e32 v4, s61
	v_add_co_u32_e32 v2, vcc, s60, v2
	v_addc_co_u32_e32 v3, vcc, v3, v4, vcc
	v_cmp_le_u64_e32 vcc, s[12:13], v[6:7]
	s_mov_b64 s[36:37], 0
	s_orn2_b64 s[38:39], vcc, exec
.LBB192_102:                            ;   in Loop: Header=BB192_103 Depth=2
	s_and_b64 s[38:39], exec, s[38:39]
	s_or_b64 s[28:29], s[38:39], s[28:29]
	s_andn2_b64 s[34:35], s[34:35], exec
	s_and_b64 s[36:37], s[36:37], exec
	s_or_b64 s[34:35], s[34:35], s[36:37]
	s_andn2_b64 exec, exec, s[28:29]
	s_cbranch_execz .LBB192_107
.LBB192_103:                            ;   Parent Loop BB192_6 Depth=1
                                        ; =>  This Inner Loop Header: Depth=2
	v_cmp_gt_u64_e32 vcc, s[56:57], v[6:7]
	s_and_saveexec_b64 s[36:37], vcc
	s_cbranch_execz .LBB192_100
; %bb.104:                              ;   in Loop: Header=BB192_103 Depth=2
	global_load_dword v23, v[2:3], off
	s_waitcnt vmcnt(0)
	v_cmp_lt_i32_e32 vcc, -1, v23
	v_cndmask_b32_e32 v4, -1, v40, vcc
	v_xor_b32_e32 v4, v4, v23
	v_cmp_o_f32_e32 vcc, v23, v23
	v_cndmask_b32_e32 v4, -1, v4, vcc
	v_and_b32_e32 v4, v4, v27
	v_cmp_eq_u32_e32 vcc, v4, v28
	s_and_b64 exec, exec, vcc
	s_cbranch_execz .LBB192_100
; %bb.105:                              ;   in Loop: Header=BB192_103 Depth=2
	ds_write_b64 v13, v[22:23] offset:3072
	s_branch .LBB192_100
.LBB192_106:                            ;   in Loop: Header=BB192_103 Depth=2
	s_mov_b64 s[38:39], -1
                                        ; implicit-def: $vgpr6_vgpr7
                                        ; implicit-def: $vgpr2_vgpr3
	s_mov_b64 s[36:37], -1
	s_branch .LBB192_102
.LBB192_107:                            ;   in Loop: Header=BB192_6 Depth=1
	s_or_b64 exec, exec, s[28:29]
	s_andn2_b64 s[0:1], s[0:1], exec
	s_and_b64 s[12:13], s[34:35], exec
	s_or_b64 s[0:1], s[0:1], s[12:13]
.LBB192_108:                            ;   in Loop: Header=BB192_6 Depth=1
	s_or_b64 exec, exec, s[4:5]
	s_mov_b64 s[34:35], 0
	s_mov_b64 s[36:37], -1
.LBB192_109:                            ;   in Loop: Header=BB192_6 Depth=1
	s_orn2_b64 s[0:1], s[0:1], exec
.LBB192_110:                            ;   in Loop: Header=BB192_6 Depth=1
	s_or_b64 exec, exec, s[26:27]
	s_mov_b64 s[38:39], 0
	s_mov_b64 s[28:29], 0
	;; [unrolled: 1-line block ×3, first 2 shown]
                                        ; implicit-def: $vgpr2_vgpr3
                                        ; implicit-def: $vgpr12
	s_and_saveexec_b64 s[40:41], s[0:1]
	s_cbranch_execz .LBB192_274
; %bb.111:                              ;   in Loop: Header=BB192_6 Depth=1
	v_mov_b32_e32 v2, 1
	s_xor_b64 s[6:7], s[6:7], -1
	v_mov_b32_e32 v12, 1
	v_mov_b32_e32 v3, 0
	s_mov_b64 s[4:5], 0
	s_and_saveexec_b64 s[0:1], s[6:7]
	s_cbranch_execz .LBB192_120
; %bb.112:                              ;   in Loop: Header=BB192_6 Depth=1
	v_cmp_ge_u64_e32 vcc, s[16:17], v[25:26]
	s_and_saveexec_b64 s[4:5], vcc
	s_xor_b64 s[4:5], exec, s[4:5]
	s_cbranch_execz .LBB192_117
; %bb.113:                              ;   in Loop: Header=BB192_6 Depth=1
	ds_read_b64 v[2:3], v13 offset:5120
	v_and_b32_e32 v28, s82, v28
	v_or_b32_e32 v27, s31, v27
	s_waitcnt lgkmcnt(0)
	v_cmp_ne_u64_e32 vcc, 0, v[2:3]
	s_cbranch_vccnz .LBB192_117
; %bb.114:                              ;   in Loop: Header=BB192_6 Depth=1
	v_readlane_b32 s8, v55, 8
	v_readlane_b32 s9, v55, 9
	s_and_saveexec_b64 s[6:7], s[8:9]
; %bb.115:                              ;   in Loop: Header=BB192_6 Depth=1
	v_mov_b32_e32 v2, s16
	v_mov_b32_e32 v3, s17
	ds_write_b64 v13, v[2:3] offset:5128
; %bb.116:                              ;   in Loop: Header=BB192_6 Depth=1
	s_or_b64 exec, exec, s[6:7]
	s_waitcnt lgkmcnt(0)
	s_barrier
.LBB192_117:                            ;   in Loop: Header=BB192_6 Depth=1
	s_or_saveexec_b64 s[4:5], s[4:5]
	v_mov_b32_e32 v2, v25
	s_mov_b64 s[6:7], 0
	v_mov_b32_e32 v12, 8
	v_mov_b32_e32 v3, v26
	s_xor_b64 exec, exec, s[4:5]
; %bb.118:                              ;   in Loop: Header=BB192_6 Depth=1
	v_subrev_co_u32_e32 v2, vcc, s16, v25
	v_mov_b32_e32 v3, s17
	v_subb_co_u32_e32 v3, vcc, v26, v3, vcc
	v_mov_b32_e32 v12, 0
	s_mov_b64 s[6:7], exec
; %bb.119:                              ;   in Loop: Header=BB192_6 Depth=1
	s_or_b64 exec, exec, s[4:5]
	s_and_b64 s[4:5], s[6:7], exec
.LBB192_120:                            ;   in Loop: Header=BB192_6 Depth=1
	s_or_b64 exec, exec, s[0:1]
	s_mov_b64 s[0:1], -1
                                        ; implicit-def: $sgpr26_sgpr27
                                        ; implicit-def: $sgpr28_sgpr29
	s_and_saveexec_b64 s[6:7], s[4:5]
	s_xor_b64 s[6:7], exec, s[6:7]
	s_cbranch_execz .LBB192_271
; %bb.121:                              ;   in Loop: Header=BB192_6 Depth=1
	s_cmp_eq_u64 s[20:21], 1
	v_cmp_eq_u64_e32 vcc, 1, v[2:3]
	s_cselect_b64 s[0:1], -1, 0
	s_and_b64 s[44:45], s[0:1], vcc
	s_mov_b64 s[0:1], -1
                                        ; implicit-def: $sgpr28_sgpr29
                                        ; implicit-def: $sgpr26_sgpr27
	s_and_saveexec_b64 s[42:43], s[44:45]
	s_cbranch_execz .LBB192_157
; %bb.122:                              ;   in Loop: Header=BB192_6 Depth=1
	ds_read_b64 v[4:5], v13 offset:5120
	v_readlane_b32 s8, v55, 24
	v_readlane_b32 s9, v55, 25
	s_waitcnt lgkmcnt(0)
	s_barrier
	v_readfirstlane_b32 s4, v4
	v_readfirstlane_b32 s5, v5
	s_and_saveexec_b64 s[0:1], s[8:9]
; %bb.123:                              ;   in Loop: Header=BB192_6 Depth=1
	ds_write_b32 v33, v13
; %bb.124:                              ;   in Loop: Header=BB192_6 Depth=1
	s_or_b64 exec, exec, s[0:1]
	v_and_b32_e32 v4, s82, v28
	v_lshl_or_b32 v28, 1, s30, v4
	v_or_b32_e32 v27, s31, v27
	s_mov_b64 s[26:27], -1
	s_mov_b64 s[28:29], 0
	s_cmp_eq_u64 s[4:5], 0
	s_mov_b64 s[0:1], 0
	s_mov_b64 s[12:13], -1
	s_waitcnt lgkmcnt(0)
	s_barrier
                                        ; implicit-def: $vgpr5
	s_cbranch_scc1 .LBB192_141
; %bb.125:                              ;   in Loop: Header=BB192_6 Depth=1
	v_readlane_b32 s0, v55, 28
	s_add_u32 s48, s4, s0
	v_readlane_b32 s0, v55, 30
	s_addc_u32 s1, s5, s0
	s_mov_b32 s0, s83
	s_cmp_lg_u64 s[0:1], 0
	s_cbranch_scc0 .LBB192_184
; %bb.126:                              ;   in Loop: Header=BB192_6 Depth=1
	v_cvt_f32_u32_e32 v4, s33
	s_sub_u32 s0, 0, s33
	s_subb_u32 s46, 0, 0
	v_mac_f32_e32 v4, 0, v41
	v_rcp_f32_e32 v4, v4
	v_mul_f32_e32 v4, 0x5f7ffffc, v4
	v_mul_f32_e32 v5, 0x2f800000, v4
	v_trunc_f32_e32 v5, v5
	v_mac_f32_e32 v4, 0xcf800000, v5
	v_cvt_u32_f32_e32 v5, v5
	v_cvt_u32_f32_e32 v4, v4
	v_readfirstlane_b32 s47, v5
	v_readfirstlane_b32 s12, v4
	s_mul_i32 s13, s0, s47
	s_mul_hi_u32 s50, s0, s12
	s_mul_i32 s49, s46, s12
	s_add_i32 s13, s50, s13
	s_mul_i32 s51, s0, s12
	s_add_i32 s13, s13, s49
	s_mul_hi_u32 s50, s12, s51
	s_mul_i32 s52, s12, s13
	s_mul_hi_u32 s49, s12, s13
	s_add_u32 s50, s50, s52
	s_addc_u32 s49, 0, s49
	s_mul_hi_u32 s53, s47, s51
	s_mul_i32 s51, s47, s51
	s_add_u32 s50, s50, s51
	s_mul_hi_u32 s52, s47, s13
	s_addc_u32 s49, s49, s53
	s_addc_u32 s50, s52, 0
	s_mul_i32 s13, s47, s13
	s_add_u32 s13, s49, s13
	s_addc_u32 s49, 0, s50
	s_add_u32 s50, s12, s13
	s_cselect_b64 s[12:13], -1, 0
	s_cmp_lg_u64 s[12:13], 0
	s_addc_u32 s47, s47, s49
	s_mul_i32 s12, s0, s47
	s_mul_hi_u32 s13, s0, s50
	s_add_i32 s12, s13, s12
	s_mul_i32 s46, s46, s50
	s_add_i32 s12, s12, s46
	s_mul_i32 s0, s0, s50
	s_mul_hi_u32 s46, s47, s0
	s_mul_i32 s49, s47, s0
	s_mul_i32 s52, s50, s12
	s_mul_hi_u32 s0, s50, s0
	s_mul_hi_u32 s51, s50, s12
	s_add_u32 s0, s0, s52
	s_addc_u32 s51, 0, s51
	s_add_u32 s0, s0, s49
	s_mul_hi_u32 s13, s47, s12
	s_addc_u32 s0, s51, s46
	s_addc_u32 s13, s13, 0
	s_mul_i32 s12, s47, s12
	s_add_u32 s0, s0, s12
	s_addc_u32 s46, 0, s13
	s_add_u32 s0, s50, s0
	s_cselect_b64 s[12:13], -1, 0
	s_cmp_lg_u64 s[12:13], 0
	s_addc_u32 s12, s47, s46
	s_mul_i32 s46, s48, s12
	s_mul_hi_u32 s47, s48, s0
	s_mul_hi_u32 s13, s48, s12
	s_add_u32 s46, s47, s46
	s_addc_u32 s13, 0, s13
	s_mul_hi_u32 s49, s1, s0
	s_mul_i32 s0, s1, s0
	s_add_u32 s0, s46, s0
	s_mul_hi_u32 s47, s1, s12
	s_addc_u32 s0, s13, s49
	s_addc_u32 s13, s47, 0
	s_mul_i32 s12, s1, s12
	s_add_u32 s0, s0, s12
	s_addc_u32 s12, 0, s13
	s_mul_i32 s12, s33, s12
	s_mul_hi_u32 s13, s33, s0
	s_add_i32 s46, s13, s12
	s_mul_i32 s0, s33, s0
	s_sub_u32 s0, s48, s0
	s_cselect_b64 s[12:13], -1, 0
	s_cmp_lg_u64 s[12:13], 0
	s_subb_u32 s46, s1, s46
	s_sub_u32 s47, s0, s33
	s_cselect_b64 s[12:13], -1, 0
	s_cmp_lg_u64 s[12:13], 0
	s_subb_u32 s49, s46, 0
	;; [unrolled: 4-line block ×3, first 2 shown]
	s_cmp_ge_u32 s47, s33
	s_cselect_b32 s13, -1, 0
	s_cmp_eq_u32 s49, 0
	s_cselect_b32 s13, s13, -1
	s_cmp_lg_u32 s13, 0
	s_cselect_b32 s12, s12, s49
	s_cselect_b32 s47, s50, s47
	s_cmp_ge_u32 s0, s33
	s_cselect_b32 s13, -1, 0
	s_cmp_eq_u32 s46, 0
	s_cselect_b32 s13, s13, -1
	s_cmp_lg_u32 s13, 0
	s_cselect_b32 s13, s12, s46
	s_cselect_b32 s12, s47, s0
	s_cbranch_execnz .LBB192_128
.LBB192_127:                            ;   in Loop: Header=BB192_6 Depth=1
	v_cvt_f32_u32_e32 v4, s33
	s_sub_i32 s0, 0, s33
	s_mov_b32 s8, s82
	v_rcp_iflag_f32_e32 v4, v4
	v_mul_f32_e32 v4, 0x4f7ffffe, v4
	v_cvt_u32_f32_e32 v4, v4
	v_readfirstlane_b32 s12, v4
	s_mul_i32 s0, s0, s12
	s_mul_hi_u32 s0, s12, s0
	s_add_i32 s12, s12, s0
	s_mul_hi_u32 s0, s48, s12
	s_mul_i32 s0, s0, s33
	s_sub_i32 s0, s48, s0
	s_sub_i32 s12, s0, s33
	s_cmp_ge_u32 s0, s33
	s_cselect_b32 s0, s12, s0
	s_sub_i32 s12, s0, s33
	s_cmp_ge_u32 s0, s33
	s_cselect_b32 s82, s12, s0
	s_mov_b64 s[12:13], s[82:83]
	s_mov_b32 s82, s8
.LBB192_128:                            ;   in Loop: Header=BB192_6 Depth=1
	s_sub_u32 s48, s48, s12
	s_subb_u32 s49, s1, s13
	v_cmp_gt_u64_e32 vcc, s[48:49], v[0:1]
	s_mov_b64 s[12:13], 0
	s_mov_b64 s[0:1], 0
                                        ; implicit-def: $vgpr5
	s_and_saveexec_b64 s[46:47], vcc
	s_cbranch_execz .LBB192_140
; %bb.129:                              ;   in Loop: Header=BB192_6 Depth=1
	v_mov_b32_e32 v7, v1
	v_mov_b32_e32 v8, v14
	;; [unrolled: 1-line block ×3, first 2 shown]
                                        ; implicit-def: $sgpr50_sgpr51
	s_branch .LBB192_133
.LBB192_130:                            ;   in Loop: Header=BB192_133 Depth=2
	s_or_b64 exec, exec, s[52:53]
	s_waitcnt lgkmcnt(0)
	s_barrier
	ds_read_b64 v[4:5], v13 offset:3072
	s_waitcnt lgkmcnt(0)
	s_barrier
	v_cmp_neq_f32_e32 vcc, 0, v4
	s_cbranch_vccnz .LBB192_136
; %bb.131:                              ;   in Loop: Header=BB192_133 Depth=2
	v_add_co_u32_e32 v6, vcc, s33, v6
	v_addc_co_u32_e32 v7, vcc, 0, v7, vcc
	v_cmp_le_u64_e32 vcc, s[48:49], v[6:7]
	v_add_u32_e32 v8, s95, v8
	s_mov_b64 s[52:53], 0
	s_orn2_b64 s[54:55], vcc, exec
.LBB192_132:                            ;   in Loop: Header=BB192_133 Depth=2
	s_and_b64 s[54:55], exec, s[54:55]
	s_or_b64 s[0:1], s[54:55], s[0:1]
	s_andn2_b64 s[50:51], s[50:51], exec
	s_and_b64 s[52:53], s[52:53], exec
	s_or_b64 s[50:51], s[50:51], s[52:53]
	s_andn2_b64 exec, exec, s[0:1]
	s_cbranch_execz .LBB192_139
.LBB192_133:                            ;   Parent Loop BB192_6 Depth=1
                                        ; =>  This Inner Loop Header: Depth=2
	v_cmp_gt_u64_e32 vcc, s[4:5], v[6:7]
	s_and_saveexec_b64 s[52:53], vcc
	s_cbranch_execz .LBB192_130
; %bb.134:                              ;   in Loop: Header=BB192_133 Depth=2
	ds_read_b32 v23, v8
	s_waitcnt lgkmcnt(0)
	v_cmp_lt_i32_e32 vcc, -1, v23
	v_cndmask_b32_e32 v4, -1, v40, vcc
	v_xor_b32_e32 v4, v4, v23
	v_cmp_o_f32_e32 vcc, v23, v23
	v_cndmask_b32_e32 v4, -1, v4, vcc
	v_and_b32_e32 v4, v4, v27
	v_cmp_eq_u32_e32 vcc, v4, v28
	s_and_b64 exec, exec, vcc
	s_cbranch_execz .LBB192_130
; %bb.135:                              ;   in Loop: Header=BB192_133 Depth=2
	ds_write_b64 v13, v[22:23] offset:3072
	s_branch .LBB192_130
.LBB192_136:                            ;   in Loop: Header=BB192_133 Depth=2
	s_mov_b64 s[54:55], -1
                                        ; implicit-def: $vgpr6_vgpr7
                                        ; implicit-def: $vgpr8
	s_mov_b64 s[52:53], -1
	s_branch .LBB192_132
.LBB192_137:                            ;   in Loop: Header=BB192_6 Depth=1
                                        ; implicit-def: $sgpr12_sgpr13
	s_branch .LBB192_79
.LBB192_138:                            ;   in Loop: Header=BB192_6 Depth=1
                                        ; implicit-def: $sgpr4_sgpr5
	s_branch .LBB192_97
.LBB192_139:                            ;   in Loop: Header=BB192_6 Depth=1
	s_or_b64 exec, exec, s[0:1]
	s_and_b64 s[0:1], s[50:51], exec
.LBB192_140:                            ;   in Loop: Header=BB192_6 Depth=1
	s_or_b64 exec, exec, s[46:47]
.LBB192_141:                            ;   in Loop: Header=BB192_6 Depth=1
	s_and_b64 vcc, exec, s[12:13]
	s_cbranch_vccz .LBB192_156
; %bb.142:                              ;   in Loop: Header=BB192_6 Depth=1
	v_readlane_b32 s8, v55, 31
	v_readlane_b32 s9, v55, 32
	s_mov_b32 s8, s83
	s_cmp_lg_u64 s[8:9], 0
	v_writelane_b32 v55, s8, 31
	v_writelane_b32 v55, s9, 32
	s_cbranch_scc0 .LBB192_185
; %bb.143:                              ;   in Loop: Header=BB192_6 Depth=1
	v_cvt_f32_u32_e32 v4, s33
	s_sub_u32 s12, 0, s33
	s_subb_u32 s13, 0, 0
	v_readlane_b32 s8, v55, 29
	v_mac_f32_e32 v4, 0, v41
	v_rcp_f32_e32 v4, v4
	v_mul_f32_e32 v4, 0x5f7ffffc, v4
	v_mul_f32_e32 v5, 0x2f800000, v4
	v_trunc_f32_e32 v5, v5
	v_mac_f32_e32 v4, 0xcf800000, v5
	v_cvt_u32_f32_e32 v5, v5
	v_cvt_u32_f32_e32 v4, v4
	v_readfirstlane_b32 s26, v5
	v_readfirstlane_b32 s4, v4
	s_mul_i32 s5, s12, s26
	s_mul_hi_u32 s28, s12, s4
	s_mul_i32 s27, s13, s4
	s_add_i32 s5, s28, s5
	s_mul_i32 s29, s12, s4
	s_add_i32 s5, s5, s27
	s_mul_hi_u32 s28, s4, s29
	s_mul_i32 s46, s4, s5
	s_mul_hi_u32 s27, s4, s5
	s_add_u32 s28, s28, s46
	s_addc_u32 s27, 0, s27
	s_mul_hi_u32 s47, s26, s29
	s_mul_i32 s29, s26, s29
	s_add_u32 s28, s28, s29
	s_mul_hi_u32 s46, s26, s5
	s_addc_u32 s27, s27, s47
	s_addc_u32 s28, s46, 0
	s_mul_i32 s5, s26, s5
	s_add_u32 s5, s27, s5
	s_addc_u32 s27, 0, s28
	s_add_u32 s28, s4, s5
	s_cselect_b64 s[4:5], -1, 0
	s_cmp_lg_u64 s[4:5], 0
	s_addc_u32 s26, s26, s27
	s_mul_i32 s4, s12, s26
	s_mul_hi_u32 s5, s12, s28
	s_add_i32 s4, s5, s4
	s_mul_i32 s13, s13, s28
	s_add_i32 s4, s4, s13
	s_mul_i32 s12, s12, s28
	s_mul_hi_u32 s13, s26, s12
	s_mul_i32 s27, s26, s12
	s_mul_i32 s46, s28, s4
	s_mul_hi_u32 s12, s28, s12
	s_mul_hi_u32 s29, s28, s4
	s_add_u32 s12, s12, s46
	s_addc_u32 s29, 0, s29
	s_add_u32 s12, s12, s27
	s_mul_hi_u32 s5, s26, s4
	s_addc_u32 s12, s29, s13
	s_addc_u32 s5, s5, 0
	s_mul_i32 s4, s26, s4
	s_add_u32 s4, s12, s4
	s_addc_u32 s12, 0, s5
	s_add_u32 s13, s28, s4
	s_cselect_b64 s[4:5], -1, 0
	s_cmp_lg_u64 s[4:5], 0
	s_addc_u32 s4, s26, s12
	s_mul_i32 s12, s8, s4
	s_mul_hi_u32 s26, s8, s13
	s_mul_hi_u32 s5, s8, s4
	s_add_u32 s12, s26, s12
	s_addc_u32 s5, 0, s5
	s_mul_hi_u32 s27, s9, s13
	s_mul_i32 s13, s9, s13
	s_add_u32 s12, s12, s13
	s_mul_hi_u32 s26, s9, s4
	s_addc_u32 s5, s5, s27
	s_addc_u32 s12, s26, 0
	s_mul_i32 s4, s9, s4
	s_add_u32 s4, s5, s4
	s_addc_u32 s5, 0, s12
	s_mul_i32 s5, s33, s5
	s_mul_hi_u32 s12, s33, s4
	s_add_i32 s12, s12, s5
	s_mul_i32 s4, s33, s4
	s_sub_u32 s13, s8, s4
	s_cselect_b64 s[4:5], -1, 0
	s_cmp_lg_u64 s[4:5], 0
	s_subb_u32 s12, s9, s12
	s_sub_u32 s26, s13, s33
	s_cselect_b64 s[4:5], -1, 0
	s_cmp_lg_u64 s[4:5], 0
	s_subb_u32 s27, s12, 0
	;; [unrolled: 4-line block ×3, first 2 shown]
	s_cmp_ge_u32 s26, s33
	s_cselect_b32 s5, -1, 0
	s_cmp_eq_u32 s27, 0
	s_cselect_b32 s5, s5, -1
	s_cmp_lg_u32 s5, 0
	s_cselect_b32 s4, s4, s27
	s_cselect_b32 s26, s28, s26
	s_cmp_ge_u32 s13, s33
	s_cselect_b32 s5, -1, 0
	s_cmp_eq_u32 s12, 0
	s_cselect_b32 s5, s5, -1
	s_cmp_lg_u32 s5, 0
	s_cselect_b32 s5, s4, s12
	s_cselect_b32 s4, s26, s13
	s_cbranch_execnz .LBB192_145
.LBB192_144:                            ;   in Loop: Header=BB192_6 Depth=1
	v_cvt_f32_u32_e32 v4, s33
	s_sub_i32 s4, 0, s33
	v_readlane_b32 s8, v55, 29
	v_rcp_iflag_f32_e32 v4, v4
	v_mul_f32_e32 v4, 0x4f7ffffe, v4
	v_cvt_u32_f32_e32 v4, v4
	v_readfirstlane_b32 s5, v4
	s_mul_i32 s4, s4, s5
	s_mul_hi_u32 s4, s5, s4
	s_add_i32 s5, s5, s4
	s_mul_hi_u32 s4, s8, s5
	s_mul_i32 s4, s4, s33
	s_sub_i32 s4, s8, s4
	s_sub_i32 s5, s4, s33
	s_cmp_ge_u32 s4, s33
	s_cselect_b32 s4, s5, s4
	s_sub_i32 s5, s4, s33
	s_cmp_ge_u32 s4, s33
	s_mov_b32 s8, s82
	s_cselect_b32 s82, s5, s4
	s_mov_b64 s[4:5], s[82:83]
	s_mov_b32 s82, s8
.LBB192_145:                            ;   in Loop: Header=BB192_6 Depth=1
	v_readlane_b32 s8, v55, 29
	s_sub_u32 s12, s8, s4
	v_readlane_b32 s8, v55, 31
	v_readlane_b32 s9, v55, 32
	s_subb_u32 s13, s9, s5
	v_cmp_gt_u64_e32 vcc, s[12:13], v[0:1]
                                        ; implicit-def: $vgpr5
	s_and_saveexec_b64 s[4:5], vcc
	s_cbranch_execz .LBB192_155
; %bb.146:                              ;   in Loop: Header=BB192_6 Depth=1
	v_mov_b32_e32 v6, v10
	v_mov_b32_e32 v9, v1
	s_mov_b64 s[26:27], 0
	v_mov_b32_e32 v7, v11
	v_mov_b32_e32 v8, v0
                                        ; implicit-def: $sgpr28_sgpr29
	s_branch .LBB192_150
.LBB192_147:                            ;   in Loop: Header=BB192_150 Depth=2
	s_or_b64 exec, exec, s[46:47]
	s_waitcnt lgkmcnt(0)
	s_barrier
	ds_read_b64 v[4:5], v13 offset:3072
	s_waitcnt lgkmcnt(0)
	s_barrier
	v_cmp_eq_f32_e32 vcc, 0, v4
	s_cbranch_vccz .LBB192_153
; %bb.148:                              ;   in Loop: Header=BB192_150 Depth=2
	v_add_co_u32_e32 v8, vcc, s33, v8
	v_addc_co_u32_e32 v9, vcc, 0, v9, vcc
	v_mov_b32_e32 v4, s61
	v_add_co_u32_e32 v6, vcc, s60, v6
	v_addc_co_u32_e32 v7, vcc, v7, v4, vcc
	v_cmp_le_u64_e32 vcc, s[12:13], v[8:9]
	s_mov_b64 s[46:47], 0
	s_orn2_b64 s[48:49], vcc, exec
.LBB192_149:                            ;   in Loop: Header=BB192_150 Depth=2
	s_and_b64 s[48:49], exec, s[48:49]
	s_or_b64 s[26:27], s[48:49], s[26:27]
	s_andn2_b64 s[28:29], s[28:29], exec
	s_and_b64 s[46:47], s[46:47], exec
	s_or_b64 s[28:29], s[28:29], s[46:47]
	s_andn2_b64 exec, exec, s[26:27]
	s_cbranch_execz .LBB192_154
.LBB192_150:                            ;   Parent Loop BB192_6 Depth=1
                                        ; =>  This Inner Loop Header: Depth=2
	v_cmp_gt_u64_e32 vcc, s[56:57], v[8:9]
	s_and_saveexec_b64 s[46:47], vcc
	s_cbranch_execz .LBB192_147
; %bb.151:                              ;   in Loop: Header=BB192_150 Depth=2
	global_load_dword v23, v[6:7], off
	s_waitcnt vmcnt(0)
	v_cmp_lt_i32_e32 vcc, -1, v23
	v_cndmask_b32_e32 v4, -1, v40, vcc
	v_xor_b32_e32 v4, v4, v23
	v_cmp_o_f32_e32 vcc, v23, v23
	v_cndmask_b32_e32 v4, -1, v4, vcc
	v_and_b32_e32 v4, v4, v27
	v_cmp_eq_u32_e32 vcc, v4, v28
	s_and_b64 exec, exec, vcc
	s_cbranch_execz .LBB192_147
; %bb.152:                              ;   in Loop: Header=BB192_150 Depth=2
	ds_write_b64 v13, v[22:23] offset:3072
	s_branch .LBB192_147
.LBB192_153:                            ;   in Loop: Header=BB192_150 Depth=2
	s_mov_b64 s[48:49], -1
                                        ; implicit-def: $vgpr8_vgpr9
                                        ; implicit-def: $vgpr6_vgpr7
	s_mov_b64 s[46:47], -1
	s_branch .LBB192_149
.LBB192_154:                            ;   in Loop: Header=BB192_6 Depth=1
	s_or_b64 exec, exec, s[26:27]
	s_andn2_b64 s[0:1], s[0:1], exec
	s_and_b64 s[12:13], s[28:29], exec
	s_or_b64 s[0:1], s[0:1], s[12:13]
.LBB192_155:                            ;   in Loop: Header=BB192_6 Depth=1
	s_or_b64 exec, exec, s[4:5]
	s_mov_b64 s[26:27], 0
	s_mov_b64 s[28:29], -1
.LBB192_156:                            ;   in Loop: Header=BB192_6 Depth=1
	s_orn2_b64 s[0:1], s[0:1], exec
.LBB192_157:                            ;   in Loop: Header=BB192_6 Depth=1
	s_or_b64 exec, exec, s[42:43]
	s_mov_b64 s[4:5], 0
	s_and_saveexec_b64 s[42:43], s[0:1]
	s_cbranch_execz .LBB192_270
; %bb.158:                              ;   in Loop: Header=BB192_6 Depth=1
	v_mov_b32_e32 v6, 1
	s_xor_b64 s[12:13], s[44:45], -1
	v_mov_b32_e32 v12, 1
	v_mov_b32_e32 v7, 0
	s_and_saveexec_b64 s[0:1], s[12:13]
	s_cbranch_execz .LBB192_167
; %bb.159:                              ;   in Loop: Header=BB192_6 Depth=1
	v_cmp_ge_u64_e32 vcc, s[20:21], v[2:3]
	s_and_saveexec_b64 s[4:5], vcc
	s_xor_b64 s[4:5], exec, s[4:5]
	s_cbranch_execz .LBB192_164
; %bb.160:                              ;   in Loop: Header=BB192_6 Depth=1
	ds_read_b64 v[6:7], v13 offset:5120
	v_and_b32_e32 v4, s82, v28
	v_lshl_or_b32 v28, 1, s30, v4
	v_or_b32_e32 v27, s31, v27
	s_waitcnt lgkmcnt(0)
	v_cmp_ne_u64_e32 vcc, 0, v[6:7]
	s_cbranch_vccnz .LBB192_164
; %bb.161:                              ;   in Loop: Header=BB192_6 Depth=1
	v_readlane_b32 s8, v55, 8
	v_readlane_b32 s9, v55, 9
	s_and_saveexec_b64 s[12:13], s[8:9]
; %bb.162:                              ;   in Loop: Header=BB192_6 Depth=1
	v_mov_b32_e32 v6, s20
	v_mov_b32_e32 v7, s21
	ds_write_b64 v13, v[6:7] offset:5128
; %bb.163:                              ;   in Loop: Header=BB192_6 Depth=1
	s_or_b64 exec, exec, s[12:13]
	s_waitcnt lgkmcnt(0)
	s_barrier
.LBB192_164:                            ;   in Loop: Header=BB192_6 Depth=1
	s_or_saveexec_b64 s[4:5], s[4:5]
	s_mov_b64 s[12:13], 0
	v_mov_b32_e32 v12, 8
	s_xor_b64 exec, exec, s[4:5]
; %bb.165:                              ;   in Loop: Header=BB192_6 Depth=1
	v_subrev_co_u32_e32 v2, vcc, s20, v2
	v_mov_b32_e32 v4, s21
	v_subb_co_u32_e32 v3, vcc, v3, v4, vcc
	v_mov_b32_e32 v12, 0
	s_mov_b64 s[12:13], exec
; %bb.166:                              ;   in Loop: Header=BB192_6 Depth=1
	s_or_b64 exec, exec, s[4:5]
	v_mov_b32_e32 v7, v3
	s_and_b64 s[4:5], s[12:13], exec
	v_mov_b32_e32 v6, v2
.LBB192_167:                            ;   in Loop: Header=BB192_6 Depth=1
	s_or_b64 exec, exec, s[0:1]
	s_mov_b64 s[0:1], -1
                                        ; implicit-def: $sgpr46_sgpr47
                                        ; implicit-def: $sgpr48_sgpr49
	s_and_saveexec_b64 s[44:45], s[4:5]
	s_cbranch_execz .LBB192_269
; %bb.168:                              ;   in Loop: Header=BB192_6 Depth=1
	s_cmp_eq_u64 s[22:23], 1
	v_cmp_eq_u64_e32 vcc, 1, v[6:7]
	s_cselect_b64 s[0:1], -1, 0
	s_and_b64 s[52:53], s[0:1], vcc
	s_mov_b64 s[0:1], -1
                                        ; implicit-def: $sgpr48_sgpr49
                                        ; implicit-def: $sgpr46_sgpr47
	s_and_saveexec_b64 s[50:51], s[52:53]
	s_cbranch_execz .LBB192_204
; %bb.169:                              ;   in Loop: Header=BB192_6 Depth=1
	ds_read_b64 v[2:3], v13 offset:5120
	v_readlane_b32 s8, v55, 24
	v_readlane_b32 s9, v55, 25
	s_waitcnt lgkmcnt(0)
	s_barrier
	v_readfirstlane_b32 s4, v2
	v_readfirstlane_b32 s5, v3
	s_and_saveexec_b64 s[0:1], s[8:9]
; %bb.170:                              ;   in Loop: Header=BB192_6 Depth=1
	ds_write_b32 v33, v13
; %bb.171:                              ;   in Loop: Header=BB192_6 Depth=1
	s_or_b64 exec, exec, s[0:1]
	v_and_b32_e32 v2, s82, v28
	v_lshl_or_b32 v28, 2, s30, v2
	v_or_b32_e32 v27, s31, v27
	s_mov_b64 s[46:47], -1
	s_mov_b64 s[48:49], 0
	s_cmp_eq_u64 s[4:5], 0
	s_mov_b64 s[0:1], 0
	s_mov_b64 s[12:13], -1
	s_waitcnt lgkmcnt(0)
	s_barrier
                                        ; implicit-def: $vgpr5
	s_cbranch_scc1 .LBB192_188
; %bb.172:                              ;   in Loop: Header=BB192_6 Depth=1
	v_readlane_b32 s0, v55, 28
	s_add_u32 s70, s4, s0
	v_readlane_b32 s0, v55, 30
	s_addc_u32 s1, s5, s0
	s_mov_b32 s0, s83
	s_mov_b64 s[8:9], s[68:69]
	s_cmp_lg_u64 s[0:1], 0
	s_cbranch_scc0 .LBB192_221
; %bb.173:                              ;   in Loop: Header=BB192_6 Depth=1
	v_cvt_f32_u32_e32 v2, s33
	s_sub_u32 s0, 0, s33
	s_subb_u32 s54, 0, 0
	v_mac_f32_e32 v2, 0, v41
	v_rcp_f32_e32 v2, v2
	v_mul_f32_e32 v2, 0x5f7ffffc, v2
	v_mul_f32_e32 v3, 0x2f800000, v2
	v_trunc_f32_e32 v3, v3
	v_mac_f32_e32 v2, 0xcf800000, v3
	v_cvt_u32_f32_e32 v3, v3
	v_cvt_u32_f32_e32 v2, v2
	v_readfirstlane_b32 s55, v3
	v_readfirstlane_b32 s12, v2
	s_mul_i32 s13, s0, s55
	s_mul_hi_u32 s69, s0, s12
	s_mul_i32 s68, s54, s12
	s_add_i32 s13, s69, s13
	s_mul_i32 s71, s0, s12
	s_add_i32 s13, s13, s68
	s_mul_hi_u32 s69, s12, s71
	s_mul_i32 s78, s12, s13
	s_mul_hi_u32 s68, s12, s13
	s_add_u32 s69, s69, s78
	s_addc_u32 s68, 0, s68
	s_mul_hi_u32 s79, s55, s71
	s_mul_i32 s71, s55, s71
	s_add_u32 s69, s69, s71
	s_mul_hi_u32 s78, s55, s13
	s_addc_u32 s68, s68, s79
	s_addc_u32 s69, s78, 0
	s_mul_i32 s13, s55, s13
	s_add_u32 s13, s68, s13
	s_addc_u32 s68, 0, s69
	s_add_u32 s69, s12, s13
	s_cselect_b64 s[12:13], -1, 0
	s_cmp_lg_u64 s[12:13], 0
	s_addc_u32 s55, s55, s68
	s_mul_i32 s12, s0, s55
	s_mul_hi_u32 s13, s0, s69
	s_add_i32 s12, s13, s12
	s_mul_i32 s54, s54, s69
	s_add_i32 s12, s12, s54
	s_mul_i32 s0, s0, s69
	s_mul_hi_u32 s54, s55, s0
	s_mul_i32 s68, s55, s0
	s_mul_i32 s78, s69, s12
	s_mul_hi_u32 s0, s69, s0
	s_mul_hi_u32 s71, s69, s12
	s_add_u32 s0, s0, s78
	s_addc_u32 s71, 0, s71
	s_add_u32 s0, s0, s68
	s_mul_hi_u32 s13, s55, s12
	s_addc_u32 s0, s71, s54
	s_addc_u32 s13, s13, 0
	s_mul_i32 s12, s55, s12
	s_add_u32 s0, s0, s12
	s_addc_u32 s54, 0, s13
	s_add_u32 s0, s69, s0
	s_cselect_b64 s[12:13], -1, 0
	s_cmp_lg_u64 s[12:13], 0
	s_addc_u32 s12, s55, s54
	s_mul_i32 s54, s70, s12
	s_mul_hi_u32 s55, s70, s0
	s_mul_hi_u32 s13, s70, s12
	s_add_u32 s54, s55, s54
	s_addc_u32 s13, 0, s13
	s_mul_hi_u32 s68, s1, s0
	s_mul_i32 s0, s1, s0
	s_add_u32 s0, s54, s0
	s_mul_hi_u32 s55, s1, s12
	s_addc_u32 s0, s13, s68
	s_addc_u32 s13, s55, 0
	s_mul_i32 s12, s1, s12
	s_add_u32 s0, s0, s12
	s_addc_u32 s12, 0, s13
	s_mul_i32 s12, s33, s12
	s_mul_hi_u32 s13, s33, s0
	s_add_i32 s54, s13, s12
	s_mul_i32 s0, s33, s0
	s_sub_u32 s0, s70, s0
	s_cselect_b64 s[12:13], -1, 0
	s_cmp_lg_u64 s[12:13], 0
	s_subb_u32 s54, s1, s54
	s_sub_u32 s55, s0, s33
	s_cselect_b64 s[12:13], -1, 0
	s_cmp_lg_u64 s[12:13], 0
	s_subb_u32 s68, s54, 0
	;; [unrolled: 4-line block ×3, first 2 shown]
	s_cmp_ge_u32 s55, s33
	s_cselect_b32 s13, -1, 0
	s_cmp_eq_u32 s68, 0
	s_cselect_b32 s13, s13, -1
	s_cmp_lg_u32 s13, 0
	s_cselect_b32 s12, s12, s68
	s_cselect_b32 s55, s69, s55
	s_cmp_ge_u32 s0, s33
	s_cselect_b32 s13, -1, 0
	s_cmp_eq_u32 s54, 0
	s_cselect_b32 s13, s13, -1
	s_cmp_lg_u32 s13, 0
	s_cselect_b32 s13, s12, s54
	s_cselect_b32 s12, s55, s0
	s_cbranch_execnz .LBB192_175
.LBB192_174:                            ;   in Loop: Header=BB192_6 Depth=1
	v_cvt_f32_u32_e32 v2, s33
	s_sub_i32 s0, 0, s33
	s_mov_b32 s54, s82
	v_rcp_iflag_f32_e32 v2, v2
	v_mul_f32_e32 v2, 0x4f7ffffe, v2
	v_cvt_u32_f32_e32 v2, v2
	v_readfirstlane_b32 s12, v2
	s_mul_i32 s0, s0, s12
	s_mul_hi_u32 s0, s12, s0
	s_add_i32 s12, s12, s0
	s_mul_hi_u32 s0, s70, s12
	s_mul_i32 s0, s0, s33
	s_sub_i32 s0, s70, s0
	s_sub_i32 s12, s0, s33
	s_cmp_ge_u32 s0, s33
	s_cselect_b32 s0, s12, s0
	s_sub_i32 s12, s0, s33
	s_cmp_ge_u32 s0, s33
	s_cselect_b32 s82, s12, s0
	s_mov_b64 s[12:13], s[82:83]
	s_mov_b32 s82, s54
.LBB192_175:                            ;   in Loop: Header=BB192_6 Depth=1
	s_sub_u32 s70, s70, s12
	s_subb_u32 s71, s1, s13
	v_cmp_gt_u64_e32 vcc, s[70:71], v[0:1]
	s_mov_b64 s[12:13], 0
	s_mov_b64 s[0:1], 0
                                        ; implicit-def: $vgpr5
	s_and_saveexec_b64 s[54:55], vcc
	s_mov_b64 s[68:69], s[8:9]
	s_cbranch_execz .LBB192_187
; %bb.176:                              ;   in Loop: Header=BB192_6 Depth=1
	v_mov_b32_e32 v3, v1
	v_mov_b32_e32 v8, v14
	;; [unrolled: 1-line block ×3, first 2 shown]
                                        ; implicit-def: $sgpr78_sgpr79
	s_branch .LBB192_180
.LBB192_177:                            ;   in Loop: Header=BB192_180 Depth=2
	s_or_b64 exec, exec, s[84:85]
	s_waitcnt lgkmcnt(0)
	s_barrier
	ds_read_b64 v[4:5], v13 offset:3072
	s_waitcnt lgkmcnt(0)
	s_barrier
	v_cmp_neq_f32_e32 vcc, 0, v4
	s_cbranch_vccnz .LBB192_183
; %bb.178:                              ;   in Loop: Header=BB192_180 Depth=2
	v_add_co_u32_e32 v2, vcc, s33, v2
	v_addc_co_u32_e32 v3, vcc, 0, v3, vcc
	v_cmp_le_u64_e32 vcc, s[70:71], v[2:3]
	v_add_u32_e32 v8, s95, v8
	s_mov_b64 s[84:85], 0
	s_orn2_b64 s[86:87], vcc, exec
.LBB192_179:                            ;   in Loop: Header=BB192_180 Depth=2
	s_and_b64 s[86:87], exec, s[86:87]
	s_or_b64 s[0:1], s[86:87], s[0:1]
	s_andn2_b64 s[78:79], s[78:79], exec
	s_and_b64 s[84:85], s[84:85], exec
	s_or_b64 s[78:79], s[78:79], s[84:85]
	s_andn2_b64 exec, exec, s[0:1]
	s_cbranch_execz .LBB192_186
.LBB192_180:                            ;   Parent Loop BB192_6 Depth=1
                                        ; =>  This Inner Loop Header: Depth=2
	v_cmp_gt_u64_e32 vcc, s[4:5], v[2:3]
	s_and_saveexec_b64 s[84:85], vcc
	s_cbranch_execz .LBB192_177
; %bb.181:                              ;   in Loop: Header=BB192_180 Depth=2
	ds_read_b32 v23, v8
	s_waitcnt lgkmcnt(0)
	v_cmp_lt_i32_e32 vcc, -1, v23
	v_cndmask_b32_e32 v4, -1, v40, vcc
	v_xor_b32_e32 v4, v4, v23
	v_cmp_o_f32_e32 vcc, v23, v23
	v_cndmask_b32_e32 v4, -1, v4, vcc
	v_and_b32_e32 v4, v4, v27
	v_cmp_eq_u32_e32 vcc, v4, v28
	s_and_b64 exec, exec, vcc
	s_cbranch_execz .LBB192_177
; %bb.182:                              ;   in Loop: Header=BB192_180 Depth=2
	ds_write_b64 v13, v[22:23] offset:3072
	s_branch .LBB192_177
.LBB192_183:                            ;   in Loop: Header=BB192_180 Depth=2
	s_mov_b64 s[86:87], -1
                                        ; implicit-def: $vgpr2_vgpr3
                                        ; implicit-def: $vgpr8
	s_mov_b64 s[84:85], -1
	s_branch .LBB192_179
.LBB192_184:                            ;   in Loop: Header=BB192_6 Depth=1
                                        ; implicit-def: $sgpr12_sgpr13
	s_branch .LBB192_127
.LBB192_185:                            ;   in Loop: Header=BB192_6 Depth=1
                                        ; implicit-def: $sgpr4_sgpr5
	s_branch .LBB192_144
.LBB192_186:                            ;   in Loop: Header=BB192_6 Depth=1
	s_or_b64 exec, exec, s[0:1]
	s_and_b64 s[0:1], s[78:79], exec
.LBB192_187:                            ;   in Loop: Header=BB192_6 Depth=1
	s_or_b64 exec, exec, s[54:55]
.LBB192_188:                            ;   in Loop: Header=BB192_6 Depth=1
	s_and_b64 vcc, exec, s[12:13]
	s_cbranch_vccz .LBB192_203
; %bb.189:                              ;   in Loop: Header=BB192_6 Depth=1
	v_readlane_b32 s8, v55, 31
	v_readlane_b32 s9, v55, 32
	s_mov_b32 s8, s83
	s_cmp_lg_u64 s[8:9], 0
	v_writelane_b32 v55, s8, 31
	v_writelane_b32 v55, s9, 32
	s_cbranch_scc0 .LBB192_222
; %bb.190:                              ;   in Loop: Header=BB192_6 Depth=1
	v_cvt_f32_u32_e32 v2, s33
	s_sub_u32 s12, 0, s33
	s_subb_u32 s13, 0, 0
	v_readlane_b32 s8, v55, 29
	v_mac_f32_e32 v2, 0, v41
	v_rcp_f32_e32 v2, v2
	v_mul_f32_e32 v2, 0x5f7ffffc, v2
	v_mul_f32_e32 v3, 0x2f800000, v2
	v_trunc_f32_e32 v3, v3
	v_mac_f32_e32 v2, 0xcf800000, v3
	v_cvt_u32_f32_e32 v3, v3
	v_cvt_u32_f32_e32 v2, v2
	v_readfirstlane_b32 s46, v3
	v_readfirstlane_b32 s4, v2
	s_mul_i32 s5, s12, s46
	s_mul_hi_u32 s48, s12, s4
	s_mul_i32 s47, s13, s4
	s_add_i32 s5, s48, s5
	s_mul_i32 s49, s12, s4
	s_add_i32 s5, s5, s47
	s_mul_hi_u32 s48, s4, s49
	s_mul_i32 s54, s4, s5
	s_mul_hi_u32 s47, s4, s5
	s_add_u32 s48, s48, s54
	s_addc_u32 s47, 0, s47
	s_mul_hi_u32 s55, s46, s49
	s_mul_i32 s49, s46, s49
	s_add_u32 s48, s48, s49
	s_mul_hi_u32 s54, s46, s5
	s_addc_u32 s47, s47, s55
	s_addc_u32 s48, s54, 0
	s_mul_i32 s5, s46, s5
	s_add_u32 s5, s47, s5
	s_addc_u32 s47, 0, s48
	s_add_u32 s48, s4, s5
	s_cselect_b64 s[4:5], -1, 0
	s_cmp_lg_u64 s[4:5], 0
	s_addc_u32 s46, s46, s47
	s_mul_i32 s4, s12, s46
	s_mul_hi_u32 s5, s12, s48
	s_add_i32 s4, s5, s4
	s_mul_i32 s13, s13, s48
	s_add_i32 s4, s4, s13
	s_mul_i32 s12, s12, s48
	s_mul_hi_u32 s13, s46, s12
	s_mul_i32 s47, s46, s12
	s_mul_i32 s54, s48, s4
	s_mul_hi_u32 s12, s48, s12
	s_mul_hi_u32 s49, s48, s4
	s_add_u32 s12, s12, s54
	s_addc_u32 s49, 0, s49
	s_add_u32 s12, s12, s47
	s_mul_hi_u32 s5, s46, s4
	s_addc_u32 s12, s49, s13
	s_addc_u32 s5, s5, 0
	s_mul_i32 s4, s46, s4
	s_add_u32 s4, s12, s4
	s_addc_u32 s12, 0, s5
	s_add_u32 s13, s48, s4
	s_cselect_b64 s[4:5], -1, 0
	s_cmp_lg_u64 s[4:5], 0
	s_addc_u32 s4, s46, s12
	s_mul_i32 s12, s8, s4
	s_mul_hi_u32 s46, s8, s13
	s_mul_hi_u32 s5, s8, s4
	s_add_u32 s12, s46, s12
	s_addc_u32 s5, 0, s5
	s_mul_hi_u32 s47, s9, s13
	s_mul_i32 s13, s9, s13
	s_add_u32 s12, s12, s13
	s_mul_hi_u32 s46, s9, s4
	s_addc_u32 s5, s5, s47
	s_addc_u32 s12, s46, 0
	s_mul_i32 s4, s9, s4
	s_add_u32 s4, s5, s4
	s_addc_u32 s5, 0, s12
	s_mul_i32 s5, s33, s5
	s_mul_hi_u32 s12, s33, s4
	s_add_i32 s12, s12, s5
	s_mul_i32 s4, s33, s4
	s_sub_u32 s13, s8, s4
	s_cselect_b64 s[4:5], -1, 0
	s_cmp_lg_u64 s[4:5], 0
	s_subb_u32 s12, s9, s12
	s_sub_u32 s46, s13, s33
	s_cselect_b64 s[4:5], -1, 0
	s_cmp_lg_u64 s[4:5], 0
	s_subb_u32 s47, s12, 0
	;; [unrolled: 4-line block ×3, first 2 shown]
	s_cmp_ge_u32 s46, s33
	s_cselect_b32 s5, -1, 0
	s_cmp_eq_u32 s47, 0
	s_cselect_b32 s5, s5, -1
	s_cmp_lg_u32 s5, 0
	s_cselect_b32 s4, s4, s47
	s_cselect_b32 s46, s48, s46
	s_cmp_ge_u32 s13, s33
	s_cselect_b32 s5, -1, 0
	s_cmp_eq_u32 s12, 0
	s_cselect_b32 s5, s5, -1
	s_cmp_lg_u32 s5, 0
	s_cselect_b32 s5, s4, s12
	s_cselect_b32 s4, s46, s13
	s_cbranch_execnz .LBB192_192
.LBB192_191:                            ;   in Loop: Header=BB192_6 Depth=1
	v_cvt_f32_u32_e32 v2, s33
	s_sub_i32 s4, 0, s33
	v_readlane_b32 s8, v55, 29
	v_rcp_iflag_f32_e32 v2, v2
	v_mul_f32_e32 v2, 0x4f7ffffe, v2
	v_cvt_u32_f32_e32 v2, v2
	v_readfirstlane_b32 s5, v2
	s_mul_i32 s4, s4, s5
	s_mul_hi_u32 s4, s5, s4
	s_add_i32 s5, s5, s4
	s_mul_hi_u32 s4, s8, s5
	s_mul_i32 s4, s4, s33
	s_sub_i32 s4, s8, s4
	s_sub_i32 s5, s4, s33
	s_cmp_ge_u32 s4, s33
	s_cselect_b32 s4, s5, s4
	s_sub_i32 s5, s4, s33
	s_cmp_ge_u32 s4, s33
	s_mov_b32 s8, s82
	s_cselect_b32 s82, s5, s4
	s_mov_b64 s[4:5], s[82:83]
	s_mov_b32 s82, s8
.LBB192_192:                            ;   in Loop: Header=BB192_6 Depth=1
	v_readlane_b32 s8, v55, 29
	s_sub_u32 s12, s8, s4
	v_readlane_b32 s8, v55, 31
	v_readlane_b32 s9, v55, 32
	s_subb_u32 s13, s9, s5
	v_cmp_gt_u64_e32 vcc, s[12:13], v[0:1]
                                        ; implicit-def: $vgpr5
	s_and_saveexec_b64 s[4:5], vcc
	s_cbranch_execz .LBB192_202
; %bb.193:                              ;   in Loop: Header=BB192_6 Depth=1
	v_mov_b32_e32 v2, v10
	v_mov_b32_e32 v9, v1
	s_mov_b64 s[46:47], 0
	v_mov_b32_e32 v3, v11
	v_mov_b32_e32 v8, v0
                                        ; implicit-def: $sgpr48_sgpr49
	s_branch .LBB192_197
.LBB192_194:                            ;   in Loop: Header=BB192_197 Depth=2
	s_or_b64 exec, exec, s[54:55]
	s_waitcnt lgkmcnt(0)
	s_barrier
	ds_read_b64 v[4:5], v13 offset:3072
	s_waitcnt lgkmcnt(0)
	s_barrier
	v_cmp_eq_f32_e32 vcc, 0, v4
	s_cbranch_vccz .LBB192_200
; %bb.195:                              ;   in Loop: Header=BB192_197 Depth=2
	v_add_co_u32_e32 v8, vcc, s33, v8
	v_addc_co_u32_e32 v9, vcc, 0, v9, vcc
	v_mov_b32_e32 v4, s61
	v_add_co_u32_e32 v2, vcc, s60, v2
	v_addc_co_u32_e32 v3, vcc, v3, v4, vcc
	v_cmp_le_u64_e32 vcc, s[12:13], v[8:9]
	s_mov_b64 s[54:55], 0
	s_orn2_b64 s[70:71], vcc, exec
.LBB192_196:                            ;   in Loop: Header=BB192_197 Depth=2
	s_and_b64 s[70:71], exec, s[70:71]
	s_or_b64 s[46:47], s[70:71], s[46:47]
	s_andn2_b64 s[48:49], s[48:49], exec
	s_and_b64 s[54:55], s[54:55], exec
	s_or_b64 s[48:49], s[48:49], s[54:55]
	s_andn2_b64 exec, exec, s[46:47]
	s_cbranch_execz .LBB192_201
.LBB192_197:                            ;   Parent Loop BB192_6 Depth=1
                                        ; =>  This Inner Loop Header: Depth=2
	v_cmp_gt_u64_e32 vcc, s[56:57], v[8:9]
	s_and_saveexec_b64 s[54:55], vcc
	s_cbranch_execz .LBB192_194
; %bb.198:                              ;   in Loop: Header=BB192_197 Depth=2
	global_load_dword v23, v[2:3], off
	s_waitcnt vmcnt(0)
	v_cmp_lt_i32_e32 vcc, -1, v23
	v_cndmask_b32_e32 v4, -1, v40, vcc
	v_xor_b32_e32 v4, v4, v23
	v_cmp_o_f32_e32 vcc, v23, v23
	v_cndmask_b32_e32 v4, -1, v4, vcc
	v_and_b32_e32 v4, v4, v27
	v_cmp_eq_u32_e32 vcc, v4, v28
	s_and_b64 exec, exec, vcc
	s_cbranch_execz .LBB192_194
; %bb.199:                              ;   in Loop: Header=BB192_197 Depth=2
	ds_write_b64 v13, v[22:23] offset:3072
	s_branch .LBB192_194
.LBB192_200:                            ;   in Loop: Header=BB192_197 Depth=2
	s_mov_b64 s[70:71], -1
                                        ; implicit-def: $vgpr8_vgpr9
                                        ; implicit-def: $vgpr2_vgpr3
	s_mov_b64 s[54:55], -1
	s_branch .LBB192_196
.LBB192_201:                            ;   in Loop: Header=BB192_6 Depth=1
	s_or_b64 exec, exec, s[46:47]
	s_andn2_b64 s[0:1], s[0:1], exec
	s_and_b64 s[12:13], s[48:49], exec
	s_or_b64 s[0:1], s[0:1], s[12:13]
.LBB192_202:                            ;   in Loop: Header=BB192_6 Depth=1
	s_or_b64 exec, exec, s[4:5]
	s_mov_b64 s[46:47], 0
	s_mov_b64 s[48:49], -1
.LBB192_203:                            ;   in Loop: Header=BB192_6 Depth=1
	s_orn2_b64 s[0:1], s[0:1], exec
.LBB192_204:                            ;   in Loop: Header=BB192_6 Depth=1
	s_or_b64 exec, exec, s[50:51]
	s_mov_b64 s[4:5], 0
	s_and_saveexec_b64 s[50:51], s[0:1]
	s_cbranch_execz .LBB192_268
; %bb.205:                              ;   in Loop: Header=BB192_6 Depth=1
	v_mov_b32_e32 v2, 1
	s_xor_b64 s[4:5], s[52:53], -1
	v_mov_b32_e32 v12, 1
	v_mov_b32_e32 v3, 0
	s_mov_b64 s[54:55], 0
	s_and_saveexec_b64 s[0:1], s[4:5]
	s_cbranch_execz .LBB192_214
; %bb.206:                              ;   in Loop: Header=BB192_6 Depth=1
	v_cmp_ge_u64_e32 vcc, s[22:23], v[6:7]
	s_and_saveexec_b64 s[4:5], vcc
	s_xor_b64 s[4:5], exec, s[4:5]
	s_cbranch_execz .LBB192_211
; %bb.207:                              ;   in Loop: Header=BB192_6 Depth=1
	v_and_b32_e32 v2, s82, v28
	v_lshl_or_b32 v28, 2, s30, v2
	ds_read_b64 v[2:3], v13 offset:5120
	v_or_b32_e32 v27, s31, v27
	s_waitcnt lgkmcnt(0)
	v_cmp_ne_u64_e32 vcc, 0, v[2:3]
	s_cbranch_vccnz .LBB192_211
; %bb.208:                              ;   in Loop: Header=BB192_6 Depth=1
	v_readlane_b32 s8, v55, 8
	v_readlane_b32 s9, v55, 9
	s_and_saveexec_b64 s[12:13], s[8:9]
; %bb.209:                              ;   in Loop: Header=BB192_6 Depth=1
	v_mov_b32_e32 v2, s22
	v_mov_b32_e32 v3, s23
	ds_write_b64 v13, v[2:3] offset:5128
; %bb.210:                              ;   in Loop: Header=BB192_6 Depth=1
	s_or_b64 exec, exec, s[12:13]
	s_waitcnt lgkmcnt(0)
	s_barrier
.LBB192_211:                            ;   in Loop: Header=BB192_6 Depth=1
	s_or_saveexec_b64 s[4:5], s[4:5]
	s_mov_b64 s[12:13], 0
	v_mov_b32_e32 v12, 8
	s_xor_b64 exec, exec, s[4:5]
; %bb.212:                              ;   in Loop: Header=BB192_6 Depth=1
	v_subrev_co_u32_e32 v6, vcc, s22, v6
	v_mov_b32_e32 v2, s23
	v_subb_co_u32_e32 v7, vcc, v7, v2, vcc
	v_mov_b32_e32 v12, 0
	s_mov_b64 s[12:13], exec
; %bb.213:                              ;   in Loop: Header=BB192_6 Depth=1
	s_or_b64 exec, exec, s[4:5]
	v_mov_b32_e32 v2, v6
	s_and_b64 s[54:55], s[12:13], exec
	v_mov_b32_e32 v3, v7
.LBB192_214:                            ;   in Loop: Header=BB192_6 Depth=1
	s_or_b64 exec, exec, s[0:1]
	s_mov_b64 s[12:13], -1
                                        ; implicit-def: $sgpr4_sgpr5
                                        ; implicit-def: $sgpr0_sgpr1
	s_and_saveexec_b64 s[52:53], s[54:55]
	s_cbranch_execz .LBB192_267
; %bb.215:                              ;   in Loop: Header=BB192_6 Depth=1
	s_cmp_eq_u64 s[24:25], 1
	v_cmp_eq_u64_e32 vcc, 1, v[2:3]
	s_cselect_b64 s[0:1], -1, 0
	s_and_b64 s[8:9], s[0:1], vcc
	s_mov_b64 s[78:79], -1
	v_writelane_b32 v55, s8, 53
                                        ; implicit-def: $sgpr4_sgpr5
                                        ; implicit-def: $sgpr0_sgpr1
	v_writelane_b32 v55, s9, 54
	s_and_saveexec_b64 s[70:71], s[8:9]
	s_cbranch_execz .LBB192_255
; %bb.216:                              ;   in Loop: Header=BB192_6 Depth=1
	ds_read_b64 v[4:5], v13 offset:5120
	s_waitcnt lgkmcnt(0)
	s_barrier
	v_readfirstlane_b32 s78, v4
	v_readfirstlane_b32 s79, v5
	s_mov_b64 s[0:1], exec
	v_readlane_b32 s4, v55, 24
	v_readlane_b32 s5, v55, 25
	s_and_b64 s[4:5], s[0:1], s[4:5]
	s_mov_b64 exec, s[4:5]
; %bb.217:                              ;   in Loop: Header=BB192_6 Depth=1
	ds_write_b32 v33, v13
; %bb.218:                              ;   in Loop: Header=BB192_6 Depth=1
	s_or_b64 exec, exec, s[0:1]
	v_or_b32_e32 v28, s31, v28
	v_or_b32_e32 v27, s31, v27
	s_mov_b64 s[0:1], -1
	s_mov_b64 s[4:5], 0
	s_cmp_eq_u64 s[78:79], 0
	s_mov_b64 s[12:13], 0
	s_mov_b64 s[84:85], -1
	s_waitcnt lgkmcnt(0)
	s_barrier
                                        ; implicit-def: $vgpr5
	s_cbranch_scc1 .LBB192_237
; %bb.219:                              ;   in Loop: Header=BB192_6 Depth=1
	v_readlane_b32 s12, v55, 28
	s_add_u32 s86, s78, s12
	v_readlane_b32 s12, v55, 30
	s_addc_u32 s13, s79, s12
	s_mov_b32 s12, s83
	s_mov_b32 s90, s82
	s_mov_b64 s[8:9], s[68:69]
	s_cmp_lg_u64 s[12:13], 0
	s_cbranch_scc0 .LBB192_223
; %bb.220:                              ;   in Loop: Header=BB192_6 Depth=1
	v_cvt_f32_u32_e32 v4, s33
	s_sub_u32 s12, 0, s33
	s_subb_u32 s68, 0, 0
	v_mac_f32_e32 v4, 0, v41
	v_rcp_f32_e32 v4, v4
	v_mul_f32_e32 v4, 0x5f7ffffc, v4
	v_mul_f32_e32 v5, 0x2f800000, v4
	v_trunc_f32_e32 v5, v5
	v_mac_f32_e32 v4, 0xcf800000, v5
	v_cvt_u32_f32_e32 v5, v5
	v_cvt_u32_f32_e32 v4, v4
	v_readfirstlane_b32 s69, v5
	v_readfirstlane_b32 s54, v4
	s_mul_i32 s55, s12, s69
	s_mul_hi_u32 s84, s12, s54
	s_mul_i32 s82, s68, s54
	s_add_i32 s55, s84, s55
	s_mul_i32 s85, s12, s54
	s_add_i32 s55, s55, s82
	s_mul_hi_u32 s84, s54, s85
	s_mul_i32 s87, s54, s55
	s_mul_hi_u32 s82, s54, s55
	s_add_u32 s84, s84, s87
	s_addc_u32 s82, 0, s82
	s_mul_hi_u32 s88, s69, s85
	s_mul_i32 s85, s69, s85
	s_add_u32 s84, s84, s85
	s_mul_hi_u32 s87, s69, s55
	s_addc_u32 s82, s82, s88
	s_addc_u32 s84, s87, 0
	s_mul_i32 s55, s69, s55
	s_add_u32 s55, s82, s55
	s_addc_u32 s82, 0, s84
	s_add_u32 s84, s54, s55
	s_cselect_b64 s[54:55], -1, 0
	s_cmp_lg_u64 s[54:55], 0
	s_addc_u32 s69, s69, s82
	s_mul_i32 s54, s12, s69
	s_mul_hi_u32 s55, s12, s84
	s_add_i32 s54, s55, s54
	s_mul_i32 s68, s68, s84
	s_add_i32 s54, s54, s68
	s_mul_i32 s12, s12, s84
	s_mul_hi_u32 s68, s69, s12
	s_mul_i32 s82, s69, s12
	s_mul_i32 s87, s84, s54
	s_mul_hi_u32 s12, s84, s12
	s_mul_hi_u32 s85, s84, s54
	s_add_u32 s12, s12, s87
	s_addc_u32 s85, 0, s85
	s_add_u32 s12, s12, s82
	s_mul_hi_u32 s55, s69, s54
	s_addc_u32 s12, s85, s68
	s_addc_u32 s55, s55, 0
	s_mul_i32 s54, s69, s54
	s_add_u32 s12, s12, s54
	s_addc_u32 s68, 0, s55
	s_add_u32 s12, s84, s12
	s_cselect_b64 s[54:55], -1, 0
	s_cmp_lg_u64 s[54:55], 0
	s_addc_u32 s54, s69, s68
	s_mul_i32 s68, s86, s54
	s_mul_hi_u32 s69, s86, s12
	s_mul_hi_u32 s55, s86, s54
	s_add_u32 s68, s69, s68
	s_addc_u32 s55, 0, s55
	s_mul_hi_u32 s82, s13, s12
	s_mul_i32 s12, s13, s12
	s_add_u32 s12, s68, s12
	s_mul_hi_u32 s69, s13, s54
	s_addc_u32 s12, s55, s82
	s_addc_u32 s55, s69, 0
	s_mul_i32 s54, s13, s54
	s_add_u32 s12, s12, s54
	s_addc_u32 s54, 0, s55
	s_mul_i32 s54, s33, s54
	s_mul_hi_u32 s55, s33, s12
	s_add_i32 s68, s55, s54
	s_mul_i32 s12, s33, s12
	s_sub_u32 s12, s86, s12
	s_cselect_b64 s[54:55], -1, 0
	s_cmp_lg_u64 s[54:55], 0
	s_subb_u32 s68, s13, s68
	s_sub_u32 s69, s12, s33
	s_cselect_b64 s[54:55], -1, 0
	s_cmp_lg_u64 s[54:55], 0
	s_subb_u32 s82, s68, 0
	;; [unrolled: 4-line block ×3, first 2 shown]
	s_cmp_ge_u32 s69, s33
	s_cselect_b32 s55, -1, 0
	s_cmp_eq_u32 s82, 0
	s_cselect_b32 s55, s55, -1
	s_cmp_lg_u32 s55, 0
	s_cselect_b32 s54, s54, s82
	s_cselect_b32 s69, s84, s69
	s_cmp_ge_u32 s12, s33
	s_cselect_b32 s55, -1, 0
	s_cmp_eq_u32 s68, 0
	s_cselect_b32 s55, s55, -1
	s_cmp_lg_u32 s55, 0
	s_cselect_b32 s55, s54, s68
	s_cselect_b32 s54, s69, s12
	s_mov_b64 s[84:85], 0
	s_branch .LBB192_224
.LBB192_221:                            ;   in Loop: Header=BB192_6 Depth=1
                                        ; implicit-def: $sgpr12_sgpr13
	s_branch .LBB192_174
.LBB192_222:                            ;   in Loop: Header=BB192_6 Depth=1
                                        ; implicit-def: $sgpr4_sgpr5
	s_branch .LBB192_191
.LBB192_223:                            ;   in Loop: Header=BB192_6 Depth=1
                                        ; implicit-def: $sgpr54_sgpr55
.LBB192_224:                            ;   in Loop: Header=BB192_6 Depth=1
	s_andn2_b64 vcc, exec, s[84:85]
	s_cbranch_vccnz .LBB192_226
; %bb.225:                              ;   in Loop: Header=BB192_6 Depth=1
	v_cvt_f32_u32_e32 v4, s33
	s_sub_i32 s12, 0, s33
	v_rcp_iflag_f32_e32 v4, v4
	v_mul_f32_e32 v4, 0x4f7ffffe, v4
	v_cvt_u32_f32_e32 v4, v4
	v_readfirstlane_b32 s54, v4
	s_mul_i32 s12, s12, s54
	s_mul_hi_u32 s12, s54, s12
	s_add_i32 s54, s54, s12
	s_mul_hi_u32 s12, s86, s54
	s_mul_i32 s12, s12, s33
	s_sub_i32 s12, s86, s12
	s_sub_i32 s54, s12, s33
	s_cmp_ge_u32 s12, s33
	s_cselect_b32 s12, s54, s12
	s_sub_i32 s54, s12, s33
	s_cmp_ge_u32 s12, s33
	s_cselect_b32 s82, s54, s12
	s_mov_b64 s[54:55], s[82:83]
.LBB192_226:                            ;   in Loop: Header=BB192_6 Depth=1
	s_sub_u32 s88, s86, s54
	s_subb_u32 s89, s13, s55
	v_cmp_gt_u64_e32 vcc, s[88:89], v[0:1]
	s_mov_b64 s[84:85], 0
	s_mov_b64 s[12:13], 0
                                        ; implicit-def: $vgpr5
	s_and_saveexec_b64 s[86:87], vcc
	s_mov_b64 s[68:69], s[8:9]
	s_mov_b32 s82, s90
	s_cbranch_execz .LBB192_236
; %bb.227:                              ;   in Loop: Header=BB192_6 Depth=1
	v_mov_b32_e32 v7, v1
	v_mov_b32_e32 v8, v14
	;; [unrolled: 1-line block ×3, first 2 shown]
                                        ; implicit-def: $sgpr90_sgpr91
	s_branch .LBB192_231
.LBB192_228:                            ;   in Loop: Header=BB192_231 Depth=2
	s_or_b64 exec, exec, s[54:55]
	s_waitcnt lgkmcnt(0)
	s_barrier
	ds_read_b64 v[4:5], v13 offset:3072
	s_waitcnt lgkmcnt(0)
	s_barrier
	v_cmp_neq_f32_e32 vcc, 0, v4
	s_cbranch_vccnz .LBB192_234
; %bb.229:                              ;   in Loop: Header=BB192_231 Depth=2
	v_add_co_u32_e32 v6, vcc, s33, v6
	v_addc_co_u32_e32 v7, vcc, 0, v7, vcc
	v_cmp_le_u64_e32 vcc, s[88:89], v[6:7]
	v_add_u32_e32 v8, s95, v8
	s_mov_b64 s[54:55], 0
	s_orn2_b64 vcc, vcc, exec
.LBB192_230:                            ;   in Loop: Header=BB192_231 Depth=2
	s_and_b64 vcc, exec, vcc
	s_or_b64 s[12:13], vcc, s[12:13]
	s_andn2_b64 s[90:91], s[90:91], exec
	s_and_b64 s[54:55], s[54:55], exec
	s_or_b64 s[90:91], s[90:91], s[54:55]
	s_andn2_b64 exec, exec, s[12:13]
	s_cbranch_execz .LBB192_235
.LBB192_231:                            ;   Parent Loop BB192_6 Depth=1
                                        ; =>  This Inner Loop Header: Depth=2
	v_cmp_gt_u64_e32 vcc, s[78:79], v[6:7]
	s_and_saveexec_b64 s[54:55], vcc
	s_cbranch_execz .LBB192_228
; %bb.232:                              ;   in Loop: Header=BB192_231 Depth=2
	ds_read_b32 v23, v8
	s_waitcnt lgkmcnt(0)
	v_cmp_lt_i32_e32 vcc, -1, v23
	v_cndmask_b32_e32 v4, -1, v40, vcc
	v_xor_b32_e32 v4, v4, v23
	v_cmp_o_f32_e32 vcc, v23, v23
	v_cndmask_b32_e32 v4, -1, v4, vcc
	v_and_b32_e32 v4, v4, v27
	v_cmp_eq_u32_e32 vcc, v4, v28
	s_and_b64 exec, exec, vcc
	s_cbranch_execz .LBB192_228
; %bb.233:                              ;   in Loop: Header=BB192_231 Depth=2
	ds_write_b64 v13, v[22:23] offset:3072
	s_branch .LBB192_228
.LBB192_234:                            ;   in Loop: Header=BB192_231 Depth=2
	s_mov_b64 vcc, -1
                                        ; implicit-def: $vgpr6_vgpr7
                                        ; implicit-def: $vgpr8
	s_mov_b64 s[54:55], -1
	s_branch .LBB192_230
.LBB192_235:                            ;   in Loop: Header=BB192_6 Depth=1
	s_or_b64 exec, exec, s[12:13]
	s_and_b64 s[12:13], s[90:91], exec
.LBB192_236:                            ;   in Loop: Header=BB192_6 Depth=1
	s_or_b64 exec, exec, s[86:87]
	v_readlane_b32 s88, v55, 43
	v_readlane_b32 s89, v55, 44
.LBB192_237:                            ;   in Loop: Header=BB192_6 Depth=1
	s_and_b64 vcc, exec, s[84:85]
	s_cbranch_vccz .LBB192_254
; %bb.238:                              ;   in Loop: Header=BB192_6 Depth=1
	v_readlane_b32 s84, v55, 31
	v_readlane_b32 s85, v55, 32
	s_mov_b32 s84, s83
	s_cmp_lg_u64 s[84:85], 0
	v_writelane_b32 v55, s84, 31
	v_writelane_b32 v55, s85, 32
	s_cbranch_scc0 .LBB192_240
; %bb.239:                              ;   in Loop: Header=BB192_6 Depth=1
	v_cvt_f32_u32_e32 v4, s33
	s_sub_u32 s4, 0, s33
	s_subb_u32 s5, 0, 0
	s_mov_b64 s[8:9], s[68:69]
	v_mac_f32_e32 v4, 0, v41
	v_rcp_f32_e32 v4, v4
	v_mul_f32_e32 v4, 0x5f7ffffc, v4
	v_mul_f32_e32 v5, 0x2f800000, v4
	v_trunc_f32_e32 v5, v5
	v_mac_f32_e32 v4, 0xcf800000, v5
	v_cvt_u32_f32_e32 v5, v5
	v_cvt_u32_f32_e32 v4, v4
	v_readfirstlane_b32 s54, v5
	v_readfirstlane_b32 s0, v4
	s_mul_i32 s1, s4, s54
	s_mul_hi_u32 s68, s4, s0
	s_mul_i32 s55, s5, s0
	s_add_i32 s1, s68, s1
	s_mul_i32 s69, s4, s0
	s_add_i32 s1, s1, s55
	s_mul_hi_u32 s68, s0, s69
	s_mul_i32 s78, s0, s1
	s_mul_hi_u32 s55, s0, s1
	s_add_u32 s68, s68, s78
	s_addc_u32 s55, 0, s55
	s_mul_hi_u32 s79, s54, s69
	s_mul_i32 s69, s54, s69
	s_add_u32 s68, s68, s69
	s_mul_hi_u32 s78, s54, s1
	s_addc_u32 s55, s55, s79
	s_addc_u32 s68, s78, 0
	s_mul_i32 s1, s54, s1
	s_add_u32 s1, s55, s1
	s_addc_u32 s55, 0, s68
	s_add_u32 s68, s0, s1
	s_cselect_b64 s[0:1], -1, 0
	s_cmp_lg_u64 s[0:1], 0
	s_addc_u32 s54, s54, s55
	s_mul_i32 s0, s4, s54
	s_mul_hi_u32 s1, s4, s68
	s_add_i32 s0, s1, s0
	s_mul_i32 s5, s5, s68
	s_add_i32 s0, s0, s5
	s_mul_i32 s4, s4, s68
	s_mul_hi_u32 s5, s54, s4
	s_mul_i32 s55, s54, s4
	s_mul_i32 s78, s68, s0
	s_mul_hi_u32 s4, s68, s4
	s_mul_hi_u32 s69, s68, s0
	s_add_u32 s4, s4, s78
	s_addc_u32 s69, 0, s69
	s_add_u32 s4, s4, s55
	s_mul_hi_u32 s1, s54, s0
	s_addc_u32 s4, s69, s5
	s_addc_u32 s1, s1, 0
	s_mul_i32 s0, s54, s0
	s_add_u32 s0, s4, s0
	s_addc_u32 s4, 0, s1
	s_add_u32 s5, s68, s0
	s_cselect_b64 s[0:1], -1, 0
	s_cmp_lg_u64 s[0:1], 0
	s_addc_u32 s0, s54, s4
	v_readlane_b32 s68, v55, 29
	s_mul_i32 s4, s68, s0
	s_mul_hi_u32 s54, s68, s5
	s_mul_hi_u32 s1, s68, s0
	s_add_u32 s4, s54, s4
	s_addc_u32 s1, 0, s1
	s_mul_hi_u32 s55, s85, s5
	s_mul_i32 s5, s85, s5
	s_add_u32 s4, s4, s5
	s_mul_hi_u32 s54, s85, s0
	s_addc_u32 s1, s1, s55
	s_addc_u32 s4, s54, 0
	s_mul_i32 s0, s85, s0
	s_add_u32 s0, s1, s0
	s_addc_u32 s1, 0, s4
	s_mul_i32 s1, s33, s1
	s_mul_hi_u32 s4, s33, s0
	s_add_i32 s4, s4, s1
	s_mul_i32 s0, s33, s0
	s_sub_u32 s5, s68, s0
	s_cselect_b64 s[0:1], -1, 0
	s_cmp_lg_u64 s[0:1], 0
	s_subb_u32 s4, s85, s4
	s_sub_u32 s54, s5, s33
	s_cselect_b64 s[0:1], -1, 0
	s_cmp_lg_u64 s[0:1], 0
	s_subb_u32 s55, s4, 0
	;; [unrolled: 4-line block ×3, first 2 shown]
	s_cmp_ge_u32 s54, s33
	s_cselect_b32 s1, -1, 0
	s_cmp_eq_u32 s55, 0
	s_cselect_b32 s1, s1, -1
	s_cmp_lg_u32 s1, 0
	s_cselect_b32 s0, s0, s55
	s_cselect_b32 s54, s68, s54
	s_cmp_ge_u32 s5, s33
	s_cselect_b32 s1, -1, 0
	s_cmp_eq_u32 s4, 0
	s_cselect_b32 s1, s1, -1
	s_cmp_lg_u32 s1, 0
	s_mov_b64 s[68:69], s[8:9]
	s_cselect_b32 s1, s0, s4
	s_cselect_b32 s0, s54, s5
	s_mov_b64 s[4:5], 0
	s_branch .LBB192_241
.LBB192_240:                            ;   in Loop: Header=BB192_6 Depth=1
	s_mov_b64 s[4:5], -1
                                        ; implicit-def: $sgpr0_sgpr1
.LBB192_241:                            ;   in Loop: Header=BB192_6 Depth=1
	s_andn2_b64 vcc, exec, s[4:5]
	s_cbranch_vccnz .LBB192_243
; %bb.242:                              ;   in Loop: Header=BB192_6 Depth=1
	v_cvt_f32_u32_e32 v4, s33
	s_sub_i32 s0, 0, s33
	v_readlane_b32 s4, v55, 29
	v_rcp_iflag_f32_e32 v4, v4
	v_mul_f32_e32 v4, 0x4f7ffffe, v4
	v_cvt_u32_f32_e32 v4, v4
	v_readfirstlane_b32 s1, v4
	s_mul_i32 s0, s0, s1
	s_mul_hi_u32 s0, s1, s0
	s_add_i32 s1, s1, s0
	s_mul_hi_u32 s0, s4, s1
	s_mul_i32 s0, s0, s33
	s_sub_i32 s0, s4, s0
	s_sub_i32 s1, s0, s33
	s_cmp_ge_u32 s0, s33
	s_cselect_b32 s0, s1, s0
	s_sub_i32 s1, s0, s33
	s_cmp_ge_u32 s0, s33
	s_mov_b32 s4, s82
	s_cselect_b32 s82, s1, s0
	s_mov_b64 s[0:1], s[82:83]
	s_mov_b32 s82, s4
.LBB192_243:                            ;   in Loop: Header=BB192_6 Depth=1
	v_readlane_b32 s4, v55, 29
	v_readlane_b32 s8, v55, 31
	s_sub_u32 s4, s4, s0
	v_readlane_b32 s9, v55, 32
	s_subb_u32 s5, s9, s1
	v_cmp_gt_u64_e32 vcc, s[4:5], v[0:1]
                                        ; implicit-def: $vgpr5
	s_and_saveexec_b64 s[0:1], vcc
	s_cbranch_execz .LBB192_253
; %bb.244:                              ;   in Loop: Header=BB192_6 Depth=1
	v_mov_b32_e32 v6, v10
	v_mov_b32_e32 v9, v1
	s_mov_b64 s[78:79], 0
	v_mov_b32_e32 v7, v11
	v_mov_b32_e32 v8, v0
                                        ; implicit-def: $sgpr84_sgpr85
	s_branch .LBB192_248
.LBB192_245:                            ;   in Loop: Header=BB192_248 Depth=2
	s_or_b64 exec, exec, s[54:55]
	s_waitcnt lgkmcnt(0)
	s_barrier
	ds_read_b64 v[4:5], v13 offset:3072
	s_waitcnt lgkmcnt(0)
	s_barrier
	v_cmp_eq_f32_e32 vcc, 0, v4
	s_cbranch_vccz .LBB192_251
; %bb.246:                              ;   in Loop: Header=BB192_248 Depth=2
	v_add_co_u32_e32 v8, vcc, s33, v8
	v_addc_co_u32_e32 v9, vcc, 0, v9, vcc
	v_mov_b32_e32 v4, s61
	v_add_co_u32_e32 v6, vcc, s60, v6
	v_addc_co_u32_e32 v7, vcc, v7, v4, vcc
	v_cmp_le_u64_e32 vcc, s[4:5], v[8:9]
	s_mov_b64 s[54:55], 0
	s_orn2_b64 s[86:87], vcc, exec
.LBB192_247:                            ;   in Loop: Header=BB192_248 Depth=2
	s_and_b64 s[86:87], exec, s[86:87]
	s_or_b64 s[78:79], s[86:87], s[78:79]
	s_andn2_b64 s[84:85], s[84:85], exec
	s_and_b64 s[54:55], s[54:55], exec
	s_or_b64 s[84:85], s[84:85], s[54:55]
	s_andn2_b64 exec, exec, s[78:79]
	s_cbranch_execz .LBB192_252
.LBB192_248:                            ;   Parent Loop BB192_6 Depth=1
                                        ; =>  This Inner Loop Header: Depth=2
	v_cmp_gt_u64_e32 vcc, s[56:57], v[8:9]
	s_and_saveexec_b64 s[54:55], vcc
	s_cbranch_execz .LBB192_245
; %bb.249:                              ;   in Loop: Header=BB192_248 Depth=2
	global_load_dword v23, v[6:7], off
	s_waitcnt vmcnt(0)
	v_cmp_lt_i32_e32 vcc, -1, v23
	v_cndmask_b32_e32 v4, -1, v40, vcc
	v_xor_b32_e32 v4, v4, v23
	v_cmp_o_f32_e32 vcc, v23, v23
	v_cndmask_b32_e32 v4, -1, v4, vcc
	v_and_b32_e32 v4, v4, v27
	v_cmp_eq_u32_e32 vcc, v4, v28
	s_and_b64 exec, exec, vcc
	s_cbranch_execz .LBB192_245
; %bb.250:                              ;   in Loop: Header=BB192_248 Depth=2
	ds_write_b64 v13, v[22:23] offset:3072
	s_branch .LBB192_245
.LBB192_251:                            ;   in Loop: Header=BB192_248 Depth=2
	s_mov_b64 s[86:87], -1
                                        ; implicit-def: $vgpr8_vgpr9
                                        ; implicit-def: $vgpr6_vgpr7
	s_mov_b64 s[54:55], -1
	s_branch .LBB192_247
.LBB192_252:                            ;   in Loop: Header=BB192_6 Depth=1
	s_or_b64 exec, exec, s[78:79]
	s_andn2_b64 s[4:5], s[12:13], exec
	s_and_b64 s[12:13], s[84:85], exec
	s_or_b64 s[12:13], s[4:5], s[12:13]
.LBB192_253:                            ;   in Loop: Header=BB192_6 Depth=1
	s_or_b64 exec, exec, s[0:1]
	s_mov_b64 s[0:1], 0
	s_mov_b64 s[4:5], -1
.LBB192_254:                            ;   in Loop: Header=BB192_6 Depth=1
	s_orn2_b64 s[78:79], s[12:13], exec
.LBB192_255:                            ;   in Loop: Header=BB192_6 Depth=1
	s_or_b64 exec, exec, s[70:71]
	s_mov_b64 s[54:55], 0
	s_and_saveexec_b64 s[12:13], s[78:79]
	s_cbranch_execz .LBB192_266
; %bb.256:                              ;   in Loop: Header=BB192_6 Depth=1
	v_readlane_b32 s8, v55, 53
	v_readlane_b32 s9, v55, 54
	v_mov_b32_e32 v6, 1
	s_xor_b64 s[70:71], s[8:9], -1
	v_mov_b32_e32 v7, 0
	v_mov_b32_e32 v12, 1
	s_and_saveexec_b64 s[54:55], s[70:71]
	s_cbranch_execz .LBB192_265
; %bb.257:                              ;   in Loop: Header=BB192_6 Depth=1
	v_cmp_ge_u64_e32 vcc, s[24:25], v[2:3]
	s_and_saveexec_b64 s[70:71], vcc
	s_xor_b64 s[70:71], exec, s[70:71]
	s_cbranch_execz .LBB192_262
; %bb.258:                              ;   in Loop: Header=BB192_6 Depth=1
	ds_read_b64 v[6:7], v13 offset:5120
	v_or_b32_e32 v28, s31, v28
	v_or_b32_e32 v27, s31, v27
	s_waitcnt lgkmcnt(0)
	v_cmp_ne_u64_e32 vcc, 0, v[6:7]
	s_cbranch_vccnz .LBB192_262
; %bb.259:                              ;   in Loop: Header=BB192_6 Depth=1
	v_readlane_b32 s8, v55, 8
	v_readlane_b32 s9, v55, 9
	s_and_saveexec_b64 s[78:79], s[8:9]
; %bb.260:                              ;   in Loop: Header=BB192_6 Depth=1
	v_mov_b32_e32 v6, s24
	v_mov_b32_e32 v7, s25
	ds_write_b64 v13, v[6:7] offset:5128
; %bb.261:                              ;   in Loop: Header=BB192_6 Depth=1
	s_or_b64 exec, exec, s[78:79]
	s_waitcnt lgkmcnt(0)
	s_barrier
.LBB192_262:                            ;   in Loop: Header=BB192_6 Depth=1
	s_andn2_saveexec_b64 s[70:71], s[70:71]
; %bb.263:                              ;   in Loop: Header=BB192_6 Depth=1
	v_mov_b32_e32 v4, s25
	v_subrev_co_u32_e32 v2, vcc, s24, v2
	v_subb_co_u32_e32 v3, vcc, v3, v4, vcc
; %bb.264:                              ;   in Loop: Header=BB192_6 Depth=1
	s_or_b64 exec, exec, s[70:71]
	v_mov_b32_e32 v7, v3
	v_mov_b32_e32 v12, 8
	;; [unrolled: 1-line block ×3, first 2 shown]
.LBB192_265:                            ;   in Loop: Header=BB192_6 Depth=1
	s_or_b64 exec, exec, s[54:55]
	v_mov_b32_e32 v2, v6
	s_mov_b64 s[54:55], exec
	v_mov_b32_e32 v3, v7
.LBB192_266:                            ;   in Loop: Header=BB192_6 Depth=1
	s_or_b64 exec, exec, s[12:13]
	s_orn2_b64 s[12:13], s[54:55], exec
.LBB192_267:                            ;   in Loop: Header=BB192_6 Depth=1
	s_or_b64 exec, exec, s[52:53]
	s_andn2_b64 s[48:49], s[48:49], exec
	s_and_b64 s[4:5], s[4:5], exec
	s_or_b64 s[48:49], s[48:49], s[4:5]
	s_andn2_b64 s[4:5], s[46:47], exec
	s_and_b64 s[0:1], s[0:1], exec
	v_mov_b32_e32 v7, v3
	s_or_b64 s[46:47], s[4:5], s[0:1]
	s_and_b64 s[4:5], s[12:13], exec
	v_mov_b32_e32 v6, v2
.LBB192_268:                            ;   in Loop: Header=BB192_6 Depth=1
	s_or_b64 exec, exec, s[50:51]
	s_orn2_b64 s[0:1], s[4:5], exec
.LBB192_269:                            ;   in Loop: Header=BB192_6 Depth=1
	s_or_b64 exec, exec, s[44:45]
	s_andn2_b64 s[4:5], s[28:29], exec
	s_and_b64 s[12:13], s[48:49], exec
	s_or_b64 s[28:29], s[4:5], s[12:13]
	s_andn2_b64 s[4:5], s[26:27], exec
	s_and_b64 s[12:13], s[46:47], exec
	v_mov_b32_e32 v2, v6
	s_or_b64 s[26:27], s[4:5], s[12:13]
	s_and_b64 s[4:5], s[0:1], exec
	v_mov_b32_e32 v3, v7
.LBB192_270:                            ;   in Loop: Header=BB192_6 Depth=1
	s_or_b64 exec, exec, s[42:43]
	s_orn2_b64 s[0:1], s[4:5], exec
.LBB192_271:                            ;   in Loop: Header=BB192_6 Depth=1
	s_or_b64 exec, exec, s[6:7]
	s_mov_b64 s[4:5], 0
	s_mov_b64 s[6:7], 0
	s_and_saveexec_b64 s[12:13], s[0:1]
	s_xor_b64 s[0:1], exec, s[12:13]
; %bb.272:                              ;   in Loop: Header=BB192_6 Depth=1
	v_cmp_eq_u32_e32 vcc, 8, v12
	v_cmp_ne_u32_e64 s[6:7], 8, v12
	s_and_b64 s[6:7], s[6:7], exec
	s_and_b64 s[4:5], vcc, exec
; %bb.273:                              ;   in Loop: Header=BB192_6 Depth=1
	s_or_b64 exec, exec, s[0:1]
	s_andn2_b64 s[0:1], s[36:37], exec
	s_and_b64 s[12:13], s[28:29], exec
	s_or_b64 s[36:37], s[0:1], s[12:13]
	s_andn2_b64 s[0:1], s[34:35], exec
	s_and_b64 s[12:13], s[26:27], exec
	s_or_b64 s[34:35], s[0:1], s[12:13]
	s_and_b64 s[26:27], s[6:7], exec
	s_and_b64 s[28:29], s[4:5], exec
.LBB192_274:                            ;   in Loop: Header=BB192_6 Depth=1
	s_or_b64 exec, exec, s[40:41]
.LBB192_275:                            ;   in Loop: Header=BB192_6 Depth=1
	s_and_b64 vcc, exec, s[38:39]
	s_cbranch_vccz .LBB192_292
; %bb.276:                              ;   in Loop: Header=BB192_6 Depth=1
	s_cmp_eq_u64 s[24:25], 1
	s_cselect_b64 s[0:1], -1, 0
	s_and_b64 s[6:7], s[0:1], s[14:15]
	s_mov_b64 s[0:1], -1
                                        ; implicit-def: $sgpr14_sgpr15
                                        ; implicit-def: $sgpr18_sgpr19
	s_and_saveexec_b64 s[34:35], s[6:7]
	s_cbranch_execz .LBB192_311
; %bb.277:                              ;   in Loop: Header=BB192_6 Depth=1
	ds_read_b64 v[2:3], v13 offset:5120
	v_readlane_b32 s8, v55, 24
	v_readlane_b32 s9, v55, 25
	s_waitcnt lgkmcnt(0)
	s_barrier
	v_readfirstlane_b32 s4, v2
	v_readfirstlane_b32 s5, v3
	s_and_saveexec_b64 s[0:1], s[8:9]
; %bb.278:                              ;   in Loop: Header=BB192_6 Depth=1
	ds_write_b32 v33, v13
; %bb.279:                              ;   in Loop: Header=BB192_6 Depth=1
	s_or_b64 exec, exec, s[0:1]
	v_or_b32_e32 v36, s31, v36
	v_or_b32_e32 v42, s31, v42
	s_mov_b64 s[18:19], -1
	s_mov_b64 s[14:15], 0
	s_cmp_eq_u64 s[4:5], 0
	s_mov_b64 s[0:1], 0
	s_mov_b64 s[12:13], -1
	s_waitcnt lgkmcnt(0)
	s_barrier
                                        ; implicit-def: $vgpr24
	s_cbranch_scc1 .LBB192_295
; %bb.280:                              ;   in Loop: Header=BB192_6 Depth=1
	v_readlane_b32 s0, v55, 28
	s_add_u32 s38, s4, s0
	v_readlane_b32 s0, v55, 30
	s_addc_u32 s1, s5, s0
	s_mov_b32 s0, s83
	s_cmp_lg_u64 s[0:1], 0
	s_cbranch_scc0 .LBB192_338
; %bb.281:                              ;   in Loop: Header=BB192_6 Depth=1
	v_cvt_f32_u32_e32 v2, s33
	s_sub_u32 s0, 0, s33
	s_subb_u32 s36, 0, 0
	v_mac_f32_e32 v2, 0, v41
	v_rcp_f32_e32 v2, v2
	v_mul_f32_e32 v2, 0x5f7ffffc, v2
	v_mul_f32_e32 v3, 0x2f800000, v2
	v_trunc_f32_e32 v3, v3
	v_mac_f32_e32 v2, 0xcf800000, v3
	v_cvt_u32_f32_e32 v3, v3
	v_cvt_u32_f32_e32 v2, v2
	v_readfirstlane_b32 s37, v3
	v_readfirstlane_b32 s12, v2
	s_mul_i32 s13, s0, s37
	s_mul_hi_u32 s40, s0, s12
	s_mul_i32 s39, s36, s12
	s_add_i32 s13, s40, s13
	s_mul_i32 s41, s0, s12
	s_add_i32 s13, s13, s39
	s_mul_hi_u32 s40, s12, s41
	s_mul_i32 s42, s12, s13
	s_mul_hi_u32 s39, s12, s13
	s_add_u32 s40, s40, s42
	s_addc_u32 s39, 0, s39
	s_mul_hi_u32 s43, s37, s41
	s_mul_i32 s41, s37, s41
	s_add_u32 s40, s40, s41
	s_mul_hi_u32 s42, s37, s13
	s_addc_u32 s39, s39, s43
	s_addc_u32 s40, s42, 0
	s_mul_i32 s13, s37, s13
	s_add_u32 s13, s39, s13
	s_addc_u32 s39, 0, s40
	s_add_u32 s40, s12, s13
	s_cselect_b64 s[12:13], -1, 0
	s_cmp_lg_u64 s[12:13], 0
	s_addc_u32 s37, s37, s39
	s_mul_i32 s12, s0, s37
	s_mul_hi_u32 s13, s0, s40
	s_add_i32 s12, s13, s12
	s_mul_i32 s36, s36, s40
	s_add_i32 s12, s12, s36
	s_mul_i32 s0, s0, s40
	s_mul_hi_u32 s36, s37, s0
	s_mul_i32 s39, s37, s0
	s_mul_i32 s42, s40, s12
	s_mul_hi_u32 s0, s40, s0
	s_mul_hi_u32 s41, s40, s12
	s_add_u32 s0, s0, s42
	s_addc_u32 s41, 0, s41
	s_add_u32 s0, s0, s39
	s_mul_hi_u32 s13, s37, s12
	s_addc_u32 s0, s41, s36
	s_addc_u32 s13, s13, 0
	s_mul_i32 s12, s37, s12
	s_add_u32 s0, s0, s12
	s_addc_u32 s36, 0, s13
	s_add_u32 s0, s40, s0
	s_cselect_b64 s[12:13], -1, 0
	s_cmp_lg_u64 s[12:13], 0
	s_addc_u32 s12, s37, s36
	s_mul_i32 s36, s38, s12
	s_mul_hi_u32 s37, s38, s0
	s_mul_hi_u32 s13, s38, s12
	s_add_u32 s36, s37, s36
	s_addc_u32 s13, 0, s13
	s_mul_hi_u32 s39, s1, s0
	s_mul_i32 s0, s1, s0
	s_add_u32 s0, s36, s0
	s_mul_hi_u32 s37, s1, s12
	s_addc_u32 s0, s13, s39
	s_addc_u32 s13, s37, 0
	s_mul_i32 s12, s1, s12
	s_add_u32 s0, s0, s12
	s_addc_u32 s12, 0, s13
	s_mul_i32 s12, s33, s12
	s_mul_hi_u32 s13, s33, s0
	s_add_i32 s36, s13, s12
	s_mul_i32 s0, s33, s0
	s_sub_u32 s0, s38, s0
	s_cselect_b64 s[12:13], -1, 0
	s_cmp_lg_u64 s[12:13], 0
	s_subb_u32 s36, s1, s36
	s_sub_u32 s37, s0, s33
	s_cselect_b64 s[12:13], -1, 0
	s_cmp_lg_u64 s[12:13], 0
	s_subb_u32 s39, s36, 0
	;; [unrolled: 4-line block ×3, first 2 shown]
	s_cmp_ge_u32 s37, s33
	s_cselect_b32 s13, -1, 0
	s_cmp_eq_u32 s39, 0
	s_cselect_b32 s13, s13, -1
	s_cmp_lg_u32 s13, 0
	s_cselect_b32 s12, s12, s39
	s_cselect_b32 s37, s40, s37
	s_cmp_ge_u32 s0, s33
	s_cselect_b32 s13, -1, 0
	s_cmp_eq_u32 s36, 0
	s_cselect_b32 s13, s13, -1
	s_cmp_lg_u32 s13, 0
	s_cselect_b32 s13, s12, s36
	s_cselect_b32 s12, s37, s0
	s_cbranch_execnz .LBB192_283
.LBB192_282:                            ;   in Loop: Header=BB192_6 Depth=1
	v_cvt_f32_u32_e32 v2, s33
	s_sub_i32 s0, 0, s33
	s_mov_b32 s8, s82
	v_rcp_iflag_f32_e32 v2, v2
	v_mul_f32_e32 v2, 0x4f7ffffe, v2
	v_cvt_u32_f32_e32 v2, v2
	v_readfirstlane_b32 s12, v2
	s_mul_i32 s0, s0, s12
	s_mul_hi_u32 s0, s12, s0
	s_add_i32 s12, s12, s0
	s_mul_hi_u32 s0, s38, s12
	s_mul_i32 s0, s0, s33
	s_sub_i32 s0, s38, s0
	s_sub_i32 s12, s0, s33
	s_cmp_ge_u32 s0, s33
	s_cselect_b32 s0, s12, s0
	s_sub_i32 s12, s0, s33
	s_cmp_ge_u32 s0, s33
	s_cselect_b32 s82, s12, s0
	s_mov_b64 s[12:13], s[82:83]
	s_mov_b32 s82, s8
.LBB192_283:                            ;   in Loop: Header=BB192_6 Depth=1
	s_sub_u32 s38, s38, s12
	s_subb_u32 s39, s1, s13
	v_cmp_gt_u64_e32 vcc, s[38:39], v[0:1]
	s_mov_b64 s[12:13], 0
	s_mov_b64 s[0:1], 0
                                        ; implicit-def: $vgpr24
	s_and_saveexec_b64 s[36:37], vcc
	s_cbranch_execz .LBB192_294
; %bb.284:                              ;   in Loop: Header=BB192_6 Depth=1
	v_mov_b32_e32 v3, v1
	v_mov_b32_e32 v4, v14
	v_mov_b32_e32 v2, v0
                                        ; implicit-def: $sgpr40_sgpr41
	s_branch .LBB192_288
.LBB192_285:                            ;   in Loop: Header=BB192_288 Depth=2
	s_or_b64 exec, exec, s[42:43]
	s_waitcnt lgkmcnt(0)
	s_barrier
	ds_read_b64 v[23:24], v13 offset:3072
	s_waitcnt lgkmcnt(0)
	s_barrier
	v_cmp_neq_f32_e32 vcc, 0, v23
	s_cbranch_vccnz .LBB192_291
; %bb.286:                              ;   in Loop: Header=BB192_288 Depth=2
	v_add_co_u32_e32 v2, vcc, s33, v2
	v_addc_co_u32_e32 v3, vcc, 0, v3, vcc
	v_cmp_le_u64_e32 vcc, s[38:39], v[2:3]
	v_add_u32_e32 v4, s95, v4
	s_mov_b64 s[42:43], 0
	s_orn2_b64 s[44:45], vcc, exec
.LBB192_287:                            ;   in Loop: Header=BB192_288 Depth=2
	s_and_b64 s[44:45], exec, s[44:45]
	s_or_b64 s[0:1], s[44:45], s[0:1]
	s_andn2_b64 s[40:41], s[40:41], exec
	s_and_b64 s[42:43], s[42:43], exec
	s_or_b64 s[40:41], s[40:41], s[42:43]
	s_andn2_b64 exec, exec, s[0:1]
	s_cbranch_execz .LBB192_293
.LBB192_288:                            ;   Parent Loop BB192_6 Depth=1
                                        ; =>  This Inner Loop Header: Depth=2
	v_cmp_gt_u64_e32 vcc, s[4:5], v[2:3]
	s_and_saveexec_b64 s[42:43], vcc
	s_cbranch_execz .LBB192_285
; %bb.289:                              ;   in Loop: Header=BB192_288 Depth=2
	ds_read_b32 v23, v4
	s_waitcnt lgkmcnt(0)
	v_cmp_lt_i32_e32 vcc, -1, v23
	v_cndmask_b32_e32 v5, -1, v40, vcc
	v_xor_b32_e32 v5, v5, v23
	v_cmp_o_f32_e32 vcc, v23, v23
	v_cndmask_b32_e32 v5, -1, v5, vcc
	v_and_b32_e32 v5, v5, v42
	v_cmp_eq_u32_e32 vcc, v5, v36
	s_and_b64 exec, exec, vcc
	s_cbranch_execz .LBB192_285
; %bb.290:                              ;   in Loop: Header=BB192_288 Depth=2
	ds_write_b64 v13, v[22:23] offset:3072
	s_branch .LBB192_285
.LBB192_291:                            ;   in Loop: Header=BB192_288 Depth=2
	s_mov_b64 s[44:45], -1
                                        ; implicit-def: $vgpr2_vgpr3
                                        ; implicit-def: $vgpr4
	s_mov_b64 s[42:43], -1
	s_branch .LBB192_287
.LBB192_292:                            ;   in Loop: Header=BB192_6 Depth=1
	s_mov_b64 s[14:15], 0
	v_mov_b32_e32 v36, v28
	v_mov_b32_e32 v42, v27
	;; [unrolled: 1-line block ×3, first 2 shown]
	s_and_saveexec_b64 s[0:1], s[28:29]
	s_cbranch_execnz .LBB192_476
	s_branch .LBB192_477
.LBB192_293:                            ;   in Loop: Header=BB192_6 Depth=1
	s_or_b64 exec, exec, s[0:1]
	s_and_b64 s[0:1], s[40:41], exec
.LBB192_294:                            ;   in Loop: Header=BB192_6 Depth=1
	s_or_b64 exec, exec, s[36:37]
.LBB192_295:                            ;   in Loop: Header=BB192_6 Depth=1
	s_and_b64 vcc, exec, s[12:13]
	s_cbranch_vccz .LBB192_310
; %bb.296:                              ;   in Loop: Header=BB192_6 Depth=1
	v_readlane_b32 s8, v55, 31
	v_readlane_b32 s9, v55, 32
	s_mov_b32 s8, s83
	s_cmp_lg_u64 s[8:9], 0
	v_writelane_b32 v55, s8, 31
	v_writelane_b32 v55, s9, 32
	s_cbranch_scc0 .LBB192_339
; %bb.297:                              ;   in Loop: Header=BB192_6 Depth=1
	v_cvt_f32_u32_e32 v2, s33
	s_sub_u32 s12, 0, s33
	s_subb_u32 s13, 0, 0
	v_readlane_b32 s8, v55, 29
	v_mac_f32_e32 v2, 0, v41
	v_rcp_f32_e32 v2, v2
	v_mul_f32_e32 v2, 0x5f7ffffc, v2
	v_mul_f32_e32 v3, 0x2f800000, v2
	v_trunc_f32_e32 v3, v3
	v_mac_f32_e32 v2, 0xcf800000, v3
	v_cvt_u32_f32_e32 v3, v3
	v_cvt_u32_f32_e32 v2, v2
	v_readfirstlane_b32 s14, v3
	v_readfirstlane_b32 s4, v2
	s_mul_i32 s5, s12, s14
	s_mul_hi_u32 s18, s12, s4
	s_mul_i32 s15, s13, s4
	s_add_i32 s5, s18, s5
	s_mul_i32 s19, s12, s4
	s_add_i32 s5, s5, s15
	s_mul_hi_u32 s18, s4, s19
	s_mul_i32 s36, s4, s5
	s_mul_hi_u32 s15, s4, s5
	s_add_u32 s18, s18, s36
	s_addc_u32 s15, 0, s15
	s_mul_hi_u32 s37, s14, s19
	s_mul_i32 s19, s14, s19
	s_add_u32 s18, s18, s19
	s_mul_hi_u32 s36, s14, s5
	s_addc_u32 s15, s15, s37
	s_addc_u32 s18, s36, 0
	s_mul_i32 s5, s14, s5
	s_add_u32 s5, s15, s5
	s_addc_u32 s15, 0, s18
	s_add_u32 s18, s4, s5
	s_cselect_b64 s[4:5], -1, 0
	s_cmp_lg_u64 s[4:5], 0
	s_addc_u32 s14, s14, s15
	s_mul_i32 s4, s12, s14
	s_mul_hi_u32 s5, s12, s18
	s_add_i32 s4, s5, s4
	s_mul_i32 s13, s13, s18
	s_add_i32 s4, s4, s13
	s_mul_i32 s12, s12, s18
	s_mul_hi_u32 s13, s14, s12
	s_mul_i32 s15, s14, s12
	s_mul_i32 s36, s18, s4
	s_mul_hi_u32 s12, s18, s12
	s_mul_hi_u32 s19, s18, s4
	s_add_u32 s12, s12, s36
	s_addc_u32 s19, 0, s19
	s_add_u32 s12, s12, s15
	s_mul_hi_u32 s5, s14, s4
	s_addc_u32 s12, s19, s13
	s_addc_u32 s5, s5, 0
	s_mul_i32 s4, s14, s4
	s_add_u32 s4, s12, s4
	s_addc_u32 s12, 0, s5
	s_add_u32 s13, s18, s4
	s_cselect_b64 s[4:5], -1, 0
	s_cmp_lg_u64 s[4:5], 0
	s_addc_u32 s4, s14, s12
	s_mul_i32 s12, s8, s4
	s_mul_hi_u32 s14, s8, s13
	s_mul_hi_u32 s5, s8, s4
	s_add_u32 s12, s14, s12
	s_addc_u32 s5, 0, s5
	s_mul_hi_u32 s15, s9, s13
	s_mul_i32 s13, s9, s13
	s_add_u32 s12, s12, s13
	s_mul_hi_u32 s14, s9, s4
	s_addc_u32 s5, s5, s15
	s_addc_u32 s12, s14, 0
	s_mul_i32 s4, s9, s4
	s_add_u32 s4, s5, s4
	s_addc_u32 s5, 0, s12
	s_mul_i32 s5, s33, s5
	s_mul_hi_u32 s12, s33, s4
	s_add_i32 s12, s12, s5
	s_mul_i32 s4, s33, s4
	s_sub_u32 s13, s8, s4
	s_cselect_b64 s[4:5], -1, 0
	s_cmp_lg_u64 s[4:5], 0
	s_subb_u32 s12, s9, s12
	s_sub_u32 s14, s13, s33
	s_cselect_b64 s[4:5], -1, 0
	s_cmp_lg_u64 s[4:5], 0
	s_subb_u32 s15, s12, 0
	;; [unrolled: 4-line block ×3, first 2 shown]
	s_cmp_ge_u32 s14, s33
	s_cselect_b32 s5, -1, 0
	s_cmp_eq_u32 s15, 0
	s_cselect_b32 s5, s5, -1
	s_cmp_lg_u32 s5, 0
	s_cselect_b32 s4, s4, s15
	s_cselect_b32 s14, s18, s14
	s_cmp_ge_u32 s13, s33
	s_cselect_b32 s5, -1, 0
	s_cmp_eq_u32 s12, 0
	s_cselect_b32 s5, s5, -1
	s_cmp_lg_u32 s5, 0
	s_cselect_b32 s5, s4, s12
	s_cselect_b32 s4, s14, s13
	s_cbranch_execnz .LBB192_299
.LBB192_298:                            ;   in Loop: Header=BB192_6 Depth=1
	v_cvt_f32_u32_e32 v2, s33
	s_sub_i32 s4, 0, s33
	v_readlane_b32 s8, v55, 29
	v_rcp_iflag_f32_e32 v2, v2
	v_mul_f32_e32 v2, 0x4f7ffffe, v2
	v_cvt_u32_f32_e32 v2, v2
	v_readfirstlane_b32 s5, v2
	s_mul_i32 s4, s4, s5
	s_mul_hi_u32 s4, s5, s4
	s_add_i32 s5, s5, s4
	s_mul_hi_u32 s4, s8, s5
	s_mul_i32 s4, s4, s33
	s_sub_i32 s4, s8, s4
	s_sub_i32 s5, s4, s33
	s_cmp_ge_u32 s4, s33
	s_cselect_b32 s4, s5, s4
	s_sub_i32 s5, s4, s33
	s_cmp_ge_u32 s4, s33
	s_mov_b32 s8, s82
	s_cselect_b32 s82, s5, s4
	s_mov_b64 s[4:5], s[82:83]
	s_mov_b32 s82, s8
.LBB192_299:                            ;   in Loop: Header=BB192_6 Depth=1
	v_readlane_b32 s8, v55, 29
	s_sub_u32 s12, s8, s4
	v_readlane_b32 s8, v55, 31
	v_readlane_b32 s9, v55, 32
	s_subb_u32 s13, s9, s5
	v_cmp_gt_u64_e32 vcc, s[12:13], v[0:1]
                                        ; implicit-def: $vgpr24
	s_and_saveexec_b64 s[4:5], vcc
	s_cbranch_execz .LBB192_309
; %bb.300:                              ;   in Loop: Header=BB192_6 Depth=1
	v_mov_b32_e32 v2, v10
	v_mov_b32_e32 v5, v1
	s_mov_b64 s[14:15], 0
	v_mov_b32_e32 v3, v11
	v_mov_b32_e32 v4, v0
                                        ; implicit-def: $sgpr18_sgpr19
	s_branch .LBB192_304
.LBB192_301:                            ;   in Loop: Header=BB192_304 Depth=2
	s_or_b64 exec, exec, s[36:37]
	s_waitcnt lgkmcnt(0)
	s_barrier
	ds_read_b64 v[23:24], v13 offset:3072
	s_waitcnt lgkmcnt(0)
	s_barrier
	v_cmp_neq_f32_e32 vcc, 0, v23
	s_cbranch_vccnz .LBB192_307
; %bb.302:                              ;   in Loop: Header=BB192_304 Depth=2
	v_add_co_u32_e32 v4, vcc, s33, v4
	v_addc_co_u32_e32 v5, vcc, 0, v5, vcc
	v_mov_b32_e32 v6, s61
	v_add_co_u32_e32 v2, vcc, s60, v2
	v_addc_co_u32_e32 v3, vcc, v3, v6, vcc
	v_cmp_le_u64_e32 vcc, s[12:13], v[4:5]
	s_mov_b64 s[36:37], 0
	s_orn2_b64 s[38:39], vcc, exec
.LBB192_303:                            ;   in Loop: Header=BB192_304 Depth=2
	s_and_b64 s[38:39], exec, s[38:39]
	s_or_b64 s[14:15], s[38:39], s[14:15]
	s_andn2_b64 s[18:19], s[18:19], exec
	s_and_b64 s[36:37], s[36:37], exec
	s_or_b64 s[18:19], s[18:19], s[36:37]
	s_andn2_b64 exec, exec, s[14:15]
	s_cbranch_execz .LBB192_308
.LBB192_304:                            ;   Parent Loop BB192_6 Depth=1
                                        ; =>  This Inner Loop Header: Depth=2
	v_cmp_gt_u64_e32 vcc, s[56:57], v[4:5]
	s_and_saveexec_b64 s[36:37], vcc
	s_cbranch_execz .LBB192_301
; %bb.305:                              ;   in Loop: Header=BB192_304 Depth=2
	global_load_dword v23, v[2:3], off
	s_waitcnt vmcnt(0)
	v_cmp_lt_i32_e32 vcc, -1, v23
	v_cndmask_b32_e32 v6, -1, v40, vcc
	v_xor_b32_e32 v6, v6, v23
	v_cmp_o_f32_e32 vcc, v23, v23
	v_cndmask_b32_e32 v6, -1, v6, vcc
	v_and_b32_e32 v6, v6, v42
	v_cmp_eq_u32_e32 vcc, v6, v36
	s_and_b64 exec, exec, vcc
	s_cbranch_execz .LBB192_301
; %bb.306:                              ;   in Loop: Header=BB192_304 Depth=2
	ds_write_b64 v13, v[22:23] offset:3072
	s_branch .LBB192_301
.LBB192_307:                            ;   in Loop: Header=BB192_304 Depth=2
	s_mov_b64 s[38:39], -1
                                        ; implicit-def: $vgpr4_vgpr5
                                        ; implicit-def: $vgpr2_vgpr3
	s_mov_b64 s[36:37], -1
	s_branch .LBB192_303
.LBB192_308:                            ;   in Loop: Header=BB192_6 Depth=1
	s_or_b64 exec, exec, s[14:15]
	s_andn2_b64 s[0:1], s[0:1], exec
	s_and_b64 s[12:13], s[18:19], exec
	s_or_b64 s[0:1], s[0:1], s[12:13]
.LBB192_309:                            ;   in Loop: Header=BB192_6 Depth=1
	s_or_b64 exec, exec, s[4:5]
	s_mov_b64 s[18:19], 0
	s_mov_b64 s[14:15], -1
.LBB192_310:                            ;   in Loop: Header=BB192_6 Depth=1
	s_orn2_b64 s[0:1], s[0:1], exec
.LBB192_311:                            ;   in Loop: Header=BB192_6 Depth=1
	s_or_b64 exec, exec, s[34:35]
                                        ; implicit-def: $vgpr2_vgpr3
                                        ; implicit-def: $vgpr12
	s_and_saveexec_b64 s[34:35], s[0:1]
	s_cbranch_execz .LBB192_475
; %bb.312:                              ;   in Loop: Header=BB192_6 Depth=1
	v_mov_b32_e32 v2, 1
	s_xor_b64 s[6:7], s[6:7], -1
	v_mov_b32_e32 v12, 1
	v_mov_b32_e32 v3, 0
	s_mov_b64 s[4:5], 0
	s_and_saveexec_b64 s[0:1], s[6:7]
	s_cbranch_execz .LBB192_321
; %bb.313:                              ;   in Loop: Header=BB192_6 Depth=1
	v_cmp_ge_u64_e32 vcc, s[24:25], v[25:26]
	s_and_saveexec_b64 s[4:5], vcc
	s_xor_b64 s[4:5], exec, s[4:5]
	s_cbranch_execz .LBB192_318
; %bb.314:                              ;   in Loop: Header=BB192_6 Depth=1
	ds_read_b64 v[2:3], v13 offset:5120
	v_or_b32_e32 v36, s31, v36
	v_or_b32_e32 v42, s31, v42
	s_waitcnt lgkmcnt(0)
	v_cmp_ne_u64_e32 vcc, 0, v[2:3]
	s_cbranch_vccnz .LBB192_318
; %bb.315:                              ;   in Loop: Header=BB192_6 Depth=1
	v_readlane_b32 s8, v55, 8
	v_readlane_b32 s9, v55, 9
	s_and_saveexec_b64 s[6:7], s[8:9]
; %bb.316:                              ;   in Loop: Header=BB192_6 Depth=1
	v_mov_b32_e32 v2, s24
	v_mov_b32_e32 v3, s25
	ds_write_b64 v13, v[2:3] offset:5128
; %bb.317:                              ;   in Loop: Header=BB192_6 Depth=1
	s_or_b64 exec, exec, s[6:7]
	s_waitcnt lgkmcnt(0)
	s_barrier
.LBB192_318:                            ;   in Loop: Header=BB192_6 Depth=1
	s_or_saveexec_b64 s[4:5], s[4:5]
	s_mov_b64 s[6:7], 0
	v_mov_b32_e32 v12, 5
	s_xor_b64 exec, exec, s[4:5]
; %bb.319:                              ;   in Loop: Header=BB192_6 Depth=1
	v_subrev_co_u32_e32 v25, vcc, s24, v25
	v_mov_b32_e32 v2, s25
	v_subb_co_u32_e32 v26, vcc, v26, v2, vcc
	v_mov_b32_e32 v12, 0
	s_mov_b64 s[6:7], exec
; %bb.320:                              ;   in Loop: Header=BB192_6 Depth=1
	s_or_b64 exec, exec, s[4:5]
	v_mov_b32_e32 v2, v25
	s_and_b64 s[4:5], s[6:7], exec
	v_mov_b32_e32 v3, v26
.LBB192_321:                            ;   in Loop: Header=BB192_6 Depth=1
	s_or_b64 exec, exec, s[0:1]
	s_mov_b64 s[0:1], -1
                                        ; implicit-def: $sgpr24_sgpr25
                                        ; implicit-def: $sgpr36_sgpr37
	s_and_saveexec_b64 s[6:7], s[4:5]
	s_xor_b64 s[6:7], exec, s[6:7]
	s_cbranch_execz .LBB192_472
; %bb.322:                              ;   in Loop: Header=BB192_6 Depth=1
	s_cmp_eq_u64 s[22:23], 1
	v_cmp_eq_u64_e32 vcc, 1, v[2:3]
	s_cselect_b64 s[0:1], -1, 0
	s_and_b64 s[40:41], s[0:1], vcc
	s_mov_b64 s[0:1], -1
                                        ; implicit-def: $sgpr36_sgpr37
                                        ; implicit-def: $sgpr24_sgpr25
	s_and_saveexec_b64 s[38:39], s[40:41]
	s_cbranch_execz .LBB192_358
; %bb.323:                              ;   in Loop: Header=BB192_6 Depth=1
	ds_read_b64 v[4:5], v13 offset:5120
	v_readlane_b32 s8, v55, 24
	v_readlane_b32 s9, v55, 25
	s_waitcnt lgkmcnt(0)
	s_barrier
	v_readfirstlane_b32 s4, v4
	v_readfirstlane_b32 s5, v5
	s_and_saveexec_b64 s[0:1], s[8:9]
; %bb.324:                              ;   in Loop: Header=BB192_6 Depth=1
	ds_write_b32 v33, v13
; %bb.325:                              ;   in Loop: Header=BB192_6 Depth=1
	s_or_b64 exec, exec, s[0:1]
	v_and_b32_e32 v4, s82, v36
	v_lshl_or_b32 v36, 2, s30, v4
	v_or_b32_e32 v42, s31, v42
	s_mov_b64 s[24:25], -1
	s_mov_b64 s[36:37], 0
	s_cmp_eq_u64 s[4:5], 0
	s_mov_b64 s[0:1], 0
	s_mov_b64 s[12:13], -1
	s_waitcnt lgkmcnt(0)
	s_barrier
                                        ; implicit-def: $vgpr24
	s_cbranch_scc1 .LBB192_342
; %bb.326:                              ;   in Loop: Header=BB192_6 Depth=1
	v_readlane_b32 s0, v55, 28
	s_add_u32 s44, s4, s0
	v_readlane_b32 s0, v55, 30
	s_addc_u32 s1, s5, s0
	s_mov_b32 s0, s83
	s_cmp_lg_u64 s[0:1], 0
	s_cbranch_scc0 .LBB192_385
; %bb.327:                              ;   in Loop: Header=BB192_6 Depth=1
	v_cvt_f32_u32_e32 v4, s33
	s_sub_u32 s0, 0, s33
	s_subb_u32 s42, 0, 0
	v_mac_f32_e32 v4, 0, v41
	v_rcp_f32_e32 v4, v4
	v_mul_f32_e32 v4, 0x5f7ffffc, v4
	v_mul_f32_e32 v5, 0x2f800000, v4
	v_trunc_f32_e32 v5, v5
	v_mac_f32_e32 v4, 0xcf800000, v5
	v_cvt_u32_f32_e32 v5, v5
	v_cvt_u32_f32_e32 v4, v4
	v_readfirstlane_b32 s43, v5
	v_readfirstlane_b32 s12, v4
	s_mul_i32 s13, s0, s43
	s_mul_hi_u32 s46, s0, s12
	s_mul_i32 s45, s42, s12
	s_add_i32 s13, s46, s13
	s_mul_i32 s47, s0, s12
	s_add_i32 s13, s13, s45
	s_mul_hi_u32 s46, s12, s47
	s_mul_i32 s48, s12, s13
	s_mul_hi_u32 s45, s12, s13
	s_add_u32 s46, s46, s48
	s_addc_u32 s45, 0, s45
	s_mul_hi_u32 s49, s43, s47
	s_mul_i32 s47, s43, s47
	s_add_u32 s46, s46, s47
	s_mul_hi_u32 s48, s43, s13
	s_addc_u32 s45, s45, s49
	s_addc_u32 s46, s48, 0
	s_mul_i32 s13, s43, s13
	s_add_u32 s13, s45, s13
	s_addc_u32 s45, 0, s46
	s_add_u32 s46, s12, s13
	s_cselect_b64 s[12:13], -1, 0
	s_cmp_lg_u64 s[12:13], 0
	s_addc_u32 s43, s43, s45
	s_mul_i32 s12, s0, s43
	s_mul_hi_u32 s13, s0, s46
	s_add_i32 s12, s13, s12
	s_mul_i32 s42, s42, s46
	s_add_i32 s12, s12, s42
	s_mul_i32 s0, s0, s46
	s_mul_hi_u32 s42, s43, s0
	s_mul_i32 s45, s43, s0
	s_mul_i32 s48, s46, s12
	s_mul_hi_u32 s0, s46, s0
	s_mul_hi_u32 s47, s46, s12
	s_add_u32 s0, s0, s48
	s_addc_u32 s47, 0, s47
	s_add_u32 s0, s0, s45
	s_mul_hi_u32 s13, s43, s12
	s_addc_u32 s0, s47, s42
	s_addc_u32 s13, s13, 0
	s_mul_i32 s12, s43, s12
	s_add_u32 s0, s0, s12
	s_addc_u32 s42, 0, s13
	s_add_u32 s0, s46, s0
	s_cselect_b64 s[12:13], -1, 0
	s_cmp_lg_u64 s[12:13], 0
	s_addc_u32 s12, s43, s42
	s_mul_i32 s42, s44, s12
	s_mul_hi_u32 s43, s44, s0
	s_mul_hi_u32 s13, s44, s12
	s_add_u32 s42, s43, s42
	s_addc_u32 s13, 0, s13
	s_mul_hi_u32 s45, s1, s0
	s_mul_i32 s0, s1, s0
	s_add_u32 s0, s42, s0
	s_mul_hi_u32 s43, s1, s12
	s_addc_u32 s0, s13, s45
	s_addc_u32 s13, s43, 0
	s_mul_i32 s12, s1, s12
	s_add_u32 s0, s0, s12
	s_addc_u32 s12, 0, s13
	s_mul_i32 s12, s33, s12
	s_mul_hi_u32 s13, s33, s0
	s_add_i32 s42, s13, s12
	s_mul_i32 s0, s33, s0
	s_sub_u32 s0, s44, s0
	s_cselect_b64 s[12:13], -1, 0
	s_cmp_lg_u64 s[12:13], 0
	s_subb_u32 s42, s1, s42
	s_sub_u32 s43, s0, s33
	s_cselect_b64 s[12:13], -1, 0
	s_cmp_lg_u64 s[12:13], 0
	s_subb_u32 s45, s42, 0
	;; [unrolled: 4-line block ×3, first 2 shown]
	s_cmp_ge_u32 s43, s33
	s_cselect_b32 s13, -1, 0
	s_cmp_eq_u32 s45, 0
	s_cselect_b32 s13, s13, -1
	s_cmp_lg_u32 s13, 0
	s_cselect_b32 s12, s12, s45
	s_cselect_b32 s43, s46, s43
	s_cmp_ge_u32 s0, s33
	s_cselect_b32 s13, -1, 0
	s_cmp_eq_u32 s42, 0
	s_cselect_b32 s13, s13, -1
	s_cmp_lg_u32 s13, 0
	s_cselect_b32 s13, s12, s42
	s_cselect_b32 s12, s43, s0
	s_cbranch_execnz .LBB192_329
.LBB192_328:                            ;   in Loop: Header=BB192_6 Depth=1
	v_cvt_f32_u32_e32 v4, s33
	s_sub_i32 s0, 0, s33
	s_mov_b32 s8, s82
	v_rcp_iflag_f32_e32 v4, v4
	v_mul_f32_e32 v4, 0x4f7ffffe, v4
	v_cvt_u32_f32_e32 v4, v4
	v_readfirstlane_b32 s12, v4
	s_mul_i32 s0, s0, s12
	s_mul_hi_u32 s0, s12, s0
	s_add_i32 s12, s12, s0
	s_mul_hi_u32 s0, s44, s12
	s_mul_i32 s0, s0, s33
	s_sub_i32 s0, s44, s0
	s_sub_i32 s12, s0, s33
	s_cmp_ge_u32 s0, s33
	s_cselect_b32 s0, s12, s0
	s_sub_i32 s12, s0, s33
	s_cmp_ge_u32 s0, s33
	s_cselect_b32 s82, s12, s0
	s_mov_b64 s[12:13], s[82:83]
	s_mov_b32 s82, s8
.LBB192_329:                            ;   in Loop: Header=BB192_6 Depth=1
	s_sub_u32 s44, s44, s12
	s_subb_u32 s45, s1, s13
	v_cmp_gt_u64_e32 vcc, s[44:45], v[0:1]
	s_mov_b64 s[12:13], 0
	s_mov_b64 s[0:1], 0
                                        ; implicit-def: $vgpr24
	s_and_saveexec_b64 s[42:43], vcc
	s_cbranch_execz .LBB192_341
; %bb.330:                              ;   in Loop: Header=BB192_6 Depth=1
	v_mov_b32_e32 v5, v1
	v_mov_b32_e32 v6, v14
	;; [unrolled: 1-line block ×3, first 2 shown]
                                        ; implicit-def: $sgpr46_sgpr47
	s_branch .LBB192_334
.LBB192_331:                            ;   in Loop: Header=BB192_334 Depth=2
	s_or_b64 exec, exec, s[48:49]
	s_waitcnt lgkmcnt(0)
	s_barrier
	ds_read_b64 v[23:24], v13 offset:3072
	s_waitcnt lgkmcnt(0)
	s_barrier
	v_cmp_neq_f32_e32 vcc, 0, v23
	s_cbranch_vccnz .LBB192_337
; %bb.332:                              ;   in Loop: Header=BB192_334 Depth=2
	v_add_co_u32_e32 v4, vcc, s33, v4
	v_addc_co_u32_e32 v5, vcc, 0, v5, vcc
	v_cmp_le_u64_e32 vcc, s[44:45], v[4:5]
	v_add_u32_e32 v6, s95, v6
	s_mov_b64 s[48:49], 0
	s_orn2_b64 s[50:51], vcc, exec
.LBB192_333:                            ;   in Loop: Header=BB192_334 Depth=2
	s_and_b64 s[50:51], exec, s[50:51]
	s_or_b64 s[0:1], s[50:51], s[0:1]
	s_andn2_b64 s[46:47], s[46:47], exec
	s_and_b64 s[48:49], s[48:49], exec
	s_or_b64 s[46:47], s[46:47], s[48:49]
	s_andn2_b64 exec, exec, s[0:1]
	s_cbranch_execz .LBB192_340
.LBB192_334:                            ;   Parent Loop BB192_6 Depth=1
                                        ; =>  This Inner Loop Header: Depth=2
	v_cmp_gt_u64_e32 vcc, s[4:5], v[4:5]
	s_and_saveexec_b64 s[48:49], vcc
	s_cbranch_execz .LBB192_331
; %bb.335:                              ;   in Loop: Header=BB192_334 Depth=2
	ds_read_b32 v23, v6
	s_waitcnt lgkmcnt(0)
	v_cmp_lt_i32_e32 vcc, -1, v23
	v_cndmask_b32_e32 v7, -1, v40, vcc
	v_xor_b32_e32 v7, v7, v23
	v_cmp_o_f32_e32 vcc, v23, v23
	v_cndmask_b32_e32 v7, -1, v7, vcc
	v_and_b32_e32 v7, v7, v42
	v_cmp_eq_u32_e32 vcc, v7, v36
	s_and_b64 exec, exec, vcc
	s_cbranch_execz .LBB192_331
; %bb.336:                              ;   in Loop: Header=BB192_334 Depth=2
	ds_write_b64 v13, v[22:23] offset:3072
	s_branch .LBB192_331
.LBB192_337:                            ;   in Loop: Header=BB192_334 Depth=2
	s_mov_b64 s[50:51], -1
                                        ; implicit-def: $vgpr4_vgpr5
                                        ; implicit-def: $vgpr6
	s_mov_b64 s[48:49], -1
	s_branch .LBB192_333
.LBB192_338:                            ;   in Loop: Header=BB192_6 Depth=1
                                        ; implicit-def: $sgpr12_sgpr13
	s_branch .LBB192_282
.LBB192_339:                            ;   in Loop: Header=BB192_6 Depth=1
                                        ; implicit-def: $sgpr4_sgpr5
	s_branch .LBB192_298
.LBB192_340:                            ;   in Loop: Header=BB192_6 Depth=1
	s_or_b64 exec, exec, s[0:1]
	s_and_b64 s[0:1], s[46:47], exec
.LBB192_341:                            ;   in Loop: Header=BB192_6 Depth=1
	s_or_b64 exec, exec, s[42:43]
.LBB192_342:                            ;   in Loop: Header=BB192_6 Depth=1
	s_and_b64 vcc, exec, s[12:13]
	s_cbranch_vccz .LBB192_357
; %bb.343:                              ;   in Loop: Header=BB192_6 Depth=1
	v_readlane_b32 s8, v55, 31
	v_readlane_b32 s9, v55, 32
	s_mov_b32 s8, s83
	s_cmp_lg_u64 s[8:9], 0
	v_writelane_b32 v55, s8, 31
	v_writelane_b32 v55, s9, 32
	s_cbranch_scc0 .LBB192_386
; %bb.344:                              ;   in Loop: Header=BB192_6 Depth=1
	v_cvt_f32_u32_e32 v4, s33
	s_sub_u32 s12, 0, s33
	s_subb_u32 s13, 0, 0
	v_readlane_b32 s8, v55, 29
	v_mac_f32_e32 v4, 0, v41
	v_rcp_f32_e32 v4, v4
	v_mul_f32_e32 v4, 0x5f7ffffc, v4
	v_mul_f32_e32 v5, 0x2f800000, v4
	v_trunc_f32_e32 v5, v5
	v_mac_f32_e32 v4, 0xcf800000, v5
	v_cvt_u32_f32_e32 v5, v5
	v_cvt_u32_f32_e32 v4, v4
	v_readfirstlane_b32 s24, v5
	v_readfirstlane_b32 s4, v4
	s_mul_i32 s5, s12, s24
	s_mul_hi_u32 s36, s12, s4
	s_mul_i32 s25, s13, s4
	s_add_i32 s5, s36, s5
	s_mul_i32 s37, s12, s4
	s_add_i32 s5, s5, s25
	s_mul_hi_u32 s36, s4, s37
	s_mul_i32 s42, s4, s5
	s_mul_hi_u32 s25, s4, s5
	s_add_u32 s36, s36, s42
	s_addc_u32 s25, 0, s25
	s_mul_hi_u32 s43, s24, s37
	s_mul_i32 s37, s24, s37
	s_add_u32 s36, s36, s37
	s_mul_hi_u32 s42, s24, s5
	s_addc_u32 s25, s25, s43
	s_addc_u32 s36, s42, 0
	s_mul_i32 s5, s24, s5
	s_add_u32 s5, s25, s5
	s_addc_u32 s25, 0, s36
	s_add_u32 s36, s4, s5
	s_cselect_b64 s[4:5], -1, 0
	s_cmp_lg_u64 s[4:5], 0
	s_addc_u32 s24, s24, s25
	s_mul_i32 s4, s12, s24
	s_mul_hi_u32 s5, s12, s36
	s_add_i32 s4, s5, s4
	s_mul_i32 s13, s13, s36
	s_add_i32 s4, s4, s13
	s_mul_i32 s12, s12, s36
	s_mul_hi_u32 s13, s24, s12
	s_mul_i32 s25, s24, s12
	s_mul_i32 s42, s36, s4
	s_mul_hi_u32 s12, s36, s12
	s_mul_hi_u32 s37, s36, s4
	s_add_u32 s12, s12, s42
	s_addc_u32 s37, 0, s37
	s_add_u32 s12, s12, s25
	s_mul_hi_u32 s5, s24, s4
	s_addc_u32 s12, s37, s13
	s_addc_u32 s5, s5, 0
	s_mul_i32 s4, s24, s4
	s_add_u32 s4, s12, s4
	s_addc_u32 s12, 0, s5
	s_add_u32 s13, s36, s4
	s_cselect_b64 s[4:5], -1, 0
	s_cmp_lg_u64 s[4:5], 0
	s_addc_u32 s4, s24, s12
	s_mul_i32 s12, s8, s4
	s_mul_hi_u32 s24, s8, s13
	s_mul_hi_u32 s5, s8, s4
	s_add_u32 s12, s24, s12
	s_addc_u32 s5, 0, s5
	s_mul_hi_u32 s25, s9, s13
	s_mul_i32 s13, s9, s13
	s_add_u32 s12, s12, s13
	s_mul_hi_u32 s24, s9, s4
	s_addc_u32 s5, s5, s25
	s_addc_u32 s12, s24, 0
	s_mul_i32 s4, s9, s4
	s_add_u32 s4, s5, s4
	s_addc_u32 s5, 0, s12
	s_mul_i32 s5, s33, s5
	s_mul_hi_u32 s12, s33, s4
	s_add_i32 s12, s12, s5
	s_mul_i32 s4, s33, s4
	s_sub_u32 s13, s8, s4
	s_cselect_b64 s[4:5], -1, 0
	s_cmp_lg_u64 s[4:5], 0
	s_subb_u32 s12, s9, s12
	s_sub_u32 s24, s13, s33
	s_cselect_b64 s[4:5], -1, 0
	s_cmp_lg_u64 s[4:5], 0
	s_subb_u32 s25, s12, 0
	;; [unrolled: 4-line block ×3, first 2 shown]
	s_cmp_ge_u32 s24, s33
	s_cselect_b32 s5, -1, 0
	s_cmp_eq_u32 s25, 0
	s_cselect_b32 s5, s5, -1
	s_cmp_lg_u32 s5, 0
	s_cselect_b32 s4, s4, s25
	s_cselect_b32 s24, s36, s24
	s_cmp_ge_u32 s13, s33
	s_cselect_b32 s5, -1, 0
	s_cmp_eq_u32 s12, 0
	s_cselect_b32 s5, s5, -1
	s_cmp_lg_u32 s5, 0
	s_cselect_b32 s5, s4, s12
	s_cselect_b32 s4, s24, s13
	s_cbranch_execnz .LBB192_346
.LBB192_345:                            ;   in Loop: Header=BB192_6 Depth=1
	v_cvt_f32_u32_e32 v4, s33
	s_sub_i32 s4, 0, s33
	v_readlane_b32 s8, v55, 29
	v_rcp_iflag_f32_e32 v4, v4
	v_mul_f32_e32 v4, 0x4f7ffffe, v4
	v_cvt_u32_f32_e32 v4, v4
	v_readfirstlane_b32 s5, v4
	s_mul_i32 s4, s4, s5
	s_mul_hi_u32 s4, s5, s4
	s_add_i32 s5, s5, s4
	s_mul_hi_u32 s4, s8, s5
	s_mul_i32 s4, s4, s33
	s_sub_i32 s4, s8, s4
	s_sub_i32 s5, s4, s33
	s_cmp_ge_u32 s4, s33
	s_cselect_b32 s4, s5, s4
	s_sub_i32 s5, s4, s33
	s_cmp_ge_u32 s4, s33
	s_mov_b32 s8, s82
	s_cselect_b32 s82, s5, s4
	s_mov_b64 s[4:5], s[82:83]
	s_mov_b32 s82, s8
.LBB192_346:                            ;   in Loop: Header=BB192_6 Depth=1
	v_readlane_b32 s8, v55, 29
	s_sub_u32 s12, s8, s4
	v_readlane_b32 s8, v55, 31
	v_readlane_b32 s9, v55, 32
	s_subb_u32 s13, s9, s5
	v_cmp_gt_u64_e32 vcc, s[12:13], v[0:1]
                                        ; implicit-def: $vgpr24
	s_and_saveexec_b64 s[4:5], vcc
	s_cbranch_execz .LBB192_356
; %bb.347:                              ;   in Loop: Header=BB192_6 Depth=1
	v_mov_b32_e32 v4, v10
	v_mov_b32_e32 v7, v1
	s_mov_b64 s[24:25], 0
	v_mov_b32_e32 v5, v11
	v_mov_b32_e32 v6, v0
                                        ; implicit-def: $sgpr36_sgpr37
	s_branch .LBB192_351
.LBB192_348:                            ;   in Loop: Header=BB192_351 Depth=2
	s_or_b64 exec, exec, s[42:43]
	s_waitcnt lgkmcnt(0)
	s_barrier
	ds_read_b64 v[23:24], v13 offset:3072
	s_waitcnt lgkmcnt(0)
	s_barrier
	v_cmp_eq_f32_e32 vcc, 0, v23
	s_cbranch_vccz .LBB192_354
; %bb.349:                              ;   in Loop: Header=BB192_351 Depth=2
	v_add_co_u32_e32 v6, vcc, s33, v6
	v_addc_co_u32_e32 v7, vcc, 0, v7, vcc
	v_mov_b32_e32 v8, s61
	v_add_co_u32_e32 v4, vcc, s60, v4
	v_addc_co_u32_e32 v5, vcc, v5, v8, vcc
	v_cmp_le_u64_e32 vcc, s[12:13], v[6:7]
	s_mov_b64 s[42:43], 0
	s_orn2_b64 s[44:45], vcc, exec
.LBB192_350:                            ;   in Loop: Header=BB192_351 Depth=2
	s_and_b64 s[44:45], exec, s[44:45]
	s_or_b64 s[24:25], s[44:45], s[24:25]
	s_andn2_b64 s[36:37], s[36:37], exec
	s_and_b64 s[42:43], s[42:43], exec
	s_or_b64 s[36:37], s[36:37], s[42:43]
	s_andn2_b64 exec, exec, s[24:25]
	s_cbranch_execz .LBB192_355
.LBB192_351:                            ;   Parent Loop BB192_6 Depth=1
                                        ; =>  This Inner Loop Header: Depth=2
	v_cmp_gt_u64_e32 vcc, s[56:57], v[6:7]
	s_and_saveexec_b64 s[42:43], vcc
	s_cbranch_execz .LBB192_348
; %bb.352:                              ;   in Loop: Header=BB192_351 Depth=2
	global_load_dword v23, v[4:5], off
	s_waitcnt vmcnt(0)
	v_cmp_lt_i32_e32 vcc, -1, v23
	v_cndmask_b32_e32 v8, -1, v40, vcc
	v_xor_b32_e32 v8, v8, v23
	v_cmp_o_f32_e32 vcc, v23, v23
	v_cndmask_b32_e32 v8, -1, v8, vcc
	v_and_b32_e32 v8, v8, v42
	v_cmp_eq_u32_e32 vcc, v8, v36
	s_and_b64 exec, exec, vcc
	s_cbranch_execz .LBB192_348
; %bb.353:                              ;   in Loop: Header=BB192_351 Depth=2
	ds_write_b64 v13, v[22:23] offset:3072
	s_branch .LBB192_348
.LBB192_354:                            ;   in Loop: Header=BB192_351 Depth=2
	s_mov_b64 s[44:45], -1
                                        ; implicit-def: $vgpr6_vgpr7
                                        ; implicit-def: $vgpr4_vgpr5
	s_mov_b64 s[42:43], -1
	s_branch .LBB192_350
.LBB192_355:                            ;   in Loop: Header=BB192_6 Depth=1
	s_or_b64 exec, exec, s[24:25]
	s_andn2_b64 s[0:1], s[0:1], exec
	s_and_b64 s[12:13], s[36:37], exec
	s_or_b64 s[0:1], s[0:1], s[12:13]
.LBB192_356:                            ;   in Loop: Header=BB192_6 Depth=1
	s_or_b64 exec, exec, s[4:5]
	s_mov_b64 s[24:25], 0
	s_mov_b64 s[36:37], -1
.LBB192_357:                            ;   in Loop: Header=BB192_6 Depth=1
	s_orn2_b64 s[0:1], s[0:1], exec
.LBB192_358:                            ;   in Loop: Header=BB192_6 Depth=1
	s_or_b64 exec, exec, s[38:39]
	s_mov_b64 s[4:5], 0
	s_and_saveexec_b64 s[38:39], s[0:1]
	s_cbranch_execz .LBB192_471
; %bb.359:                              ;   in Loop: Header=BB192_6 Depth=1
	v_mov_b32_e32 v4, 1
	s_xor_b64 s[12:13], s[40:41], -1
	v_mov_b32_e32 v12, 1
	v_mov_b32_e32 v5, 0
	s_and_saveexec_b64 s[0:1], s[12:13]
	s_cbranch_execz .LBB192_368
; %bb.360:                              ;   in Loop: Header=BB192_6 Depth=1
	v_cmp_ge_u64_e32 vcc, s[22:23], v[2:3]
	s_and_saveexec_b64 s[4:5], vcc
	s_xor_b64 s[4:5], exec, s[4:5]
	s_cbranch_execz .LBB192_365
; %bb.361:                              ;   in Loop: Header=BB192_6 Depth=1
	v_and_b32_e32 v4, s82, v36
	v_lshl_or_b32 v36, 2, s30, v4
	ds_read_b64 v[4:5], v13 offset:5120
	v_or_b32_e32 v42, s31, v42
	s_waitcnt lgkmcnt(0)
	v_cmp_ne_u64_e32 vcc, 0, v[4:5]
	s_cbranch_vccnz .LBB192_365
; %bb.362:                              ;   in Loop: Header=BB192_6 Depth=1
	v_readlane_b32 s8, v55, 8
	v_readlane_b32 s9, v55, 9
	s_and_saveexec_b64 s[12:13], s[8:9]
; %bb.363:                              ;   in Loop: Header=BB192_6 Depth=1
	v_mov_b32_e32 v4, s22
	v_mov_b32_e32 v5, s23
	ds_write_b64 v13, v[4:5] offset:5128
; %bb.364:                              ;   in Loop: Header=BB192_6 Depth=1
	s_or_b64 exec, exec, s[12:13]
	s_waitcnt lgkmcnt(0)
	s_barrier
.LBB192_365:                            ;   in Loop: Header=BB192_6 Depth=1
	s_or_saveexec_b64 s[4:5], s[4:5]
	s_mov_b64 s[12:13], 0
	v_mov_b32_e32 v12, 5
	s_xor_b64 exec, exec, s[4:5]
; %bb.366:                              ;   in Loop: Header=BB192_6 Depth=1
	v_subrev_co_u32_e32 v2, vcc, s22, v2
	v_mov_b32_e32 v4, s23
	v_subb_co_u32_e32 v3, vcc, v3, v4, vcc
	v_mov_b32_e32 v12, 0
	s_mov_b64 s[12:13], exec
; %bb.367:                              ;   in Loop: Header=BB192_6 Depth=1
	s_or_b64 exec, exec, s[4:5]
	v_mov_b32_e32 v5, v3
	s_and_b64 s[4:5], s[12:13], exec
	v_mov_b32_e32 v4, v2
.LBB192_368:                            ;   in Loop: Header=BB192_6 Depth=1
	s_or_b64 exec, exec, s[0:1]
	s_mov_b64 s[0:1], -1
                                        ; implicit-def: $sgpr40_sgpr41
                                        ; implicit-def: $sgpr42_sgpr43
	s_and_saveexec_b64 s[22:23], s[4:5]
	s_cbranch_execz .LBB192_470
; %bb.369:                              ;   in Loop: Header=BB192_6 Depth=1
	s_cmp_eq_u64 s[20:21], 1
	v_cmp_eq_u64_e32 vcc, 1, v[4:5]
	s_cselect_b64 s[0:1], -1, 0
	s_and_b64 s[46:47], s[0:1], vcc
	s_mov_b64 s[0:1], -1
                                        ; implicit-def: $sgpr42_sgpr43
                                        ; implicit-def: $sgpr40_sgpr41
	s_and_saveexec_b64 s[44:45], s[46:47]
	s_cbranch_execz .LBB192_405
; %bb.370:                              ;   in Loop: Header=BB192_6 Depth=1
	ds_read_b64 v[2:3], v13 offset:5120
	v_readlane_b32 s8, v55, 24
	v_readlane_b32 s9, v55, 25
	s_waitcnt lgkmcnt(0)
	s_barrier
	v_readfirstlane_b32 s4, v2
	v_readfirstlane_b32 s5, v3
	s_and_saveexec_b64 s[0:1], s[8:9]
; %bb.371:                              ;   in Loop: Header=BB192_6 Depth=1
	ds_write_b32 v33, v13
; %bb.372:                              ;   in Loop: Header=BB192_6 Depth=1
	s_or_b64 exec, exec, s[0:1]
	v_and_b32_e32 v2, s82, v36
	v_lshl_or_b32 v36, 1, s30, v2
	v_or_b32_e32 v42, s31, v42
	s_mov_b64 s[40:41], -1
	s_mov_b64 s[42:43], 0
	s_cmp_eq_u64 s[4:5], 0
	s_mov_b64 s[0:1], 0
	s_mov_b64 s[12:13], -1
	s_waitcnt lgkmcnt(0)
	s_barrier
                                        ; implicit-def: $vgpr24
	s_cbranch_scc1 .LBB192_389
; %bb.373:                              ;   in Loop: Header=BB192_6 Depth=1
	v_readlane_b32 s0, v55, 28
	s_add_u32 s50, s4, s0
	v_readlane_b32 s0, v55, 30
	s_addc_u32 s1, s5, s0
	s_mov_b32 s0, s83
	s_cmp_lg_u64 s[0:1], 0
	s_cbranch_scc0 .LBB192_422
; %bb.374:                              ;   in Loop: Header=BB192_6 Depth=1
	v_cvt_f32_u32_e32 v2, s33
	s_sub_u32 s0, 0, s33
	s_subb_u32 s48, 0, 0
	v_mac_f32_e32 v2, 0, v41
	v_rcp_f32_e32 v2, v2
	v_mul_f32_e32 v2, 0x5f7ffffc, v2
	v_mul_f32_e32 v3, 0x2f800000, v2
	v_trunc_f32_e32 v3, v3
	v_mac_f32_e32 v2, 0xcf800000, v3
	v_cvt_u32_f32_e32 v3, v3
	v_cvt_u32_f32_e32 v2, v2
	v_readfirstlane_b32 s49, v3
	v_readfirstlane_b32 s12, v2
	s_mul_i32 s13, s0, s49
	s_mul_hi_u32 s52, s0, s12
	s_mul_i32 s51, s48, s12
	s_add_i32 s13, s52, s13
	s_mul_i32 s53, s0, s12
	s_add_i32 s13, s13, s51
	s_mul_hi_u32 s52, s12, s53
	s_mul_i32 s54, s12, s13
	s_mul_hi_u32 s51, s12, s13
	s_add_u32 s52, s52, s54
	s_addc_u32 s51, 0, s51
	s_mul_hi_u32 s55, s49, s53
	s_mul_i32 s53, s49, s53
	s_add_u32 s52, s52, s53
	s_mul_hi_u32 s54, s49, s13
	s_addc_u32 s51, s51, s55
	s_addc_u32 s52, s54, 0
	s_mul_i32 s13, s49, s13
	s_add_u32 s13, s51, s13
	s_addc_u32 s51, 0, s52
	s_add_u32 s52, s12, s13
	s_cselect_b64 s[12:13], -1, 0
	s_cmp_lg_u64 s[12:13], 0
	s_addc_u32 s49, s49, s51
	s_mul_i32 s12, s0, s49
	s_mul_hi_u32 s13, s0, s52
	s_add_i32 s12, s13, s12
	s_mul_i32 s48, s48, s52
	s_add_i32 s12, s12, s48
	s_mul_i32 s0, s0, s52
	s_mul_hi_u32 s48, s49, s0
	s_mul_i32 s51, s49, s0
	s_mul_i32 s54, s52, s12
	s_mul_hi_u32 s0, s52, s0
	s_mul_hi_u32 s53, s52, s12
	s_add_u32 s0, s0, s54
	s_addc_u32 s53, 0, s53
	s_add_u32 s0, s0, s51
	s_mul_hi_u32 s13, s49, s12
	s_addc_u32 s0, s53, s48
	s_addc_u32 s13, s13, 0
	s_mul_i32 s12, s49, s12
	s_add_u32 s0, s0, s12
	s_addc_u32 s48, 0, s13
	s_add_u32 s0, s52, s0
	s_cselect_b64 s[12:13], -1, 0
	s_cmp_lg_u64 s[12:13], 0
	s_addc_u32 s12, s49, s48
	s_mul_i32 s48, s50, s12
	s_mul_hi_u32 s49, s50, s0
	s_mul_hi_u32 s13, s50, s12
	s_add_u32 s48, s49, s48
	s_addc_u32 s13, 0, s13
	s_mul_hi_u32 s51, s1, s0
	s_mul_i32 s0, s1, s0
	s_add_u32 s0, s48, s0
	s_mul_hi_u32 s49, s1, s12
	s_addc_u32 s0, s13, s51
	s_addc_u32 s13, s49, 0
	s_mul_i32 s12, s1, s12
	s_add_u32 s0, s0, s12
	s_addc_u32 s12, 0, s13
	s_mul_i32 s12, s33, s12
	s_mul_hi_u32 s13, s33, s0
	s_add_i32 s48, s13, s12
	s_mul_i32 s0, s33, s0
	s_sub_u32 s0, s50, s0
	s_cselect_b64 s[12:13], -1, 0
	s_cmp_lg_u64 s[12:13], 0
	s_subb_u32 s48, s1, s48
	s_sub_u32 s49, s0, s33
	s_cselect_b64 s[12:13], -1, 0
	s_cmp_lg_u64 s[12:13], 0
	s_subb_u32 s51, s48, 0
	;; [unrolled: 4-line block ×3, first 2 shown]
	s_cmp_ge_u32 s49, s33
	s_cselect_b32 s13, -1, 0
	s_cmp_eq_u32 s51, 0
	s_cselect_b32 s13, s13, -1
	s_cmp_lg_u32 s13, 0
	s_cselect_b32 s12, s12, s51
	s_cselect_b32 s49, s52, s49
	s_cmp_ge_u32 s0, s33
	s_cselect_b32 s13, -1, 0
	s_cmp_eq_u32 s48, 0
	s_cselect_b32 s13, s13, -1
	s_cmp_lg_u32 s13, 0
	s_cselect_b32 s13, s12, s48
	s_cselect_b32 s12, s49, s0
	s_cbranch_execnz .LBB192_376
.LBB192_375:                            ;   in Loop: Header=BB192_6 Depth=1
	v_cvt_f32_u32_e32 v2, s33
	s_sub_i32 s0, 0, s33
	s_mov_b32 s8, s82
	v_rcp_iflag_f32_e32 v2, v2
	v_mul_f32_e32 v2, 0x4f7ffffe, v2
	v_cvt_u32_f32_e32 v2, v2
	v_readfirstlane_b32 s12, v2
	s_mul_i32 s0, s0, s12
	s_mul_hi_u32 s0, s12, s0
	s_add_i32 s12, s12, s0
	s_mul_hi_u32 s0, s50, s12
	s_mul_i32 s0, s0, s33
	s_sub_i32 s0, s50, s0
	s_sub_i32 s12, s0, s33
	s_cmp_ge_u32 s0, s33
	s_cselect_b32 s0, s12, s0
	s_sub_i32 s12, s0, s33
	s_cmp_ge_u32 s0, s33
	s_cselect_b32 s82, s12, s0
	s_mov_b64 s[12:13], s[82:83]
	s_mov_b32 s82, s8
.LBB192_376:                            ;   in Loop: Header=BB192_6 Depth=1
	s_sub_u32 s50, s50, s12
	s_subb_u32 s51, s1, s13
	v_cmp_gt_u64_e32 vcc, s[50:51], v[0:1]
	s_mov_b64 s[12:13], 0
	s_mov_b64 s[0:1], 0
                                        ; implicit-def: $vgpr24
	s_and_saveexec_b64 s[48:49], vcc
	s_cbranch_execz .LBB192_388
; %bb.377:                              ;   in Loop: Header=BB192_6 Depth=1
	v_mov_b32_e32 v3, v1
	v_mov_b32_e32 v6, v14
	;; [unrolled: 1-line block ×3, first 2 shown]
                                        ; implicit-def: $sgpr52_sgpr53
	s_branch .LBB192_381
.LBB192_378:                            ;   in Loop: Header=BB192_381 Depth=2
	s_or_b64 exec, exec, s[54:55]
	s_waitcnt lgkmcnt(0)
	s_barrier
	ds_read_b64 v[23:24], v13 offset:3072
	s_waitcnt lgkmcnt(0)
	s_barrier
	v_cmp_neq_f32_e32 vcc, 0, v23
	s_cbranch_vccnz .LBB192_384
; %bb.379:                              ;   in Loop: Header=BB192_381 Depth=2
	v_add_co_u32_e32 v2, vcc, s33, v2
	v_addc_co_u32_e32 v3, vcc, 0, v3, vcc
	v_cmp_le_u64_e32 vcc, s[50:51], v[2:3]
	v_add_u32_e32 v6, s95, v6
	s_mov_b64 s[54:55], 0
	s_orn2_b64 s[70:71], vcc, exec
.LBB192_380:                            ;   in Loop: Header=BB192_381 Depth=2
	s_and_b64 s[70:71], exec, s[70:71]
	s_or_b64 s[0:1], s[70:71], s[0:1]
	s_andn2_b64 s[52:53], s[52:53], exec
	s_and_b64 s[54:55], s[54:55], exec
	s_or_b64 s[52:53], s[52:53], s[54:55]
	s_andn2_b64 exec, exec, s[0:1]
	s_cbranch_execz .LBB192_387
.LBB192_381:                            ;   Parent Loop BB192_6 Depth=1
                                        ; =>  This Inner Loop Header: Depth=2
	v_cmp_gt_u64_e32 vcc, s[4:5], v[2:3]
	s_and_saveexec_b64 s[54:55], vcc
	s_cbranch_execz .LBB192_378
; %bb.382:                              ;   in Loop: Header=BB192_381 Depth=2
	ds_read_b32 v23, v6
	s_waitcnt lgkmcnt(0)
	v_cmp_lt_i32_e32 vcc, -1, v23
	v_cndmask_b32_e32 v7, -1, v40, vcc
	v_xor_b32_e32 v7, v7, v23
	v_cmp_o_f32_e32 vcc, v23, v23
	v_cndmask_b32_e32 v7, -1, v7, vcc
	v_and_b32_e32 v7, v7, v42
	v_cmp_eq_u32_e32 vcc, v7, v36
	s_and_b64 exec, exec, vcc
	s_cbranch_execz .LBB192_378
; %bb.383:                              ;   in Loop: Header=BB192_381 Depth=2
	ds_write_b64 v13, v[22:23] offset:3072
	s_branch .LBB192_378
.LBB192_384:                            ;   in Loop: Header=BB192_381 Depth=2
	s_mov_b64 s[70:71], -1
                                        ; implicit-def: $vgpr2_vgpr3
                                        ; implicit-def: $vgpr6
	s_mov_b64 s[54:55], -1
	s_branch .LBB192_380
.LBB192_385:                            ;   in Loop: Header=BB192_6 Depth=1
                                        ; implicit-def: $sgpr12_sgpr13
	s_branch .LBB192_328
.LBB192_386:                            ;   in Loop: Header=BB192_6 Depth=1
                                        ; implicit-def: $sgpr4_sgpr5
	s_branch .LBB192_345
.LBB192_387:                            ;   in Loop: Header=BB192_6 Depth=1
	s_or_b64 exec, exec, s[0:1]
	s_and_b64 s[0:1], s[52:53], exec
.LBB192_388:                            ;   in Loop: Header=BB192_6 Depth=1
	s_or_b64 exec, exec, s[48:49]
.LBB192_389:                            ;   in Loop: Header=BB192_6 Depth=1
	s_and_b64 vcc, exec, s[12:13]
	s_cbranch_vccz .LBB192_404
; %bb.390:                              ;   in Loop: Header=BB192_6 Depth=1
	v_readlane_b32 s8, v55, 31
	v_readlane_b32 s9, v55, 32
	s_mov_b32 s8, s83
	s_cmp_lg_u64 s[8:9], 0
	v_writelane_b32 v55, s8, 31
	v_writelane_b32 v55, s9, 32
	s_cbranch_scc0 .LBB192_423
; %bb.391:                              ;   in Loop: Header=BB192_6 Depth=1
	v_cvt_f32_u32_e32 v2, s33
	s_sub_u32 s12, 0, s33
	s_subb_u32 s13, 0, 0
	v_readlane_b32 s8, v55, 29
	v_mac_f32_e32 v2, 0, v41
	v_rcp_f32_e32 v2, v2
	v_mul_f32_e32 v2, 0x5f7ffffc, v2
	v_mul_f32_e32 v3, 0x2f800000, v2
	v_trunc_f32_e32 v3, v3
	v_mac_f32_e32 v2, 0xcf800000, v3
	v_cvt_u32_f32_e32 v3, v3
	v_cvt_u32_f32_e32 v2, v2
	v_readfirstlane_b32 s40, v3
	v_readfirstlane_b32 s4, v2
	s_mul_i32 s5, s12, s40
	s_mul_hi_u32 s42, s12, s4
	s_mul_i32 s41, s13, s4
	s_add_i32 s5, s42, s5
	s_mul_i32 s43, s12, s4
	s_add_i32 s5, s5, s41
	s_mul_hi_u32 s42, s4, s43
	s_mul_i32 s48, s4, s5
	s_mul_hi_u32 s41, s4, s5
	s_add_u32 s42, s42, s48
	s_addc_u32 s41, 0, s41
	s_mul_hi_u32 s49, s40, s43
	s_mul_i32 s43, s40, s43
	s_add_u32 s42, s42, s43
	s_mul_hi_u32 s48, s40, s5
	s_addc_u32 s41, s41, s49
	s_addc_u32 s42, s48, 0
	s_mul_i32 s5, s40, s5
	s_add_u32 s5, s41, s5
	s_addc_u32 s41, 0, s42
	s_add_u32 s42, s4, s5
	s_cselect_b64 s[4:5], -1, 0
	s_cmp_lg_u64 s[4:5], 0
	s_addc_u32 s40, s40, s41
	s_mul_i32 s4, s12, s40
	s_mul_hi_u32 s5, s12, s42
	s_add_i32 s4, s5, s4
	s_mul_i32 s13, s13, s42
	s_add_i32 s4, s4, s13
	s_mul_i32 s12, s12, s42
	s_mul_hi_u32 s13, s40, s12
	s_mul_i32 s41, s40, s12
	s_mul_i32 s48, s42, s4
	s_mul_hi_u32 s12, s42, s12
	s_mul_hi_u32 s43, s42, s4
	s_add_u32 s12, s12, s48
	s_addc_u32 s43, 0, s43
	s_add_u32 s12, s12, s41
	s_mul_hi_u32 s5, s40, s4
	s_addc_u32 s12, s43, s13
	s_addc_u32 s5, s5, 0
	s_mul_i32 s4, s40, s4
	s_add_u32 s4, s12, s4
	s_addc_u32 s12, 0, s5
	s_add_u32 s13, s42, s4
	s_cselect_b64 s[4:5], -1, 0
	s_cmp_lg_u64 s[4:5], 0
	s_addc_u32 s4, s40, s12
	s_mul_i32 s12, s8, s4
	s_mul_hi_u32 s40, s8, s13
	s_mul_hi_u32 s5, s8, s4
	s_add_u32 s12, s40, s12
	s_addc_u32 s5, 0, s5
	s_mul_hi_u32 s41, s9, s13
	s_mul_i32 s13, s9, s13
	s_add_u32 s12, s12, s13
	s_mul_hi_u32 s40, s9, s4
	s_addc_u32 s5, s5, s41
	s_addc_u32 s12, s40, 0
	s_mul_i32 s4, s9, s4
	s_add_u32 s4, s5, s4
	s_addc_u32 s5, 0, s12
	s_mul_i32 s5, s33, s5
	s_mul_hi_u32 s12, s33, s4
	s_add_i32 s12, s12, s5
	s_mul_i32 s4, s33, s4
	s_sub_u32 s13, s8, s4
	s_cselect_b64 s[4:5], -1, 0
	s_cmp_lg_u64 s[4:5], 0
	s_subb_u32 s12, s9, s12
	s_sub_u32 s40, s13, s33
	s_cselect_b64 s[4:5], -1, 0
	s_cmp_lg_u64 s[4:5], 0
	s_subb_u32 s41, s12, 0
	;; [unrolled: 4-line block ×3, first 2 shown]
	s_cmp_ge_u32 s40, s33
	s_cselect_b32 s5, -1, 0
	s_cmp_eq_u32 s41, 0
	s_cselect_b32 s5, s5, -1
	s_cmp_lg_u32 s5, 0
	s_cselect_b32 s4, s4, s41
	s_cselect_b32 s40, s42, s40
	s_cmp_ge_u32 s13, s33
	s_cselect_b32 s5, -1, 0
	s_cmp_eq_u32 s12, 0
	s_cselect_b32 s5, s5, -1
	s_cmp_lg_u32 s5, 0
	s_cselect_b32 s5, s4, s12
	s_cselect_b32 s4, s40, s13
	s_cbranch_execnz .LBB192_393
.LBB192_392:                            ;   in Loop: Header=BB192_6 Depth=1
	v_cvt_f32_u32_e32 v2, s33
	s_sub_i32 s4, 0, s33
	v_readlane_b32 s8, v55, 29
	v_rcp_iflag_f32_e32 v2, v2
	v_mul_f32_e32 v2, 0x4f7ffffe, v2
	v_cvt_u32_f32_e32 v2, v2
	v_readfirstlane_b32 s5, v2
	s_mul_i32 s4, s4, s5
	s_mul_hi_u32 s4, s5, s4
	s_add_i32 s5, s5, s4
	s_mul_hi_u32 s4, s8, s5
	s_mul_i32 s4, s4, s33
	s_sub_i32 s4, s8, s4
	s_sub_i32 s5, s4, s33
	s_cmp_ge_u32 s4, s33
	s_cselect_b32 s4, s5, s4
	s_sub_i32 s5, s4, s33
	s_cmp_ge_u32 s4, s33
	s_mov_b32 s8, s82
	s_cselect_b32 s82, s5, s4
	s_mov_b64 s[4:5], s[82:83]
	s_mov_b32 s82, s8
.LBB192_393:                            ;   in Loop: Header=BB192_6 Depth=1
	v_readlane_b32 s8, v55, 29
	s_sub_u32 s12, s8, s4
	v_readlane_b32 s8, v55, 31
	v_readlane_b32 s9, v55, 32
	s_subb_u32 s13, s9, s5
	v_cmp_gt_u64_e32 vcc, s[12:13], v[0:1]
                                        ; implicit-def: $vgpr24
	s_and_saveexec_b64 s[4:5], vcc
	s_cbranch_execz .LBB192_403
; %bb.394:                              ;   in Loop: Header=BB192_6 Depth=1
	v_mov_b32_e32 v2, v10
	v_mov_b32_e32 v7, v1
	s_mov_b64 s[40:41], 0
	v_mov_b32_e32 v3, v11
	v_mov_b32_e32 v6, v0
                                        ; implicit-def: $sgpr42_sgpr43
	s_branch .LBB192_398
.LBB192_395:                            ;   in Loop: Header=BB192_398 Depth=2
	s_or_b64 exec, exec, s[48:49]
	s_waitcnt lgkmcnt(0)
	s_barrier
	ds_read_b64 v[23:24], v13 offset:3072
	s_waitcnt lgkmcnt(0)
	s_barrier
	v_cmp_eq_f32_e32 vcc, 0, v23
	s_cbranch_vccz .LBB192_401
; %bb.396:                              ;   in Loop: Header=BB192_398 Depth=2
	v_add_co_u32_e32 v6, vcc, s33, v6
	v_addc_co_u32_e32 v7, vcc, 0, v7, vcc
	v_mov_b32_e32 v8, s61
	v_add_co_u32_e32 v2, vcc, s60, v2
	v_addc_co_u32_e32 v3, vcc, v3, v8, vcc
	v_cmp_le_u64_e32 vcc, s[12:13], v[6:7]
	s_mov_b64 s[48:49], 0
	s_orn2_b64 s[50:51], vcc, exec
.LBB192_397:                            ;   in Loop: Header=BB192_398 Depth=2
	s_and_b64 s[50:51], exec, s[50:51]
	s_or_b64 s[40:41], s[50:51], s[40:41]
	s_andn2_b64 s[42:43], s[42:43], exec
	s_and_b64 s[48:49], s[48:49], exec
	s_or_b64 s[42:43], s[42:43], s[48:49]
	s_andn2_b64 exec, exec, s[40:41]
	s_cbranch_execz .LBB192_402
.LBB192_398:                            ;   Parent Loop BB192_6 Depth=1
                                        ; =>  This Inner Loop Header: Depth=2
	v_cmp_gt_u64_e32 vcc, s[56:57], v[6:7]
	s_and_saveexec_b64 s[48:49], vcc
	s_cbranch_execz .LBB192_395
; %bb.399:                              ;   in Loop: Header=BB192_398 Depth=2
	global_load_dword v23, v[2:3], off
	s_waitcnt vmcnt(0)
	v_cmp_lt_i32_e32 vcc, -1, v23
	v_cndmask_b32_e32 v8, -1, v40, vcc
	v_xor_b32_e32 v8, v8, v23
	v_cmp_o_f32_e32 vcc, v23, v23
	v_cndmask_b32_e32 v8, -1, v8, vcc
	v_and_b32_e32 v8, v8, v42
	v_cmp_eq_u32_e32 vcc, v8, v36
	s_and_b64 exec, exec, vcc
	s_cbranch_execz .LBB192_395
; %bb.400:                              ;   in Loop: Header=BB192_398 Depth=2
	ds_write_b64 v13, v[22:23] offset:3072
	s_branch .LBB192_395
.LBB192_401:                            ;   in Loop: Header=BB192_398 Depth=2
	s_mov_b64 s[50:51], -1
                                        ; implicit-def: $vgpr6_vgpr7
                                        ; implicit-def: $vgpr2_vgpr3
	s_mov_b64 s[48:49], -1
	s_branch .LBB192_397
.LBB192_402:                            ;   in Loop: Header=BB192_6 Depth=1
	s_or_b64 exec, exec, s[40:41]
	s_andn2_b64 s[0:1], s[0:1], exec
	s_and_b64 s[12:13], s[42:43], exec
	s_or_b64 s[0:1], s[0:1], s[12:13]
.LBB192_403:                            ;   in Loop: Header=BB192_6 Depth=1
	s_or_b64 exec, exec, s[4:5]
	s_mov_b64 s[40:41], 0
	s_mov_b64 s[42:43], -1
.LBB192_404:                            ;   in Loop: Header=BB192_6 Depth=1
	s_orn2_b64 s[0:1], s[0:1], exec
.LBB192_405:                            ;   in Loop: Header=BB192_6 Depth=1
	s_or_b64 exec, exec, s[44:45]
	s_mov_b64 s[4:5], 0
	s_and_saveexec_b64 s[44:45], s[0:1]
	s_cbranch_execz .LBB192_469
; %bb.406:                              ;   in Loop: Header=BB192_6 Depth=1
	v_mov_b32_e32 v2, 1
	s_xor_b64 s[4:5], s[46:47], -1
	v_mov_b32_e32 v12, 1
	v_mov_b32_e32 v3, 0
	s_mov_b64 s[46:47], 0
	s_and_saveexec_b64 s[0:1], s[4:5]
	s_cbranch_execz .LBB192_415
; %bb.407:                              ;   in Loop: Header=BB192_6 Depth=1
	v_cmp_ge_u64_e32 vcc, s[20:21], v[4:5]
	s_and_saveexec_b64 s[4:5], vcc
	s_xor_b64 s[4:5], exec, s[4:5]
	s_cbranch_execz .LBB192_412
; %bb.408:                              ;   in Loop: Header=BB192_6 Depth=1
	v_and_b32_e32 v2, s82, v36
	v_lshl_or_b32 v36, 1, s30, v2
	ds_read_b64 v[2:3], v13 offset:5120
	v_or_b32_e32 v42, s31, v42
	s_waitcnt lgkmcnt(0)
	v_cmp_ne_u64_e32 vcc, 0, v[2:3]
	s_cbranch_vccnz .LBB192_412
; %bb.409:                              ;   in Loop: Header=BB192_6 Depth=1
	v_readlane_b32 s8, v55, 8
	v_readlane_b32 s9, v55, 9
	s_and_saveexec_b64 s[12:13], s[8:9]
; %bb.410:                              ;   in Loop: Header=BB192_6 Depth=1
	v_mov_b32_e32 v2, s20
	v_mov_b32_e32 v3, s21
	ds_write_b64 v13, v[2:3] offset:5128
; %bb.411:                              ;   in Loop: Header=BB192_6 Depth=1
	s_or_b64 exec, exec, s[12:13]
	s_waitcnt lgkmcnt(0)
	s_barrier
.LBB192_412:                            ;   in Loop: Header=BB192_6 Depth=1
	s_or_saveexec_b64 s[4:5], s[4:5]
	s_mov_b64 s[12:13], 0
	v_mov_b32_e32 v12, 5
	s_xor_b64 exec, exec, s[4:5]
; %bb.413:                              ;   in Loop: Header=BB192_6 Depth=1
	v_subrev_co_u32_e32 v4, vcc, s20, v4
	v_mov_b32_e32 v2, s21
	v_subb_co_u32_e32 v5, vcc, v5, v2, vcc
	v_mov_b32_e32 v12, 0
	s_mov_b64 s[12:13], exec
; %bb.414:                              ;   in Loop: Header=BB192_6 Depth=1
	s_or_b64 exec, exec, s[4:5]
	v_mov_b32_e32 v2, v4
	s_and_b64 s[46:47], s[12:13], exec
	v_mov_b32_e32 v3, v5
.LBB192_415:                            ;   in Loop: Header=BB192_6 Depth=1
	s_or_b64 exec, exec, s[0:1]
	s_mov_b64 s[12:13], -1
                                        ; implicit-def: $sgpr4_sgpr5
                                        ; implicit-def: $sgpr0_sgpr1
	s_and_saveexec_b64 s[20:21], s[46:47]
	s_cbranch_execz .LBB192_468
; %bb.416:                              ;   in Loop: Header=BB192_6 Depth=1
	s_cmp_eq_u64 s[16:17], 1
	v_cmp_eq_u64_e32 vcc, 1, v[2:3]
	s_cselect_b64 s[0:1], -1, 0
	s_and_b64 s[46:47], s[0:1], vcc
	s_mov_b64 s[50:51], -1
                                        ; implicit-def: $sgpr4_sgpr5
                                        ; implicit-def: $sgpr0_sgpr1
	s_and_saveexec_b64 s[48:49], s[46:47]
	s_cbranch_execz .LBB192_456
; %bb.417:                              ;   in Loop: Header=BB192_6 Depth=1
	ds_read_b64 v[4:5], v13 offset:5120
	s_waitcnt lgkmcnt(0)
	s_barrier
	v_readfirstlane_b32 s50, v4
	v_readfirstlane_b32 s51, v5
	s_mov_b64 s[0:1], exec
	v_readlane_b32 s4, v55, 24
	v_readlane_b32 s5, v55, 25
	s_and_b64 s[4:5], s[0:1], s[4:5]
	s_mov_b64 exec, s[4:5]
; %bb.418:                              ;   in Loop: Header=BB192_6 Depth=1
	ds_write_b32 v33, v13
; %bb.419:                              ;   in Loop: Header=BB192_6 Depth=1
	s_or_b64 exec, exec, s[0:1]
	v_and_b32_e32 v36, s82, v36
	v_or_b32_e32 v42, s31, v42
	s_mov_b64 s[0:1], -1
	s_mov_b64 s[4:5], 0
	s_cmp_eq_u64 s[50:51], 0
	s_mov_b64 s[12:13], 0
	s_mov_b64 s[52:53], -1
	s_waitcnt lgkmcnt(0)
	s_barrier
                                        ; implicit-def: $vgpr24
	s_cbranch_scc1 .LBB192_438
; %bb.420:                              ;   in Loop: Header=BB192_6 Depth=1
	v_readlane_b32 s12, v55, 28
	s_add_u32 s70, s50, s12
	v_readlane_b32 s12, v55, 30
	s_addc_u32 s13, s51, s12
	s_mov_b32 s12, s83
	s_mov_b64 s[8:9], s[68:69]
	s_cmp_lg_u64 s[12:13], 0
	s_cbranch_scc0 .LBB192_424
; %bb.421:                              ;   in Loop: Header=BB192_6 Depth=1
	v_cvt_f32_u32_e32 v4, s33
	s_sub_u32 s12, 0, s33
	s_subb_u32 s54, 0, 0
	v_mac_f32_e32 v4, 0, v41
	v_rcp_f32_e32 v4, v4
	v_mul_f32_e32 v4, 0x5f7ffffc, v4
	v_mul_f32_e32 v5, 0x2f800000, v4
	v_trunc_f32_e32 v5, v5
	v_mac_f32_e32 v4, 0xcf800000, v5
	v_cvt_u32_f32_e32 v5, v5
	v_cvt_u32_f32_e32 v4, v4
	v_readfirstlane_b32 s55, v5
	v_readfirstlane_b32 s52, v4
	s_mul_i32 s53, s12, s55
	s_mul_hi_u32 s69, s12, s52
	s_mul_i32 s68, s54, s52
	s_add_i32 s53, s69, s53
	s_mul_i32 s71, s12, s52
	s_add_i32 s53, s53, s68
	s_mul_hi_u32 s69, s52, s71
	s_mul_i32 s78, s52, s53
	s_mul_hi_u32 s68, s52, s53
	s_add_u32 s69, s69, s78
	s_addc_u32 s68, 0, s68
	s_mul_hi_u32 s79, s55, s71
	s_mul_i32 s71, s55, s71
	s_add_u32 s69, s69, s71
	s_mul_hi_u32 s78, s55, s53
	s_addc_u32 s68, s68, s79
	s_addc_u32 s69, s78, 0
	s_mul_i32 s53, s55, s53
	s_add_u32 s53, s68, s53
	s_addc_u32 s68, 0, s69
	s_add_u32 s69, s52, s53
	s_cselect_b64 s[52:53], -1, 0
	s_cmp_lg_u64 s[52:53], 0
	s_addc_u32 s55, s55, s68
	s_mul_i32 s52, s12, s55
	s_mul_hi_u32 s53, s12, s69
	s_add_i32 s52, s53, s52
	s_mul_i32 s54, s54, s69
	s_add_i32 s52, s52, s54
	s_mul_i32 s12, s12, s69
	s_mul_hi_u32 s54, s55, s12
	s_mul_i32 s68, s55, s12
	s_mul_i32 s78, s69, s52
	s_mul_hi_u32 s12, s69, s12
	s_mul_hi_u32 s71, s69, s52
	s_add_u32 s12, s12, s78
	s_addc_u32 s71, 0, s71
	s_add_u32 s12, s12, s68
	s_mul_hi_u32 s53, s55, s52
	s_addc_u32 s12, s71, s54
	s_addc_u32 s53, s53, 0
	s_mul_i32 s52, s55, s52
	s_add_u32 s12, s12, s52
	s_addc_u32 s54, 0, s53
	s_add_u32 s12, s69, s12
	s_cselect_b64 s[52:53], -1, 0
	s_cmp_lg_u64 s[52:53], 0
	s_addc_u32 s52, s55, s54
	s_mul_i32 s54, s70, s52
	s_mul_hi_u32 s55, s70, s12
	s_mul_hi_u32 s53, s70, s52
	s_add_u32 s54, s55, s54
	s_addc_u32 s53, 0, s53
	s_mul_hi_u32 s68, s13, s12
	s_mul_i32 s12, s13, s12
	s_add_u32 s12, s54, s12
	s_mul_hi_u32 s55, s13, s52
	s_addc_u32 s12, s53, s68
	s_addc_u32 s53, s55, 0
	s_mul_i32 s52, s13, s52
	s_add_u32 s12, s12, s52
	s_addc_u32 s52, 0, s53
	s_mul_i32 s52, s33, s52
	s_mul_hi_u32 s53, s33, s12
	s_add_i32 s54, s53, s52
	s_mul_i32 s12, s33, s12
	s_sub_u32 s12, s70, s12
	s_cselect_b64 s[52:53], -1, 0
	s_cmp_lg_u64 s[52:53], 0
	s_subb_u32 s54, s13, s54
	s_sub_u32 s55, s12, s33
	s_cselect_b64 s[52:53], -1, 0
	s_cmp_lg_u64 s[52:53], 0
	s_subb_u32 s68, s54, 0
	s_sub_u32 s69, s55, s33
	s_cselect_b64 s[52:53], -1, 0
	s_cmp_lg_u64 s[52:53], 0
	s_subb_u32 s52, s68, 0
	s_cmp_ge_u32 s55, s33
	s_cselect_b32 s53, -1, 0
	s_cmp_eq_u32 s68, 0
	s_cselect_b32 s53, s53, -1
	s_cmp_lg_u32 s53, 0
	s_cselect_b32 s52, s52, s68
	s_cselect_b32 s55, s69, s55
	s_cmp_ge_u32 s12, s33
	s_cselect_b32 s53, -1, 0
	s_cmp_eq_u32 s54, 0
	s_cselect_b32 s53, s53, -1
	s_cmp_lg_u32 s53, 0
	s_cselect_b32 s53, s52, s54
	s_cselect_b32 s52, s55, s12
	s_mov_b64 s[54:55], 0
	s_branch .LBB192_425
.LBB192_422:                            ;   in Loop: Header=BB192_6 Depth=1
                                        ; implicit-def: $sgpr12_sgpr13
	s_branch .LBB192_375
.LBB192_423:                            ;   in Loop: Header=BB192_6 Depth=1
                                        ; implicit-def: $sgpr4_sgpr5
	s_branch .LBB192_392
.LBB192_424:                            ;   in Loop: Header=BB192_6 Depth=1
	s_mov_b64 s[54:55], -1
                                        ; implicit-def: $sgpr52_sgpr53
.LBB192_425:                            ;   in Loop: Header=BB192_6 Depth=1
	s_andn2_b64 vcc, exec, s[54:55]
	s_cbranch_vccnz .LBB192_427
; %bb.426:                              ;   in Loop: Header=BB192_6 Depth=1
	v_cvt_f32_u32_e32 v4, s33
	s_sub_i32 s12, 0, s33
	s_mov_b32 s54, s82
	v_rcp_iflag_f32_e32 v4, v4
	v_mul_f32_e32 v4, 0x4f7ffffe, v4
	v_cvt_u32_f32_e32 v4, v4
	v_readfirstlane_b32 s52, v4
	s_mul_i32 s12, s12, s52
	s_mul_hi_u32 s12, s52, s12
	s_add_i32 s52, s52, s12
	s_mul_hi_u32 s12, s70, s52
	s_mul_i32 s12, s12, s33
	s_sub_i32 s12, s70, s12
	s_sub_i32 s52, s12, s33
	s_cmp_ge_u32 s12, s33
	s_cselect_b32 s12, s52, s12
	s_sub_i32 s52, s12, s33
	s_cmp_ge_u32 s12, s33
	s_cselect_b32 s82, s52, s12
	s_mov_b64 s[52:53], s[82:83]
	s_mov_b32 s82, s54
.LBB192_427:                            ;   in Loop: Header=BB192_6 Depth=1
	s_sub_u32 s70, s70, s52
	s_subb_u32 s71, s13, s53
	v_cmp_gt_u64_e32 vcc, s[70:71], v[0:1]
	s_mov_b64 s[52:53], 0
	s_mov_b64 s[12:13], 0
                                        ; implicit-def: $vgpr24
	s_and_saveexec_b64 s[54:55], vcc
	s_mov_b64 s[68:69], s[8:9]
	s_cbranch_execz .LBB192_437
; %bb.428:                              ;   in Loop: Header=BB192_6 Depth=1
	v_mov_b32_e32 v5, v1
	v_mov_b32_e32 v6, v14
	;; [unrolled: 1-line block ×3, first 2 shown]
                                        ; implicit-def: $sgpr78_sgpr79
	s_branch .LBB192_432
.LBB192_429:                            ;   in Loop: Header=BB192_432 Depth=2
	s_or_b64 exec, exec, s[84:85]
	s_waitcnt lgkmcnt(0)
	s_barrier
	ds_read_b64 v[23:24], v13 offset:3072
	s_waitcnt lgkmcnt(0)
	s_barrier
	v_cmp_neq_f32_e32 vcc, 0, v23
	s_cbranch_vccnz .LBB192_435
; %bb.430:                              ;   in Loop: Header=BB192_432 Depth=2
	v_add_co_u32_e32 v4, vcc, s33, v4
	v_addc_co_u32_e32 v5, vcc, 0, v5, vcc
	v_cmp_le_u64_e32 vcc, s[70:71], v[4:5]
	v_add_u32_e32 v6, s95, v6
	s_mov_b64 s[84:85], 0
	s_orn2_b64 s[86:87], vcc, exec
.LBB192_431:                            ;   in Loop: Header=BB192_432 Depth=2
	s_and_b64 s[86:87], exec, s[86:87]
	s_or_b64 s[12:13], s[86:87], s[12:13]
	s_andn2_b64 s[78:79], s[78:79], exec
	s_and_b64 s[84:85], s[84:85], exec
	s_or_b64 s[78:79], s[78:79], s[84:85]
	s_andn2_b64 exec, exec, s[12:13]
	s_cbranch_execz .LBB192_436
.LBB192_432:                            ;   Parent Loop BB192_6 Depth=1
                                        ; =>  This Inner Loop Header: Depth=2
	v_cmp_gt_u64_e32 vcc, s[50:51], v[4:5]
	s_and_saveexec_b64 s[84:85], vcc
	s_cbranch_execz .LBB192_429
; %bb.433:                              ;   in Loop: Header=BB192_432 Depth=2
	ds_read_b32 v23, v6
	s_waitcnt lgkmcnt(0)
	v_cmp_lt_i32_e32 vcc, -1, v23
	v_cndmask_b32_e32 v7, -1, v40, vcc
	v_xor_b32_e32 v7, v7, v23
	v_cmp_o_f32_e32 vcc, v23, v23
	v_cndmask_b32_e32 v7, -1, v7, vcc
	v_and_b32_e32 v7, v7, v42
	v_cmp_eq_u32_e32 vcc, v7, v36
	s_and_b64 exec, exec, vcc
	s_cbranch_execz .LBB192_429
; %bb.434:                              ;   in Loop: Header=BB192_432 Depth=2
	ds_write_b64 v13, v[22:23] offset:3072
	s_branch .LBB192_429
.LBB192_435:                            ;   in Loop: Header=BB192_432 Depth=2
	s_mov_b64 s[86:87], -1
                                        ; implicit-def: $vgpr4_vgpr5
                                        ; implicit-def: $vgpr6
	s_mov_b64 s[84:85], -1
	s_branch .LBB192_431
.LBB192_436:                            ;   in Loop: Header=BB192_6 Depth=1
	s_or_b64 exec, exec, s[12:13]
	s_and_b64 s[12:13], s[78:79], exec
.LBB192_437:                            ;   in Loop: Header=BB192_6 Depth=1
	s_or_b64 exec, exec, s[54:55]
.LBB192_438:                            ;   in Loop: Header=BB192_6 Depth=1
	s_and_b64 vcc, exec, s[52:53]
	s_cbranch_vccz .LBB192_455
; %bb.439:                              ;   in Loop: Header=BB192_6 Depth=1
	v_readlane_b32 s8, v55, 31
	v_readlane_b32 s9, v55, 32
	s_mov_b32 s8, s83
	s_cmp_lg_u64 s[8:9], 0
	v_writelane_b32 v55, s8, 31
	v_writelane_b32 v55, s9, 32
	s_cbranch_scc0 .LBB192_441
; %bb.440:                              ;   in Loop: Header=BB192_6 Depth=1
	v_cvt_f32_u32_e32 v4, s33
	s_sub_u32 s4, 0, s33
	s_subb_u32 s5, 0, 0
	v_readlane_b32 s8, v55, 29
	v_mac_f32_e32 v4, 0, v41
	v_rcp_f32_e32 v4, v4
	v_mul_f32_e32 v4, 0x5f7ffffc, v4
	v_mul_f32_e32 v5, 0x2f800000, v4
	v_trunc_f32_e32 v5, v5
	v_mac_f32_e32 v4, 0xcf800000, v5
	v_cvt_u32_f32_e32 v5, v5
	v_cvt_u32_f32_e32 v4, v4
	v_readfirstlane_b32 s50, v5
	v_readfirstlane_b32 s0, v4
	s_mul_i32 s1, s4, s50
	s_mul_hi_u32 s52, s4, s0
	s_mul_i32 s51, s5, s0
	s_add_i32 s1, s52, s1
	s_mul_i32 s53, s4, s0
	s_add_i32 s1, s1, s51
	s_mul_hi_u32 s52, s0, s53
	s_mul_i32 s54, s0, s1
	s_mul_hi_u32 s51, s0, s1
	s_add_u32 s52, s52, s54
	s_addc_u32 s51, 0, s51
	s_mul_hi_u32 s55, s50, s53
	s_mul_i32 s53, s50, s53
	s_add_u32 s52, s52, s53
	s_mul_hi_u32 s54, s50, s1
	s_addc_u32 s51, s51, s55
	s_addc_u32 s52, s54, 0
	s_mul_i32 s1, s50, s1
	s_add_u32 s1, s51, s1
	s_addc_u32 s51, 0, s52
	s_add_u32 s52, s0, s1
	s_cselect_b64 s[0:1], -1, 0
	s_cmp_lg_u64 s[0:1], 0
	s_addc_u32 s50, s50, s51
	s_mul_i32 s0, s4, s50
	s_mul_hi_u32 s1, s4, s52
	s_add_i32 s0, s1, s0
	s_mul_i32 s5, s5, s52
	s_add_i32 s0, s0, s5
	s_mul_i32 s4, s4, s52
	s_mul_hi_u32 s5, s50, s4
	s_mul_i32 s51, s50, s4
	s_mul_i32 s54, s52, s0
	s_mul_hi_u32 s4, s52, s4
	s_mul_hi_u32 s53, s52, s0
	s_add_u32 s4, s4, s54
	s_addc_u32 s53, 0, s53
	s_add_u32 s4, s4, s51
	s_mul_hi_u32 s1, s50, s0
	s_addc_u32 s4, s53, s5
	s_addc_u32 s1, s1, 0
	s_mul_i32 s0, s50, s0
	s_add_u32 s0, s4, s0
	s_addc_u32 s4, 0, s1
	s_add_u32 s5, s52, s0
	s_cselect_b64 s[0:1], -1, 0
	s_cmp_lg_u64 s[0:1], 0
	s_addc_u32 s0, s50, s4
	s_mul_i32 s4, s8, s0
	s_mul_hi_u32 s50, s8, s5
	s_mul_hi_u32 s1, s8, s0
	s_add_u32 s4, s50, s4
	s_addc_u32 s1, 0, s1
	s_mul_hi_u32 s51, s9, s5
	s_mul_i32 s5, s9, s5
	s_add_u32 s4, s4, s5
	s_mul_hi_u32 s50, s9, s0
	s_addc_u32 s1, s1, s51
	s_addc_u32 s4, s50, 0
	s_mul_i32 s0, s9, s0
	s_add_u32 s0, s1, s0
	s_addc_u32 s1, 0, s4
	s_mul_i32 s1, s33, s1
	s_mul_hi_u32 s4, s33, s0
	s_add_i32 s4, s4, s1
	s_mul_i32 s0, s33, s0
	s_sub_u32 s5, s8, s0
	s_cselect_b64 s[0:1], -1, 0
	s_cmp_lg_u64 s[0:1], 0
	s_subb_u32 s4, s9, s4
	s_sub_u32 s50, s5, s33
	s_cselect_b64 s[0:1], -1, 0
	s_cmp_lg_u64 s[0:1], 0
	s_subb_u32 s51, s4, 0
	;; [unrolled: 4-line block ×3, first 2 shown]
	s_cmp_ge_u32 s50, s33
	s_cselect_b32 s1, -1, 0
	s_cmp_eq_u32 s51, 0
	s_cselect_b32 s1, s1, -1
	s_cmp_lg_u32 s1, 0
	s_cselect_b32 s0, s0, s51
	s_cselect_b32 s50, s52, s50
	s_cmp_ge_u32 s5, s33
	s_cselect_b32 s1, -1, 0
	s_cmp_eq_u32 s4, 0
	s_cselect_b32 s1, s1, -1
	s_cmp_lg_u32 s1, 0
	s_cselect_b32 s1, s0, s4
	s_cselect_b32 s0, s50, s5
	s_mov_b64 s[4:5], 0
	s_branch .LBB192_442
.LBB192_441:                            ;   in Loop: Header=BB192_6 Depth=1
	s_mov_b64 s[4:5], -1
                                        ; implicit-def: $sgpr0_sgpr1
.LBB192_442:                            ;   in Loop: Header=BB192_6 Depth=1
	s_andn2_b64 vcc, exec, s[4:5]
	s_cbranch_vccnz .LBB192_444
; %bb.443:                              ;   in Loop: Header=BB192_6 Depth=1
	v_cvt_f32_u32_e32 v4, s33
	s_sub_i32 s0, 0, s33
	v_readlane_b32 s4, v55, 29
	v_rcp_iflag_f32_e32 v4, v4
	v_mul_f32_e32 v4, 0x4f7ffffe, v4
	v_cvt_u32_f32_e32 v4, v4
	v_readfirstlane_b32 s1, v4
	s_mul_i32 s0, s0, s1
	s_mul_hi_u32 s0, s1, s0
	s_add_i32 s1, s1, s0
	s_mul_hi_u32 s0, s4, s1
	s_mul_i32 s0, s0, s33
	s_sub_i32 s0, s4, s0
	s_sub_i32 s1, s0, s33
	s_cmp_ge_u32 s0, s33
	s_cselect_b32 s0, s1, s0
	s_sub_i32 s1, s0, s33
	s_cmp_ge_u32 s0, s33
	s_mov_b32 s4, s82
	s_cselect_b32 s82, s1, s0
	s_mov_b64 s[0:1], s[82:83]
	s_mov_b32 s82, s4
.LBB192_444:                            ;   in Loop: Header=BB192_6 Depth=1
	v_readlane_b32 s4, v55, 29
	v_readlane_b32 s8, v55, 31
	s_sub_u32 s4, s4, s0
	v_readlane_b32 s9, v55, 32
	s_subb_u32 s5, s9, s1
	v_cmp_gt_u64_e32 vcc, s[4:5], v[0:1]
                                        ; implicit-def: $vgpr24
	s_and_saveexec_b64 s[0:1], vcc
	s_cbranch_execz .LBB192_454
; %bb.445:                              ;   in Loop: Header=BB192_6 Depth=1
	v_mov_b32_e32 v4, v10
	v_mov_b32_e32 v7, v1
	s_mov_b64 s[50:51], 0
	v_mov_b32_e32 v5, v11
	v_mov_b32_e32 v6, v0
                                        ; implicit-def: $sgpr52_sgpr53
	s_branch .LBB192_449
.LBB192_446:                            ;   in Loop: Header=BB192_449 Depth=2
	s_or_b64 exec, exec, s[54:55]
	s_waitcnt lgkmcnt(0)
	s_barrier
	ds_read_b64 v[23:24], v13 offset:3072
	s_waitcnt lgkmcnt(0)
	s_barrier
	v_cmp_eq_f32_e32 vcc, 0, v23
	s_cbranch_vccz .LBB192_452
; %bb.447:                              ;   in Loop: Header=BB192_449 Depth=2
	v_add_co_u32_e32 v6, vcc, s33, v6
	v_addc_co_u32_e32 v7, vcc, 0, v7, vcc
	v_mov_b32_e32 v8, s61
	v_add_co_u32_e32 v4, vcc, s60, v4
	v_addc_co_u32_e32 v5, vcc, v5, v8, vcc
	v_cmp_le_u64_e32 vcc, s[4:5], v[6:7]
	s_mov_b64 s[54:55], 0
	s_orn2_b64 s[70:71], vcc, exec
.LBB192_448:                            ;   in Loop: Header=BB192_449 Depth=2
	s_and_b64 s[70:71], exec, s[70:71]
	s_or_b64 s[50:51], s[70:71], s[50:51]
	s_andn2_b64 s[52:53], s[52:53], exec
	s_and_b64 s[54:55], s[54:55], exec
	s_or_b64 s[52:53], s[52:53], s[54:55]
	s_andn2_b64 exec, exec, s[50:51]
	s_cbranch_execz .LBB192_453
.LBB192_449:                            ;   Parent Loop BB192_6 Depth=1
                                        ; =>  This Inner Loop Header: Depth=2
	v_cmp_gt_u64_e32 vcc, s[56:57], v[6:7]
	s_and_saveexec_b64 s[54:55], vcc
	s_cbranch_execz .LBB192_446
; %bb.450:                              ;   in Loop: Header=BB192_449 Depth=2
	global_load_dword v23, v[4:5], off
	s_waitcnt vmcnt(0)
	v_cmp_lt_i32_e32 vcc, -1, v23
	v_cndmask_b32_e32 v8, -1, v40, vcc
	v_xor_b32_e32 v8, v8, v23
	v_cmp_o_f32_e32 vcc, v23, v23
	v_cndmask_b32_e32 v8, -1, v8, vcc
	v_and_b32_e32 v8, v8, v42
	v_cmp_eq_u32_e32 vcc, v8, v36
	s_and_b64 exec, exec, vcc
	s_cbranch_execz .LBB192_446
; %bb.451:                              ;   in Loop: Header=BB192_449 Depth=2
	ds_write_b64 v13, v[22:23] offset:3072
	s_branch .LBB192_446
.LBB192_452:                            ;   in Loop: Header=BB192_449 Depth=2
	s_mov_b64 s[70:71], -1
                                        ; implicit-def: $vgpr6_vgpr7
                                        ; implicit-def: $vgpr4_vgpr5
	s_mov_b64 s[54:55], -1
	s_branch .LBB192_448
.LBB192_453:                            ;   in Loop: Header=BB192_6 Depth=1
	s_or_b64 exec, exec, s[50:51]
	s_andn2_b64 s[4:5], s[12:13], exec
	s_and_b64 s[12:13], s[52:53], exec
	s_or_b64 s[12:13], s[4:5], s[12:13]
.LBB192_454:                            ;   in Loop: Header=BB192_6 Depth=1
	s_or_b64 exec, exec, s[0:1]
	s_mov_b64 s[0:1], 0
	s_mov_b64 s[4:5], -1
.LBB192_455:                            ;   in Loop: Header=BB192_6 Depth=1
	s_orn2_b64 s[50:51], s[12:13], exec
.LBB192_456:                            ;   in Loop: Header=BB192_6 Depth=1
	s_or_b64 exec, exec, s[48:49]
	s_mov_b64 s[48:49], 0
	s_and_saveexec_b64 s[12:13], s[50:51]
	s_cbranch_execz .LBB192_467
; %bb.457:                              ;   in Loop: Header=BB192_6 Depth=1
	v_mov_b32_e32 v4, 1
	s_xor_b64 s[48:49], s[46:47], -1
	v_mov_b32_e32 v5, 0
	v_mov_b32_e32 v12, 1
	s_and_saveexec_b64 s[46:47], s[48:49]
	s_cbranch_execz .LBB192_466
; %bb.458:                              ;   in Loop: Header=BB192_6 Depth=1
	v_cmp_ge_u64_e32 vcc, s[16:17], v[2:3]
	s_and_saveexec_b64 s[48:49], vcc
	s_xor_b64 s[48:49], exec, s[48:49]
	s_cbranch_execz .LBB192_463
; %bb.459:                              ;   in Loop: Header=BB192_6 Depth=1
	ds_read_b64 v[4:5], v13 offset:5120
	v_and_b32_e32 v36, s82, v36
	v_or_b32_e32 v42, s31, v42
	s_waitcnt lgkmcnt(0)
	v_cmp_ne_u64_e32 vcc, 0, v[4:5]
	s_cbranch_vccnz .LBB192_463
; %bb.460:                              ;   in Loop: Header=BB192_6 Depth=1
	v_readlane_b32 s8, v55, 8
	v_readlane_b32 s9, v55, 9
	s_and_saveexec_b64 s[50:51], s[8:9]
; %bb.461:                              ;   in Loop: Header=BB192_6 Depth=1
	v_mov_b32_e32 v4, s16
	v_mov_b32_e32 v5, s17
	ds_write_b64 v13, v[4:5] offset:5128
; %bb.462:                              ;   in Loop: Header=BB192_6 Depth=1
	s_or_b64 exec, exec, s[50:51]
	s_waitcnt lgkmcnt(0)
	s_barrier
.LBB192_463:                            ;   in Loop: Header=BB192_6 Depth=1
	s_andn2_saveexec_b64 s[48:49], s[48:49]
; %bb.464:                              ;   in Loop: Header=BB192_6 Depth=1
	v_mov_b32_e32 v4, s17
	v_subrev_co_u32_e32 v2, vcc, s16, v2
	v_subb_co_u32_e32 v3, vcc, v3, v4, vcc
; %bb.465:                              ;   in Loop: Header=BB192_6 Depth=1
	s_or_b64 exec, exec, s[48:49]
	v_mov_b32_e32 v5, v3
	v_mov_b32_e32 v12, 5
	;; [unrolled: 1-line block ×3, first 2 shown]
.LBB192_466:                            ;   in Loop: Header=BB192_6 Depth=1
	s_or_b64 exec, exec, s[46:47]
	v_mov_b32_e32 v2, v4
	s_mov_b64 s[48:49], exec
	v_mov_b32_e32 v3, v5
.LBB192_467:                            ;   in Loop: Header=BB192_6 Depth=1
	s_or_b64 exec, exec, s[12:13]
	s_orn2_b64 s[12:13], s[48:49], exec
.LBB192_468:                            ;   in Loop: Header=BB192_6 Depth=1
	s_or_b64 exec, exec, s[20:21]
	s_andn2_b64 s[16:17], s[42:43], exec
	s_and_b64 s[4:5], s[4:5], exec
	s_or_b64 s[42:43], s[16:17], s[4:5]
	s_andn2_b64 s[4:5], s[40:41], exec
	s_and_b64 s[0:1], s[0:1], exec
	v_mov_b32_e32 v5, v3
	s_or_b64 s[40:41], s[4:5], s[0:1]
	s_and_b64 s[4:5], s[12:13], exec
	v_mov_b32_e32 v4, v2
.LBB192_469:                            ;   in Loop: Header=BB192_6 Depth=1
	s_or_b64 exec, exec, s[44:45]
	s_orn2_b64 s[0:1], s[4:5], exec
.LBB192_470:                            ;   in Loop: Header=BB192_6 Depth=1
	s_or_b64 exec, exec, s[22:23]
	s_andn2_b64 s[4:5], s[36:37], exec
	s_and_b64 s[12:13], s[42:43], exec
	s_or_b64 s[36:37], s[4:5], s[12:13]
	s_andn2_b64 s[4:5], s[24:25], exec
	s_and_b64 s[12:13], s[40:41], exec
	v_mov_b32_e32 v2, v4
	s_or_b64 s[24:25], s[4:5], s[12:13]
	s_and_b64 s[4:5], s[0:1], exec
	v_mov_b32_e32 v3, v5
.LBB192_471:                            ;   in Loop: Header=BB192_6 Depth=1
	s_or_b64 exec, exec, s[38:39]
	s_orn2_b64 s[0:1], s[4:5], exec
.LBB192_472:                            ;   in Loop: Header=BB192_6 Depth=1
	s_or_b64 exec, exec, s[6:7]
	s_mov_b64 s[4:5], s[28:29]
	s_mov_b64 s[6:7], s[26:27]
	s_and_saveexec_b64 s[12:13], s[0:1]
; %bb.473:                              ;   in Loop: Header=BB192_6 Depth=1
	v_cmp_ne_u32_e64 s[6:7], 5, v12
	v_cmp_eq_u32_e32 vcc, 5, v12
	s_andn2_b64 s[0:1], s[26:27], exec
	s_and_b64 s[4:5], s[6:7], exec
	s_or_b64 s[6:7], s[0:1], s[4:5]
	s_andn2_b64 s[0:1], s[28:29], exec
	s_and_b64 s[4:5], vcc, exec
	s_or_b64 s[4:5], s[0:1], s[4:5]
; %bb.474:                              ;   in Loop: Header=BB192_6 Depth=1
	s_or_b64 exec, exec, s[12:13]
	s_andn2_b64 s[0:1], s[14:15], exec
	s_and_b64 s[12:13], s[36:37], exec
	s_or_b64 s[14:15], s[0:1], s[12:13]
	s_andn2_b64 s[0:1], s[18:19], exec
	s_and_b64 s[12:13], s[24:25], exec
	s_or_b64 s[18:19], s[0:1], s[12:13]
	;; [unrolled: 3-line block ×4, first 2 shown]
.LBB192_475:                            ;   in Loop: Header=BB192_6 Depth=1
	s_or_b64 exec, exec, s[34:35]
	s_mov_b64 s[34:35], 0
	s_mov_b64 s[36:37], 0
	s_and_saveexec_b64 s[0:1], s[28:29]
.LBB192_476:                            ;   in Loop: Header=BB192_6 Depth=1
	v_mov_b32_e32 v12, 0
	s_or_b64 s[26:27], s[26:27], exec
.LBB192_477:                            ;   in Loop: Header=BB192_6 Depth=1
	s_or_b64 exec, exec, s[0:1]
	v_readlane_b32 s0, v55, 51
	v_readlane_b32 s1, v55, 52
	s_andn2_b64 s[0:1], s[0:1], exec
	s_and_b64 s[6:7], s[14:15], exec
	s_or_b64 s[12:13], s[0:1], s[6:7]
	v_readlane_b32 s0, v55, 49
	v_readlane_b32 s1, v55, 50
	s_andn2_b64 s[0:1], s[0:1], exec
	s_and_b64 s[6:7], s[18:19], exec
	s_or_b64 s[8:9], s[0:1], s[6:7]
	;; [unrolled: 5-line block ×3, first 2 shown]
	v_readlane_b32 s0, v55, 45
	v_readlane_b32 s1, v55, 46
	s_andn2_b64 s[0:1], s[0:1], exec
	s_and_b64 s[6:7], s[34:35], exec
	v_mov_b32_e32 v26, v3
	s_mov_b64 s[4:5], -1
	s_andn2_b64 s[10:11], s[10:11], exec
	s_mov_b64 s[34:35], s[12:13]
	s_or_b64 s[28:29], s[0:1], s[6:7]
	v_mov_b32_e32 v25, v2
	s_and_saveexec_b64 s[0:1], s[26:27]
	s_mov_b64 s[26:27], s[8:9]
	s_xor_b64 s[0:1], exec, s[0:1]
	s_cbranch_execz .LBB192_5
; %bb.478:                              ;   in Loop: Header=BB192_6 Depth=1
	v_cmp_eq_u32_e32 vcc, 0, v12
	s_mov_b64 s[6:7], -1
	s_and_saveexec_b64 s[12:13], vcc
	s_cbranch_execz .LBB192_4
; %bb.479:                              ;   in Loop: Header=BB192_6 Depth=1
	v_readlane_b32 s4, v55, 42
	s_xor_b32 s4, s4, 1
	s_add_i32 s14, s30, -2
	s_cmp_eq_u32 s30, 0
	v_writelane_b32 v55, s4, 42
	s_cselect_b64 s[4:5], -1, 0
	s_xor_b64 s[6:7], exec, -1
	s_orn2_b64 s[4:5], s[4:5], exec
	s_mov_b32 s30, s14
	s_branch .LBB192_4
.LBB192_480:
	s_or_b64 exec, exec, s[74:75]
	s_xor_b64 s[4:5], s[92:93], -1
	s_xor_b64 s[6:7], s[66:67], -1
	;; [unrolled: 1-line block ×5, first 2 shown]
	s_mov_b64 s[2:3], 0
	s_and_saveexec_b64 s[12:13], s[8:9]
	s_xor_b64 s[8:9], exec, s[12:13]
	s_cbranch_execnz .LBB192_485
; %bb.481:
	s_andn2_saveexec_b64 s[0:1], s[8:9]
	s_cbranch_execnz .LBB192_504
.LBB192_482:
	s_or_b64 exec, exec, s[0:1]
	s_and_saveexec_b64 s[0:1], s[2:3]
.LBB192_483:
	; divergent unreachable
.LBB192_484:
	s_endpgm
.LBB192_485:
	s_and_saveexec_b64 s[12:13], s[10:11]
	s_xor_b64 s[10:11], exec, s[12:13]
	s_cbranch_execz .LBB192_502
; %bb.486:
	s_and_saveexec_b64 s[12:13], s[6:7]
	s_xor_b64 s[12:13], exec, s[12:13]
	s_cbranch_execz .LBB192_500
; %bb.487:
	;; [unrolled: 4-line block ×3, first 2 shown]
	s_and_saveexec_b64 s[2:3], s[0:1]
	s_xor_b64 s[0:1], exec, s[2:3]
; %bb.489:
	v_bfrev_b32_e32 v2, 1
	v_cmp_lt_i32_e32 vcc, -1, v36
	v_cndmask_b32_e64 v2, v2, -1, vcc
	v_xor_b32_e32 v24, v2, v36
; %bb.490:
	s_or_b64 exec, exec, s[0:1]
	s_mov_b64 s[0:1], exec
	v_readlane_b32 s4, v55, 10
	v_readlane_b32 s5, v55, 11
	s_load_dwordx2 s[42:43], s[4:5], 0x0
	v_readlane_b32 s2, v55, 8
	v_readlane_b32 s3, v55, 9
	;; [unrolled: 1-line block ×3, first 2 shown]
	s_and_b64 s[2:3], s[0:1], s[2:3]
	v_readlane_b32 s45, v55, 17
	v_readlane_b32 s6, v55, 12
	;; [unrolled: 1-line block ×3, first 2 shown]
	s_mov_b64 exec, s[2:3]
; %bb.491:
	v_mov_b32_e32 v2, 0
	v_mov_b32_e32 v3, v2
	ds_write_b64 v2, v[2:3] offset:5136
; %bb.492:
	s_or_b64 exec, exec, s[0:1]
	v_mov_b32_e32 v18, 0
	s_waitcnt lgkmcnt(0)
	s_barrier
	s_mov_b64 s[0:1], exec
	v_readlane_b32 s2, v55, 22
	v_readlane_b32 s3, v55, 23
	s_and_b64 s[2:3], s[0:1], s[2:3]
	s_mov_b64 exec, s[2:3]
	s_cbranch_execz .LBB192_494
; %bb.493:
	global_load_dword v18, v[10:11], off
.LBB192_494:
	s_or_b64 exec, exec, s[0:1]
	v_readlane_b32 s2, v55, 4
	s_add_u32 s0, s56, 63
	v_readlane_b32 s3, v55, 5
	v_readlane_b32 s18, v55, 0
	s_addc_u32 s17, s57, 0
	s_and_b32 s16, s0, 0xffffffc0
	s_mul_i32 s0, s3, s6
	s_mul_hi_u32 s1, s2, s6
	v_readlane_b32 s19, v55, 1
	s_add_i32 s1, s1, s0
	s_mul_i32 s0, s2, s6
	s_mul_i32 s2, s19, s6
	s_mul_hi_u32 s3, s18, s6
	s_add_i32 s3, s3, s2
	s_mul_i32 s2, s18, s6
	s_lshl_b64 s[0:1], s[0:1], 2
	v_readlane_b32 s6, v55, 6
	v_readlane_b32 s7, v55, 7
	s_add_u32 s36, s6, s0
	s_addc_u32 s37, s7, s1
	s_lshl_b64 s[0:1], s[2:3], 3
	v_readlane_b32 s2, v55, 2
	v_readlane_b32 s3, v55, 3
	s_add_u32 s38, s2, s0
	v_bfrev_b32_e32 v17, 1
	v_cmp_lt_i32_e32 vcc, -1, v24
	s_addc_u32 s39, s3, s1
	s_load_dwordx2 s[0:1], s[4:5], 0x368
	s_load_dwordx2 s[18:19], s[4:5], 0x510
	v_cndmask_b32_e32 v2, -1, v17, vcc
	v_xor_b32_e32 v2, v2, v24
	v_cmp_o_f32_e32 vcc, v24, v24
	v_cndmask_b32_e32 v16, -1, v2, vcc
	v_cmp_gt_u64_e32 vcc, s[16:17], v[0:1]
	s_mov_b64 s[22:23], -1
	s_mov_b64 s[2:3], 0
	s_mov_b64 s[4:5], 0
	s_and_saveexec_b64 s[20:21], vcc
	s_cbranch_execnz .LBB192_505
; %bb.495:
	s_or_b64 exec, exec, s[20:21]
	s_and_saveexec_b64 s[6:7], s[22:23]
	s_cbranch_execnz .LBB192_522
.LBB192_496:
	s_or_b64 exec, exec, s[6:7]
	s_waitcnt lgkmcnt(0)
	s_and_saveexec_b64 s[0:1], s[4:5]
	s_xor_b64 s[0:1], exec, s[0:1]
	s_cbranch_execnz .LBB192_545
.LBB192_497:
	s_or_b64 exec, exec, s[0:1]
	s_and_b64 s[2:3], s[2:3], exec
.LBB192_498:
	s_andn2_saveexec_b64 s[0:1], s[14:15]
	s_cbranch_execnz .LBB192_547
.LBB192_499:
	s_or_b64 exec, exec, s[0:1]
	s_and_b64 s[2:3], s[2:3], exec
.LBB192_500:
	s_andn2_saveexec_b64 s[0:1], s[12:13]
	s_cbranch_execnz .LBB192_546
.LBB192_501:
	s_or_b64 exec, exec, s[0:1]
	s_and_b64 s[2:3], s[2:3], exec
.LBB192_502:
	s_andn2_saveexec_b64 s[0:1], s[10:11]
	s_cbranch_execnz .LBB192_541
.LBB192_503:
	s_or_b64 exec, exec, s[0:1]
	s_and_b64 s[2:3], s[2:3], exec
	s_andn2_saveexec_b64 s[0:1], s[8:9]
	s_cbranch_execz .LBB192_482
.LBB192_504:
	s_or_b64 s[2:3], s[2:3], exec
	s_trap 2
	s_or_b64 exec, exec, s[0:1]
	s_and_saveexec_b64 s[0:1], s[2:3]
	s_cbranch_execnz .LBB192_483
	s_branch .LBB192_484
.LBB192_505:
	v_add_u32_e32 v4, s33, v0
	v_mad_u64_u32 v[2:3], s[4:5], s62, v4, 0
	v_mov_b32_e32 v13, v1
	s_mov_b64 s[22:23], 0
	v_mad_u64_u32 v[3:4], s[4:5], s63, v4, v[3:4]
	v_readlane_b32 s4, v55, 14
	v_readlane_b32 s5, v55, 15
	s_add_u32 s4, s42, s4
	v_lshlrev_b64 v[2:3], 2, v[2:3]
	s_addc_u32 s5, s43, s5
	v_mov_b32_e32 v4, s5
	v_add_co_u32_e64 v2, s[4:5], s4, v2
	v_addc_co_u32_e64 v3, s[4:5], v4, v3, s[4:5]
	v_mov_b32_e32 v5, 0
	v_mov_b32_e32 v12, v0
                                        ; implicit-def: $sgpr24_sgpr25
                                        ; implicit-def: $vgpr8_vgpr9
	s_branch .LBB192_507
.LBB192_506:                            ;   in Loop: Header=BB192_507 Depth=1
	s_or_b64 exec, exec, s[26:27]
	s_xor_b64 s[4:5], s[28:29], -1
	s_and_b64 s[6:7], exec, s[6:7]
	s_or_b64 s[22:23], s[6:7], s[22:23]
	s_andn2_b64 s[6:7], s[24:25], exec
	s_and_b64 s[4:5], s[4:5], exec
	v_mov_b32_e32 v13, v7
	s_or_b64 s[24:25], s[6:7], s[4:5]
	s_waitcnt vmcnt(0)
	v_mov_b32_e32 v18, v19
	v_mov_b32_e32 v12, v6
	s_andn2_b64 exec, exec, s[22:23]
	s_cbranch_execz .LBB192_521
.LBB192_507:                            ; =>This Inner Loop Header: Depth=1
	v_add_co_u32_e64 v6, s[4:5], s33, v12
	v_addc_co_u32_e64 v7, s[4:5], 0, v13, s[4:5]
	v_cmp_gt_u64_e64 s[4:5], s[56:57], v[6:7]
	v_mov_b32_e32 v19, 0
	s_and_saveexec_b64 s[6:7], s[4:5]
	s_cbranch_execz .LBB192_509
; %bb.508:                              ;   in Loop: Header=BB192_507 Depth=1
	global_load_dword v19, v[2:3], off
.LBB192_509:                            ;   in Loop: Header=BB192_507 Depth=1
	s_or_b64 exec, exec, s[6:7]
	v_cmp_gt_u64_e64 s[4:5], s[56:57], v[12:13]
	s_mov_b64 s[26:27], 0
	s_and_saveexec_b64 s[6:7], s[4:5]
	s_cbranch_execz .LBB192_511
; %bb.510:                              ;   in Loop: Header=BB192_507 Depth=1
	s_waitcnt vmcnt(0)
	v_cmp_lt_i32_e64 s[4:5], -1, v18
	v_cndmask_b32_e64 v4, -1, v17, s[4:5]
	v_xor_b32_e32 v4, v4, v18
	v_cmp_o_f32_e64 s[4:5], v18, v18
	v_cndmask_b32_e64 v4, -1, v4, s[4:5]
	v_cmp_gt_u32_e64 s[4:5], v4, v16
	v_cndmask_b32_e64 v14, 0, 1, s[4:5]
	v_cmp_lt_u32_e64 s[4:5], v4, v16
	v_cndmask_b32_e64 v4, 0, 1, s[4:5]
	v_cndmask_b32_e64 v4, v4, v14, s[44:45]
	v_and_b32_e32 v4, 1, v4
	v_cmp_eq_u32_e64 s[4:5], 1, v4
	s_and_b64 s[26:27], s[4:5], exec
.LBB192_511:                            ;   in Loop: Header=BB192_507 Depth=1
	s_or_b64 exec, exec, s[6:7]
	v_cndmask_b32_e64 v4, 0, 1, s[26:27]
	v_cmp_ne_u32_e64 s[4:5], 0, v4
	s_cmp_lg_u64 s[4:5], 0
	s_cselect_b64 s[6:7], -1, 0
	s_and_b64 s[6:7], s[68:69], s[6:7]
	s_and_saveexec_b64 s[28:29], s[6:7]
	s_cbranch_execz .LBB192_515
; %bb.512:                              ;   in Loop: Header=BB192_507 Depth=1
	s_mov_b64 s[34:35], exec
	v_mbcnt_lo_u32_b32 v4, s34, 0
	v_mbcnt_hi_u32_b32 v14, s35, v4
	s_bcnt1_i32_b64 s40, s[4:5]
	v_cmp_eq_u32_e64 s[6:7], 0, v14
                                        ; implicit-def: $vgpr8_vgpr9
	s_and_saveexec_b64 s[30:31], s[6:7]
	s_cbranch_execz .LBB192_514
; %bb.513:                              ;   in Loop: Header=BB192_507 Depth=1
	s_bcnt1_i32_b64 s6, s[34:35]
	s_mul_i32 s6, s40, s6
	v_mov_b32_e32 v4, s6
	s_waitcnt lgkmcnt(0)
	ds_add_rtn_u64 v[8:9], v5, v[4:5] offset:5136
.LBB192_514:                            ;   in Loop: Header=BB192_507 Depth=1
	s_or_b64 exec, exec, s[30:31]
	s_waitcnt lgkmcnt(0)
	v_readfirstlane_b32 s6, v9
	v_readfirstlane_b32 s7, v8
	v_mov_b32_e32 v8, s7
	v_mov_b32_e32 v9, s6
	v_mad_u64_u32 v[8:9], s[6:7], s40, v14, v[8:9]
.LBB192_515:                            ;   in Loop: Header=BB192_507 Depth=1
	s_or_b64 exec, exec, s[28:29]
	s_waitcnt lgkmcnt(0)
	ds_bpermute_b32 v8, v29, v8
	ds_bpermute_b32 v9, v29, v9
	s_mov_b64 s[6:7], -1
	s_mov_b64 s[30:31], -1
	s_and_saveexec_b64 s[28:29], s[26:27]
	s_cbranch_execz .LBB192_519
; %bb.516:                              ;   in Loop: Header=BB192_507 Depth=1
	v_and_b32_e32 v14, s4, v31
	v_and_b32_e32 v4, s5, v30
	v_bcnt_u32_b32 v14, v14, 0
	v_bcnt_u32_b32 v4, v4, v14
	s_waitcnt lgkmcnt(0)
	v_add_co_u32_e64 v14, s[4:5], v8, v4
	v_addc_co_u32_e64 v15, s[4:5], 0, v9, s[4:5]
	v_cmp_gt_u64_e64 s[4:5], s[58:59], v[14:15]
	s_mov_b64 s[26:27], 0
	s_and_saveexec_b64 s[30:31], s[4:5]
	s_cbranch_execz .LBB192_518
; %bb.517:                              ;   in Loop: Header=BB192_507 Depth=1
	v_mul_lo_u32 v4, v15, s0
	v_mul_lo_u32 v22, v14, s1
	v_mad_u64_u32 v[20:21], s[4:5], v14, s0, 0
	v_mul_lo_u32 v23, v15, s18
	v_mul_lo_u32 v24, v14, s19
	v_mad_u64_u32 v[14:15], s[4:5], v14, s18, 0
	v_add3_u32 v21, v21, v22, v4
	v_lshlrev_b64 v[20:21], 2, v[20:21]
	v_add3_u32 v15, v15, v24, v23
	v_mov_b32_e32 v4, s37
	v_add_co_u32_e64 v20, s[4:5], s36, v20
	v_lshlrev_b64 v[14:15], 3, v[14:15]
	v_addc_co_u32_e64 v21, s[4:5], v4, v21, s[4:5]
	v_mov_b32_e32 v4, s39
	v_add_co_u32_e64 v14, s[4:5], s38, v14
	s_mov_b64 s[26:27], exec
	v_addc_co_u32_e64 v15, s[4:5], v4, v15, s[4:5]
	s_waitcnt vmcnt(0)
	global_store_dword v[20:21], v18, off
	global_store_dwordx2 v[14:15], v[12:13], off
.LBB192_518:                            ;   in Loop: Header=BB192_507 Depth=1
	s_or_b64 exec, exec, s[30:31]
	s_orn2_b64 s[30:31], s[26:27], exec
.LBB192_519:                            ;   in Loop: Header=BB192_507 Depth=1
	s_or_b64 exec, exec, s[28:29]
	s_mov_b64 s[28:29], -1
	s_and_saveexec_b64 s[26:27], s[30:31]
	s_cbranch_execz .LBB192_506
; %bb.520:                              ;   in Loop: Header=BB192_507 Depth=1
	v_mov_b32_e32 v4, s61
	v_add_co_u32_e64 v2, s[4:5], s60, v2
	v_addc_co_u32_e64 v3, s[4:5], v3, v4, s[4:5]
	v_cmp_le_u64_e64 s[4:5], s[16:17], v[6:7]
	s_xor_b64 s[28:29], exec, -1
	s_orn2_b64 s[6:7], s[4:5], exec
	s_branch .LBB192_506
.LBB192_521:
	s_or_b64 exec, exec, s[22:23]
	s_mov_b64 s[4:5], exec
	s_orn2_b64 s[22:23], s[24:25], exec
	s_or_b64 exec, exec, s[20:21]
	s_and_saveexec_b64 s[6:7], s[22:23]
	s_cbranch_execz .LBB192_496
.LBB192_522:
	v_mov_b32_e32 v14, 0
	s_waitcnt vmcnt(0) lgkmcnt(0)
	s_barrier
	s_mov_b64 s[2:3], exec
	v_readlane_b32 s20, v55, 22
	v_readlane_b32 s21, v55, 23
	s_and_b64 s[20:21], s[2:3], s[20:21]
	s_mov_b64 exec, s[20:21]
	s_cbranch_execz .LBB192_524
; %bb.523:
	global_load_dword v14, v[10:11], off
.LBB192_524:
	s_or_b64 exec, exec, s[2:3]
	s_mov_b64 s[2:3], 0
	s_and_saveexec_b64 s[20:21], vcc
	s_cbranch_execz .LBB192_544
; %bb.525:
	v_add_u32_e32 v4, s33, v0
	v_mad_u64_u32 v[2:3], s[2:3], s62, v4, 0
	s_mov_b64 s[22:23], 0
	v_bfrev_b32_e32 v12, 1
	v_mad_u64_u32 v[3:4], s[2:3], s63, v4, v[3:4]
	v_readlane_b32 s2, v55, 14
	v_readlane_b32 s3, v55, 15
	s_add_u32 s2, s42, s2
	v_lshlrev_b64 v[2:3], 2, v[2:3]
	s_addc_u32 s3, s43, s3
	v_mov_b32_e32 v4, s3
	v_add_co_u32_e32 v2, vcc, s2, v2
	v_addc_co_u32_e32 v3, vcc, v4, v3, vcc
	v_mov_b32_e32 v5, 0
                                        ; implicit-def: $sgpr24_sgpr25
                                        ; implicit-def: $vgpr8_vgpr9
	s_branch .LBB192_528
.LBB192_526:                            ;   in Loop: Header=BB192_528 Depth=1
	s_or_b64 exec, exec, s[28:29]
	s_orn2_b64 s[30:31], s[34:35], exec
	s_orn2_b64 s[28:29], s[26:27], exec
.LBB192_527:                            ;   in Loop: Header=BB192_528 Depth=1
	s_or_b64 exec, exec, s[2:3]
	s_xor_b64 s[2:3], s[30:31], -1
	s_and_b64 s[26:27], exec, s[28:29]
	s_or_b64 s[22:23], s[26:27], s[22:23]
	s_andn2_b64 s[24:25], s[24:25], exec
	s_and_b64 s[2:3], s[2:3], exec
	v_mov_b32_e32 v0, v6
	s_or_b64 s[24:25], s[24:25], s[2:3]
	v_mov_b32_e32 v1, v7
	v_mov_b32_e32 v14, v13
	s_andn2_b64 exec, exec, s[22:23]
	s_cbranch_execz .LBB192_542
.LBB192_528:                            ; =>This Inner Loop Header: Depth=1
	v_add_co_u32_e32 v6, vcc, s33, v0
	v_addc_co_u32_e32 v7, vcc, 0, v1, vcc
	v_cmp_gt_u64_e32 vcc, s[56:57], v[6:7]
	v_mov_b32_e32 v13, 0
	s_and_saveexec_b64 s[2:3], vcc
	s_cbranch_execz .LBB192_530
; %bb.529:                              ;   in Loop: Header=BB192_528 Depth=1
	global_load_dword v13, v[2:3], off
.LBB192_530:                            ;   in Loop: Header=BB192_528 Depth=1
	s_or_b64 exec, exec, s[2:3]
	s_waitcnt vmcnt(0)
	v_cmp_lt_i32_e64 s[2:3], -1, v14
	v_cndmask_b32_e64 v4, -1, v12, s[2:3]
	v_xor_b32_e32 v4, v4, v14
	v_cmp_o_f32_e64 s[2:3], v14, v14
	v_cmp_gt_u64_e32 vcc, s[56:57], v[0:1]
	v_cndmask_b32_e64 v4, -1, v4, s[2:3]
	v_cmp_eq_u32_e64 s[2:3], v4, v16
	s_and_b64 s[26:27], vcc, s[2:3]
	v_cndmask_b32_e64 v4, 0, 1, s[26:27]
	v_cmp_ne_u32_e32 vcc, 0, v4
	s_cmp_lg_u64 vcc, 0
	s_cselect_b64 s[2:3], -1, 0
	s_and_b64 s[2:3], s[68:69], s[2:3]
	s_and_saveexec_b64 s[28:29], s[2:3]
	s_cbranch_execz .LBB192_534
; %bb.531:                              ;   in Loop: Header=BB192_528 Depth=1
	s_mov_b64 s[34:35], exec
	v_mbcnt_lo_u32_b32 v4, s34, 0
	v_mbcnt_hi_u32_b32 v10, s35, v4
	s_bcnt1_i32_b64 s40, vcc
	v_cmp_eq_u32_e64 s[2:3], 0, v10
                                        ; implicit-def: $vgpr8_vgpr9
	s_and_saveexec_b64 s[30:31], s[2:3]
; %bb.532:                              ;   in Loop: Header=BB192_528 Depth=1
	s_bcnt1_i32_b64 s2, s[34:35]
	s_mul_i32 s2, s40, s2
	v_mov_b32_e32 v4, s2
	ds_add_rtn_u64 v[8:9], v5, v[4:5] offset:5136
; %bb.533:                              ;   in Loop: Header=BB192_528 Depth=1
	s_or_b64 exec, exec, s[30:31]
	s_waitcnt lgkmcnt(0)
	v_readfirstlane_b32 s2, v9
	v_readfirstlane_b32 s3, v8
	v_mov_b32_e32 v8, s3
	v_mov_b32_e32 v9, s2
	v_mad_u64_u32 v[8:9], s[2:3], s40, v10, v[8:9]
.LBB192_534:                            ;   in Loop: Header=BB192_528 Depth=1
	s_or_b64 exec, exec, s[28:29]
	ds_bpermute_b32 v8, v29, v8
	ds_bpermute_b32 v9, v29, v9
	s_cmp_eq_u64 vcc, 0
	s_cselect_b64 s[30:31], -1, 0
	s_mov_b64 s[28:29], -1
	s_waitcnt lgkmcnt(0)
	v_cmp_gt_u64_e64 s[2:3], s[58:59], v[8:9]
	s_or_b64 s[34:35], s[30:31], s[2:3]
	s_mov_b64 s[30:31], -1
	s_and_saveexec_b64 s[2:3], s[34:35]
	s_cbranch_execz .LBB192_527
; %bb.535:                              ;   in Loop: Header=BB192_528 Depth=1
	v_and_b32_e32 v10, vcc_lo, v31
	v_and_b32_e32 v4, vcc_hi, v30
	v_bcnt_u32_b32 v10, v10, 0
	v_bcnt_u32_b32 v4, v4, v10
	v_mov_b32_e32 v11, s59
	v_sub_co_u32_e32 v10, vcc, s58, v8
	v_subb_co_u32_e32 v11, vcc, v11, v9, vcc
	v_cmp_gt_u64_e32 vcc, v[10:11], v[4:5]
	s_mov_b64 s[34:35], -1
	s_and_b64 s[40:41], s[26:27], vcc
	s_mov_b64 s[26:27], -1
	s_and_saveexec_b64 s[28:29], s[40:41]
	s_cbranch_execz .LBB192_539
; %bb.536:                              ;   in Loop: Header=BB192_528 Depth=1
	v_add_co_u32_e32 v10, vcc, v8, v4
	v_addc_co_u32_e32 v11, vcc, 0, v9, vcc
	v_cmp_gt_u64_e32 vcc, s[58:59], v[10:11]
	s_mov_b64 s[30:31], 0
	s_and_saveexec_b64 s[34:35], vcc
; %bb.537:                              ;   in Loop: Header=BB192_528 Depth=1
	v_mul_lo_u32 v4, v11, s0
	v_mul_lo_u32 v15, v10, s1
	v_mad_u64_u32 v[17:18], s[40:41], v10, s0, 0
	v_mul_lo_u32 v19, v11, s18
	v_mul_lo_u32 v20, v10, s19
	v_mad_u64_u32 v[10:11], s[40:41], v10, s18, 0
	v_add3_u32 v18, v18, v15, v4
	v_lshlrev_b64 v[17:18], 2, v[17:18]
	v_add3_u32 v11, v11, v20, v19
	v_mov_b32_e32 v4, s37
	v_add_co_u32_e32 v17, vcc, s36, v17
	v_lshlrev_b64 v[10:11], 3, v[10:11]
	v_addc_co_u32_e32 v18, vcc, v4, v18, vcc
	v_mov_b32_e32 v4, s39
	v_add_co_u32_e32 v10, vcc, s38, v10
	s_mov_b64 s[30:31], exec
	v_addc_co_u32_e32 v11, vcc, v4, v11, vcc
	global_store_dword v[17:18], v14, off
	global_store_dwordx2 v[10:11], v[0:1], off
; %bb.538:                              ;   in Loop: Header=BB192_528 Depth=1
	s_or_b64 exec, exec, s[34:35]
	s_xor_b64 s[34:35], exec, -1
	s_orn2_b64 s[30:31], s[30:31], exec
.LBB192_539:                            ;   in Loop: Header=BB192_528 Depth=1
	s_or_b64 exec, exec, s[28:29]
	s_and_saveexec_b64 s[28:29], s[30:31]
	s_cbranch_execz .LBB192_526
; %bb.540:                              ;   in Loop: Header=BB192_528 Depth=1
	v_mov_b32_e32 v0, s61
	v_add_co_u32_e32 v2, vcc, s60, v2
	v_addc_co_u32_e32 v3, vcc, v3, v0, vcc
	v_cmp_le_u64_e32 vcc, s[16:17], v[6:7]
	s_or_b64 s[34:35], s[34:35], exec
	s_orn2_b64 s[26:27], vcc, exec
	s_branch .LBB192_526
.LBB192_541:
	s_or_b64 s[2:3], s[2:3], exec
	s_trap 2
	s_branch .LBB192_503
.LBB192_542:
	s_or_b64 exec, exec, s[22:23]
	s_mov_b64 s[0:1], 0
	s_and_saveexec_b64 s[2:3], s[24:25]
	s_xor_b64 s[2:3], exec, s[2:3]
	s_cbranch_execnz .LBB192_548
.LBB192_543:
	s_or_b64 exec, exec, s[2:3]
	s_and_b64 s[2:3], s[0:1], exec
.LBB192_544:
	s_or_b64 exec, exec, s[20:21]
	s_and_b64 s[2:3], s[2:3], exec
	s_andn2_b64 s[4:5], s[4:5], exec
	s_or_b64 exec, exec, s[6:7]
	s_and_saveexec_b64 s[0:1], s[4:5]
	s_xor_b64 s[0:1], exec, s[0:1]
	s_cbranch_execz .LBB192_497
.LBB192_545:
	s_trap 2
	s_or_b64 s[2:3], s[2:3], exec
	s_branch .LBB192_497
.LBB192_546:
	s_or_b64 s[2:3], s[2:3], exec
	s_trap 2
	s_branch .LBB192_501
.LBB192_547:
	s_trap 2
	s_or_b64 s[2:3], s[2:3], exec
	s_branch .LBB192_499
.LBB192_548:
	s_mov_b64 s[0:1], exec
	s_trap 2
	s_branch .LBB192_543
	.section	.rodata,"a",@progbits
	.p2align	6, 0x0
	.amdhsa_kernel _ZN2at6native6sbtopk10gatherTopKIfmLi1ELb0EEEvNS_4cuda6detail10TensorInfoIKT_T0_EES8_S8_bS8_S8_NS5_IS6_S8_EES8_NS5_IlS8_EES8_PS6_
		.amdhsa_group_segment_fixed_size 5152
		.amdhsa_private_segment_fixed_size 0
		.amdhsa_kernarg_size 1568
		.amdhsa_user_sgpr_count 6
		.amdhsa_user_sgpr_private_segment_buffer 1
		.amdhsa_user_sgpr_dispatch_ptr 0
		.amdhsa_user_sgpr_queue_ptr 0
		.amdhsa_user_sgpr_kernarg_segment_ptr 1
		.amdhsa_user_sgpr_dispatch_id 0
		.amdhsa_user_sgpr_flat_scratch_init 0
		.amdhsa_user_sgpr_private_segment_size 0
		.amdhsa_uses_dynamic_stack 0
		.amdhsa_system_sgpr_private_segment_wavefront_offset 0
		.amdhsa_system_sgpr_workgroup_id_x 1
		.amdhsa_system_sgpr_workgroup_id_y 1
		.amdhsa_system_sgpr_workgroup_id_z 1
		.amdhsa_system_sgpr_workgroup_info 0
		.amdhsa_system_vgpr_workitem_id 0
		.amdhsa_next_free_vgpr 56
		.amdhsa_next_free_sgpr 96
		.amdhsa_reserve_vcc 1
		.amdhsa_reserve_flat_scratch 0
		.amdhsa_float_round_mode_32 0
		.amdhsa_float_round_mode_16_64 0
		.amdhsa_float_denorm_mode_32 3
		.amdhsa_float_denorm_mode_16_64 3
		.amdhsa_dx10_clamp 1
		.amdhsa_ieee_mode 1
		.amdhsa_fp16_overflow 0
		.amdhsa_exception_fp_ieee_invalid_op 0
		.amdhsa_exception_fp_denorm_src 0
		.amdhsa_exception_fp_ieee_div_zero 0
		.amdhsa_exception_fp_ieee_overflow 0
		.amdhsa_exception_fp_ieee_underflow 0
		.amdhsa_exception_fp_ieee_inexact 0
		.amdhsa_exception_int_div_zero 0
	.end_amdhsa_kernel
	.section	.text._ZN2at6native6sbtopk10gatherTopKIfmLi1ELb0EEEvNS_4cuda6detail10TensorInfoIKT_T0_EES8_S8_bS8_S8_NS5_IS6_S8_EES8_NS5_IlS8_EES8_PS6_,"axG",@progbits,_ZN2at6native6sbtopk10gatherTopKIfmLi1ELb0EEEvNS_4cuda6detail10TensorInfoIKT_T0_EES8_S8_bS8_S8_NS5_IS6_S8_EES8_NS5_IlS8_EES8_PS6_,comdat
.Lfunc_end192:
	.size	_ZN2at6native6sbtopk10gatherTopKIfmLi1ELb0EEEvNS_4cuda6detail10TensorInfoIKT_T0_EES8_S8_bS8_S8_NS5_IS6_S8_EES8_NS5_IlS8_EES8_PS6_, .Lfunc_end192-_ZN2at6native6sbtopk10gatherTopKIfmLi1ELb0EEEvNS_4cuda6detail10TensorInfoIKT_T0_EES8_S8_bS8_S8_NS5_IS6_S8_EES8_NS5_IlS8_EES8_PS6_
                                        ; -- End function
	.set _ZN2at6native6sbtopk10gatherTopKIfmLi1ELb0EEEvNS_4cuda6detail10TensorInfoIKT_T0_EES8_S8_bS8_S8_NS5_IS6_S8_EES8_NS5_IlS8_EES8_PS6_.num_vgpr, 56
	.set _ZN2at6native6sbtopk10gatherTopKIfmLi1ELb0EEEvNS_4cuda6detail10TensorInfoIKT_T0_EES8_S8_bS8_S8_NS5_IS6_S8_EES8_NS5_IlS8_EES8_PS6_.num_agpr, 0
	.set _ZN2at6native6sbtopk10gatherTopKIfmLi1ELb0EEEvNS_4cuda6detail10TensorInfoIKT_T0_EES8_S8_bS8_S8_NS5_IS6_S8_EES8_NS5_IlS8_EES8_PS6_.numbered_sgpr, 96
	.set _ZN2at6native6sbtopk10gatherTopKIfmLi1ELb0EEEvNS_4cuda6detail10TensorInfoIKT_T0_EES8_S8_bS8_S8_NS5_IS6_S8_EES8_NS5_IlS8_EES8_PS6_.num_named_barrier, 0
	.set _ZN2at6native6sbtopk10gatherTopKIfmLi1ELb0EEEvNS_4cuda6detail10TensorInfoIKT_T0_EES8_S8_bS8_S8_NS5_IS6_S8_EES8_NS5_IlS8_EES8_PS6_.private_seg_size, 0
	.set _ZN2at6native6sbtopk10gatherTopKIfmLi1ELb0EEEvNS_4cuda6detail10TensorInfoIKT_T0_EES8_S8_bS8_S8_NS5_IS6_S8_EES8_NS5_IlS8_EES8_PS6_.uses_vcc, 1
	.set _ZN2at6native6sbtopk10gatherTopKIfmLi1ELb0EEEvNS_4cuda6detail10TensorInfoIKT_T0_EES8_S8_bS8_S8_NS5_IS6_S8_EES8_NS5_IlS8_EES8_PS6_.uses_flat_scratch, 0
	.set _ZN2at6native6sbtopk10gatherTopKIfmLi1ELb0EEEvNS_4cuda6detail10TensorInfoIKT_T0_EES8_S8_bS8_S8_NS5_IS6_S8_EES8_NS5_IlS8_EES8_PS6_.has_dyn_sized_stack, 0
	.set _ZN2at6native6sbtopk10gatherTopKIfmLi1ELb0EEEvNS_4cuda6detail10TensorInfoIKT_T0_EES8_S8_bS8_S8_NS5_IS6_S8_EES8_NS5_IlS8_EES8_PS6_.has_recursion, 0
	.set _ZN2at6native6sbtopk10gatherTopKIfmLi1ELb0EEEvNS_4cuda6detail10TensorInfoIKT_T0_EES8_S8_bS8_S8_NS5_IS6_S8_EES8_NS5_IlS8_EES8_PS6_.has_indirect_call, 0
	.section	.AMDGPU.csdata,"",@progbits
; Kernel info:
; codeLenInByte = 25700
; TotalNumSgprs: 100
; NumVgprs: 56
; ScratchSize: 0
; MemoryBound: 0
; FloatMode: 240
; IeeeMode: 1
; LDSByteSize: 5152 bytes/workgroup (compile time only)
; SGPRBlocks: 12
; VGPRBlocks: 13
; NumSGPRsForWavesPerEU: 100
; NumVGPRsForWavesPerEU: 56
; Occupancy: 4
; WaveLimiterHint : 1
; COMPUTE_PGM_RSRC2:SCRATCH_EN: 0
; COMPUTE_PGM_RSRC2:USER_SGPR: 6
; COMPUTE_PGM_RSRC2:TRAP_HANDLER: 0
; COMPUTE_PGM_RSRC2:TGID_X_EN: 1
; COMPUTE_PGM_RSRC2:TGID_Y_EN: 1
; COMPUTE_PGM_RSRC2:TGID_Z_EN: 1
; COMPUTE_PGM_RSRC2:TIDIG_COMP_CNT: 0
	.section	.text._ZN2at6native6mbtopk23computeBlockDigitCountsIfmjLi2EEEvNS_4cuda6detail10TensorInfoIKT_T0_EEjPjjS8_iijT1_PSB_Ps,"axG",@progbits,_ZN2at6native6mbtopk23computeBlockDigitCountsIfmjLi2EEEvNS_4cuda6detail10TensorInfoIKT_T0_EEjPjjS8_iijT1_PSB_Ps,comdat
	.protected	_ZN2at6native6mbtopk23computeBlockDigitCountsIfmjLi2EEEvNS_4cuda6detail10TensorInfoIKT_T0_EEjPjjS8_iijT1_PSB_Ps ; -- Begin function _ZN2at6native6mbtopk23computeBlockDigitCountsIfmjLi2EEEvNS_4cuda6detail10TensorInfoIKT_T0_EEjPjjS8_iijT1_PSB_Ps
	.globl	_ZN2at6native6mbtopk23computeBlockDigitCountsIfmjLi2EEEvNS_4cuda6detail10TensorInfoIKT_T0_EEjPjjS8_iijT1_PSB_Ps
	.p2align	8
	.type	_ZN2at6native6mbtopk23computeBlockDigitCountsIfmjLi2EEEvNS_4cuda6detail10TensorInfoIKT_T0_EEjPjjS8_iijT1_PSB_Ps,@function
_ZN2at6native6mbtopk23computeBlockDigitCountsIfmjLi2EEEvNS_4cuda6detail10TensorInfoIKT_T0_EEjPjjS8_iijT1_PSB_Ps: ; @_ZN2at6native6mbtopk23computeBlockDigitCountsIfmjLi2EEEvNS_4cuda6detail10TensorInfoIKT_T0_EEjPjjS8_iijT1_PSB_Ps
; %bb.0:
	s_load_dwordx4 s[0:3], s[4:5], 0x1c0
	s_load_dword s9, s[4:5], 0x1b0
	s_load_dwordx2 s[10:11], s[4:5], 0x1e0
	s_waitcnt lgkmcnt(0)
	v_cvt_f32_u32_e32 v1, s2
	s_mul_i32 s8, s11, s8
	s_add_i32 s7, s8, s7
	v_rcp_iflag_f32_e32 v1, v1
	s_mul_i32 s18, s7, s10
	s_sub_i32 s11, 0, s2
	s_add_i32 s18, s18, s6
	v_mul_f32_e32 v1, 0x4f7ffffe, v1
	v_cvt_u32_f32_e32 v1, v1
	v_readfirstlane_b32 s6, v1
	s_mul_i32 s11, s11, s6
	s_mul_hi_u32 s7, s6, s11
	s_add_i32 s6, s6, s7
	s_mul_hi_u32 s6, s18, s6
	s_mul_i32 s7, s6, s2
	s_sub_i32 s7, s18, s7
	s_add_i32 s8, s6, 1
	s_sub_i32 s10, s7, s2
	s_cmp_ge_u32 s7, s2
	s_cselect_b32 s6, s8, s6
	s_cselect_b32 s7, s10, s7
	s_add_i32 s8, s6, 1
	s_cmp_ge_u32 s7, s2
	s_cselect_b32 s6, s8, s6
	s_cmp_ge_u32 s6, s9
	s_mov_b32 s7, 0
	s_cbranch_scc1 .LBB193_23
; %bb.1:
	s_load_dwordx4 s[8:11], s[4:5], 0x1d0
	s_load_dwordx2 s[12:13], s[4:5], 0x10
	s_lshl_b64 s[14:15], s[6:7], 2
	s_waitcnt lgkmcnt(0)
	s_add_u32 s8, s8, s14
	v_mov_b32_e32 v1, s12
	v_mov_b32_e32 v2, s13
	v_cmp_lt_u64_e32 vcc, s[6:7], v[1:2]
	s_addc_u32 s9, s9, s15
	s_mov_b64 s[14:15], 0
	s_cbranch_vccnz .LBB193_3
; %bb.2:
	v_cvt_f32_u32_e32 v1, s12
	s_sub_i32 s7, 0, s12
	v_rcp_iflag_f32_e32 v1, v1
	v_mul_f32_e32 v1, 0x4f7ffffe, v1
	v_cvt_u32_f32_e32 v1, v1
	v_readfirstlane_b32 s14, v1
	s_mul_i32 s7, s7, s14
	s_mul_hi_u32 s7, s14, s7
	s_add_i32 s14, s14, s7
	s_mul_hi_u32 s7, s6, s14
	s_mul_i32 s15, s7, s12
	s_sub_i32 s15, s6, s15
	s_add_i32 s14, s7, 1
	s_sub_i32 s16, s15, s12
	s_cmp_ge_u32 s15, s12
	s_cselect_b32 s7, s14, s7
	s_cselect_b32 s15, s16, s15
	s_add_i32 s14, s7, 1
	s_cmp_ge_u32 s15, s12
	s_cselect_b32 s14, s14, s7
.LBB193_3:
	s_movk_i32 s7, 0x100
	v_cmp_gt_u32_e32 vcc, s7, v0
	v_lshlrev_b32_e32 v1, 2, v0
	s_and_saveexec_b64 s[16:17], vcc
; %bb.4:
	v_mov_b32_e32 v2, 0
	ds_write_b32 v1, v2
; %bb.5:
	s_or_b64 exec, exec, s[16:17]
	s_load_dword s15, s[4:5], 0x1a0
	s_mul_i32 s7, s6, s2
	s_sub_i32 s7, s18, s7
	s_add_i32 s19, s7, 1
	s_mul_i32 s7, s1, s7
	s_lshl_b32 s7, s7, 8
	s_waitcnt lgkmcnt(0)
	s_sub_i32 s16, s15, s7
	s_add_u32 s16, s16, 0xff
	s_addc_u32 s17, 0, 0
	s_lshr_b64 s[16:17], s[16:17], 8
	s_cmp_lt_u32 s19, s2
	s_cselect_b32 s16, s1, s16
	s_cmp_lt_i32 s16, 1
	s_mov_b32 s1, 0
	s_barrier
	s_cbranch_scc1 .LBB193_21
; %bb.6:
	s_load_dwordx2 s[24:25], s[4:5], 0x0
	s_load_dwordx4 s[20:23], s[4:5], 0xd0
	s_load_dword s2, s[8:9], 0x0
	s_mul_i32 s8, s14, s13
	s_mul_hi_u32 s9, s14, s12
	s_add_i32 s9, s9, s8
	s_mul_i32 s8, s14, s12
	s_sub_u32 s6, s6, s8
	s_subb_u32 s8, 0, s9
	s_waitcnt lgkmcnt(0)
	s_mul_i32 s9, s6, s23
	s_mul_hi_u32 s12, s6, s22
	s_add_i32 s9, s12, s9
	s_mul_i32 s8, s8, s22
	s_add_i32 s9, s9, s8
	s_mul_i32 s8, s6, s22
	s_mul_i32 s6, s14, s21
	s_mul_hi_u32 s12, s14, s20
	s_add_i32 s13, s12, s6
	s_mul_i32 s12, s14, s20
	s_lshl_b64 s[12:13], s[12:13], 2
	s_add_u32 s6, s24, s12
	s_load_dwordx2 s[4:5], s[4:5], 0x1b8
	s_addc_u32 s14, s25, s13
	s_lshl_b64 s[12:13], s[8:9], 2
	s_add_u32 s9, s6, s12
	s_addc_u32 s12, s14, s13
	s_and_b32 s8, s0, 0xff
	s_cmp_eq_u32 s16, 1
	v_add_u32_e32 v2, s7, v0
	s_cbranch_scc1 .LBB193_16
; %bb.7:
	s_and_b32 s13, s16, 0x7ffffffe
	s_mov_b32 s14, 0
	v_mov_b32_e32 v3, 1
	v_bfrev_b32_e32 v4, 1
	v_mov_b32_e32 v5, v2
	s_branch .LBB193_9
.LBB193_8:                              ;   in Loop: Header=BB193_9 Depth=1
	s_or_b64 exec, exec, s[6:7]
	s_add_i32 s14, s14, 2
	s_cmp_eq_u32 s13, s14
	v_add_u32_e32 v5, 0x200, v5
	s_cbranch_scc1 .LBB193_15
.LBB193_9:                              ; =>This Inner Loop Header: Depth=1
	v_cmp_gt_u32_e64 s[0:1], s15, v5
	s_and_saveexec_b64 s[6:7], s[0:1]
	s_cbranch_execz .LBB193_12
; %bb.10:                               ;   in Loop: Header=BB193_9 Depth=1
	s_waitcnt lgkmcnt(0)
	v_mad_u64_u32 v[6:7], s[0:1], s4, v5, 0
	v_mad_u64_u32 v[7:8], s[0:1], s5, v5, v[7:8]
	v_mov_b32_e32 v8, s12
	v_lshlrev_b64 v[6:7], 2, v[6:7]
	v_add_co_u32_e64 v6, s[0:1], s9, v6
	v_addc_co_u32_e64 v7, s[0:1], v8, v7, s[0:1]
	global_load_dword v6, v[6:7], off
	s_waitcnt vmcnt(0)
	v_cmp_lt_i32_e64 s[0:1], -1, v6
	v_cndmask_b32_e64 v7, -1, v4, s[0:1]
	v_xor_b32_e32 v7, v7, v6
	v_cmp_o_f32_e64 s[0:1], v6, v6
	v_cndmask_b32_e64 v6, -1, v7, s[0:1]
	v_xor_b32_e32 v7, s2, v6
	v_and_b32_e32 v7, s3, v7
	v_cmp_eq_u32_e64 s[0:1], 0, v7
	s_and_b64 exec, exec, s[0:1]
; %bb.11:                               ;   in Loop: Header=BB193_9 Depth=1
	v_bfe_u32 v6, v6, s8, 8
	v_lshlrev_b32_e32 v6, 2, v6
	ds_add_u32 v6, v3
.LBB193_12:                             ;   in Loop: Header=BB193_9 Depth=1
	s_or_b64 exec, exec, s[6:7]
	v_add_u32_e32 v6, 0x100, v5
	v_cmp_gt_u32_e64 s[0:1], s15, v6
	s_and_saveexec_b64 s[6:7], s[0:1]
	s_cbranch_execz .LBB193_8
; %bb.13:                               ;   in Loop: Header=BB193_9 Depth=1
	s_waitcnt lgkmcnt(0)
	v_mad_u64_u32 v[7:8], s[0:1], s4, v6, 0
	v_mad_u64_u32 v[8:9], s[0:1], s5, v6, v[8:9]
	v_mov_b32_e32 v9, s12
	v_lshlrev_b64 v[6:7], 2, v[7:8]
	v_add_co_u32_e64 v6, s[0:1], s9, v6
	v_addc_co_u32_e64 v7, s[0:1], v9, v7, s[0:1]
	global_load_dword v6, v[6:7], off
	s_waitcnt vmcnt(0)
	v_cmp_lt_i32_e64 s[0:1], -1, v6
	v_cndmask_b32_e64 v7, -1, v4, s[0:1]
	v_xor_b32_e32 v7, v7, v6
	v_cmp_o_f32_e64 s[0:1], v6, v6
	v_cndmask_b32_e64 v6, -1, v7, s[0:1]
	v_xor_b32_e32 v7, s2, v6
	v_and_b32_e32 v7, s3, v7
	v_cmp_eq_u32_e64 s[0:1], 0, v7
	s_and_b64 exec, exec, s[0:1]
	s_cbranch_execz .LBB193_8
; %bb.14:                               ;   in Loop: Header=BB193_9 Depth=1
	v_bfe_u32 v6, v6, s8, 8
	v_lshlrev_b32_e32 v6, 2, v6
	ds_add_u32 v6, v3
	s_branch .LBB193_8
.LBB193_15:
	s_lshl_b32 s1, s13, 8
.LBB193_16:
	s_bitcmp0_b32 s16, 0
	s_cbranch_scc1 .LBB193_21
; %bb.17:
	v_add_u32_e32 v2, s1, v2
	v_cmp_gt_u32_e64 s[0:1], s15, v2
	s_and_saveexec_b64 s[6:7], s[0:1]
	s_cbranch_execz .LBB193_20
; %bb.18:
	s_waitcnt lgkmcnt(0)
	v_mad_u64_u32 v[3:4], s[0:1], s4, v2, 0
	v_mad_u64_u32 v[4:5], s[0:1], s5, v2, v[4:5]
	v_mov_b32_e32 v5, s12
	v_lshlrev_b64 v[2:3], 2, v[3:4]
	v_add_co_u32_e64 v2, s[0:1], s9, v2
	v_addc_co_u32_e64 v3, s[0:1], v5, v3, s[0:1]
	global_load_dword v2, v[2:3], off
	v_bfrev_b32_e32 v3, 1
	s_waitcnt vmcnt(0)
	v_cmp_lt_i32_e64 s[0:1], -1, v2
	v_cndmask_b32_e64 v3, -1, v3, s[0:1]
	v_xor_b32_e32 v3, v3, v2
	v_cmp_o_f32_e64 s[0:1], v2, v2
	v_cndmask_b32_e64 v2, -1, v3, s[0:1]
	v_xor_b32_e32 v3, s2, v2
	v_and_b32_e32 v3, s3, v3
	v_cmp_eq_u32_e64 s[0:1], 0, v3
	s_and_b64 exec, exec, s[0:1]
; %bb.19:
	v_bfe_u32 v2, v2, s8, 8
	v_lshlrev_b32_e32 v2, 2, v2
	v_mov_b32_e32 v3, 1
	ds_add_u32 v2, v3
.LBB193_20:
	s_or_b64 exec, exec, s[6:7]
.LBB193_21:
	s_waitcnt lgkmcnt(0)
	s_barrier
	s_and_saveexec_b64 s[0:1], vcc
	s_cbranch_execz .LBB193_23
; %bb.22:
	v_lshl_or_b32 v2, s18, 8, v0
	v_mov_b32_e32 v3, 0
	ds_read_b32 v5, v1
	v_lshlrev_b64 v[2:3], 1, v[2:3]
	v_mov_b32_e32 v4, s11
	v_add_co_u32_e32 v0, vcc, s10, v2
	v_addc_co_u32_e32 v1, vcc, v4, v3, vcc
	s_waitcnt lgkmcnt(0)
	global_store_short v[0:1], v5, off
.LBB193_23:
	s_endpgm
	.section	.rodata,"a",@progbits
	.p2align	6, 0x0
	.amdhsa_kernel _ZN2at6native6mbtopk23computeBlockDigitCountsIfmjLi2EEEvNS_4cuda6detail10TensorInfoIKT_T0_EEjPjjS8_iijT1_PSB_Ps
		.amdhsa_group_segment_fixed_size 1024
		.amdhsa_private_segment_fixed_size 0
		.amdhsa_kernarg_size 736
		.amdhsa_user_sgpr_count 6
		.amdhsa_user_sgpr_private_segment_buffer 1
		.amdhsa_user_sgpr_dispatch_ptr 0
		.amdhsa_user_sgpr_queue_ptr 0
		.amdhsa_user_sgpr_kernarg_segment_ptr 1
		.amdhsa_user_sgpr_dispatch_id 0
		.amdhsa_user_sgpr_flat_scratch_init 0
		.amdhsa_user_sgpr_private_segment_size 0
		.amdhsa_uses_dynamic_stack 0
		.amdhsa_system_sgpr_private_segment_wavefront_offset 0
		.amdhsa_system_sgpr_workgroup_id_x 1
		.amdhsa_system_sgpr_workgroup_id_y 1
		.amdhsa_system_sgpr_workgroup_id_z 1
		.amdhsa_system_sgpr_workgroup_info 0
		.amdhsa_system_vgpr_workitem_id 0
		.amdhsa_next_free_vgpr 10
		.amdhsa_next_free_sgpr 26
		.amdhsa_reserve_vcc 1
		.amdhsa_reserve_flat_scratch 0
		.amdhsa_float_round_mode_32 0
		.amdhsa_float_round_mode_16_64 0
		.amdhsa_float_denorm_mode_32 3
		.amdhsa_float_denorm_mode_16_64 3
		.amdhsa_dx10_clamp 1
		.amdhsa_ieee_mode 1
		.amdhsa_fp16_overflow 0
		.amdhsa_exception_fp_ieee_invalid_op 0
		.amdhsa_exception_fp_denorm_src 0
		.amdhsa_exception_fp_ieee_div_zero 0
		.amdhsa_exception_fp_ieee_overflow 0
		.amdhsa_exception_fp_ieee_underflow 0
		.amdhsa_exception_fp_ieee_inexact 0
		.amdhsa_exception_int_div_zero 0
	.end_amdhsa_kernel
	.section	.text._ZN2at6native6mbtopk23computeBlockDigitCountsIfmjLi2EEEvNS_4cuda6detail10TensorInfoIKT_T0_EEjPjjS8_iijT1_PSB_Ps,"axG",@progbits,_ZN2at6native6mbtopk23computeBlockDigitCountsIfmjLi2EEEvNS_4cuda6detail10TensorInfoIKT_T0_EEjPjjS8_iijT1_PSB_Ps,comdat
.Lfunc_end193:
	.size	_ZN2at6native6mbtopk23computeBlockDigitCountsIfmjLi2EEEvNS_4cuda6detail10TensorInfoIKT_T0_EEjPjjS8_iijT1_PSB_Ps, .Lfunc_end193-_ZN2at6native6mbtopk23computeBlockDigitCountsIfmjLi2EEEvNS_4cuda6detail10TensorInfoIKT_T0_EEjPjjS8_iijT1_PSB_Ps
                                        ; -- End function
	.set _ZN2at6native6mbtopk23computeBlockDigitCountsIfmjLi2EEEvNS_4cuda6detail10TensorInfoIKT_T0_EEjPjjS8_iijT1_PSB_Ps.num_vgpr, 10
	.set _ZN2at6native6mbtopk23computeBlockDigitCountsIfmjLi2EEEvNS_4cuda6detail10TensorInfoIKT_T0_EEjPjjS8_iijT1_PSB_Ps.num_agpr, 0
	.set _ZN2at6native6mbtopk23computeBlockDigitCountsIfmjLi2EEEvNS_4cuda6detail10TensorInfoIKT_T0_EEjPjjS8_iijT1_PSB_Ps.numbered_sgpr, 26
	.set _ZN2at6native6mbtopk23computeBlockDigitCountsIfmjLi2EEEvNS_4cuda6detail10TensorInfoIKT_T0_EEjPjjS8_iijT1_PSB_Ps.num_named_barrier, 0
	.set _ZN2at6native6mbtopk23computeBlockDigitCountsIfmjLi2EEEvNS_4cuda6detail10TensorInfoIKT_T0_EEjPjjS8_iijT1_PSB_Ps.private_seg_size, 0
	.set _ZN2at6native6mbtopk23computeBlockDigitCountsIfmjLi2EEEvNS_4cuda6detail10TensorInfoIKT_T0_EEjPjjS8_iijT1_PSB_Ps.uses_vcc, 1
	.set _ZN2at6native6mbtopk23computeBlockDigitCountsIfmjLi2EEEvNS_4cuda6detail10TensorInfoIKT_T0_EEjPjjS8_iijT1_PSB_Ps.uses_flat_scratch, 0
	.set _ZN2at6native6mbtopk23computeBlockDigitCountsIfmjLi2EEEvNS_4cuda6detail10TensorInfoIKT_T0_EEjPjjS8_iijT1_PSB_Ps.has_dyn_sized_stack, 0
	.set _ZN2at6native6mbtopk23computeBlockDigitCountsIfmjLi2EEEvNS_4cuda6detail10TensorInfoIKT_T0_EEjPjjS8_iijT1_PSB_Ps.has_recursion, 0
	.set _ZN2at6native6mbtopk23computeBlockDigitCountsIfmjLi2EEEvNS_4cuda6detail10TensorInfoIKT_T0_EEjPjjS8_iijT1_PSB_Ps.has_indirect_call, 0
	.section	.AMDGPU.csdata,"",@progbits
; Kernel info:
; codeLenInByte = 1156
; TotalNumSgprs: 30
; NumVgprs: 10
; ScratchSize: 0
; MemoryBound: 0
; FloatMode: 240
; IeeeMode: 1
; LDSByteSize: 1024 bytes/workgroup (compile time only)
; SGPRBlocks: 3
; VGPRBlocks: 2
; NumSGPRsForWavesPerEU: 30
; NumVGPRsForWavesPerEU: 10
; Occupancy: 10
; WaveLimiterHint : 1
; COMPUTE_PGM_RSRC2:SCRATCH_EN: 0
; COMPUTE_PGM_RSRC2:USER_SGPR: 6
; COMPUTE_PGM_RSRC2:TRAP_HANDLER: 0
; COMPUTE_PGM_RSRC2:TGID_X_EN: 1
; COMPUTE_PGM_RSRC2:TGID_Y_EN: 1
; COMPUTE_PGM_RSRC2:TGID_Z_EN: 1
; COMPUTE_PGM_RSRC2:TIDIG_COMP_CNT: 0
	.section	.text._ZN2at6native6mbtopk10gatherTopKIfmLi2EEEvNS_4cuda6detail10TensorInfoIKT_T0_EES8_S8_bjS8_NS5_IS6_S8_EES8_NS5_IlS8_EES8_jjPS6_PjSD_j,"axG",@progbits,_ZN2at6native6mbtopk10gatherTopKIfmLi2EEEvNS_4cuda6detail10TensorInfoIKT_T0_EES8_S8_bjS8_NS5_IS6_S8_EES8_NS5_IlS8_EES8_jjPS6_PjSD_j,comdat
	.protected	_ZN2at6native6mbtopk10gatherTopKIfmLi2EEEvNS_4cuda6detail10TensorInfoIKT_T0_EES8_S8_bjS8_NS5_IS6_S8_EES8_NS5_IlS8_EES8_jjPS6_PjSD_j ; -- Begin function _ZN2at6native6mbtopk10gatherTopKIfmLi2EEEvNS_4cuda6detail10TensorInfoIKT_T0_EES8_S8_bjS8_NS5_IS6_S8_EES8_NS5_IlS8_EES8_jjPS6_PjSD_j
	.globl	_ZN2at6native6mbtopk10gatherTopKIfmLi2EEEvNS_4cuda6detail10TensorInfoIKT_T0_EES8_S8_bjS8_NS5_IS6_S8_EES8_NS5_IlS8_EES8_jjPS6_PjSD_j
	.p2align	8
	.type	_ZN2at6native6mbtopk10gatherTopKIfmLi2EEEvNS_4cuda6detail10TensorInfoIKT_T0_EES8_S8_bjS8_NS5_IS6_S8_EES8_NS5_IlS8_EES8_jjPS6_PjSD_j,@function
_ZN2at6native6mbtopk10gatherTopKIfmLi2EEEvNS_4cuda6detail10TensorInfoIKT_T0_EES8_S8_bjS8_NS5_IS6_S8_EES8_NS5_IlS8_EES8_jjPS6_PjSD_j: ; @_ZN2at6native6mbtopk10gatherTopKIfmLi2EEEvNS_4cuda6detail10TensorInfoIKT_T0_EES8_S8_bjS8_NS5_IS6_S8_EES8_NS5_IlS8_EES8_jjPS6_PjSD_j
; %bb.0:
	s_load_dwordx2 s[0:1], s[4:5], 0x538
	s_load_dword s2, s[4:5], 0x530
	s_waitcnt lgkmcnt(0)
	s_mul_i32 s1, s1, s8
	s_add_i32 s1, s1, s7
	s_mul_i32 s0, s1, s0
	s_add_i32 s0, s0, s6
	s_cmp_ge_u32 s0, s2
	s_cbranch_scc1 .LBB194_48
; %bb.1:
	s_load_dwordx2 s[34:35], s[4:5], 0x510
	s_load_dwordx2 s[38:39], s[4:5], 0x1d0
	s_load_dwordx4 s[8:11], s[4:5], 0x1a0
	s_load_dwordx2 s[36:37], s[4:5], 0x10
	s_mov_b32 s7, 0
	s_waitcnt lgkmcnt(0)
	v_cvt_f32_u32_e32 v1, s35
	s_sub_i32 s2, 0, s35
	s_lshl_b32 s1, s34, 8
	v_rcp_iflag_f32_e32 v1, v1
	v_mul_f32_e32 v1, 0x4f7ffffe, v1
	v_cvt_u32_f32_e32 v1, v1
	v_readfirstlane_b32 s3, v1
	s_mul_i32 s2, s2, s3
	s_mul_hi_u32 s2, s3, s2
	s_add_i32 s3, s3, s2
	s_mul_hi_u32 s2, s0, s3
	s_mul_i32 s3, s2, s35
	s_sub_i32 s3, s0, s3
	s_add_i32 s6, s2, 1
	s_sub_i32 s12, s3, s35
	s_cmp_ge_u32 s3, s35
	s_cselect_b32 s2, s6, s2
	s_cselect_b32 s3, s12, s3
	s_add_i32 s6, s2, 1
	s_cmp_ge_u32 s3, s35
	s_cselect_b32 s6, s6, s2
	s_mul_i32 s20, s6, s35
	s_sub_i32 s28, s0, s20
	s_add_i32 s0, s28, 1
	s_cmp_lt_u32 s0, s35
	s_mul_i32 s33, s28, s1
	s_cbranch_scc1 .LBB194_3
; %bb.2:
	s_sub_u32 s0, s8, s33
	s_subb_u32 s1, s9, 0
	s_add_u32 s0, s0, 0xff
	s_addc_u32 s1, s1, 0
	s_ashr_i32 s2, s1, 31
	s_lshr_b32 s2, s2, 24
	s_add_u32 s0, s0, s2
	s_addc_u32 s1, s1, 0
	s_lshr_b64 s[0:1], s[0:1], 8
	s_mov_b32 s34, s0
.LBB194_3:
	s_load_dwordx2 s[40:41], s[4:5], 0x378
	v_mov_b32_e32 v1, s36
	v_mov_b32_e32 v2, s37
	v_cmp_lt_u64_e32 vcc, s[6:7], v[1:2]
	s_mov_b64 s[44:45], 0
	s_mov_b64 s[42:43], 0
	s_cbranch_vccnz .LBB194_5
; %bb.4:
	v_cvt_f32_u32_e32 v1, s36
	s_sub_i32 s0, 0, s36
	v_rcp_iflag_f32_e32 v1, v1
	v_mul_f32_e32 v1, 0x4f7ffffe, v1
	v_cvt_u32_f32_e32 v1, v1
	v_readfirstlane_b32 s1, v1
	s_mul_i32 s0, s0, s1
	s_mul_hi_u32 s0, s1, s0
	s_add_i32 s1, s1, s0
	s_mul_hi_u32 s0, s6, s1
	s_mul_i32 s2, s0, s36
	s_sub_i32 s2, s6, s2
	s_add_i32 s1, s0, 1
	s_sub_i32 s3, s2, s36
	s_cmp_ge_u32 s2, s36
	s_cselect_b32 s0, s1, s0
	s_cselect_b32 s2, s3, s2
	s_add_i32 s1, s0, 1
	s_cmp_ge_u32 s2, s36
	s_cselect_b32 s42, s1, s0
.LBB194_5:
	v_mov_b32_e32 v1, s38
	v_mov_b32_e32 v2, s39
	v_cmp_lt_u64_e32 vcc, s[6:7], v[1:2]
	s_cbranch_vccnz .LBB194_7
; %bb.6:
	v_cvt_f32_u32_e32 v1, s38
	s_sub_i32 s0, 0, s38
	v_rcp_iflag_f32_e32 v1, v1
	v_mul_f32_e32 v1, 0x4f7ffffe, v1
	v_cvt_u32_f32_e32 v1, v1
	v_readfirstlane_b32 s1, v1
	s_mul_i32 s0, s0, s1
	s_mul_hi_u32 s0, s1, s0
	s_add_i32 s1, s1, s0
	s_mul_hi_u32 s0, s6, s1
	s_mul_i32 s2, s0, s38
	s_sub_i32 s2, s6, s2
	s_add_i32 s1, s0, 1
	s_sub_i32 s3, s2, s38
	s_cmp_ge_u32 s2, s38
	s_cselect_b32 s0, s1, s0
	s_cselect_b32 s2, s3, s2
	s_add_i32 s1, s0, 1
	s_cmp_ge_u32 s2, s38
	s_cselect_b32 s44, s1, s0
.LBB194_7:
	s_waitcnt lgkmcnt(0)
	v_mov_b32_e32 v1, s40
	v_mov_b32_e32 v2, s41
	v_cmp_lt_u64_e32 vcc, s[6:7], v[1:2]
	s_mov_b64 s[46:47], 0
	s_cbranch_vccnz .LBB194_9
; %bb.8:
	v_cvt_f32_u32_e32 v1, s40
	s_sub_i32 s0, 0, s40
	v_rcp_iflag_f32_e32 v1, v1
	v_mul_f32_e32 v1, 0x4f7ffffe, v1
	v_cvt_u32_f32_e32 v1, v1
	v_readfirstlane_b32 s1, v1
	s_mul_i32 s0, s0, s1
	s_mul_hi_u32 s0, s1, s0
	s_add_i32 s1, s1, s0
	s_mul_hi_u32 s0, s6, s1
	s_mul_i32 s2, s0, s40
	s_sub_i32 s2, s6, s2
	s_add_i32 s1, s0, 1
	s_sub_i32 s3, s2, s40
	s_cmp_ge_u32 s2, s40
	s_cselect_b32 s0, s1, s0
	s_cselect_b32 s2, s3, s2
	s_add_i32 s1, s0, 1
	s_cmp_ge_u32 s2, s40
	s_cselect_b32 s46, s1, s0
.LBB194_9:
	s_load_dwordx4 s[12:15], s[4:5], 0x518
	s_load_dwordx2 s[48:49], s[4:5], 0x0
	s_lshl_b64 s[0:1], s[6:7], 2
	s_mov_b32 s21, 0
	v_cmp_eq_u32_e64 s[2:3], 0, v0
	s_waitcnt lgkmcnt(0)
	s_add_u32 s0, s12, s0
	s_addc_u32 s1, s13, s1
	s_load_dword s7, s[0:1], 0x0
	v_cmp_ne_u32_e64 s[0:1], 0, v0
	s_and_saveexec_b64 s[12:13], s[2:3]
	s_cbranch_execz .LBB194_25
; %bb.10:
	s_load_dwordx2 s[22:23], s[4:5], 0x528
	s_lshl_b64 s[24:25], s[20:21], 2
	s_add_u32 s16, s14, s24
	s_addc_u32 s17, s15, s25
	s_mov_b32 s20, 0
	s_waitcnt lgkmcnt(0)
	s_add_u32 s18, s22, s24
	s_addc_u32 s19, s23, s25
	s_mov_b32 s29, 0
	s_cmp_lt_u32 s35, 4
	s_cbranch_scc1 .LBB194_22
; %bb.11:
	s_mov_b32 s30, 0
.LBB194_12:                             ; =>This Inner Loop Header: Depth=1
	s_add_u32 s26, s14, s24
	s_addc_u32 s27, s15, s25
	s_load_dwordx4 s[16:19], s[26:27], 0x0
	s_add_u32 s26, s22, s24
	s_addc_u32 s27, s23, s25
	s_cmp_ge_u32 s30, s28
	s_cbranch_scc0 .LBB194_19
; %bb.13:                               ;   in Loop: Header=BB194_12 Depth=1
	s_add_i32 s31, s30, 1
	s_cmp_ge_u32 s31, s28
	s_cbranch_scc0 .LBB194_20
.LBB194_14:                             ;   in Loop: Header=BB194_12 Depth=1
	s_add_i32 s31, s31, 1
	s_cmp_ge_u32 s31, s28
	s_cbranch_scc0 .LBB194_21
.LBB194_15:                             ;   in Loop: Header=BB194_12 Depth=1
	s_add_i32 s31, s31, 1
	s_cmp_ge_u32 s31, s28
	s_cbranch_scc1 .LBB194_17
.LBB194_16:                             ;   in Loop: Header=BB194_12 Depth=1
	s_load_dword s26, s[26:27], 0xc
	s_waitcnt lgkmcnt(0)
	s_add_i32 s21, s21, s19
	s_add_i32 s20, s26, s20
.LBB194_17:                             ;   in Loop: Header=BB194_12 Depth=1
	s_waitcnt lgkmcnt(0)
	s_add_i32 s16, s16, s29
	s_add_i32 s16, s16, s17
	;; [unrolled: 1-line block ×4, first 2 shown]
	s_add_u32 s14, s14, 16
	s_addc_u32 s15, s15, 0
	s_add_u32 s22, s22, 16
	s_addc_u32 s23, s23, 0
	s_add_i32 s27, s31, 4
	s_add_u32 s18, s22, s24
	s_addc_u32 s19, s23, s25
	s_add_u32 s16, s14, s24
	s_addc_u32 s17, s15, s25
	s_add_i32 s26, s31, 1
	s_cmp_ge_u32 s27, s35
	s_cbranch_scc1 .LBB194_23
; %bb.18:                               ;   in Loop: Header=BB194_12 Depth=1
	s_mov_b32 s30, s26
	s_branch .LBB194_12
.LBB194_19:                             ;   in Loop: Header=BB194_12 Depth=1
	s_load_dword s31, s[26:27], 0x0
	s_waitcnt lgkmcnt(0)
	s_add_i32 s21, s16, s21
	s_add_i32 s20, s31, s20
	;; [unrolled: 1-line block ×3, first 2 shown]
	s_cmp_ge_u32 s31, s28
	s_cbranch_scc1 .LBB194_14
.LBB194_20:                             ;   in Loop: Header=BB194_12 Depth=1
	s_load_dword s43, s[26:27], 0x4
	s_waitcnt lgkmcnt(0)
	s_add_i32 s21, s21, s17
	s_add_i32 s20, s43, s20
	;; [unrolled: 1-line block ×3, first 2 shown]
	s_cmp_ge_u32 s31, s28
	s_cbranch_scc1 .LBB194_15
.LBB194_21:                             ;   in Loop: Header=BB194_12 Depth=1
	s_load_dword s43, s[26:27], 0x8
	s_waitcnt lgkmcnt(0)
	s_add_i32 s21, s21, s18
	s_add_i32 s20, s43, s20
	;; [unrolled: 1-line block ×3, first 2 shown]
	s_cmp_ge_u32 s31, s28
	s_cbranch_scc0 .LBB194_16
	s_branch .LBB194_17
.LBB194_22:
	s_mov_b32 s14, 0
	s_cmp_ge_u32 s14, s35
	s_cbranch_scc0 .LBB194_46
	s_branch .LBB194_24
.LBB194_23:
	s_add_i32 s14, s30, 4
	s_cmp_ge_u32 s14, s35
	s_cbranch_scc0 .LBB194_46
.LBB194_24:
	v_mov_b32_e32 v1, s20
	v_mov_b32_e32 v2, s29
	;; [unrolled: 1-line block ×4, first 2 shown]
	ds_write_b96 v4, v[1:3] offset:1056
.LBB194_25:
	s_or_b64 exec, exec, s[12:13]
	s_load_dwordx4 s[12:15], s[4:5], 0x1b8
	s_load_dwordx4 s[24:27], s[4:5], 0xd0
	;; [unrolled: 1-line block ×5, first 2 shown]
	s_cmp_eq_u32 s34, 0
	s_waitcnt lgkmcnt(0)
	s_barrier
	s_cbranch_scc1 .LBB194_48
; %bb.26:
	s_mul_i32 s35, s44, s39
	s_mul_hi_u32 s39, s44, s38
	s_add_i32 s39, s39, s35
	s_mul_i32 s35, s44, s38
	s_sub_u32 s35, s6, s35
	s_subb_u32 s38, 0, s39
	s_mul_i32 s31, s35, s31
	s_mul_hi_u32 s39, s35, s30
	s_mul_i32 s38, s38, s30
	s_mul_i32 s30, s35, s30
	;; [unrolled: 1-line block ×3, first 2 shown]
	s_mul_hi_u32 s35, s44, s28
	s_add_i32 s31, s39, s31
	s_add_i32 s29, s35, s29
	s_mul_i32 s35, s42, s37
	s_mul_hi_u32 s37, s42, s36
	s_add_i32 s31, s31, s38
	s_add_i32 s37, s37, s35
	s_mul_i32 s35, s42, s36
	s_sub_u32 s35, s6, s35
	s_subb_u32 s36, 0, s37
	s_mul_i32 s27, s35, s27
	s_mul_hi_u32 s37, s35, s26
	s_add_i32 s27, s37, s27
	s_mul_i32 s36, s36, s26
	s_mul_i32 s26, s35, s26
	;; [unrolled: 1-line block ×3, first 2 shown]
	s_mul_hi_u32 s35, s42, s24
	s_add_i32 s27, s27, s36
	s_add_i32 s25, s35, s25
	s_mul_i32 s35, s46, s41
	s_mul_hi_u32 s36, s46, s40
	s_add_i32 s36, s36, s35
	s_mul_i32 s35, s46, s40
	s_sub_u32 s6, s6, s35
	s_subb_u32 s35, 0, s36
	s_mul_i32 s23, s6, s23
	s_mul_hi_u32 s36, s6, s22
	s_mul_i32 s24, s42, s24
	s_add_i32 s23, s36, s23
	s_mul_i32 s35, s35, s22
	s_mul_i32 s36, s6, s22
	;; [unrolled: 1-line block ×3, first 2 shown]
	s_mul_hi_u32 s21, s46, s20
	s_add_i32 s37, s23, s35
	s_add_i32 s39, s21, s6
	s_mul_i32 s38, s46, s20
	s_lshl_b64 s[20:21], s[24:25], 2
	s_add_u32 s6, s48, s20
	s_addc_u32 s22, s49, s21
	s_lshl_b64 s[20:21], s[26:27], 2
	s_mul_i32 s28, s44, s28
	s_add_u32 s20, s6, s20
	s_addc_u32 s21, s22, s21
	s_lshl_b64 s[22:23], s[28:29], 2
	s_add_u32 s6, s14, s22
	s_addc_u32 s23, s15, s23
	s_lshl_b64 s[14:15], s[30:31], 2
	;; [unrolled: 3-line block ×4, first 2 shown]
	v_mov_b32_e32 v5, 0
	s_add_u32 s24, s6, s14
	ds_read_b96 v[1:3], v5 offset:1056
	s_addc_u32 s25, s18, s15
	s_cmp_gt_i32 s7, -1
	s_cselect_b32 s6, 0x80000000, -1
	v_cmp_o_f32_e64 s[14:15], s7, s7
	s_xor_b32 s18, s6, s7
	s_and_b64 s[6:7], s[14:15], exec
	s_waitcnt lgkmcnt(0)
	v_add_u32_e32 v1, v1, v2
	v_lshrrev_b32_e32 v2, 3, v0
	s_load_dword s6, s[4:5], 0x1b0
	s_load_dwordx2 s[14:15], s[4:5], 0x508
	v_and_b32_e32 v2, 28, v2
	v_lshl_add_u32 v8, v0, 2, v2
	v_lshrrev_b32_e32 v2, 1, v0
	v_and_b32_e32 v9, 0x7c, v2
	v_add_u32_e32 v2, -1, v0
	v_lshrrev_b32_e32 v4, 3, v2
	v_and_b32_e32 v4, 0x1ffffffc, v4
	s_cselect_b32 s26, s18, -1
	s_waitcnt lgkmcnt(0)
	s_bitcmp1_b32 s6, 0
	v_lshl_add_u32 v11, v2, 2, v4
	v_mbcnt_lo_u32_b32 v2, -1, 0
	s_cselect_b64 s[4:5], -1, 0
	v_cmp_gt_u32_e64 s[6:7], 64, v0
	v_lshlrev_b32_e32 v10, 4, v0
	v_add_u32_e32 v4, s33, v0
	v_bfrev_b32_e32 v0, 1
	v_mbcnt_hi_u32_b32 v12, -1, v2
                                        ; implicit-def: $vgpr13
	s_branch .LBB194_29
.LBB194_27:                             ;   in Loop: Header=BB194_29 Depth=1
	s_or_b64 exec, exec, s[18:19]
	v_add_u32_e32 v1, v2, v1
.LBB194_28:                             ;   in Loop: Header=BB194_29 Depth=1
	s_add_i32 s34, s34, -1
	v_add_u32_e32 v3, v14, v3
	s_cmp_lg_u32 s34, 0
	v_add_u32_e32 v4, 0x100, v4
	s_cbranch_scc0 .LBB194_48
.LBB194_29:                             ; =>This Inner Loop Header: Depth=1
	v_cmp_gt_u64_e32 vcc, s[8:9], v[4:5]
	v_mov_b32_e32 v2, v5
	v_mov_b32_e32 v6, v5
	s_and_saveexec_b64 s[18:19], vcc
	s_cbranch_execz .LBB194_31
; %bb.30:                               ;   in Loop: Header=BB194_29 Depth=1
	v_mad_u64_u32 v[6:7], s[28:29], s12, v4, 0
	v_mov_b32_e32 v2, v7
	v_mad_u64_u32 v[13:14], s[28:29], s13, v4, v[2:3]
	v_mov_b32_e32 v2, s21
	v_mov_b32_e32 v7, v13
	v_lshlrev_b64 v[6:7], 2, v[6:7]
	v_add_co_u32_e32 v6, vcc, s20, v6
	v_addc_co_u32_e32 v7, vcc, v2, v7, vcc
	global_load_dword v13, v[6:7], off
	s_waitcnt vmcnt(0)
	v_cmp_lt_i32_e32 vcc, -1, v13
	v_cndmask_b32_e32 v2, -1, v0, vcc
	v_xor_b32_e32 v2, v2, v13
	v_cmp_o_f32_e32 vcc, v13, v13
	v_cndmask_b32_e32 v6, -1, v2, vcc
	v_cmp_lt_u32_e32 vcc, s26, v6
	v_cndmask_b32_e64 v2, 0, 1, vcc
	v_cmp_gt_u32_e32 vcc, s26, v6
	v_cndmask_b32_e64 v7, 0, 1, vcc
	v_cndmask_b32_e64 v2, v7, v2, s[4:5]
	v_cmp_eq_u32_e32 vcc, s26, v6
	v_and_b32_e32 v2, 1, v2
	v_cndmask_b32_e64 v6, 0, 1, vcc
.LBB194_31:                             ;   in Loop: Header=BB194_29 Depth=1
	s_or_b64 exec, exec, s[18:19]
	ds_write_b32 v8, v2
	s_waitcnt vmcnt(0) lgkmcnt(0)
	s_barrier
	s_and_saveexec_b64 s[18:19], s[6:7]
	s_cbranch_execz .LBB194_33
; %bb.32:                               ;   in Loop: Header=BB194_29 Depth=1
	v_add_u32_e32 v7, v9, v10
	ds_read2_b32 v[14:15], v7 offset1:1
	ds_read2_b32 v[16:17], v7 offset0:2 offset1:3
	v_and_b32_e32 v18, 15, v12
	v_cmp_ne_u32_e32 vcc, 0, v18
	s_waitcnt lgkmcnt(1)
	v_add_u32_e32 v15, v15, v14
	s_waitcnt lgkmcnt(0)
	v_add3_u32 v15, v15, v16, v17
	v_bfe_i32 v17, v12, 4, 1
	; wave barrier
	s_nop 0
	v_mov_b32_dpp v16, v15 row_shr:1 row_mask:0xf bank_mask:0xf
	v_cndmask_b32_e32 v16, 0, v16, vcc
	v_add_u32_e32 v15, v16, v15
	v_cmp_lt_u32_e32 vcc, 1, v18
	s_nop 0
	v_mov_b32_dpp v16, v15 row_shr:2 row_mask:0xf bank_mask:0xf
	v_cndmask_b32_e32 v16, 0, v16, vcc
	v_add_u32_e32 v15, v15, v16
	v_cmp_lt_u32_e32 vcc, 3, v18
	s_nop 0
	v_mov_b32_dpp v16, v15 row_shr:4 row_mask:0xf bank_mask:0xf
	v_cndmask_b32_e32 v16, 0, v16, vcc
	v_add_u32_e32 v15, v15, v16
	v_cmp_lt_u32_e32 vcc, 7, v18
	s_nop 0
	v_mov_b32_dpp v16, v15 row_shr:8 row_mask:0xf bank_mask:0xf
	v_cndmask_b32_e32 v16, 0, v16, vcc
	v_add_u32_e32 v15, v15, v16
	v_cmp_lt_u32_e32 vcc, 31, v12
	s_nop 0
	v_mov_b32_dpp v16, v15 row_bcast:15 row_mask:0xf bank_mask:0xf
	v_and_b32_e32 v16, v17, v16
	v_add_u32_e32 v15, v15, v16
	v_and_b32_e32 v17, 64, v12
	s_nop 0
	v_mov_b32_dpp v16, v15 row_bcast:31 row_mask:0xf bank_mask:0xf
	v_cndmask_b32_e32 v16, 0, v16, vcc
	v_add_u32_e32 v15, v15, v16
	v_add_u32_e32 v16, -1, v12
	v_cmp_lt_i32_e32 vcc, v16, v17
	v_cndmask_b32_e32 v16, v16, v12, vcc
	v_lshlrev_b32_e32 v16, 2, v16
	ds_bpermute_b32 v15, v16, v15
	s_waitcnt lgkmcnt(0)
	v_add_u32_e32 v14, v15, v14
	v_cndmask_b32_e64 v16, v14, v2, s[2:3]
	ds_write_b32 v7, v16
	; wave barrier
	ds_read2_b32 v[14:15], v7 offset0:1 offset1:2
	ds_read_b32 v17, v7 offset:12
	s_waitcnt lgkmcnt(1)
	v_add_u32_e32 v14, v14, v16
	v_add_u32_e32 v15, v15, v14
	ds_write2_b32 v7, v14, v15 offset0:1 offset1:2
	s_waitcnt lgkmcnt(1)
	v_add_u32_e32 v14, v17, v15
	ds_write_b32 v7, v14 offset:12
.LBB194_33:                             ;   in Loop: Header=BB194_29 Depth=1
	s_or_b64 exec, exec, s[18:19]
	v_mov_b32_e32 v7, 0
	s_waitcnt lgkmcnt(0)
	s_barrier
	s_and_saveexec_b64 s[18:19], s[0:1]
; %bb.34:                               ;   in Loop: Header=BB194_29 Depth=1
	ds_read_b32 v7, v11
; %bb.35:                               ;   in Loop: Header=BB194_29 Depth=1
	s_or_b64 exec, exec, s[18:19]
	ds_read_b32 v14, v5 offset:1048
	v_cmp_ne_u32_e32 vcc, 0, v2
	s_waitcnt lgkmcnt(0)
	s_barrier
	s_and_saveexec_b64 s[18:19], vcc
	s_cbranch_execz .LBB194_37
; %bb.36:                               ;   in Loop: Header=BB194_29 Depth=1
	v_add_u32_e32 v7, v7, v3
	v_mad_u64_u32 v[15:16], s[28:29], s16, v7, 0
	v_mad_u64_u32 v[17:18], s[28:29], s14, v7, 0
	v_mov_b32_e32 v2, v16
	v_mad_u64_u32 v[19:20], s[28:29], s17, v7, v[2:3]
	v_mov_b32_e32 v2, v18
	v_mov_b32_e32 v20, s23
	;; [unrolled: 1-line block ×3, first 2 shown]
	v_lshlrev_b64 v[15:16], 2, v[15:16]
	v_mad_u64_u32 v[18:19], s[28:29], s15, v7, v[2:3]
	v_add_co_u32_e32 v15, vcc, s22, v15
	v_addc_co_u32_e32 v16, vcc, v20, v16, vcc
	global_store_dword v[15:16], v13, off
	v_lshlrev_b64 v[15:16], 3, v[17:18]
	v_mov_b32_e32 v2, s25
	v_add_co_u32_e32 v15, vcc, s24, v15
	v_addc_co_u32_e32 v16, vcc, v2, v16, vcc
	global_store_dwordx2 v[15:16], v[4:5], off
.LBB194_37:                             ;   in Loop: Header=BB194_29 Depth=1
	s_or_b64 exec, exec, s[18:19]
	v_mov_b32_e32 v2, v5
	v_cmp_le_u64_e32 vcc, s[10:11], v[1:2]
	s_cbranch_vccnz .LBB194_28
; %bb.38:                               ;   in Loop: Header=BB194_29 Depth=1
	ds_write_b32 v8, v6
	s_waitcnt vmcnt(0) lgkmcnt(0)
	s_barrier
	s_and_saveexec_b64 s[18:19], s[6:7]
	s_cbranch_execz .LBB194_40
; %bb.39:                               ;   in Loop: Header=BB194_29 Depth=1
	v_add_u32_e32 v2, v9, v10
	ds_read2_b32 v[15:16], v2 offset1:1
	ds_read2_b32 v[17:18], v2 offset0:2 offset1:3
	v_and_b32_e32 v7, 15, v12
	v_cmp_ne_u32_e32 vcc, 0, v7
	s_waitcnt lgkmcnt(1)
	v_add_u32_e32 v16, v16, v15
	s_waitcnt lgkmcnt(0)
	v_add3_u32 v16, v16, v17, v18
	; wave barrier
	s_nop 1
	v_mov_b32_dpp v17, v16 row_shr:1 row_mask:0xf bank_mask:0xf
	v_cndmask_b32_e32 v17, 0, v17, vcc
	v_add_u32_e32 v16, v17, v16
	v_cmp_lt_u32_e32 vcc, 1, v7
	s_nop 0
	v_mov_b32_dpp v17, v16 row_shr:2 row_mask:0xf bank_mask:0xf
	v_cndmask_b32_e32 v17, 0, v17, vcc
	v_add_u32_e32 v16, v16, v17
	v_cmp_lt_u32_e32 vcc, 3, v7
	;; [unrolled: 5-line block ×3, first 2 shown]
	s_nop 0
	v_mov_b32_dpp v17, v16 row_shr:8 row_mask:0xf bank_mask:0xf
	v_cndmask_b32_e32 v7, 0, v17, vcc
	v_add_u32_e32 v7, v16, v7
	v_bfe_i32 v17, v12, 4, 1
	v_cmp_lt_u32_e32 vcc, 31, v12
	v_mov_b32_dpp v16, v7 row_bcast:15 row_mask:0xf bank_mask:0xf
	v_and_b32_e32 v16, v17, v16
	v_add_u32_e32 v7, v7, v16
	v_and_b32_e32 v17, 64, v12
	s_nop 0
	v_mov_b32_dpp v16, v7 row_bcast:31 row_mask:0xf bank_mask:0xf
	v_cndmask_b32_e32 v16, 0, v16, vcc
	v_add_u32_e32 v7, v7, v16
	v_add_u32_e32 v16, -1, v12
	v_cmp_lt_i32_e32 vcc, v16, v17
	v_cndmask_b32_e32 v16, v16, v12, vcc
	v_lshlrev_b32_e32 v16, 2, v16
	ds_bpermute_b32 v7, v16, v7
	s_waitcnt lgkmcnt(0)
	v_add_u32_e32 v7, v7, v15
	v_cndmask_b32_e64 v7, v7, v6, s[2:3]
	ds_write_b32 v2, v7
	; wave barrier
	ds_read2_b32 v[15:16], v2 offset0:1 offset1:2
	ds_read_b32 v17, v2 offset:12
	s_waitcnt lgkmcnt(1)
	v_add_u32_e32 v7, v15, v7
	v_add_u32_e32 v15, v16, v7
	ds_write2_b32 v2, v7, v15 offset0:1 offset1:2
	s_waitcnt lgkmcnt(1)
	v_add_u32_e32 v7, v17, v15
	ds_write_b32 v2, v7 offset:12
.LBB194_40:                             ;   in Loop: Header=BB194_29 Depth=1
	s_or_b64 exec, exec, s[18:19]
	v_mov_b32_e32 v7, 0
	s_waitcnt lgkmcnt(0)
	s_barrier
	s_and_saveexec_b64 s[18:19], s[0:1]
; %bb.41:                               ;   in Loop: Header=BB194_29 Depth=1
	ds_read_b32 v7, v11
; %bb.42:                               ;   in Loop: Header=BB194_29 Depth=1
	s_or_b64 exec, exec, s[18:19]
	ds_read_b32 v2, v5 offset:1048
	v_cmp_ne_u32_e32 vcc, 0, v6
	s_waitcnt lgkmcnt(0)
	s_barrier
	s_and_saveexec_b64 s[18:19], vcc
	s_cbranch_execz .LBB194_27
; %bb.43:                               ;   in Loop: Header=BB194_29 Depth=1
	v_add_u32_e32 v6, v7, v1
	v_mov_b32_e32 v7, v5
	v_cmp_gt_u64_e32 vcc, s[10:11], v[6:7]
	s_and_b64 exec, exec, vcc
	s_cbranch_execz .LBB194_27
; %bb.44:                               ;   in Loop: Header=BB194_29 Depth=1
	v_mad_u64_u32 v[15:16], s[28:29], s16, v6, 0
	v_mad_u64_u32 v[17:18], s[28:29], s14, v6, 0
	v_mov_b32_e32 v7, v16
	v_mad_u64_u32 v[19:20], s[28:29], s17, v6, v[7:8]
	v_mov_b32_e32 v7, v18
	;; [unrolled: 2-line block ×3, first 2 shown]
	v_lshlrev_b64 v[15:16], 2, v[15:16]
	v_mov_b32_e32 v18, v6
	v_mov_b32_e32 v20, s23
	v_add_co_u32_e32 v15, vcc, s22, v15
	v_lshlrev_b64 v[6:7], 3, v[17:18]
	v_addc_co_u32_e32 v16, vcc, v20, v16, vcc
	global_store_dword v[15:16], v13, off
	v_mov_b32_e32 v15, s25
	v_add_co_u32_e32 v6, vcc, s24, v6
	v_addc_co_u32_e32 v7, vcc, v15, v7, vcc
	global_store_dwordx2 v[6:7], v[4:5], off
	s_branch .LBB194_27
.LBB194_45:                             ;   in Loop: Header=BB194_46 Depth=1
	s_add_u32 s16, s16, 4
	s_addc_u32 s17, s17, 0
	s_waitcnt lgkmcnt(0)
	s_add_i32 s29, s15, s29
	s_add_u32 s18, s18, 4
	s_addc_u32 s19, s19, 0
	s_add_i32 s14, s14, 1
	s_cmp_lt_u32 s14, s35
	s_cbranch_scc0 .LBB194_24
.LBB194_46:                             ; =>This Inner Loop Header: Depth=1
	s_load_dword s15, s[16:17], 0x0
	s_cmp_ge_u32 s14, s28
	s_cbranch_scc1 .LBB194_45
; %bb.47:                               ;   in Loop: Header=BB194_46 Depth=1
	s_load_dword s22, s[18:19], 0x0
	s_waitcnt lgkmcnt(0)
	s_add_i32 s21, s15, s21
	s_add_i32 s20, s22, s20
	s_branch .LBB194_45
.LBB194_48:
	s_endpgm
	.section	.rodata,"a",@progbits
	.p2align	6, 0x0
	.amdhsa_kernel _ZN2at6native6mbtopk10gatherTopKIfmLi2EEEvNS_4cuda6detail10TensorInfoIKT_T0_EES8_S8_bjS8_NS5_IS6_S8_EES8_NS5_IlS8_EES8_jjPS6_PjSD_j
		.amdhsa_group_segment_fixed_size 1068
		.amdhsa_private_segment_fixed_size 0
		.amdhsa_kernarg_size 1592
		.amdhsa_user_sgpr_count 6
		.amdhsa_user_sgpr_private_segment_buffer 1
		.amdhsa_user_sgpr_dispatch_ptr 0
		.amdhsa_user_sgpr_queue_ptr 0
		.amdhsa_user_sgpr_kernarg_segment_ptr 1
		.amdhsa_user_sgpr_dispatch_id 0
		.amdhsa_user_sgpr_flat_scratch_init 0
		.amdhsa_user_sgpr_private_segment_size 0
		.amdhsa_uses_dynamic_stack 0
		.amdhsa_system_sgpr_private_segment_wavefront_offset 0
		.amdhsa_system_sgpr_workgroup_id_x 1
		.amdhsa_system_sgpr_workgroup_id_y 1
		.amdhsa_system_sgpr_workgroup_id_z 1
		.amdhsa_system_sgpr_workgroup_info 0
		.amdhsa_system_vgpr_workitem_id 0
		.amdhsa_next_free_vgpr 21
		.amdhsa_next_free_sgpr 50
		.amdhsa_reserve_vcc 1
		.amdhsa_reserve_flat_scratch 0
		.amdhsa_float_round_mode_32 0
		.amdhsa_float_round_mode_16_64 0
		.amdhsa_float_denorm_mode_32 3
		.amdhsa_float_denorm_mode_16_64 3
		.amdhsa_dx10_clamp 1
		.amdhsa_ieee_mode 1
		.amdhsa_fp16_overflow 0
		.amdhsa_exception_fp_ieee_invalid_op 0
		.amdhsa_exception_fp_denorm_src 0
		.amdhsa_exception_fp_ieee_div_zero 0
		.amdhsa_exception_fp_ieee_overflow 0
		.amdhsa_exception_fp_ieee_underflow 0
		.amdhsa_exception_fp_ieee_inexact 0
		.amdhsa_exception_int_div_zero 0
	.end_amdhsa_kernel
	.section	.text._ZN2at6native6mbtopk10gatherTopKIfmLi2EEEvNS_4cuda6detail10TensorInfoIKT_T0_EES8_S8_bjS8_NS5_IS6_S8_EES8_NS5_IlS8_EES8_jjPS6_PjSD_j,"axG",@progbits,_ZN2at6native6mbtopk10gatherTopKIfmLi2EEEvNS_4cuda6detail10TensorInfoIKT_T0_EES8_S8_bjS8_NS5_IS6_S8_EES8_NS5_IlS8_EES8_jjPS6_PjSD_j,comdat
.Lfunc_end194:
	.size	_ZN2at6native6mbtopk10gatherTopKIfmLi2EEEvNS_4cuda6detail10TensorInfoIKT_T0_EES8_S8_bjS8_NS5_IS6_S8_EES8_NS5_IlS8_EES8_jjPS6_PjSD_j, .Lfunc_end194-_ZN2at6native6mbtopk10gatherTopKIfmLi2EEEvNS_4cuda6detail10TensorInfoIKT_T0_EES8_S8_bjS8_NS5_IS6_S8_EES8_NS5_IlS8_EES8_jjPS6_PjSD_j
                                        ; -- End function
	.set _ZN2at6native6mbtopk10gatherTopKIfmLi2EEEvNS_4cuda6detail10TensorInfoIKT_T0_EES8_S8_bjS8_NS5_IS6_S8_EES8_NS5_IlS8_EES8_jjPS6_PjSD_j.num_vgpr, 21
	.set _ZN2at6native6mbtopk10gatherTopKIfmLi2EEEvNS_4cuda6detail10TensorInfoIKT_T0_EES8_S8_bjS8_NS5_IS6_S8_EES8_NS5_IlS8_EES8_jjPS6_PjSD_j.num_agpr, 0
	.set _ZN2at6native6mbtopk10gatherTopKIfmLi2EEEvNS_4cuda6detail10TensorInfoIKT_T0_EES8_S8_bjS8_NS5_IS6_S8_EES8_NS5_IlS8_EES8_jjPS6_PjSD_j.numbered_sgpr, 50
	.set _ZN2at6native6mbtopk10gatherTopKIfmLi2EEEvNS_4cuda6detail10TensorInfoIKT_T0_EES8_S8_bjS8_NS5_IS6_S8_EES8_NS5_IlS8_EES8_jjPS6_PjSD_j.num_named_barrier, 0
	.set _ZN2at6native6mbtopk10gatherTopKIfmLi2EEEvNS_4cuda6detail10TensorInfoIKT_T0_EES8_S8_bjS8_NS5_IS6_S8_EES8_NS5_IlS8_EES8_jjPS6_PjSD_j.private_seg_size, 0
	.set _ZN2at6native6mbtopk10gatherTopKIfmLi2EEEvNS_4cuda6detail10TensorInfoIKT_T0_EES8_S8_bjS8_NS5_IS6_S8_EES8_NS5_IlS8_EES8_jjPS6_PjSD_j.uses_vcc, 1
	.set _ZN2at6native6mbtopk10gatherTopKIfmLi2EEEvNS_4cuda6detail10TensorInfoIKT_T0_EES8_S8_bjS8_NS5_IS6_S8_EES8_NS5_IlS8_EES8_jjPS6_PjSD_j.uses_flat_scratch, 0
	.set _ZN2at6native6mbtopk10gatherTopKIfmLi2EEEvNS_4cuda6detail10TensorInfoIKT_T0_EES8_S8_bjS8_NS5_IS6_S8_EES8_NS5_IlS8_EES8_jjPS6_PjSD_j.has_dyn_sized_stack, 0
	.set _ZN2at6native6mbtopk10gatherTopKIfmLi2EEEvNS_4cuda6detail10TensorInfoIKT_T0_EES8_S8_bjS8_NS5_IS6_S8_EES8_NS5_IlS8_EES8_jjPS6_PjSD_j.has_recursion, 0
	.set _ZN2at6native6mbtopk10gatherTopKIfmLi2EEEvNS_4cuda6detail10TensorInfoIKT_T0_EES8_S8_bjS8_NS5_IS6_S8_EES8_NS5_IlS8_EES8_jjPS6_PjSD_j.has_indirect_call, 0
	.section	.AMDGPU.csdata,"",@progbits
; Kernel info:
; codeLenInByte = 2760
; TotalNumSgprs: 54
; NumVgprs: 21
; ScratchSize: 0
; MemoryBound: 0
; FloatMode: 240
; IeeeMode: 1
; LDSByteSize: 1068 bytes/workgroup (compile time only)
; SGPRBlocks: 6
; VGPRBlocks: 5
; NumSGPRsForWavesPerEU: 54
; NumVGPRsForWavesPerEU: 21
; Occupancy: 10
; WaveLimiterHint : 1
; COMPUTE_PGM_RSRC2:SCRATCH_EN: 0
; COMPUTE_PGM_RSRC2:USER_SGPR: 6
; COMPUTE_PGM_RSRC2:TRAP_HANDLER: 0
; COMPUTE_PGM_RSRC2:TGID_X_EN: 1
; COMPUTE_PGM_RSRC2:TGID_Y_EN: 1
; COMPUTE_PGM_RSRC2:TGID_Z_EN: 1
; COMPUTE_PGM_RSRC2:TIDIG_COMP_CNT: 0
	.section	.text._ZN2at6native6sbtopk10gatherTopKIfmLi2ELb0EEEvNS_4cuda6detail10TensorInfoIKT_T0_EES8_S8_bS8_S8_NS5_IS6_S8_EES8_NS5_IlS8_EES8_PS6_,"axG",@progbits,_ZN2at6native6sbtopk10gatherTopKIfmLi2ELb0EEEvNS_4cuda6detail10TensorInfoIKT_T0_EES8_S8_bS8_S8_NS5_IS6_S8_EES8_NS5_IlS8_EES8_PS6_,comdat
	.protected	_ZN2at6native6sbtopk10gatherTopKIfmLi2ELb0EEEvNS_4cuda6detail10TensorInfoIKT_T0_EES8_S8_bS8_S8_NS5_IS6_S8_EES8_NS5_IlS8_EES8_PS6_ ; -- Begin function _ZN2at6native6sbtopk10gatherTopKIfmLi2ELb0EEEvNS_4cuda6detail10TensorInfoIKT_T0_EES8_S8_bS8_S8_NS5_IS6_S8_EES8_NS5_IlS8_EES8_PS6_
	.globl	_ZN2at6native6sbtopk10gatherTopKIfmLi2ELb0EEEvNS_4cuda6detail10TensorInfoIKT_T0_EES8_S8_bS8_S8_NS5_IS6_S8_EES8_NS5_IlS8_EES8_PS6_
	.p2align	8
	.type	_ZN2at6native6sbtopk10gatherTopKIfmLi2ELb0EEEvNS_4cuda6detail10TensorInfoIKT_T0_EES8_S8_bS8_S8_NS5_IS6_S8_EES8_NS5_IlS8_EES8_PS6_,@function
_ZN2at6native6sbtopk10gatherTopKIfmLi2ELb0EEEvNS_4cuda6detail10TensorInfoIKT_T0_EES8_S8_bS8_S8_NS5_IS6_S8_EES8_NS5_IlS8_EES8_PS6_: ; @_ZN2at6native6sbtopk10gatherTopKIfmLi2ELb0EEEvNS_4cuda6detail10TensorInfoIKT_T0_EES8_S8_bS8_S8_NS5_IS6_S8_EES8_NS5_IlS8_EES8_PS6_
; %bb.0:
	s_load_dwordx2 s[12:13], s[4:5], 0x520
	s_load_dwordx4 s[56:59], s[4:5], 0x1b8
	s_add_u32 s20, s4, 0x520
	s_addc_u32 s21, s5, 0
	s_mov_b32 s23, 0
	s_waitcnt lgkmcnt(0)
	s_mul_i32 s0, s13, s8
	s_add_i32 s0, s0, s7
	s_mul_i32 s0, s0, s12
	s_add_i32 s22, s0, s6
	v_mov_b32_e32 v1, s22
	v_mov_b32_e32 v2, s23
	v_cmp_le_u64_e32 vcc, s[56:57], v[1:2]
	s_cbranch_vccnz .LBB195_490
; %bb.1:
	s_load_dwordx2 s[8:9], s[4:5], 0x10
	s_load_dwordx2 s[16:17], s[4:5], 0x380
	;; [unrolled: 1-line block ×3, first 2 shown]
	s_mov_b64 s[0:1], 0
                                        ; implicit-def: $vgpr48 : SGPR spill to VGPR lane
	s_mov_b64 s[10:11], 0
	s_waitcnt lgkmcnt(0)
	v_mov_b32_e32 v1, s8
	v_mov_b32_e32 v2, s9
	v_cmp_lt_u64_e32 vcc, s[22:23], v[1:2]
	v_writelane_b32 v48, s0, 0
	v_writelane_b32 v48, s1, 1
	s_cbranch_vccnz .LBB195_3
; %bb.2:
	v_cvt_f32_u32_e32 v1, s8
	s_sub_i32 s0, 0, s8
	v_rcp_iflag_f32_e32 v1, v1
	v_mul_f32_e32 v1, 0x4f7ffffe, v1
	v_cvt_u32_f32_e32 v1, v1
	v_readfirstlane_b32 s1, v1
	s_mul_i32 s0, s0, s1
	s_mul_hi_u32 s0, s1, s0
	s_add_i32 s1, s1, s0
	s_mul_hi_u32 s0, s22, s1
	s_mul_i32 s2, s0, s8
	s_sub_i32 s2, s22, s2
	s_add_i32 s1, s0, 1
	s_sub_i32 s3, s2, s8
	s_cmp_ge_u32 s2, s8
	s_cselect_b32 s0, s1, s0
	s_cselect_b32 s2, s3, s2
	s_add_i32 s1, s0, 1
	s_cmp_ge_u32 s2, s8
	s_cselect_b32 s10, s1, s0
.LBB195_3:
	v_mov_b32_e32 v1, s14
	v_mov_b32_e32 v2, s15
	v_cmp_lt_u64_e32 vcc, s[22:23], v[1:2]
	s_cbranch_vccnz .LBB195_5
; %bb.4:
	v_cvt_f32_u32_e32 v1, s14
	s_sub_i32 s0, 0, s14
	v_rcp_iflag_f32_e32 v1, v1
	v_mul_f32_e32 v1, 0x4f7ffffe, v1
	v_cvt_u32_f32_e32 v1, v1
	v_readfirstlane_b32 s1, v1
	s_mul_i32 s0, s0, s1
	s_mul_hi_u32 s0, s1, s0
	s_add_i32 s1, s1, s0
	s_mul_hi_u32 s0, s22, s1
	s_mul_i32 s2, s0, s14
	s_sub_i32 s2, s22, s2
	s_add_i32 s1, s0, 1
	s_sub_i32 s3, s2, s14
	s_cmp_ge_u32 s2, s14
	s_cselect_b32 s0, s1, s0
	s_cselect_b32 s2, s3, s2
	s_add_i32 s1, s0, 1
	s_cmp_ge_u32 s2, s14
	s_cselect_b32 s0, s1, s0
	v_writelane_b32 v48, s0, 0
	v_writelane_b32 v48, s1, 1
.LBB195_5:
	v_writelane_b32 v48, s14, 2
	v_writelane_b32 v48, s15, 3
	s_load_dwordx2 s[14:15], s[4:5], 0x0
	v_mov_b32_e32 v1, s16
	v_mov_b32_e32 v2, s17
	v_cmp_lt_u64_e32 vcc, s[22:23], v[1:2]
	s_mov_b64 s[0:1], 0
	v_writelane_b32 v48, s0, 4
	v_writelane_b32 v48, s1, 5
	s_cbranch_vccnz .LBB195_7
; %bb.6:
	v_cvt_f32_u32_e32 v1, s16
	s_sub_i32 s0, 0, s16
	v_rcp_iflag_f32_e32 v1, v1
	v_mul_f32_e32 v1, 0x4f7ffffe, v1
	v_cvt_u32_f32_e32 v1, v1
	v_readfirstlane_b32 s1, v1
	s_mul_i32 s0, s0, s1
	s_mul_hi_u32 s0, s1, s0
	s_add_i32 s1, s1, s0
	s_mul_hi_u32 s0, s22, s1
	s_mul_i32 s2, s0, s16
	s_sub_i32 s2, s22, s2
	s_add_i32 s1, s0, 1
	s_sub_i32 s3, s2, s16
	s_cmp_ge_u32 s2, s16
	s_cselect_b32 s0, s1, s0
	s_cselect_b32 s2, s3, s2
	s_add_i32 s1, s0, 1
	s_cmp_ge_u32 s2, s16
	s_cselect_b32 s0, s1, s0
	v_writelane_b32 v48, s0, 4
	v_writelane_b32 v48, s1, 5
.LBB195_7:
	s_load_dwordx2 s[0:1], s[4:5], 0x370
	v_writelane_b32 v48, s16, 6
	v_writelane_b32 v48, s17, 7
	s_mov_b32 s85, 0
	v_cmp_eq_u32_e64 s[18:19], 0, v0
	s_waitcnt lgkmcnt(0)
	v_writelane_b32 v48, s0, 8
	v_writelane_b32 v48, s1, 9
	s_load_dwordx2 s[0:1], s[4:5], 0x1c8
	s_waitcnt lgkmcnt(0)
	v_writelane_b32 v48, s0, 10
	v_writelane_b32 v48, s1, 11
	s_load_dwordx4 s[0:3], s[4:5], 0xd0
	s_load_dwordx4 s[60:63], s[4:5], 0x1a0
	s_mov_b64 s[16:17], exec
	v_writelane_b32 v48, s18, 12
	v_writelane_b32 v48, s19, 13
	s_and_b64 s[18:19], s[16:17], s[18:19]
	s_mov_b64 exec, s[18:19]
	s_cbranch_execz .LBB195_9
; %bb.8:
	v_mov_b32_e32 v1, 0
	s_waitcnt lgkmcnt(0)
	v_mov_b32_e32 v3, s60
	v_mov_b32_e32 v4, s61
	;; [unrolled: 1-line block ×3, first 2 shown]
	ds_write_b32 v1, v1 offset:5144
	ds_write_b128 v1, v[1:4] offset:5120
.LBB195_9:
	s_or_b64 exec, exec, s[16:17]
	s_mul_i32 s7, s10, s9
	s_mul_hi_u32 s9, s10, s8
	s_add_i32 s9, s9, s7
	s_mul_i32 s7, s10, s8
	s_mov_b32 s8, s22
	v_writelane_b32 v48, s8, 14
	s_sub_u32 s7, s22, s7
	v_writelane_b32 v48, s9, 15
	s_subb_u32 s8, 0, s9
	s_waitcnt lgkmcnt(0)
	s_mul_i32 s3, s7, s3
	s_mul_hi_u32 s9, s7, s2
	s_add_i32 s3, s9, s3
	s_mul_i32 s8, s8, s2
	s_add_i32 s3, s3, s8
	s_mul_i32 s2, s7, s2
	s_mul_i32 s1, s10, s1
	s_mul_hi_u32 s7, s10, s0
	s_mul_i32 s0, s10, s0
	s_load_dwordx4 s[8:11], s[4:5], 0x298
	s_add_i32 s1, s7, s1
	s_lshl_b64 s[0:1], s[0:1], 2
	s_add_u32 s7, s14, s0
	v_mbcnt_lo_u32_b32 v1, -1, 0
	s_waitcnt lgkmcnt(0)
	v_writelane_b32 v48, s8, 16
	v_writelane_b32 v48, s9, 17
	;; [unrolled: 1-line block ×4, first 2 shown]
	s_load_dword s8, s[4:5], 0x1b0
	s_addc_u32 s9, s15, s1
	s_lshl_b64 s[0:1], s[2:3], 2
	s_add_u32 s33, s7, s0
	s_addc_u32 s94, s9, s1
	s_waitcnt lgkmcnt(0)
	s_bitcmp1_b32 s8, 0
	s_cselect_b64 s[0:1], -1, 0
	v_writelane_b32 v48, s0, 20
	v_mbcnt_hi_u32_b32 v26, -1, v1
	v_writelane_b32 v48, s1, 21
	s_xor_b64 s[90:91], s[0:1], -1
	v_cmp_gt_u32_e32 vcc, 64, v0
	v_cmp_gt_i32_e64 s[10:11], 4, v26
	v_mad_u64_u32 v[2:3], s[0:1], s58, v0, 0
	v_mov_b32_e32 v4, 0x300
	s_and_b64 s[0:1], vcc, s[10:11]
	v_mov_b32_e32 v5, 0
	v_writelane_b32 v48, s0, 22
	v_writelane_b32 v48, s1, 23
	v_cmp_gt_u64_e64 s[0:1], s[60:61], v[4:5]
	v_mov_b32_e32 v1, v3
	v_writelane_b32 v48, s0, 24
	v_mov_b32_e32 v13, 0
	v_writelane_b32 v48, s1, 25
	v_mad_u64_u32 v[3:4], s[0:1], s59, v0, v[1:2]
	v_mov_b32_e32 v1, v13
	v_cmp_gt_u64_e64 s[0:1], s[60:61], v[0:1]
	v_writelane_b32 v48, s0, 26
	v_writelane_b32 v48, s1, 27
	v_cmp_gt_u32_e64 s[0:1], 2, v0
	v_writelane_b32 v48, s0, 28
	s_barrier
	v_writelane_b32 v48, s1, 29
	s_load_dword s0, s[20:21], 0xc
	v_lshlrev_b64 v[2:3], 2, v[2:3]
	v_mov_b32_e32 v27, s94
	v_add_co_u32_e32 v10, vcc, s33, v2
	s_waitcnt lgkmcnt(0)
	s_and_b32 s95, s0, 0xffff
	s_bfe_u32 s0, s0, 0xa0006
	s_cmp_gt_u32 s95, 63
	s_cselect_b64 s[2:3], -1, 0
	v_writelane_b32 v48, s2, 30
	s_add_u32 s1, s95, -1
	v_writelane_b32 v48, s3, 31
	s_addc_u32 s2, 0, -1
	v_writelane_b32 v48, s1, 32
	s_add_u32 s1, s1, s60
	s_addc_u32 s73, s2, s61
	s_cmp_lt_u32 s6, s12
	v_writelane_b32 v48, s1, 33
	s_cselect_b32 s1, 12, 18
	v_writelane_b32 v48, s2, 34
	s_add_u32 s2, s20, s1
	s_addc_u32 s3, s21, 0
	v_writelane_b32 v48, s2, 35
	s_add_i32 s1, s0, -1
	v_writelane_b32 v48, s3, 36
	s_bfe_u32 s2, s95, 0x30006
	s_and_b32 s1, s1, 0xffff
	s_cmp_gt_u32 s1, 6
	s_cselect_b64 s[6:7], -1, 0
	v_writelane_b32 v48, s6, 37
	s_and_b32 s0, s0, 0x3f8
	v_writelane_b32 v48, s7, 38
	s_cmp_lg_u32 s2, 0
	v_writelane_b32 v48, s2, 39
	s_cselect_b64 s[2:3], -1, 0
	v_writelane_b32 v48, s2, 40
	v_writelane_b32 v48, s3, 41
	;; [unrolled: 1-line block ×3, first 2 shown]
	s_load_dwordx4 s[8:11], s[4:5], 0x440
	v_writelane_b32 v48, s5, 43
	v_addc_co_u32_e32 v11, vcc, v27, v3, vcc
	v_lshlrev_b64 v[2:3], v26, -1
	s_waitcnt lgkmcnt(0)
	v_writelane_b32 v48, s8, 44
	v_writelane_b32 v48, s9, 45
	v_not_b32_e32 v25, v2
	v_lshrrev_b32_e32 v2, 1, v0
	v_writelane_b32 v48, s10, 46
	v_and_b32_e32 v2, 0x1e0, v2
	v_writelane_b32 v48, s11, 47
	s_mov_b32 s2, 0
	v_lshlrev_b32_e32 v14, 2, v0
	v_lshlrev_b32_e32 v4, 2, v26
	v_or_b32_e32 v29, 0xc00, v2
	v_mov_b32_e32 v2, 0xc00
	v_mov_b32_e32 v19, s62
	v_writelane_b32 v48, s2, 48
	v_cmp_eq_u32_e64 s[88:89], 0, v26
	v_mov_b32_e32 v15, v13
	v_add_u32_e32 v28, 0xc00, v14
	v_and_b32_e32 v23, 0x100, v4
	v_not_b32_e32 v24, v3
	v_lshlrev_b32_e32 v31, 4, v0
	v_lshl_or_b32 v32, v26, 3, v2
	s_lshl_b32 s1, s95, 2
	s_mov_b32 s92, 30
	s_mov_b64 s[64:65], 0
	v_mov_b32_e32 v20, s63
	v_mov_b32_e32 v16, 1.0
	v_bfrev_b32_e32 v33, 1
	v_mov_b32_e32 v34, 0x4f800000
	v_mov_b32_e32 v18, 0
	;; [unrolled: 1-line block ×4, first 2 shown]
	v_writelane_b32 v48, s90, 49
                                        ; implicit-def: $sgpr66_sgpr67
                                        ; implicit-def: $sgpr68_sgpr69
                                        ; implicit-def: $sgpr76_sgpr77
                                        ; implicit-def: $sgpr78_sgpr79
                                        ; implicit-def: $sgpr70_sgpr71
                                        ; implicit-def: $sgpr22_sgpr23
                                        ; implicit-def: $sgpr56_sgpr57
                                        ; implicit-def: $sgpr74_sgpr75
                                        ; implicit-def: $sgpr80_sgpr81
                                        ; implicit-def: $sgpr82_sgpr83
	v_writelane_b32 v48, s91, 50
	s_branch .LBB195_12
.LBB195_10:                             ;   in Loop: Header=BB195_12 Depth=1
	s_or_b64 exec, exec, s[10:11]
	s_andn2_b64 s[10:11], s[82:83], exec
	s_and_b64 s[8:9], s[8:9], exec
	v_mov_b32_e32 v20, v3
	s_or_b64 s[82:83], s[10:11], s[8:9]
	s_andn2_b64 s[80:81], s[80:81], exec
	s_andn2_b64 s[74:75], s[74:75], exec
	s_andn2_b64 s[56:57], s[56:57], exec
	s_andn2_b64 s[22:23], s[22:23], exec
	s_orn2_b64 s[6:7], s[6:7], exec
	v_mov_b32_e32 v19, v2
.LBB195_11:                             ;   in Loop: Header=BB195_12 Depth=1
	s_or_b64 exec, exec, s[4:5]
	s_and_b64 s[4:5], exec, s[6:7]
	s_or_b64 s[64:65], s[4:5], s[64:65]
	s_andn2_b64 s[4:5], s[70:71], exec
	s_and_b64 s[6:7], s[82:83], exec
	s_or_b64 s[70:71], s[4:5], s[6:7]
	s_andn2_b64 s[4:5], s[78:79], exec
	s_and_b64 s[6:7], s[80:81], exec
	;; [unrolled: 3-line block ×5, first 2 shown]
	s_or_b64 s[66:67], s[4:5], s[6:7]
	s_andn2_b64 exec, exec, s[64:65]
	s_cbranch_execz .LBB195_486
.LBB195_12:                             ; =>This Loop Header: Depth=1
                                        ;     Child Loop BB195_18 Depth 2
                                        ;     Child Loop BB195_31 Depth 2
	;; [unrolled: 1-line block ×24, first 2 shown]
	ds_read_b128 v[2:5], v13 offset:5120
	s_waitcnt lgkmcnt(0)
	v_readfirstlane_b32 s31, v3
	v_readfirstlane_b32 s30, v2
	s_cmp_lg_u64 s[30:31], 0
	s_cbranch_scc1 .LBB195_39
; %bb.13:                               ;   in Loop: Header=BB195_12 Depth=1
	v_readlane_b32 s2, v48, 24
	v_readlane_b32 s3, v48, 25
	s_and_b64 vcc, exec, s[2:3]
	s_cbranch_vccz .LBB195_26
; %bb.14:                               ;   in Loop: Header=BB195_12 Depth=1
	s_mov_b64 s[4:5], 0x301
	v_cmp_gt_u64_e32 vcc, s[4:5], v[4:5]
	s_mov_b64 s[4:5], 0
	s_mov_b64 s[6:7], 0
	s_cbranch_vccz .LBB195_27
; %bb.15:                               ;   in Loop: Header=BB195_12 Depth=1
	v_readlane_b32 s2, v48, 26
	v_readlane_b32 s3, v48, 27
	s_and_saveexec_b64 s[8:9], s[2:3]
	s_cbranch_execz .LBB195_95
; %bb.16:                               ;   in Loop: Header=BB195_12 Depth=1
	v_readlane_b32 s2, v48, 35
	v_readlane_b32 s3, v48, 36
	global_load_dword v5, v[10:11], off
	v_mov_b32_e32 v3, v1
	s_mov_b64 s[10:11], 0
	v_mov_b32_e32 v2, v0
	s_nop 0
	global_load_ushort v4, v13, s[2:3]
	s_branch .LBB195_18
.LBB195_17:                             ;   in Loop: Header=BB195_18 Depth=2
	s_or_b64 exec, exec, s[6:7]
	s_waitcnt vmcnt(0)
	v_mov_b32_e32 v5, v6
	s_andn2_b64 exec, exec, s[10:11]
	s_cbranch_execz .LBB195_95
.LBB195_18:                             ;   Parent Loop BB195_12 Depth=1
                                        ; =>  This Inner Loop Header: Depth=2
	s_waitcnt vmcnt(0)
	v_add_co_u32_sdwa v2, vcc, v2, v4 dst_sel:DWORD dst_unused:UNUSED_PAD src0_sel:DWORD src1_sel:WORD_0
	v_addc_co_u32_e32 v3, vcc, 0, v3, vcc
	v_cmp_gt_u64_e64 s[6:7], s[60:61], v[2:3]
	v_cmp_le_u64_e32 vcc, s[60:61], v[2:3]
	s_waitcnt lgkmcnt(0)
	v_mov_b32_e32 v7, 0
	v_mov_b32_e32 v6, 0
	s_and_saveexec_b64 s[12:13], s[6:7]
	s_cbranch_execz .LBB195_20
; %bb.19:                               ;   in Loop: Header=BB195_18 Depth=2
	v_mul_lo_u32 v6, v3, s58
	v_mul_lo_u32 v12, v2, s59
	v_mad_u64_u32 v[8:9], s[6:7], v2, s58, 0
	v_add3_u32 v9, v9, v12, v6
	v_lshlrev_b64 v[8:9], 2, v[8:9]
	v_add_co_u32_e64 v8, s[6:7], s33, v8
	v_addc_co_u32_e64 v9, s[6:7], v27, v9, s[6:7]
	global_load_dword v6, v[8:9], off
.LBB195_20:                             ;   in Loop: Header=BB195_18 Depth=2
	s_or_b64 exec, exec, s[12:13]
	v_cmp_lt_i32_e64 s[6:7], -1, v5
	v_cndmask_b32_e64 v8, -1, v33, s[6:7]
	v_xor_b32_e32 v8, v8, v5
	v_cmp_o_f32_e64 s[6:7], v5, v5
	v_cndmask_b32_e64 v8, -1, v8, s[6:7]
	v_and_b32_e32 v8, v8, v35
	v_cmp_eq_u32_e64 s[14:15], v8, v30
	s_cmp_lg_u64 s[14:15], 0
	s_cselect_b64 s[6:7], -1, 0
	s_and_b64 s[6:7], s[88:89], s[6:7]
	s_and_saveexec_b64 s[12:13], s[6:7]
	s_cbranch_execz .LBB195_24
; %bb.21:                               ;   in Loop: Header=BB195_18 Depth=2
	s_mov_b64 s[18:19], exec
	v_mbcnt_lo_u32_b32 v7, s18, 0
	v_mbcnt_hi_u32_b32 v7, s19, v7
	s_bcnt1_i32_b64 s20, s[14:15]
	v_cmp_eq_u32_e64 s[6:7], 0, v7
                                        ; implicit-def: $vgpr8
	s_and_saveexec_b64 s[16:17], s[6:7]
; %bb.22:                               ;   in Loop: Header=BB195_18 Depth=2
	s_bcnt1_i32_b64 s6, s[18:19]
	s_mul_i32 s6, s20, s6
	v_mov_b32_e32 v8, s6
	ds_add_rtn_u32 v8, v13, v8 offset:5144
; %bb.23:                               ;   in Loop: Header=BB195_18 Depth=2
	s_or_b64 exec, exec, s[16:17]
	s_waitcnt lgkmcnt(0)
	v_readfirstlane_b32 s6, v8
	v_mov_b32_e32 v8, s6
	v_mad_u32_u24 v7, s20, v7, v8
.LBB195_24:                             ;   in Loop: Header=BB195_18 Depth=2
	s_or_b64 exec, exec, s[12:13]
	ds_bpermute_b32 v7, v23, v7
	s_and_b64 s[6:7], exec, vcc
	s_or_b64 s[10:11], s[6:7], s[10:11]
	s_and_saveexec_b64 s[6:7], s[14:15]
	s_cbranch_execz .LBB195_17
; %bb.25:                               ;   in Loop: Header=BB195_18 Depth=2
	v_and_b32_e32 v9, s14, v25
	v_and_b32_e32 v8, s15, v24
	v_bcnt_u32_b32 v9, v9, 0
	v_bcnt_u32_b32 v8, v8, v9
	v_lshlrev_b32_e32 v8, 2, v8
	s_waitcnt lgkmcnt(0)
	v_lshl_add_u32 v7, v7, 2, v8
	ds_write_b32 v7, v5
	s_branch .LBB195_17
.LBB195_26:                             ;   in Loop: Header=BB195_12 Depth=1
	s_mov_b64 s[4:5], -1
	s_mov_b64 s[6:7], 0
.LBB195_27:                             ;   in Loop: Header=BB195_12 Depth=1
	s_and_b64 vcc, exec, s[4:5]
	s_cbranch_vccz .LBB195_37
.LBB195_28:                             ;   in Loop: Header=BB195_12 Depth=1
	v_readlane_b32 s2, v48, 26
	v_readlane_b32 s3, v48, 27
	s_and_saveexec_b64 s[4:5], s[2:3]
	s_cbranch_execz .LBB195_34
; %bb.29:                               ;   in Loop: Header=BB195_12 Depth=1
	v_readlane_b32 s2, v48, 35
	v_readlane_b32 s3, v48, 36
	s_nop 4
	global_load_ushort v2, v13, s[2:3]
	global_load_dword v7, v[10:11], off
	s_waitcnt vmcnt(1)
	v_and_b32_e32 v6, 0xffff, v2
	v_add_u32_e32 v12, v6, v0
	v_cmp_gt_u64_e32 vcc, s[60:61], v[12:13]
	v_mov_b32_e32 v2, v0
	s_and_saveexec_b64 s[6:7], vcc
	s_cbranch_execz .LBB195_33
; %bb.30:                               ;   in Loop: Header=BB195_12 Depth=1
	v_mov_b32_e32 v4, v12
	v_mov_b32_e32 v3, v1
	s_mov_b64 s[8:9], 0
	v_mov_b32_e32 v5, v13
	v_mov_b32_e32 v2, v0
.LBB195_31:                             ;   Parent Loop BB195_12 Depth=1
                                        ; =>  This Inner Loop Header: Depth=2
	v_mov_b32_e32 v22, v5
	v_mov_b32_e32 v21, v4
	v_mul_lo_u32 v5, v22, s58
	v_mul_lo_u32 v8, v21, s59
	v_mad_u64_u32 v[3:4], s[10:11], v21, s58, 0
	v_mov_b32_e32 v9, s94
	v_lshlrev_b32_e32 v2, 2, v2
	v_add3_u32 v4, v4, v8, v5
	v_lshlrev_b64 v[3:4], 2, v[3:4]
	s_waitcnt vmcnt(0)
	ds_write_b32 v2, v7
	v_add_co_u32_e32 v3, vcc, s33, v3
	v_addc_co_u32_e32 v4, vcc, v9, v4, vcc
	global_load_dword v8, v[3:4], off
	v_add_co_u32_e32 v4, vcc, v21, v6
	v_addc_co_u32_e32 v5, vcc, 0, v22, vcc
	v_cmp_le_u64_e32 vcc, s[60:61], v[4:5]
	v_mov_b32_e32 v2, v21
	s_or_b64 s[8:9], vcc, s[8:9]
	v_mov_b32_e32 v3, v22
	s_waitcnt vmcnt(0)
	v_mov_b32_e32 v7, v8
	s_andn2_b64 exec, exec, s[8:9]
	s_cbranch_execnz .LBB195_31
; %bb.32:                               ;   in Loop: Header=BB195_12 Depth=1
	s_or_b64 exec, exec, s[8:9]
	v_sub_u32_e32 v2, v4, v6
	v_mov_b32_e32 v7, v8
.LBB195_33:                             ;   in Loop: Header=BB195_12 Depth=1
	s_or_b64 exec, exec, s[6:7]
	v_lshlrev_b32_e32 v2, 2, v2
	s_waitcnt vmcnt(0)
	ds_write_b32 v2, v7
.LBB195_34:                             ;   in Loop: Header=BB195_12 Depth=1
	s_or_b64 exec, exec, s[4:5]
	v_readlane_b32 s2, v48, 12
	v_readlane_b32 s3, v48, 13
	s_waitcnt lgkmcnt(0)
	s_barrier
	s_and_saveexec_b64 s[4:5], s[2:3]
; %bb.35:                               ;   in Loop: Header=BB195_12 Depth=1
	v_mov_b32_e32 v2, s60
	v_mov_b32_e32 v3, s61
	ds_write_b64 v13, v[2:3] offset:5120
; %bb.36:                               ;   in Loop: Header=BB195_12 Depth=1
	s_or_b64 exec, exec, s[4:5]
	s_mov_b64 s[6:7], -1
	s_waitcnt lgkmcnt(0)
	s_barrier
.LBB195_37:                             ;   in Loop: Header=BB195_12 Depth=1
	s_mov_b64 s[30:31], 0
	s_and_b64 vcc, exec, s[6:7]
	s_cbranch_vccz .LBB195_39
; %bb.38:                               ;   in Loop: Header=BB195_12 Depth=1
	ds_read_b64 v[2:3], v13 offset:5120
	s_waitcnt lgkmcnt(0)
	v_readfirstlane_b32 s30, v2
.LBB195_39:                             ;   in Loop: Header=BB195_12 Depth=1
	s_cmp_lt_i32 s30, 1
	s_mov_b64 s[4:5], -1
	v_writelane_b32 v48, s22, 51
                                        ; implicit-def: $vgpr2_vgpr3
                                        ; implicit-def: $vgpr6_vgpr7
	v_writelane_b32 v48, s23, 52
	s_cbranch_scc0 .LBB195_54
; %bb.40:                               ;   in Loop: Header=BB195_12 Depth=1
	v_readlane_b32 s2, v48, 35
	v_readlane_b32 s3, v48, 36
	s_mov_b32 s4, s85
	s_nop 3
	global_load_ushort v12, v13, s[2:3]
	s_waitcnt vmcnt(0)
	v_readfirstlane_b32 s5, v12
	s_and_b32 s5, 0xffff, s5
	s_lshl_b32 s31, s5, 2
	s_mov_b32 s5, s61
	s_cmp_lg_u64 s[4:5], 0
	s_cbranch_scc0 .LBB195_72
; %bb.41:                               ;   in Loop: Header=BB195_12 Depth=1
	v_cvt_f32_u32_e32 v2, s31
	s_sub_u32 s6, 0, s31
	s_subb_u32 s7, 0, 0
	v_mac_f32_e32 v2, 0, v34
	v_rcp_f32_e32 v2, v2
	v_mul_f32_e32 v2, 0x5f7ffffc, v2
	v_mul_f32_e32 v3, 0x2f800000, v2
	v_trunc_f32_e32 v3, v3
	v_mac_f32_e32 v2, 0xcf800000, v3
	v_cvt_u32_f32_e32 v3, v3
	v_cvt_u32_f32_e32 v2, v2
	v_readfirstlane_b32 s8, v3
	v_readfirstlane_b32 s4, v2
	s_mul_i32 s5, s6, s8
	s_mul_hi_u32 s10, s6, s4
	s_mul_i32 s9, s7, s4
	s_add_i32 s5, s10, s5
	s_mul_i32 s11, s6, s4
	s_add_i32 s5, s5, s9
	s_mul_hi_u32 s10, s4, s11
	s_mul_i32 s12, s4, s5
	s_mul_hi_u32 s9, s4, s5
	s_add_u32 s10, s10, s12
	s_addc_u32 s9, 0, s9
	s_mul_hi_u32 s13, s8, s11
	s_mul_i32 s11, s8, s11
	s_add_u32 s10, s10, s11
	s_mul_hi_u32 s12, s8, s5
	s_addc_u32 s9, s9, s13
	s_addc_u32 s10, s12, 0
	s_mul_i32 s5, s8, s5
	s_add_u32 s5, s9, s5
	s_addc_u32 s9, 0, s10
	s_add_u32 s10, s4, s5
	s_cselect_b64 s[4:5], -1, 0
	s_cmp_lg_u64 s[4:5], 0
	s_addc_u32 s8, s8, s9
	s_mul_i32 s4, s6, s8
	s_mul_hi_u32 s5, s6, s10
	s_add_i32 s4, s5, s4
	s_mul_i32 s7, s7, s10
	s_add_i32 s4, s4, s7
	s_mul_i32 s6, s6, s10
	s_mul_hi_u32 s7, s8, s6
	s_mul_i32 s9, s8, s6
	s_mul_i32 s12, s10, s4
	s_mul_hi_u32 s6, s10, s6
	s_mul_hi_u32 s11, s10, s4
	s_add_u32 s6, s6, s12
	s_addc_u32 s11, 0, s11
	s_add_u32 s6, s6, s9
	s_mul_hi_u32 s5, s8, s4
	s_addc_u32 s6, s11, s7
	s_addc_u32 s5, s5, 0
	s_mul_i32 s4, s8, s4
	s_add_u32 s4, s6, s4
	s_addc_u32 s6, 0, s5
	s_add_u32 s7, s10, s4
	s_cselect_b64 s[4:5], -1, 0
	s_cmp_lg_u64 s[4:5], 0
	s_addc_u32 s4, s8, s6
	s_mul_i32 s6, s60, s4
	s_mul_hi_u32 s8, s60, s7
	s_mul_hi_u32 s5, s60, s4
	s_add_u32 s6, s8, s6
	s_addc_u32 s5, 0, s5
	s_mul_hi_u32 s9, s61, s7
	s_mul_i32 s7, s61, s7
	s_add_u32 s6, s6, s7
	s_mul_hi_u32 s8, s61, s4
	s_addc_u32 s5, s5, s9
	s_addc_u32 s6, s8, 0
	s_mul_i32 s4, s61, s4
	s_add_u32 s4, s5, s4
	s_addc_u32 s5, 0, s6
	s_mul_i32 s5, s31, s5
	s_mul_hi_u32 s6, s31, s4
	s_add_i32 s6, s6, s5
	s_mul_i32 s4, s31, s4
	s_sub_u32 s7, s60, s4
	s_cselect_b64 s[4:5], -1, 0
	s_cmp_lg_u64 s[4:5], 0
	s_subb_u32 s6, s61, s6
	s_sub_u32 s8, s7, s31
	s_cselect_b64 s[4:5], -1, 0
	s_cmp_lg_u64 s[4:5], 0
	s_subb_u32 s9, s6, 0
	;; [unrolled: 4-line block ×3, first 2 shown]
	s_cmp_ge_u32 s8, s31
	s_cselect_b32 s5, -1, 0
	s_cmp_eq_u32 s9, 0
	s_cselect_b32 s5, s5, -1
	s_cmp_lg_u32 s5, 0
	s_cselect_b32 s4, s4, s9
	s_cselect_b32 s8, s10, s8
	s_cmp_ge_u32 s7, s31
	s_cselect_b32 s5, -1, 0
	s_cmp_eq_u32 s6, 0
	s_cselect_b32 s5, s5, -1
	s_cmp_lg_u32 s5, 0
	s_cselect_b32 s5, s4, s6
	s_cselect_b32 s4, s8, s7
	s_cbranch_execnz .LBB195_43
.LBB195_42:                             ;   in Loop: Header=BB195_12 Depth=1
	v_cvt_f32_u32_e32 v2, s31
	s_sub_i32 s4, 0, s31
	v_rcp_iflag_f32_e32 v2, v2
	v_mul_f32_e32 v2, 0x4f7ffffe, v2
	v_cvt_u32_f32_e32 v2, v2
	v_readfirstlane_b32 s5, v2
	s_mul_i32 s4, s4, s5
	s_mul_hi_u32 s4, s5, s4
	s_add_i32 s5, s5, s4
	s_mul_hi_u32 s4, s60, s5
	s_mul_i32 s4, s4, s31
	s_sub_i32 s4, s60, s4
	s_sub_i32 s5, s4, s31
	s_cmp_ge_u32 s4, s31
	s_cselect_b32 s4, s5, s4
	s_sub_i32 s5, s4, s31
	s_cmp_ge_u32 s4, s31
	s_cselect_b32 s84, s5, s4
	s_mov_b64 s[4:5], s[84:85]
.LBB195_43:                             ;   in Loop: Header=BB195_12 Depth=1
	s_sub_u32 s54, s60, s4
	s_subb_u32 s55, s61, s5
	v_cmp_gt_u64_e32 vcc, s[54:55], v[14:15]
	v_mov_b32_e32 v2, 0
	v_mov_b32_e32 v4, 0
	v_mov_b32_e32 v6, 0
	v_mov_b32_e32 v8, 0
	v_mov_b32_e32 v3, 0
	v_mov_b32_e32 v5, 0
	v_mov_b32_e32 v7, 0
	v_mov_b32_e32 v9, 0
	s_and_saveexec_b64 s[8:9], vcc
	s_cbranch_execz .LBB195_47
; %bb.44:                               ;   in Loop: Header=BB195_12 Depth=1
	v_mov_b32_e32 v22, v15
	s_mov_b32 s3, s73
	s_mov_b64 s[10:11], 0
	s_mov_b64 s[72:73], 0
	;; [unrolled: 1-line block ×5, first 2 shown]
	v_mov_b32_e32 v21, v14
.LBB195_45:                             ;   Parent Loop BB195_12 Depth=1
                                        ; =>  This Inner Loop Header: Depth=2
	v_mul_lo_u32 v4, v22, s58
	v_mul_lo_u32 v5, v21, s59
	v_mad_u64_u32 v[2:3], s[6:7], v21, s58, 0
	v_mov_b32_e32 v6, s94
	s_lshl_b64 s[14:15], s[58:59], 2
	v_add3_u32 v3, v3, v5, v4
	v_lshlrev_b64 v[2:3], 2, v[2:3]
	v_mov_b32_e32 v7, s15
	v_add_co_u32_e64 v2, s[6:7], s33, v2
	v_addc_co_u32_e64 v3, s[6:7], v6, v3, s[6:7]
	global_load_dword v4, v[2:3], off
	v_add_co_u32_e64 v2, s[6:7], s14, v2
	v_addc_co_u32_e64 v3, s[6:7], v3, v7, s[6:7]
	global_load_dword v5, v[2:3], off
	;; [unrolled: 3-line block ×4, first 2 shown]
	v_add_co_u32_e32 v21, vcc, s31, v21
	v_addc_co_u32_e32 v22, vcc, 0, v22, vcc
	v_cmp_le_u64_e32 vcc, s[54:55], v[21:22]
	s_waitcnt vmcnt(3)
	v_cmp_lt_i32_e64 s[6:7], -1, v4
	v_cndmask_b32_e64 v3, -1, v33, s[6:7]
	v_xor_b32_e32 v3, v3, v4
	s_waitcnt vmcnt(2)
	v_cmp_lt_i32_e64 s[6:7], -1, v5
	v_cndmask_b32_e64 v7, -1, v33, s[6:7]
	v_cmp_o_f32_e64 s[6:7], v4, v4
	v_cndmask_b32_e64 v3, -1, v3, s[6:7]
	v_xor_b32_e32 v4, v7, v5
	s_waitcnt vmcnt(1)
	v_cmp_lt_i32_e64 s[6:7], -1, v6
	v_cndmask_b32_e64 v7, -1, v33, s[6:7]
	v_cmp_o_f32_e64 s[6:7], v5, v5
	v_cndmask_b32_e64 v4, -1, v4, s[6:7]
	v_xor_b32_e32 v5, v7, v6
	s_waitcnt vmcnt(0)
	v_cmp_lt_i32_e64 s[6:7], -1, v2
	v_cndmask_b32_e64 v7, -1, v33, s[6:7]
	v_and_b32_e32 v8, v3, v35
	v_bfe_u32 v3, v3, s92, 2
	v_cmp_o_f32_e64 s[6:7], v6, v6
	v_cndmask_b32_e64 v5, -1, v5, s[6:7]
	v_xor_b32_e32 v6, v7, v2
	v_cmp_eq_u32_e64 s[14:15], v8, v30
	v_and_b32_e32 v7, v4, v35
	v_bfe_u32 v4, v4, s92, 2
	v_cmp_eq_u32_e64 s[6:7], 0, v3
	v_cmp_o_f32_e64 s[16:17], v2, v2
	v_cndmask_b32_e64 v2, -1, v6, s[16:17]
	v_cmp_eq_u32_e64 s[16:17], v7, v30
	v_cmp_eq_u32_e64 s[26:27], 0, v4
	s_and_b64 s[6:7], s[14:15], s[6:7]
	v_cmp_eq_u32_e64 s[34:35], 1, v3
	v_cmp_eq_u32_e64 s[36:37], 2, v3
	;; [unrolled: 1-line block ×3, first 2 shown]
	v_and_b32_e32 v3, v5, v35
	v_bfe_u32 v5, v5, s92, 2
	v_cmp_eq_u32_e64 s[38:39], 1, v4
	v_cmp_eq_u32_e64 s[40:41], 2, v4
	;; [unrolled: 1-line block ×3, first 2 shown]
	v_cndmask_b32_e64 v4, 0, 1, s[6:7]
	s_and_b64 s[26:27], s[16:17], s[26:27]
	v_cmp_eq_u32_e64 s[22:23], v3, v30
	v_and_b32_e32 v3, v2, v35
	v_bfe_u32 v2, v2, s92, 2
	v_cmp_eq_u32_e64 s[6:7], 0, v5
	v_cmp_ne_u32_e64 s[46:47], 0, v4
	v_cndmask_b32_e64 v4, 0, 1, s[26:27]
	v_cmp_eq_u32_e64 s[26:27], v3, v30
	v_cmp_eq_u32_e64 s[48:49], 0, v2
	s_bcnt1_i32_b64 s84, s[46:47]
	v_cmp_ne_u32_e64 s[46:47], 0, v4
	s_and_b64 s[6:7], s[22:23], s[6:7]
	v_cmp_eq_u32_e64 s[50:51], 1, v2
	v_cmp_eq_u32_e64 s[52:53], 2, v2
	;; [unrolled: 1-line block ×3, first 2 shown]
	v_cndmask_b32_e64 v2, 0, 1, s[6:7]
	s_bcnt1_i32_b64 s86, s[46:47]
	s_and_b64 s[46:47], s[26:27], s[48:49]
	v_cmp_ne_u32_e64 s[6:7], 0, v2
	v_cndmask_b32_e64 v2, 0, 1, s[46:47]
	s_bcnt1_i32_b64 s46, s[6:7]
	v_cmp_ne_u32_e64 s[6:7], 0, v2
	s_bcnt1_i32_b64 s6, s[6:7]
	s_add_u32 s4, s84, s4
	s_addc_u32 s5, 0, s5
	s_add_u32 s4, s4, s86
	s_addc_u32 s5, s5, 0
	;; [unrolled: 2-line block ×4, first 2 shown]
	s_and_b64 s[6:7], s[14:15], s[34:35]
	v_cmp_eq_u32_e64 s[42:43], 1, v5
	v_cndmask_b32_e64 v4, 0, 1, s[6:7]
	s_and_b64 s[6:7], s[16:17], s[38:39]
	v_cmp_eq_u32_e64 s[44:45], 2, v5
	v_cmp_eq_u32_e64 s[24:25], 3, v5
	v_cndmask_b32_e64 v5, 0, 1, s[6:7]
	s_and_b64 s[6:7], s[22:23], s[42:43]
	v_cndmask_b32_e64 v6, 0, 1, s[6:7]
	s_and_b64 s[6:7], s[26:27], s[50:51]
	v_cndmask_b32_e64 v7, 0, 1, s[6:7]
	v_cmp_ne_u32_e64 s[6:7], 0, v4
	v_cmp_ne_u32_e64 s[34:35], 0, v5
	v_cmp_ne_u32_e64 s[38:39], 0, v6
	v_cmp_ne_u32_e64 s[42:43], 0, v7
	s_bcnt1_i32_b64 s6, s[6:7]
	s_bcnt1_i32_b64 s7, s[34:35]
	;; [unrolled: 1-line block ×4, first 2 shown]
	s_add_u32 s6, s6, s12
	s_addc_u32 s12, 0, s13
	s_add_u32 s6, s6, s7
	s_addc_u32 s7, s12, 0
	;; [unrolled: 2-line block ×4, first 2 shown]
	s_and_b64 s[6:7], s[14:15], s[36:37]
	v_cndmask_b32_e64 v6, 0, 1, s[6:7]
	s_and_b64 s[6:7], s[16:17], s[40:41]
	v_cndmask_b32_e64 v7, 0, 1, s[6:7]
	;; [unrolled: 2-line block ×4, first 2 shown]
	v_cmp_ne_u32_e64 s[6:7], 0, v6
	v_cmp_ne_u32_e64 s[34:35], 0, v7
	;; [unrolled: 1-line block ×4, first 2 shown]
	s_bcnt1_i32_b64 s6, s[6:7]
	s_bcnt1_i32_b64 s7, s[34:35]
	;; [unrolled: 1-line block ×4, first 2 shown]
	s_add_u32 s6, s6, s90
	s_addc_u32 s36, 0, s91
	s_add_u32 s6, s6, s7
	s_addc_u32 s7, s36, 0
	;; [unrolled: 2-line block ×4, first 2 shown]
	s_and_b64 s[6:7], s[14:15], s[18:19]
	v_cndmask_b32_e64 v8, 0, 1, s[6:7]
	s_and_b64 s[6:7], s[16:17], s[20:21]
	v_cndmask_b32_e64 v9, 0, 1, s[6:7]
	;; [unrolled: 2-line block ×4, first 2 shown]
	v_cmp_ne_u32_e64 s[6:7], 0, v8
	v_cmp_ne_u32_e64 s[14:15], 0, v9
	;; [unrolled: 1-line block ×4, first 2 shown]
	s_bcnt1_i32_b64 s6, s[6:7]
	s_bcnt1_i32_b64 s7, s[14:15]
	;; [unrolled: 1-line block ×4, first 2 shown]
	s_add_u32 s6, s6, s72
	s_addc_u32 s16, 0, s73
	s_add_u32 s6, s6, s7
	s_addc_u32 s7, s16, 0
	;; [unrolled: 2-line block ×3, first 2 shown]
	s_add_u32 s72, s6, s15
	v_mov_b32_e32 v2, s4
	v_mov_b32_e32 v4, s12
	;; [unrolled: 1-line block ×3, first 2 shown]
	s_addc_u32 s73, s7, 0
	v_mov_b32_e32 v8, s72
	v_mov_b32_e32 v3, s5
	v_mov_b32_e32 v5, s13
	v_mov_b32_e32 v7, s91
	s_or_b64 s[10:11], vcc, s[10:11]
	v_mov_b32_e32 v9, s73
	s_andn2_b64 exec, exec, s[10:11]
	s_cbranch_execnz .LBB195_45
; %bb.46:                               ;   in Loop: Header=BB195_12 Depth=1
	s_or_b64 exec, exec, s[10:11]
	v_readlane_b32 s90, v48, 49
	v_readlane_b32 s91, v48, 50
	s_mov_b32 s73, s3
.LBB195_47:                             ;   in Loop: Header=BB195_12 Depth=1
	s_or_b64 exec, exec, s[8:9]
	v_mov_b32_e32 v17, s55
	v_add_co_u32_e32 v21, vcc, s54, v0
	v_addc_co_u32_e32 v22, vcc, 0, v17, vcc
	v_cmp_gt_u64_e32 vcc, s[60:61], v[21:22]
	s_and_saveexec_b64 s[4:5], vcc
	s_cbranch_execz .LBB195_53
; %bb.48:                               ;   in Loop: Header=BB195_12 Depth=1
	v_mul_lo_u32 v17, v22, s58
	v_mul_lo_u32 v38, v21, s59
	v_mad_u64_u32 v[36:37], s[6:7], v21, s58, 0
	s_mov_b64 s[8:9], 0
	v_add3_u32 v37, v37, v38, v17
	v_lshlrev_b64 v[36:37], 2, v[36:37]
	v_mov_b32_e32 v17, s94
	v_add_co_u32_e32 v36, vcc, s33, v36
	v_addc_co_u32_e32 v37, vcc, v17, v37, vcc
	global_load_dword v36, v[36:37], off
	s_branch .LBB195_50
.LBB195_49:                             ;   in Loop: Header=BB195_50 Depth=2
	s_or_b64 exec, exec, s[10:11]
	s_and_b64 s[6:7], exec, vcc
	s_waitcnt vmcnt(0)
	v_cmp_lt_i32_e32 vcc, -1, v36
	v_cndmask_b32_e32 v37, -1, v33, vcc
	v_xor_b32_e32 v37, v37, v36
	v_cmp_o_f32_e32 vcc, v36, v36
	v_cndmask_b32_e32 v36, -1, v37, vcc
	v_and_b32_e32 v37, v36, v35
	v_bfe_u32 v36, v36, s92, 2
	s_or_b64 s[8:9], s[6:7], s[8:9]
	v_cmp_eq_u32_e32 vcc, v37, v30
	v_cmp_eq_u32_e64 s[6:7], 0, v36
	s_and_b64 s[6:7], vcc, s[6:7]
	v_cndmask_b32_e64 v37, 0, 1, s[6:7]
	v_cmp_ne_u32_e64 s[6:7], 0, v37
	s_bcnt1_i32_b64 s6, s[6:7]
	v_add_co_u32_e64 v2, s[6:7], s6, v2
	v_addc_co_u32_e64 v3, s[6:7], 0, v3, s[6:7]
	v_cmp_eq_u32_e64 s[6:7], 1, v36
	s_and_b64 s[6:7], vcc, s[6:7]
	v_cndmask_b32_e64 v37, 0, 1, s[6:7]
	v_cmp_ne_u32_e64 s[6:7], 0, v37
	s_bcnt1_i32_b64 s6, s[6:7]
	v_add_co_u32_e64 v4, s[6:7], s6, v4
	v_addc_co_u32_e64 v5, s[6:7], 0, v5, s[6:7]
	;; [unrolled: 7-line block ×3, first 2 shown]
	v_cmp_eq_u32_e64 s[6:7], 3, v36
	s_and_b64 s[6:7], vcc, s[6:7]
	v_cndmask_b32_e64 v36, 0, 1, s[6:7]
	v_cmp_ne_u32_e32 vcc, 0, v36
	s_bcnt1_i32_b64 s6, vcc
	v_add_co_u32_e32 v8, vcc, s6, v8
	v_addc_co_u32_e32 v9, vcc, 0, v9, vcc
	v_mov_b32_e32 v36, v17
	s_andn2_b64 exec, exec, s[8:9]
	s_cbranch_execz .LBB195_52
.LBB195_50:                             ;   Parent Loop BB195_12 Depth=1
                                        ; =>  This Inner Loop Header: Depth=2
	v_add_co_u32_sdwa v21, vcc, v21, v12 dst_sel:DWORD dst_unused:UNUSED_PAD src0_sel:DWORD src1_sel:WORD_0
	v_addc_co_u32_e32 v22, vcc, 0, v22, vcc
	v_cmp_gt_u64_e64 s[6:7], s[60:61], v[21:22]
	v_cmp_le_u64_e32 vcc, s[60:61], v[21:22]
	v_mov_b32_e32 v17, 0
	s_and_saveexec_b64 s[10:11], s[6:7]
	s_cbranch_execz .LBB195_49
; %bb.51:                               ;   in Loop: Header=BB195_50 Depth=2
	v_mul_lo_u32 v17, v22, s58
	v_mul_lo_u32 v39, v21, s59
	v_mad_u64_u32 v[37:38], s[6:7], v21, s58, 0
	v_add3_u32 v38, v38, v39, v17
	v_lshlrev_b64 v[37:38], 2, v[37:38]
	v_mov_b32_e32 v17, s94
	v_add_co_u32_e64 v37, s[6:7], s33, v37
	v_addc_co_u32_e64 v38, s[6:7], v17, v38, s[6:7]
	global_load_dword v17, v[37:38], off
	s_branch .LBB195_49
.LBB195_52:                             ;   in Loop: Header=BB195_12 Depth=1
	s_or_b64 exec, exec, s[8:9]
.LBB195_53:                             ;   in Loop: Header=BB195_12 Depth=1
	s_or_b64 exec, exec, s[4:5]
	s_mov_b64 s[4:5], 0
.LBB195_54:                             ;   in Loop: Header=BB195_12 Depth=1
	s_and_b64 vcc, exec, s[4:5]
	s_cbranch_vccz .LBB195_64
; %bb.55:                               ;   in Loop: Header=BB195_12 Depth=1
	v_readlane_b32 s2, v48, 35
	v_readlane_b32 s3, v48, 36
	v_mov_b32_e32 v6, 0
	v_mov_b32_e32 v7, 0
	s_nop 2
	global_load_ushort v12, v13, s[2:3]
	s_waitcnt vmcnt(0)
	v_readfirstlane_b32 s4, v12
	s_and_b32 s6, 0xffff, s4
	s_lshl_b32 s31, s6, 2
	v_cvt_f32_u32_e32 v2, s31
	s_sub_i32 s4, 0, s31
	v_rcp_iflag_f32_e32 v4, v2
	v_mov_b32_e32 v2, 0
	v_mov_b32_e32 v3, 0
	v_mul_f32_e32 v4, 0x4f7ffffe, v4
	v_cvt_u32_f32_e32 v8, v4
	v_mov_b32_e32 v4, 0
	v_mov_b32_e32 v5, 0
	v_readfirstlane_b32 s5, v8
	s_mul_i32 s4, s4, s5
	s_mul_hi_u32 s4, s5, s4
	s_add_i32 s5, s5, s4
	s_mul_hi_u32 s4, s30, s5
	s_mul_i32 s5, s4, s31
	s_sub_i32 s5, s30, s5
	s_add_i32 s7, s4, 1
	s_sub_i32 s8, s5, s31
	s_cmp_ge_u32 s5, s31
	s_cselect_b32 s4, s7, s4
	s_cselect_b32 s5, s8, s5
	s_add_i32 s7, s4, 1
	s_cmp_ge_u32 s5, s31
	s_cselect_b32 s4, s7, s4
	s_mul_hi_u32 s5, s6, s4
	s_mul_i32 s4, s6, s4
	s_lshl_b64 s[8:9], s[4:5], 2
	v_cmp_gt_u64_e32 vcc, s[8:9], v[14:15]
	v_mov_b32_e32 v8, 0
	v_mov_b32_e32 v9, 0
	s_and_saveexec_b64 s[10:11], vcc
	s_cbranch_execz .LBB195_59
; %bb.56:                               ;   in Loop: Header=BB195_12 Depth=1
	v_mov_b32_e32 v22, v15
	s_mov_b32 s93, s73
	s_mov_b64 s[2:3], s[88:89]
	s_lshl_b32 s5, s6, 4
	s_mov_b64 s[12:13], 0
	v_mov_b32_e32 v17, v31
	s_mov_b64 s[72:73], 0
	s_mov_b64 s[90:91], 0
	;; [unrolled: 1-line block ×4, first 2 shown]
	v_mov_b32_e32 v21, v14
.LBB195_57:                             ;   Parent Loop BB195_12 Depth=1
                                        ; =>  This Inner Loop Header: Depth=2
	ds_read_b128 v[2:5], v17
	v_add_co_u32_e32 v21, vcc, s31, v21
	v_addc_co_u32_e32 v22, vcc, 0, v22, vcc
	s_waitcnt lgkmcnt(0)
	v_cmp_lt_i32_e64 s[6:7], -1, v2
	v_cndmask_b32_e64 v6, -1, v33, s[6:7]
	v_cmp_lt_i32_e64 s[6:7], -1, v3
	v_cndmask_b32_e64 v7, -1, v33, s[6:7]
	;; [unrolled: 2-line block ×4, first 2 shown]
	v_xor_b32_e32 v7, v7, v3
	v_cmp_o_f32_e64 s[6:7], v3, v3
	v_xor_b32_e32 v3, v8, v4
	v_cmp_o_f32_e64 s[14:15], v4, v4
	;; [unrolled: 2-line block ×4, first 2 shown]
	v_cndmask_b32_e64 v2, -1, v5, s[18:19]
	v_cndmask_b32_e64 v5, -1, v7, s[6:7]
	v_and_b32_e32 v6, v2, v35
	v_bfe_u32 v2, v2, s92, 2
	v_cndmask_b32_e64 v3, -1, v3, s[14:15]
	v_and_b32_e32 v7, v5, v35
	v_bfe_u32 v5, v5, s92, 2
	v_cmp_eq_u32_e64 s[20:21], v6, v30
	v_cmp_eq_u32_e64 s[6:7], 0, v2
	v_cndmask_b32_e64 v4, -1, v4, s[16:17]
	v_and_b32_e32 v8, v3, v35
	v_bfe_u32 v3, v3, s92, 2
	v_cmp_eq_u32_e64 s[18:19], v7, v30
	v_cmp_eq_u32_e64 s[34:35], 0, v5
	s_and_b64 s[6:7], s[20:21], s[6:7]
	v_and_b32_e32 v9, v4, v35
	v_bfe_u32 v4, v4, s92, 2
	v_cmp_eq_u32_e64 s[16:17], v8, v30
	v_cmp_eq_u32_e64 s[36:37], 0, v3
	;; [unrolled: 1-line block ×5, first 2 shown]
	v_cndmask_b32_e64 v2, 0, 1, s[6:7]
	s_and_b64 s[6:7], s[18:19], s[34:35]
	v_cmp_eq_u32_e64 s[14:15], v9, v30
	v_cmp_eq_u32_e64 s[38:39], 0, v4
	;; [unrolled: 1-line block ×5, first 2 shown]
	v_cndmask_b32_e64 v3, 0, 1, s[6:7]
	s_and_b64 s[6:7], s[16:17], s[36:37]
	v_cmp_eq_u32_e64 s[46:47], 1, v4
	v_cmp_eq_u32_e64 s[54:55], 2, v4
	;; [unrolled: 1-line block ×3, first 2 shown]
	v_cndmask_b32_e64 v4, 0, 1, s[6:7]
	s_and_b64 s[6:7], s[14:15], s[38:39]
	v_cmp_eq_u32_e64 s[42:43], 1, v5
	v_cmp_eq_u32_e64 s[50:51], 2, v5
	;; [unrolled: 1-line block ×3, first 2 shown]
	v_cndmask_b32_e64 v5, 0, 1, s[6:7]
	v_cmp_ne_u32_e64 s[6:7], 0, v2
	v_cmp_ne_u32_e64 s[34:35], 0, v3
	v_cmp_ne_u32_e64 s[36:37], 0, v4
	v_cmp_ne_u32_e64 s[38:39], 0, v5
	s_bcnt1_i32_b64 s6, s[6:7]
	s_bcnt1_i32_b64 s7, s[34:35]
	s_bcnt1_i32_b64 s34, s[36:37]
	s_bcnt1_i32_b64 s35, s[38:39]
	s_add_u32 s6, s6, s88
	s_addc_u32 s36, 0, s89
	s_add_u32 s6, s6, s7
	s_addc_u32 s7, s36, 0
	s_add_u32 s6, s6, s34
	s_addc_u32 s7, s7, 0
	s_add_u32 s88, s6, s35
	s_addc_u32 s89, s7, 0
	s_and_b64 s[6:7], s[20:21], s[40:41]
	v_cndmask_b32_e64 v4, 0, 1, s[6:7]
	s_and_b64 s[6:7], s[18:19], s[42:43]
	v_cndmask_b32_e64 v5, 0, 1, s[6:7]
	s_and_b64 s[6:7], s[16:17], s[44:45]
	v_cndmask_b32_e64 v6, 0, 1, s[6:7]
	s_and_b64 s[6:7], s[14:15], s[46:47]
	v_cndmask_b32_e64 v7, 0, 1, s[6:7]
	v_cmp_ne_u32_e64 s[6:7], 0, v4
	v_cmp_ne_u32_e64 s[34:35], 0, v5
	v_cmp_ne_u32_e64 s[36:37], 0, v6
	v_cmp_ne_u32_e64 s[38:39], 0, v7
	s_bcnt1_i32_b64 s6, s[6:7]
	s_bcnt1_i32_b64 s7, s[34:35]
	s_bcnt1_i32_b64 s34, s[36:37]
	s_bcnt1_i32_b64 s35, s[38:39]
	s_add_u32 s6, s6, s86
	s_addc_u32 s36, 0, s87
	s_add_u32 s6, s6, s7
	s_addc_u32 s7, s36, 0
	s_add_u32 s6, s6, s34
	s_addc_u32 s7, s7, 0
	s_add_u32 s86, s6, s35
	s_addc_u32 s87, s7, 0
	s_and_b64 s[6:7], s[20:21], s[48:49]
	v_cndmask_b32_e64 v6, 0, 1, s[6:7]
	s_and_b64 s[6:7], s[18:19], s[50:51]
	v_cndmask_b32_e64 v7, 0, 1, s[6:7]
	s_and_b64 s[6:7], s[16:17], s[52:53]
	v_cndmask_b32_e64 v8, 0, 1, s[6:7]
	s_and_b64 s[6:7], s[14:15], s[54:55]
	;; [unrolled: 24-line block ×3, first 2 shown]
	v_cndmask_b32_e64 v37, 0, 1, s[6:7]
	v_cmp_ne_u32_e64 s[6:7], 0, v8
	v_cmp_ne_u32_e64 s[14:15], 0, v9
	;; [unrolled: 1-line block ×4, first 2 shown]
	s_bcnt1_i32_b64 s6, s[6:7]
	s_bcnt1_i32_b64 s7, s[14:15]
	;; [unrolled: 1-line block ×4, first 2 shown]
	s_add_u32 s6, s6, s72
	s_addc_u32 s16, 0, s73
	s_add_u32 s6, s6, s7
	s_addc_u32 s7, s16, 0
	;; [unrolled: 2-line block ×3, first 2 shown]
	v_cmp_le_u64_e32 vcc, s[8:9], v[21:22]
	s_add_u32 s72, s6, s15
	v_mov_b32_e32 v2, s88
	v_mov_b32_e32 v4, s86
	;; [unrolled: 1-line block ×3, first 2 shown]
	s_addc_u32 s73, s7, 0
	v_mov_b32_e32 v8, s72
	v_add_u32_e32 v17, s5, v17
	v_mov_b32_e32 v3, s89
	v_mov_b32_e32 v5, s87
	;; [unrolled: 1-line block ×3, first 2 shown]
	s_or_b64 s[12:13], vcc, s[12:13]
	v_mov_b32_e32 v9, s73
	s_andn2_b64 exec, exec, s[12:13]
	s_cbranch_execnz .LBB195_57
; %bb.58:                               ;   in Loop: Header=BB195_12 Depth=1
	s_or_b64 exec, exec, s[12:13]
	v_readlane_b32 s90, v48, 49
	s_mov_b64 s[88:89], s[2:3]
	v_readlane_b32 s91, v48, 50
	s_mov_b32 s73, s93
.LBB195_59:                             ;   in Loop: Header=BB195_12 Depth=1
	s_or_b64 exec, exec, s[10:11]
	v_mov_b32_e32 v17, s9
	v_add_co_u32_e32 v21, vcc, s8, v0
	s_and_b32 s84, s30, 0x7fffffff
	v_addc_co_u32_e32 v22, vcc, 0, v17, vcc
	v_cmp_gt_u64_e32 vcc, s[84:85], v[21:22]
	s_and_saveexec_b64 s[8:9], vcc
	s_cbranch_execz .LBB195_63
; %bb.60:                               ;   in Loop: Header=BB195_12 Depth=1
	v_lshl_add_u32 v17, s4, 4, v14
	s_mov_b64 s[4:5], 0
.LBB195_61:                             ;   Parent Loop BB195_12 Depth=1
                                        ; =>  This Inner Loop Header: Depth=2
	ds_read_b32 v36, v17
	v_add_co_u32_sdwa v21, vcc, v21, v12 dst_sel:DWORD dst_unused:UNUSED_PAD src0_sel:DWORD src1_sel:WORD_0
	v_addc_co_u32_e32 v22, vcc, 0, v22, vcc
	s_waitcnt lgkmcnt(0)
	v_cmp_lt_i32_e64 s[6:7], -1, v36
	v_cndmask_b32_e64 v37, -1, v33, s[6:7]
	v_xor_b32_e32 v37, v37, v36
	v_cmp_o_f32_e64 s[6:7], v36, v36
	v_cndmask_b32_e64 v36, -1, v37, s[6:7]
	v_and_b32_e32 v37, v36, v35
	v_bfe_u32 v36, v36, s92, 2
	v_cmp_eq_u32_e64 s[6:7], v37, v30
	v_cmp_eq_u32_e64 s[14:15], 0, v36
	;; [unrolled: 1-line block ×3, first 2 shown]
	s_and_b64 s[10:11], s[6:7], s[14:15]
	v_cmp_eq_u32_e64 s[18:19], 2, v36
	v_cmp_eq_u32_e64 s[20:21], 3, v36
	v_cndmask_b32_e64 v36, 0, 1, s[10:11]
	s_and_b64 s[10:11], s[6:7], s[16:17]
	v_cndmask_b32_e64 v37, 0, 1, s[10:11]
	s_and_b64 s[10:11], s[6:7], s[18:19]
	s_and_b64 s[6:7], s[6:7], s[20:21]
	v_cndmask_b32_e64 v38, 0, 1, s[10:11]
	v_cndmask_b32_e64 v39, 0, 1, s[6:7]
	v_cmp_le_u64_e32 vcc, s[84:85], v[21:22]
	v_cmp_ne_u32_e64 s[6:7], 0, v36
	v_cmp_ne_u32_e64 s[14:15], 0, v37
	;; [unrolled: 1-line block ×4, first 2 shown]
	s_bcnt1_i32_b64 s6, s[6:7]
	s_bcnt1_i32_b64 s7, s[14:15]
	;; [unrolled: 1-line block ×4, first 2 shown]
	s_or_b64 s[4:5], vcc, s[4:5]
	v_add_co_u32_e32 v2, vcc, s6, v2
	v_addc_co_u32_e32 v3, vcc, 0, v3, vcc
	v_add_co_u32_e32 v4, vcc, s7, v4
	v_addc_co_u32_e32 v5, vcc, 0, v5, vcc
	;; [unrolled: 2-line block ×3, first 2 shown]
	v_add_co_u32_e32 v8, vcc, s11, v8
	v_add_u32_e32 v17, s31, v17
	v_addc_co_u32_e32 v9, vcc, 0, v9, vcc
	s_andn2_b64 exec, exec, s[4:5]
	s_cbranch_execnz .LBB195_61
; %bb.62:                               ;   in Loop: Header=BB195_12 Depth=1
	s_or_b64 exec, exec, s[4:5]
.LBB195_63:                             ;   in Loop: Header=BB195_12 Depth=1
	s_or_b64 exec, exec, s[8:9]
.LBB195_64:                             ;   in Loop: Header=BB195_12 Depth=1
	v_readlane_b32 s2, v48, 48
	s_lshl_b32 s6, s2, 6
	s_and_saveexec_b64 s[4:5], s[88:89]
	s_cbranch_execz .LBB195_66
; %bb.65:                               ;   in Loop: Header=BB195_12 Depth=1
	v_lshl_add_u32 v12, s6, 3, v29
	ds_write_b128 v12, v[2:5]
	ds_write_b128 v12, v[6:9] offset:16
.LBB195_66:                             ;   in Loop: Header=BB195_12 Depth=1
	s_or_b64 exec, exec, s[4:5]
	v_readlane_b32 s2, v48, 22
	v_readlane_b32 s3, v48, 23
	s_waitcnt lgkmcnt(0)
	s_barrier
	s_and_saveexec_b64 s[4:5], s[2:3]
	s_cbranch_execz .LBB195_78
; %bb.67:                               ;   in Loop: Header=BB195_12 Depth=1
	v_readlane_b32 s2, v48, 30
	v_mov_b32_e32 v2, 0
	v_readlane_b32 s3, v48, 31
	v_mov_b32_e32 v3, 0
	s_andn2_b64 vcc, exec, s[2:3]
	s_cbranch_vccnz .LBB195_77
; %bb.68:                               ;   in Loop: Header=BB195_12 Depth=1
	v_readlane_b32 s2, v48, 37
	v_readlane_b32 s3, v48, 38
	s_andn2_b64 vcc, exec, s[2:3]
	s_cbranch_vccnz .LBB195_73
; %bb.69:                               ;   in Loop: Header=BB195_12 Depth=1
	v_readlane_b32 s2, v48, 48
	v_mov_b32_e32 v2, 0
	v_lshl_add_u32 v4, s2, 9, v32
	v_mov_b32_e32 v3, 0
	s_mov_b32 s7, 0
.LBB195_70:                             ;   Parent Loop BB195_12 Depth=1
                                        ; =>  This Inner Loop Header: Depth=2
	ds_read2_b64 v[5:8], v4 offset1:4
	ds_read2_b64 v[36:39], v4 offset0:8 offset1:12
	ds_read2_b64 v[40:43], v4 offset0:16 offset1:20
	;; [unrolled: 1-line block ×3, first 2 shown]
	s_add_i32 s7, s7, 8
	s_waitcnt lgkmcnt(3)
	v_add_co_u32_e32 v2, vcc, v5, v2
	v_addc_co_u32_e32 v3, vcc, v6, v3, vcc
	v_add_co_u32_e32 v2, vcc, v7, v2
	v_addc_co_u32_e32 v3, vcc, v8, v3, vcc
	s_waitcnt lgkmcnt(2)
	v_add_co_u32_e32 v2, vcc, v36, v2
	v_addc_co_u32_e32 v3, vcc, v37, v3, vcc
	v_add_co_u32_e32 v2, vcc, v38, v2
	v_addc_co_u32_e32 v3, vcc, v39, v3, vcc
	;; [unrolled: 5-line block ×3, first 2 shown]
	s_waitcnt lgkmcnt(0)
	v_add_co_u32_e32 v2, vcc, v44, v2
	v_addc_co_u32_e32 v3, vcc, v45, v3, vcc
	v_add_co_u32_e32 v2, vcc, v46, v2
	v_add_u32_e32 v4, 0x100, v4
	s_cmp_eq_u32 s0, s7
	v_addc_co_u32_e32 v3, vcc, v47, v3, vcc
	s_cbranch_scc0 .LBB195_70
; %bb.71:                               ;   in Loop: Header=BB195_12 Depth=1
	s_mov_b32 s7, s0
	s_branch .LBB195_74
.LBB195_72:                             ;   in Loop: Header=BB195_12 Depth=1
                                        ; implicit-def: $sgpr4_sgpr5
	s_branch .LBB195_42
.LBB195_73:                             ;   in Loop: Header=BB195_12 Depth=1
	v_mov_b32_e32 v2, 0
	v_mov_b32_e32 v3, 0
	s_mov_b32 s7, 0
.LBB195_74:                             ;   in Loop: Header=BB195_12 Depth=1
	v_readlane_b32 s2, v48, 40
	v_readlane_b32 s3, v48, 41
	s_andn2_b64 vcc, exec, s[2:3]
	s_cbranch_vccnz .LBB195_77
; %bb.75:                               ;   in Loop: Header=BB195_12 Depth=1
	v_readlane_b32 s2, v48, 48
	s_lshl_b32 s8, s2, 9
	s_lshl_b32 s7, s7, 5
	s_add_i32 s8, s8, s7
	v_add_u32_e32 v4, s8, v32
	v_readlane_b32 s7, v48, 39
.LBB195_76:                             ;   Parent Loop BB195_12 Depth=1
                                        ; =>  This Inner Loop Header: Depth=2
	ds_read_b64 v[5:6], v4
	s_add_i32 s7, s7, -1
	v_add_u32_e32 v4, 32, v4
	s_cmp_lg_u32 s7, 0
	s_waitcnt lgkmcnt(0)
	v_add_co_u32_e32 v2, vcc, v5, v2
	v_addc_co_u32_e32 v3, vcc, v6, v3, vcc
	s_cbranch_scc1 .LBB195_76
.LBB195_77:                             ;   in Loop: Header=BB195_12 Depth=1
	v_add_lshl_u32 v4, s6, v26, 3
	ds_write_b64 v4, v[2:3] offset:3072
.LBB195_78:                             ;   in Loop: Header=BB195_12 Depth=1
	s_or_b64 exec, exec, s[4:5]
	s_lshl_b32 s4, s6, 3
	v_mov_b32_e32 v6, s4
	s_waitcnt lgkmcnt(0)
	s_barrier
	ds_read_b128 v[2:5], v6 offset:3072
	ds_read_b128 v[6:9], v6 offset:3088
	s_lshl_b32 s93, 3, s92
	v_cmp_eq_u64_e64 s[14:15], 1, v[19:20]
	s_not_b32 s84, s93
	s_waitcnt lgkmcnt(1)
	v_readfirstlane_b32 s17, v3
	v_readfirstlane_b32 s16, v2
	;; [unrolled: 1-line block ×4, first 2 shown]
	s_waitcnt lgkmcnt(0)
	v_readfirstlane_b32 s23, v7
	v_readfirstlane_b32 s22, v6
	;; [unrolled: 1-line block ×4, first 2 shown]
	s_mov_b64 s[38:39], -1
	s_mov_b64 s[18:19], 0
	s_andn2_b64 vcc, exec, s[90:91]
	s_mov_b64 s[28:29], 0
	s_mov_b64 s[26:27], 0
                                        ; implicit-def: $sgpr34_sgpr35
                                        ; implicit-def: $sgpr36_sgpr37
                                        ; implicit-def: $vgpr2_vgpr3
                                        ; implicit-def: $vgpr8
                                        ; implicit-def: $vgpr12
                                        ; implicit-def: $vgpr9
                                        ; implicit-def: $vgpr5
	s_cbranch_vccnz .LBB195_281
; %bb.79:                               ;   in Loop: Header=BB195_12 Depth=1
	s_cmp_eq_u64 s[16:17], 1
	s_cselect_b64 s[4:5], -1, 0
	s_and_b64 s[6:7], s[4:5], s[14:15]
	s_mov_b64 s[4:5], -1
	v_mov_b32_e32 v12, v30
	v_mov_b32_e32 v9, v35
	;; [unrolled: 1-line block ×3, first 2 shown]
                                        ; implicit-def: $sgpr36_sgpr37
                                        ; implicit-def: $sgpr34_sgpr35
	s_and_saveexec_b64 s[26:27], s[6:7]
	s_cbranch_execz .LBB195_116
; %bb.80:                               ;   in Loop: Header=BB195_12 Depth=1
	ds_read_b64 v[2:3], v13 offset:5120
	v_readlane_b32 s2, v48, 28
	v_readlane_b32 s3, v48, 29
	s_waitcnt lgkmcnt(0)
	s_barrier
	v_readfirstlane_b32 s8, v2
	v_readfirstlane_b32 s9, v3
	s_and_saveexec_b64 s[4:5], s[2:3]
; %bb.81:                               ;   in Loop: Header=BB195_12 Depth=1
	ds_write_b32 v28, v13
; %bb.82:                               ;   in Loop: Header=BB195_12 Depth=1
	s_or_b64 exec, exec, s[4:5]
	v_and_b32_e32 v12, s84, v30
	v_or_b32_e32 v9, s93, v35
	s_mov_b64 s[34:35], -1
	s_mov_b64 s[36:37], 0
	s_cmp_eq_u64 s[8:9], 0
	s_mov_b64 s[4:5], 0
	s_mov_b64 s[10:11], -1
	s_waitcnt lgkmcnt(0)
	s_barrier
                                        ; implicit-def: $vgpr5
	s_cbranch_scc1 .LBB195_100
; %bb.83:                               ;   in Loop: Header=BB195_12 Depth=1
	v_readlane_b32 s2, v48, 32
	s_add_u32 s28, s8, s2
	v_readlane_b32 s2, v48, 34
	s_addc_u32 s5, s9, s2
	s_mov_b32 s4, s85
	s_cmp_lg_u64 s[4:5], 0
	s_cbranch_scc0 .LBB195_143
; %bb.84:                               ;   in Loop: Header=BB195_12 Depth=1
	v_cvt_f32_u32_e32 v2, s95
	s_sub_u32 s4, 0, s95
	s_subb_u32 s12, 0, 0
	v_mac_f32_e32 v2, 0, v34
	v_rcp_f32_e32 v2, v2
	v_mul_f32_e32 v2, 0x5f7ffffc, v2
	v_mul_f32_e32 v3, 0x2f800000, v2
	v_trunc_f32_e32 v3, v3
	v_mac_f32_e32 v2, 0xcf800000, v3
	v_cvt_u32_f32_e32 v3, v3
	v_cvt_u32_f32_e32 v2, v2
	v_readfirstlane_b32 s13, v3
	v_readfirstlane_b32 s10, v2
	s_mul_i32 s11, s4, s13
	s_mul_hi_u32 s30, s4, s10
	s_mul_i32 s29, s12, s10
	s_add_i32 s11, s30, s11
	s_mul_i32 s31, s4, s10
	s_add_i32 s11, s11, s29
	s_mul_hi_u32 s30, s10, s31
	s_mul_i32 s38, s10, s11
	s_mul_hi_u32 s29, s10, s11
	s_add_u32 s30, s30, s38
	s_addc_u32 s29, 0, s29
	s_mul_hi_u32 s39, s13, s31
	s_mul_i32 s31, s13, s31
	s_add_u32 s30, s30, s31
	s_mul_hi_u32 s38, s13, s11
	s_addc_u32 s29, s29, s39
	s_addc_u32 s30, s38, 0
	s_mul_i32 s11, s13, s11
	s_add_u32 s11, s29, s11
	s_addc_u32 s29, 0, s30
	s_add_u32 s30, s10, s11
	s_cselect_b64 s[10:11], -1, 0
	s_cmp_lg_u64 s[10:11], 0
	s_addc_u32 s13, s13, s29
	s_mul_i32 s10, s4, s13
	s_mul_hi_u32 s11, s4, s30
	s_add_i32 s10, s11, s10
	s_mul_i32 s12, s12, s30
	s_add_i32 s10, s10, s12
	s_mul_i32 s4, s4, s30
	s_mul_hi_u32 s12, s13, s4
	s_mul_i32 s29, s13, s4
	s_mul_i32 s38, s30, s10
	s_mul_hi_u32 s4, s30, s4
	s_mul_hi_u32 s31, s30, s10
	s_add_u32 s4, s4, s38
	s_addc_u32 s31, 0, s31
	s_add_u32 s4, s4, s29
	s_mul_hi_u32 s11, s13, s10
	s_addc_u32 s4, s31, s12
	s_addc_u32 s11, s11, 0
	s_mul_i32 s10, s13, s10
	s_add_u32 s4, s4, s10
	s_addc_u32 s12, 0, s11
	s_add_u32 s4, s30, s4
	s_cselect_b64 s[10:11], -1, 0
	s_cmp_lg_u64 s[10:11], 0
	s_addc_u32 s10, s13, s12
	s_mul_i32 s12, s28, s10
	s_mul_hi_u32 s13, s28, s4
	s_mul_hi_u32 s11, s28, s10
	s_add_u32 s12, s13, s12
	s_addc_u32 s11, 0, s11
	s_mul_hi_u32 s29, s5, s4
	s_mul_i32 s4, s5, s4
	s_add_u32 s4, s12, s4
	s_mul_hi_u32 s13, s5, s10
	s_addc_u32 s4, s11, s29
	s_addc_u32 s11, s13, 0
	s_mul_i32 s10, s5, s10
	s_add_u32 s4, s4, s10
	s_addc_u32 s10, 0, s11
	s_mul_i32 s10, s95, s10
	s_mul_hi_u32 s11, s95, s4
	s_add_i32 s12, s11, s10
	s_mul_i32 s4, s95, s4
	s_sub_u32 s4, s28, s4
	s_cselect_b64 s[10:11], -1, 0
	s_cmp_lg_u64 s[10:11], 0
	s_subb_u32 s12, s5, s12
	s_sub_u32 s13, s4, s95
	s_cselect_b64 s[10:11], -1, 0
	s_cmp_lg_u64 s[10:11], 0
	s_subb_u32 s29, s12, 0
	;; [unrolled: 4-line block ×3, first 2 shown]
	s_cmp_ge_u32 s13, s95
	s_cselect_b32 s11, -1, 0
	s_cmp_eq_u32 s29, 0
	s_cselect_b32 s11, s11, -1
	s_cmp_lg_u32 s11, 0
	s_cselect_b32 s10, s10, s29
	s_cselect_b32 s13, s30, s13
	s_cmp_ge_u32 s4, s95
	s_cselect_b32 s11, -1, 0
	s_cmp_eq_u32 s12, 0
	s_cselect_b32 s11, s11, -1
	s_cmp_lg_u32 s11, 0
	s_cselect_b32 s11, s10, s12
	s_cselect_b32 s10, s13, s4
	s_cbranch_execnz .LBB195_86
.LBB195_85:                             ;   in Loop: Header=BB195_12 Depth=1
	v_cvt_f32_u32_e32 v2, s95
	s_sub_i32 s4, 0, s95
	s_mov_b32 s2, s84
	v_rcp_iflag_f32_e32 v2, v2
	v_mul_f32_e32 v2, 0x4f7ffffe, v2
	v_cvt_u32_f32_e32 v2, v2
	v_readfirstlane_b32 s10, v2
	s_mul_i32 s4, s4, s10
	s_mul_hi_u32 s4, s10, s4
	s_add_i32 s10, s10, s4
	s_mul_hi_u32 s4, s28, s10
	s_mul_i32 s4, s4, s95
	s_sub_i32 s4, s28, s4
	s_sub_i32 s10, s4, s95
	s_cmp_ge_u32 s4, s95
	s_cselect_b32 s4, s10, s4
	s_sub_i32 s10, s4, s95
	s_cmp_ge_u32 s4, s95
	s_cselect_b32 s84, s10, s4
	s_mov_b64 s[10:11], s[84:85]
	s_mov_b32 s84, s2
.LBB195_86:                             ;   in Loop: Header=BB195_12 Depth=1
	s_sub_u32 s28, s28, s10
	s_subb_u32 s29, s5, s11
	v_cmp_gt_u64_e32 vcc, s[28:29], v[0:1]
	s_mov_b64 s[10:11], 0
	s_mov_b64 s[4:5], 0
                                        ; implicit-def: $vgpr5
	s_and_saveexec_b64 s[12:13], vcc
	s_cbranch_execz .LBB195_99
; %bb.87:                               ;   in Loop: Header=BB195_12 Depth=1
	v_mov_b32_e32 v3, v1
	v_mov_b32_e32 v6, v14
	;; [unrolled: 1-line block ×3, first 2 shown]
                                        ; implicit-def: $sgpr30_sgpr31
	s_branch .LBB195_91
.LBB195_88:                             ;   in Loop: Header=BB195_91 Depth=2
	s_or_b64 exec, exec, s[38:39]
	s_waitcnt lgkmcnt(0)
	s_barrier
	ds_read_b64 v[4:5], v13 offset:3072
	s_waitcnt lgkmcnt(0)
	s_barrier
	v_cmp_neq_f32_e32 vcc, 0, v4
	s_cbranch_vccnz .LBB195_94
; %bb.89:                               ;   in Loop: Header=BB195_91 Depth=2
	v_add_co_u32_e32 v2, vcc, s95, v2
	v_addc_co_u32_e32 v3, vcc, 0, v3, vcc
	v_cmp_le_u64_e32 vcc, s[28:29], v[2:3]
	v_add_u32_e32 v6, s1, v6
	s_mov_b64 s[38:39], 0
	s_orn2_b64 s[40:41], vcc, exec
.LBB195_90:                             ;   in Loop: Header=BB195_91 Depth=2
	s_and_b64 s[40:41], exec, s[40:41]
	s_or_b64 s[4:5], s[40:41], s[4:5]
	s_andn2_b64 s[30:31], s[30:31], exec
	s_and_b64 s[38:39], s[38:39], exec
	s_or_b64 s[30:31], s[30:31], s[38:39]
	s_andn2_b64 exec, exec, s[4:5]
	s_cbranch_execz .LBB195_98
.LBB195_91:                             ;   Parent Loop BB195_12 Depth=1
                                        ; =>  This Inner Loop Header: Depth=2
	v_cmp_gt_u64_e32 vcc, s[8:9], v[2:3]
	s_and_saveexec_b64 s[38:39], vcc
	s_cbranch_execz .LBB195_88
; %bb.92:                               ;   in Loop: Header=BB195_91 Depth=2
	ds_read_b32 v17, v6
	s_waitcnt lgkmcnt(0)
	v_cmp_lt_i32_e32 vcc, -1, v17
	v_cndmask_b32_e32 v4, -1, v33, vcc
	v_xor_b32_e32 v4, v4, v17
	v_cmp_o_f32_e32 vcc, v17, v17
	v_cndmask_b32_e32 v4, -1, v4, vcc
	v_and_b32_e32 v4, v4, v9
	v_cmp_eq_u32_e32 vcc, v4, v12
	s_and_b64 exec, exec, vcc
	s_cbranch_execz .LBB195_88
; %bb.93:                               ;   in Loop: Header=BB195_91 Depth=2
	ds_write_b64 v13, v[16:17] offset:3072
	s_branch .LBB195_88
.LBB195_94:                             ;   in Loop: Header=BB195_91 Depth=2
	s_mov_b64 s[40:41], -1
                                        ; implicit-def: $vgpr2_vgpr3
                                        ; implicit-def: $vgpr6
	s_mov_b64 s[38:39], -1
	s_branch .LBB195_90
.LBB195_95:                             ;   in Loop: Header=BB195_12 Depth=1
	s_or_b64 exec, exec, s[8:9]
	v_readlane_b32 s2, v48, 12
	v_readlane_b32 s3, v48, 13
	s_waitcnt lgkmcnt(0)
	s_barrier
	s_and_saveexec_b64 s[6:7], s[2:3]
	s_cbranch_execz .LBB195_97
; %bb.96:                               ;   in Loop: Header=BB195_12 Depth=1
	ds_read_b32 v2, v13 offset:5144
	s_waitcnt lgkmcnt(0)
	v_ashrrev_i32_e32 v3, 31, v2
	ds_write_b64 v13, v[2:3] offset:5120
.LBB195_97:                             ;   in Loop: Header=BB195_12 Depth=1
	s_or_b64 exec, exec, s[6:7]
	s_waitcnt lgkmcnt(0)
	s_barrier
	s_mov_b64 s[6:7], -1
	s_and_b64 vcc, exec, s[4:5]
	s_cbranch_vccnz .LBB195_28
	s_branch .LBB195_37
.LBB195_98:                             ;   in Loop: Header=BB195_12 Depth=1
	s_or_b64 exec, exec, s[4:5]
	s_and_b64 s[4:5], s[30:31], exec
.LBB195_99:                             ;   in Loop: Header=BB195_12 Depth=1
	s_or_b64 exec, exec, s[12:13]
.LBB195_100:                            ;   in Loop: Header=BB195_12 Depth=1
	s_and_b64 vcc, exec, s[10:11]
	s_cbranch_vccz .LBB195_115
; %bb.101:                              ;   in Loop: Header=BB195_12 Depth=1
	s_mov_b32 s72, s85
	s_cmp_lg_u64 s[72:73], 0
	s_cbranch_scc0 .LBB195_144
; %bb.102:                              ;   in Loop: Header=BB195_12 Depth=1
	v_cvt_f32_u32_e32 v2, s95
	s_sub_u32 s10, 0, s95
	s_subb_u32 s11, 0, 0
	v_readlane_b32 s2, v48, 33
	v_mac_f32_e32 v2, 0, v34
	v_rcp_f32_e32 v2, v2
	v_mul_f32_e32 v2, 0x5f7ffffc, v2
	v_mul_f32_e32 v3, 0x2f800000, v2
	v_trunc_f32_e32 v3, v3
	v_mac_f32_e32 v2, 0xcf800000, v3
	v_cvt_u32_f32_e32 v3, v3
	v_cvt_u32_f32_e32 v2, v2
	v_readfirstlane_b32 s12, v3
	v_readfirstlane_b32 s8, v2
	s_mul_i32 s9, s10, s12
	s_mul_hi_u32 s28, s10, s8
	s_mul_i32 s13, s11, s8
	s_add_i32 s9, s28, s9
	s_mul_i32 s29, s10, s8
	s_add_i32 s9, s9, s13
	s_mul_hi_u32 s28, s8, s29
	s_mul_i32 s30, s8, s9
	s_mul_hi_u32 s13, s8, s9
	s_add_u32 s28, s28, s30
	s_addc_u32 s13, 0, s13
	s_mul_hi_u32 s31, s12, s29
	s_mul_i32 s29, s12, s29
	s_add_u32 s28, s28, s29
	s_mul_hi_u32 s30, s12, s9
	s_addc_u32 s13, s13, s31
	s_addc_u32 s28, s30, 0
	s_mul_i32 s9, s12, s9
	s_add_u32 s9, s13, s9
	s_addc_u32 s13, 0, s28
	s_add_u32 s28, s8, s9
	s_cselect_b64 s[8:9], -1, 0
	s_cmp_lg_u64 s[8:9], 0
	s_addc_u32 s12, s12, s13
	s_mul_i32 s8, s10, s12
	s_mul_hi_u32 s9, s10, s28
	s_add_i32 s8, s9, s8
	s_mul_i32 s11, s11, s28
	s_add_i32 s8, s8, s11
	s_mul_i32 s10, s10, s28
	s_mul_hi_u32 s11, s12, s10
	s_mul_i32 s13, s12, s10
	s_mul_i32 s30, s28, s8
	s_mul_hi_u32 s10, s28, s10
	s_mul_hi_u32 s29, s28, s8
	s_add_u32 s10, s10, s30
	s_addc_u32 s29, 0, s29
	s_add_u32 s10, s10, s13
	s_mul_hi_u32 s9, s12, s8
	s_addc_u32 s10, s29, s11
	s_addc_u32 s9, s9, 0
	s_mul_i32 s8, s12, s8
	s_add_u32 s8, s10, s8
	s_addc_u32 s10, 0, s9
	s_add_u32 s11, s28, s8
	s_cselect_b64 s[8:9], -1, 0
	s_cmp_lg_u64 s[8:9], 0
	s_addc_u32 s8, s12, s10
	s_mul_i32 s10, s2, s8
	s_mul_hi_u32 s12, s2, s11
	s_mul_hi_u32 s9, s2, s8
	s_add_u32 s10, s12, s10
	s_addc_u32 s9, 0, s9
	s_mul_hi_u32 s13, s73, s11
	s_mul_i32 s11, s73, s11
	s_add_u32 s10, s10, s11
	s_mul_hi_u32 s12, s73, s8
	s_addc_u32 s9, s9, s13
	s_addc_u32 s10, s12, 0
	s_mul_i32 s8, s73, s8
	s_add_u32 s8, s9, s8
	s_addc_u32 s9, 0, s10
	s_mul_i32 s9, s95, s9
	s_mul_hi_u32 s10, s95, s8
	s_add_i32 s10, s10, s9
	s_mul_i32 s8, s95, s8
	s_sub_u32 s11, s2, s8
	s_cselect_b64 s[8:9], -1, 0
	s_cmp_lg_u64 s[8:9], 0
	s_subb_u32 s10, s73, s10
	s_sub_u32 s12, s11, s95
	s_cselect_b64 s[8:9], -1, 0
	s_cmp_lg_u64 s[8:9], 0
	s_subb_u32 s13, s10, 0
	;; [unrolled: 4-line block ×3, first 2 shown]
	s_cmp_ge_u32 s12, s95
	s_cselect_b32 s9, -1, 0
	s_cmp_eq_u32 s13, 0
	s_cselect_b32 s9, s9, -1
	s_cmp_lg_u32 s9, 0
	s_cselect_b32 s8, s8, s13
	s_cselect_b32 s12, s28, s12
	s_cmp_ge_u32 s11, s95
	s_cselect_b32 s9, -1, 0
	s_cmp_eq_u32 s10, 0
	s_cselect_b32 s9, s9, -1
	s_cmp_lg_u32 s9, 0
	s_cselect_b32 s9, s8, s10
	s_cselect_b32 s8, s12, s11
	s_cbranch_execnz .LBB195_104
.LBB195_103:                            ;   in Loop: Header=BB195_12 Depth=1
	v_cvt_f32_u32_e32 v2, s95
	s_sub_i32 s8, 0, s95
	v_readlane_b32 s2, v48, 33
	v_rcp_iflag_f32_e32 v2, v2
	v_mul_f32_e32 v2, 0x4f7ffffe, v2
	v_cvt_u32_f32_e32 v2, v2
	v_readfirstlane_b32 s9, v2
	s_mul_i32 s8, s8, s9
	s_mul_hi_u32 s8, s9, s8
	s_add_i32 s9, s9, s8
	s_mul_hi_u32 s8, s2, s9
	s_mul_i32 s8, s8, s95
	s_sub_i32 s8, s2, s8
	s_sub_i32 s9, s8, s95
	s_cmp_ge_u32 s8, s95
	s_cselect_b32 s8, s9, s8
	s_sub_i32 s9, s8, s95
	s_cmp_ge_u32 s8, s95
	s_mov_b32 s2, s84
	s_cselect_b32 s84, s9, s8
	s_mov_b64 s[8:9], s[84:85]
	s_mov_b32 s84, s2
.LBB195_104:                            ;   in Loop: Header=BB195_12 Depth=1
	v_readlane_b32 s2, v48, 33
	s_sub_u32 s10, s2, s8
	s_subb_u32 s11, s73, s9
	v_cmp_gt_u64_e32 vcc, s[10:11], v[0:1]
                                        ; implicit-def: $vgpr5
	s_and_saveexec_b64 s[8:9], vcc
	s_cbranch_execz .LBB195_114
; %bb.105:                              ;   in Loop: Header=BB195_12 Depth=1
	v_mov_b32_e32 v3, v1
	s_mov_b64 s[12:13], 0
	v_mov_b32_e32 v2, v0
                                        ; implicit-def: $sgpr28_sgpr29
	s_branch .LBB195_109
.LBB195_106:                            ;   in Loop: Header=BB195_109 Depth=2
	s_or_b64 exec, exec, s[30:31]
	s_waitcnt lgkmcnt(0)
	s_barrier
	ds_read_b64 v[4:5], v13 offset:3072
	s_waitcnt lgkmcnt(0)
	s_barrier
	v_cmp_neq_f32_e32 vcc, 0, v4
	s_cbranch_vccnz .LBB195_112
; %bb.107:                              ;   in Loop: Header=BB195_109 Depth=2
	v_add_co_u32_e32 v2, vcc, s95, v2
	v_addc_co_u32_e32 v3, vcc, 0, v3, vcc
	v_cmp_le_u64_e32 vcc, s[10:11], v[2:3]
	s_mov_b64 s[30:31], 0
	s_orn2_b64 s[34:35], vcc, exec
.LBB195_108:                            ;   in Loop: Header=BB195_109 Depth=2
	s_and_b64 s[34:35], exec, s[34:35]
	s_or_b64 s[12:13], s[34:35], s[12:13]
	s_andn2_b64 s[28:29], s[28:29], exec
	s_and_b64 s[30:31], s[30:31], exec
	s_or_b64 s[28:29], s[28:29], s[30:31]
	s_andn2_b64 exec, exec, s[12:13]
	s_cbranch_execz .LBB195_113
.LBB195_109:                            ;   Parent Loop BB195_12 Depth=1
                                        ; =>  This Inner Loop Header: Depth=2
	v_cmp_gt_u64_e32 vcc, s[60:61], v[2:3]
	s_and_saveexec_b64 s[30:31], vcc
	s_cbranch_execz .LBB195_106
; %bb.110:                              ;   in Loop: Header=BB195_109 Depth=2
	v_mul_lo_u32 v6, v3, s58
	v_mul_lo_u32 v7, v2, s59
	v_mad_u64_u32 v[4:5], s[34:35], v2, s58, 0
	v_add3_u32 v5, v5, v7, v6
	v_lshlrev_b64 v[4:5], 2, v[4:5]
	v_mov_b32_e32 v6, s94
	v_add_co_u32_e32 v4, vcc, s33, v4
	v_addc_co_u32_e32 v5, vcc, v6, v5, vcc
	global_load_dword v17, v[4:5], off
	s_waitcnt vmcnt(0)
	v_cmp_lt_i32_e32 vcc, -1, v17
	v_cndmask_b32_e32 v4, -1, v33, vcc
	v_xor_b32_e32 v4, v4, v17
	v_cmp_o_f32_e32 vcc, v17, v17
	v_cndmask_b32_e32 v4, -1, v4, vcc
	v_and_b32_e32 v4, v4, v9
	v_cmp_eq_u32_e32 vcc, v4, v12
	s_and_b64 exec, exec, vcc
	s_cbranch_execz .LBB195_106
; %bb.111:                              ;   in Loop: Header=BB195_109 Depth=2
	ds_write_b64 v13, v[16:17] offset:3072
	s_branch .LBB195_106
.LBB195_112:                            ;   in Loop: Header=BB195_109 Depth=2
	s_mov_b64 s[34:35], -1
                                        ; implicit-def: $vgpr2_vgpr3
	s_mov_b64 s[30:31], -1
	s_branch .LBB195_108
.LBB195_113:                            ;   in Loop: Header=BB195_12 Depth=1
	s_or_b64 exec, exec, s[12:13]
	s_andn2_b64 s[4:5], s[4:5], exec
	s_and_b64 s[10:11], s[28:29], exec
	s_or_b64 s[4:5], s[4:5], s[10:11]
.LBB195_114:                            ;   in Loop: Header=BB195_12 Depth=1
	s_or_b64 exec, exec, s[8:9]
	s_mov_b64 s[34:35], 0
	s_mov_b64 s[36:37], -1
.LBB195_115:                            ;   in Loop: Header=BB195_12 Depth=1
	s_orn2_b64 s[4:5], s[4:5], exec
.LBB195_116:                            ;   in Loop: Header=BB195_12 Depth=1
	s_or_b64 exec, exec, s[26:27]
	s_mov_b64 s[38:39], 0
	s_mov_b64 s[28:29], 0
	;; [unrolled: 1-line block ×3, first 2 shown]
                                        ; implicit-def: $vgpr2_vgpr3
                                        ; implicit-def: $vgpr8
	s_and_saveexec_b64 s[40:41], s[4:5]
	s_cbranch_execz .LBB195_280
; %bb.117:                              ;   in Loop: Header=BB195_12 Depth=1
	v_mov_b32_e32 v2, 1
	s_xor_b64 s[8:9], s[6:7], -1
	v_mov_b32_e32 v8, 1
	v_mov_b32_e32 v3, 0
	s_mov_b64 s[6:7], 0
	s_and_saveexec_b64 s[4:5], s[8:9]
	s_cbranch_execz .LBB195_126
; %bb.118:                              ;   in Loop: Header=BB195_12 Depth=1
	v_cmp_ge_u64_e32 vcc, s[16:17], v[19:20]
	s_and_saveexec_b64 s[6:7], vcc
	s_xor_b64 s[6:7], exec, s[6:7]
	s_cbranch_execz .LBB195_123
; %bb.119:                              ;   in Loop: Header=BB195_12 Depth=1
	ds_read_b64 v[2:3], v13 offset:5120
	v_and_b32_e32 v12, s84, v12
	v_or_b32_e32 v9, s93, v9
	s_waitcnt lgkmcnt(0)
	v_cmp_ne_u64_e32 vcc, 0, v[2:3]
	s_cbranch_vccnz .LBB195_123
; %bb.120:                              ;   in Loop: Header=BB195_12 Depth=1
	v_readlane_b32 s2, v48, 12
	v_readlane_b32 s3, v48, 13
	s_and_saveexec_b64 s[8:9], s[2:3]
; %bb.121:                              ;   in Loop: Header=BB195_12 Depth=1
	v_mov_b32_e32 v2, s16
	v_mov_b32_e32 v3, s17
	ds_write_b64 v13, v[2:3] offset:5128
; %bb.122:                              ;   in Loop: Header=BB195_12 Depth=1
	s_or_b64 exec, exec, s[8:9]
	s_waitcnt lgkmcnt(0)
	s_barrier
.LBB195_123:                            ;   in Loop: Header=BB195_12 Depth=1
	s_or_saveexec_b64 s[6:7], s[6:7]
	v_mov_b32_e32 v2, v19
	s_mov_b64 s[8:9], 0
	v_mov_b32_e32 v8, 8
	v_mov_b32_e32 v3, v20
	s_xor_b64 exec, exec, s[6:7]
; %bb.124:                              ;   in Loop: Header=BB195_12 Depth=1
	v_mov_b32_e32 v3, s17
	v_subrev_co_u32_e32 v2, vcc, s16, v19
	s_mov_b64 s[8:9], exec
	v_subb_co_u32_e32 v3, vcc, v20, v3, vcc
	v_mov_b32_e32 v8, 0
; %bb.125:                              ;   in Loop: Header=BB195_12 Depth=1
	s_or_b64 exec, exec, s[6:7]
	s_and_b64 s[6:7], s[8:9], exec
.LBB195_126:                            ;   in Loop: Header=BB195_12 Depth=1
	s_or_b64 exec, exec, s[4:5]
	s_mov_b64 s[4:5], -1
                                        ; implicit-def: $sgpr26_sgpr27
                                        ; implicit-def: $sgpr28_sgpr29
	s_and_saveexec_b64 s[8:9], s[6:7]
	s_xor_b64 s[6:7], exec, s[8:9]
	s_cbranch_execz .LBB195_277
; %bb.127:                              ;   in Loop: Header=BB195_12 Depth=1
	s_cmp_eq_u64 s[20:21], 1
	v_cmp_eq_u64_e32 vcc, 1, v[2:3]
	s_cselect_b64 s[4:5], -1, 0
	s_and_b64 s[30:31], s[4:5], vcc
	s_mov_b64 s[4:5], -1
                                        ; implicit-def: $sgpr28_sgpr29
                                        ; implicit-def: $sgpr26_sgpr27
	s_and_saveexec_b64 s[42:43], s[30:31]
	s_cbranch_execz .LBB195_163
; %bb.128:                              ;   in Loop: Header=BB195_12 Depth=1
	ds_read_b64 v[4:5], v13 offset:5120
	v_readlane_b32 s2, v48, 28
	v_readlane_b32 s3, v48, 29
	s_waitcnt lgkmcnt(0)
	s_barrier
	v_readfirstlane_b32 s8, v4
	v_readfirstlane_b32 s9, v5
	s_and_saveexec_b64 s[4:5], s[2:3]
; %bb.129:                              ;   in Loop: Header=BB195_12 Depth=1
	ds_write_b32 v28, v13
; %bb.130:                              ;   in Loop: Header=BB195_12 Depth=1
	s_or_b64 exec, exec, s[4:5]
	v_and_b32_e32 v4, s84, v12
	v_lshl_or_b32 v12, 1, s92, v4
	v_or_b32_e32 v9, s93, v9
	s_mov_b64 s[26:27], -1
	s_mov_b64 s[28:29], 0
	s_cmp_eq_u64 s[8:9], 0
	s_mov_b64 s[4:5], 0
	s_mov_b64 s[10:11], -1
	s_waitcnt lgkmcnt(0)
	s_barrier
                                        ; implicit-def: $vgpr5
	s_cbranch_scc1 .LBB195_147
; %bb.131:                              ;   in Loop: Header=BB195_12 Depth=1
	v_readlane_b32 s2, v48, 32
	s_add_u32 s44, s8, s2
	v_readlane_b32 s2, v48, 34
	s_addc_u32 s5, s9, s2
	s_mov_b32 s4, s85
	s_cmp_lg_u64 s[4:5], 0
	s_cbranch_scc0 .LBB195_190
; %bb.132:                              ;   in Loop: Header=BB195_12 Depth=1
	v_cvt_f32_u32_e32 v4, s95
	s_sub_u32 s4, 0, s95
	s_subb_u32 s12, 0, 0
	v_mac_f32_e32 v4, 0, v34
	v_rcp_f32_e32 v4, v4
	v_mul_f32_e32 v4, 0x5f7ffffc, v4
	v_mul_f32_e32 v5, 0x2f800000, v4
	v_trunc_f32_e32 v5, v5
	v_mac_f32_e32 v4, 0xcf800000, v5
	v_cvt_u32_f32_e32 v5, v5
	v_cvt_u32_f32_e32 v4, v4
	v_readfirstlane_b32 s13, v5
	v_readfirstlane_b32 s10, v4
	s_mul_i32 s11, s4, s13
	s_mul_hi_u32 s46, s4, s10
	s_mul_i32 s45, s12, s10
	s_add_i32 s11, s46, s11
	s_mul_i32 s47, s4, s10
	s_add_i32 s11, s11, s45
	s_mul_hi_u32 s46, s10, s47
	s_mul_i32 s48, s10, s11
	s_mul_hi_u32 s45, s10, s11
	s_add_u32 s46, s46, s48
	s_addc_u32 s45, 0, s45
	s_mul_hi_u32 s49, s13, s47
	s_mul_i32 s47, s13, s47
	s_add_u32 s46, s46, s47
	s_mul_hi_u32 s48, s13, s11
	s_addc_u32 s45, s45, s49
	s_addc_u32 s46, s48, 0
	s_mul_i32 s11, s13, s11
	s_add_u32 s11, s45, s11
	s_addc_u32 s45, 0, s46
	s_add_u32 s46, s10, s11
	s_cselect_b64 s[10:11], -1, 0
	s_cmp_lg_u64 s[10:11], 0
	s_addc_u32 s13, s13, s45
	s_mul_i32 s10, s4, s13
	s_mul_hi_u32 s11, s4, s46
	s_add_i32 s10, s11, s10
	s_mul_i32 s12, s12, s46
	s_add_i32 s10, s10, s12
	s_mul_i32 s4, s4, s46
	s_mul_hi_u32 s12, s13, s4
	s_mul_i32 s45, s13, s4
	s_mul_i32 s48, s46, s10
	s_mul_hi_u32 s4, s46, s4
	s_mul_hi_u32 s47, s46, s10
	s_add_u32 s4, s4, s48
	s_addc_u32 s47, 0, s47
	s_add_u32 s4, s4, s45
	s_mul_hi_u32 s11, s13, s10
	s_addc_u32 s4, s47, s12
	s_addc_u32 s11, s11, 0
	s_mul_i32 s10, s13, s10
	s_add_u32 s4, s4, s10
	s_addc_u32 s12, 0, s11
	s_add_u32 s4, s46, s4
	s_cselect_b64 s[10:11], -1, 0
	s_cmp_lg_u64 s[10:11], 0
	s_addc_u32 s10, s13, s12
	s_mul_i32 s12, s44, s10
	s_mul_hi_u32 s13, s44, s4
	s_mul_hi_u32 s11, s44, s10
	s_add_u32 s12, s13, s12
	s_addc_u32 s11, 0, s11
	s_mul_hi_u32 s45, s5, s4
	s_mul_i32 s4, s5, s4
	s_add_u32 s4, s12, s4
	s_mul_hi_u32 s13, s5, s10
	s_addc_u32 s4, s11, s45
	s_addc_u32 s11, s13, 0
	s_mul_i32 s10, s5, s10
	s_add_u32 s4, s4, s10
	s_addc_u32 s10, 0, s11
	s_mul_i32 s10, s95, s10
	s_mul_hi_u32 s11, s95, s4
	s_add_i32 s12, s11, s10
	s_mul_i32 s4, s95, s4
	s_sub_u32 s4, s44, s4
	s_cselect_b64 s[10:11], -1, 0
	s_cmp_lg_u64 s[10:11], 0
	s_subb_u32 s12, s5, s12
	s_sub_u32 s13, s4, s95
	s_cselect_b64 s[10:11], -1, 0
	s_cmp_lg_u64 s[10:11], 0
	s_subb_u32 s45, s12, 0
	;; [unrolled: 4-line block ×3, first 2 shown]
	s_cmp_ge_u32 s13, s95
	s_cselect_b32 s11, -1, 0
	s_cmp_eq_u32 s45, 0
	s_cselect_b32 s11, s11, -1
	s_cmp_lg_u32 s11, 0
	s_cselect_b32 s10, s10, s45
	s_cselect_b32 s13, s46, s13
	s_cmp_ge_u32 s4, s95
	s_cselect_b32 s11, -1, 0
	s_cmp_eq_u32 s12, 0
	s_cselect_b32 s11, s11, -1
	s_cmp_lg_u32 s11, 0
	s_cselect_b32 s11, s10, s12
	s_cselect_b32 s10, s13, s4
	s_cbranch_execnz .LBB195_134
.LBB195_133:                            ;   in Loop: Header=BB195_12 Depth=1
	v_cvt_f32_u32_e32 v4, s95
	s_sub_i32 s4, 0, s95
	s_mov_b32 s2, s84
	v_rcp_iflag_f32_e32 v4, v4
	v_mul_f32_e32 v4, 0x4f7ffffe, v4
	v_cvt_u32_f32_e32 v4, v4
	v_readfirstlane_b32 s10, v4
	s_mul_i32 s4, s4, s10
	s_mul_hi_u32 s4, s10, s4
	s_add_i32 s10, s10, s4
	s_mul_hi_u32 s4, s44, s10
	s_mul_i32 s4, s4, s95
	s_sub_i32 s4, s44, s4
	s_sub_i32 s10, s4, s95
	s_cmp_ge_u32 s4, s95
	s_cselect_b32 s4, s10, s4
	s_sub_i32 s10, s4, s95
	s_cmp_ge_u32 s4, s95
	s_cselect_b32 s84, s10, s4
	s_mov_b64 s[10:11], s[84:85]
	s_mov_b32 s84, s2
.LBB195_134:                            ;   in Loop: Header=BB195_12 Depth=1
	s_sub_u32 s44, s44, s10
	s_subb_u32 s45, s5, s11
	v_cmp_gt_u64_e32 vcc, s[44:45], v[0:1]
	s_mov_b64 s[10:11], 0
	s_mov_b64 s[4:5], 0
                                        ; implicit-def: $vgpr5
	s_and_saveexec_b64 s[12:13], vcc
	s_cbranch_execz .LBB195_146
; %bb.135:                              ;   in Loop: Header=BB195_12 Depth=1
	v_mov_b32_e32 v7, v1
	v_mov_b32_e32 v21, v14
	;; [unrolled: 1-line block ×3, first 2 shown]
                                        ; implicit-def: $sgpr46_sgpr47
	s_branch .LBB195_139
.LBB195_136:                            ;   in Loop: Header=BB195_139 Depth=2
	s_or_b64 exec, exec, s[48:49]
	s_waitcnt lgkmcnt(0)
	s_barrier
	ds_read_b64 v[4:5], v13 offset:3072
	s_waitcnt lgkmcnt(0)
	s_barrier
	v_cmp_neq_f32_e32 vcc, 0, v4
	s_cbranch_vccnz .LBB195_142
; %bb.137:                              ;   in Loop: Header=BB195_139 Depth=2
	v_add_co_u32_e32 v6, vcc, s95, v6
	v_addc_co_u32_e32 v7, vcc, 0, v7, vcc
	v_cmp_le_u64_e32 vcc, s[44:45], v[6:7]
	v_add_u32_e32 v21, s1, v21
	s_mov_b64 s[48:49], 0
	s_orn2_b64 s[50:51], vcc, exec
.LBB195_138:                            ;   in Loop: Header=BB195_139 Depth=2
	s_and_b64 s[50:51], exec, s[50:51]
	s_or_b64 s[4:5], s[50:51], s[4:5]
	s_andn2_b64 s[46:47], s[46:47], exec
	s_and_b64 s[48:49], s[48:49], exec
	s_or_b64 s[46:47], s[46:47], s[48:49]
	s_andn2_b64 exec, exec, s[4:5]
	s_cbranch_execz .LBB195_145
.LBB195_139:                            ;   Parent Loop BB195_12 Depth=1
                                        ; =>  This Inner Loop Header: Depth=2
	v_cmp_gt_u64_e32 vcc, s[8:9], v[6:7]
	s_and_saveexec_b64 s[48:49], vcc
	s_cbranch_execz .LBB195_136
; %bb.140:                              ;   in Loop: Header=BB195_139 Depth=2
	ds_read_b32 v17, v21
	s_waitcnt lgkmcnt(0)
	v_cmp_lt_i32_e32 vcc, -1, v17
	v_cndmask_b32_e32 v4, -1, v33, vcc
	v_xor_b32_e32 v4, v4, v17
	v_cmp_o_f32_e32 vcc, v17, v17
	v_cndmask_b32_e32 v4, -1, v4, vcc
	v_and_b32_e32 v4, v4, v9
	v_cmp_eq_u32_e32 vcc, v4, v12
	s_and_b64 exec, exec, vcc
	s_cbranch_execz .LBB195_136
; %bb.141:                              ;   in Loop: Header=BB195_139 Depth=2
	ds_write_b64 v13, v[16:17] offset:3072
	s_branch .LBB195_136
.LBB195_142:                            ;   in Loop: Header=BB195_139 Depth=2
	s_mov_b64 s[50:51], -1
                                        ; implicit-def: $vgpr6_vgpr7
                                        ; implicit-def: $vgpr21
	s_mov_b64 s[48:49], -1
	s_branch .LBB195_138
.LBB195_143:                            ;   in Loop: Header=BB195_12 Depth=1
                                        ; implicit-def: $sgpr10_sgpr11
	s_branch .LBB195_85
.LBB195_144:                            ;   in Loop: Header=BB195_12 Depth=1
                                        ; implicit-def: $sgpr8_sgpr9
	s_branch .LBB195_103
.LBB195_145:                            ;   in Loop: Header=BB195_12 Depth=1
	s_or_b64 exec, exec, s[4:5]
	s_and_b64 s[4:5], s[46:47], exec
.LBB195_146:                            ;   in Loop: Header=BB195_12 Depth=1
	s_or_b64 exec, exec, s[12:13]
.LBB195_147:                            ;   in Loop: Header=BB195_12 Depth=1
	s_and_b64 vcc, exec, s[10:11]
	s_cbranch_vccz .LBB195_162
; %bb.148:                              ;   in Loop: Header=BB195_12 Depth=1
	s_mov_b32 s72, s85
	s_cmp_lg_u64 s[72:73], 0
	s_cbranch_scc0 .LBB195_191
; %bb.149:                              ;   in Loop: Header=BB195_12 Depth=1
	v_cvt_f32_u32_e32 v4, s95
	s_sub_u32 s10, 0, s95
	s_subb_u32 s11, 0, 0
	v_readlane_b32 s2, v48, 33
	v_mac_f32_e32 v4, 0, v34
	v_rcp_f32_e32 v4, v4
	v_mul_f32_e32 v4, 0x5f7ffffc, v4
	v_mul_f32_e32 v5, 0x2f800000, v4
	v_trunc_f32_e32 v5, v5
	v_mac_f32_e32 v4, 0xcf800000, v5
	v_cvt_u32_f32_e32 v5, v5
	v_cvt_u32_f32_e32 v4, v4
	v_readfirstlane_b32 s12, v5
	v_readfirstlane_b32 s8, v4
	s_mul_i32 s9, s10, s12
	s_mul_hi_u32 s26, s10, s8
	s_mul_i32 s13, s11, s8
	s_add_i32 s9, s26, s9
	s_mul_i32 s27, s10, s8
	s_add_i32 s9, s9, s13
	s_mul_hi_u32 s26, s8, s27
	s_mul_i32 s28, s8, s9
	s_mul_hi_u32 s13, s8, s9
	s_add_u32 s26, s26, s28
	s_addc_u32 s13, 0, s13
	s_mul_hi_u32 s29, s12, s27
	s_mul_i32 s27, s12, s27
	s_add_u32 s26, s26, s27
	s_mul_hi_u32 s28, s12, s9
	s_addc_u32 s13, s13, s29
	s_addc_u32 s26, s28, 0
	s_mul_i32 s9, s12, s9
	s_add_u32 s9, s13, s9
	s_addc_u32 s13, 0, s26
	s_add_u32 s26, s8, s9
	s_cselect_b64 s[8:9], -1, 0
	s_cmp_lg_u64 s[8:9], 0
	s_addc_u32 s12, s12, s13
	s_mul_i32 s8, s10, s12
	s_mul_hi_u32 s9, s10, s26
	s_add_i32 s8, s9, s8
	s_mul_i32 s11, s11, s26
	s_add_i32 s8, s8, s11
	s_mul_i32 s10, s10, s26
	s_mul_hi_u32 s11, s12, s10
	s_mul_i32 s13, s12, s10
	s_mul_i32 s28, s26, s8
	s_mul_hi_u32 s10, s26, s10
	s_mul_hi_u32 s27, s26, s8
	s_add_u32 s10, s10, s28
	s_addc_u32 s27, 0, s27
	s_add_u32 s10, s10, s13
	s_mul_hi_u32 s9, s12, s8
	s_addc_u32 s10, s27, s11
	s_addc_u32 s9, s9, 0
	s_mul_i32 s8, s12, s8
	s_add_u32 s8, s10, s8
	s_addc_u32 s10, 0, s9
	s_add_u32 s11, s26, s8
	s_cselect_b64 s[8:9], -1, 0
	s_cmp_lg_u64 s[8:9], 0
	s_addc_u32 s8, s12, s10
	s_mul_i32 s10, s2, s8
	s_mul_hi_u32 s12, s2, s11
	s_mul_hi_u32 s9, s2, s8
	s_add_u32 s10, s12, s10
	s_addc_u32 s9, 0, s9
	s_mul_hi_u32 s13, s73, s11
	s_mul_i32 s11, s73, s11
	s_add_u32 s10, s10, s11
	s_mul_hi_u32 s12, s73, s8
	s_addc_u32 s9, s9, s13
	s_addc_u32 s10, s12, 0
	s_mul_i32 s8, s73, s8
	s_add_u32 s8, s9, s8
	s_addc_u32 s9, 0, s10
	s_mul_i32 s9, s95, s9
	s_mul_hi_u32 s10, s95, s8
	s_add_i32 s10, s10, s9
	s_mul_i32 s8, s95, s8
	s_sub_u32 s11, s2, s8
	s_cselect_b64 s[8:9], -1, 0
	s_cmp_lg_u64 s[8:9], 0
	s_subb_u32 s10, s73, s10
	s_sub_u32 s12, s11, s95
	s_cselect_b64 s[8:9], -1, 0
	s_cmp_lg_u64 s[8:9], 0
	s_subb_u32 s13, s10, 0
	;; [unrolled: 4-line block ×3, first 2 shown]
	s_cmp_ge_u32 s12, s95
	s_cselect_b32 s9, -1, 0
	s_cmp_eq_u32 s13, 0
	s_cselect_b32 s9, s9, -1
	s_cmp_lg_u32 s9, 0
	s_cselect_b32 s8, s8, s13
	s_cselect_b32 s12, s26, s12
	s_cmp_ge_u32 s11, s95
	s_cselect_b32 s9, -1, 0
	s_cmp_eq_u32 s10, 0
	s_cselect_b32 s9, s9, -1
	s_cmp_lg_u32 s9, 0
	s_cselect_b32 s9, s8, s10
	s_cselect_b32 s8, s12, s11
	s_cbranch_execnz .LBB195_151
.LBB195_150:                            ;   in Loop: Header=BB195_12 Depth=1
	v_cvt_f32_u32_e32 v4, s95
	s_sub_i32 s8, 0, s95
	v_readlane_b32 s2, v48, 33
	v_rcp_iflag_f32_e32 v4, v4
	v_mul_f32_e32 v4, 0x4f7ffffe, v4
	v_cvt_u32_f32_e32 v4, v4
	v_readfirstlane_b32 s9, v4
	s_mul_i32 s8, s8, s9
	s_mul_hi_u32 s8, s9, s8
	s_add_i32 s9, s9, s8
	s_mul_hi_u32 s8, s2, s9
	s_mul_i32 s8, s8, s95
	s_sub_i32 s8, s2, s8
	s_sub_i32 s9, s8, s95
	s_cmp_ge_u32 s8, s95
	s_cselect_b32 s8, s9, s8
	s_sub_i32 s9, s8, s95
	s_cmp_ge_u32 s8, s95
	s_mov_b32 s2, s84
	s_cselect_b32 s84, s9, s8
	s_mov_b64 s[8:9], s[84:85]
	s_mov_b32 s84, s2
.LBB195_151:                            ;   in Loop: Header=BB195_12 Depth=1
	v_readlane_b32 s2, v48, 33
	s_sub_u32 s10, s2, s8
	s_subb_u32 s11, s73, s9
	v_cmp_gt_u64_e32 vcc, s[10:11], v[0:1]
                                        ; implicit-def: $vgpr5
	s_and_saveexec_b64 s[8:9], vcc
	s_cbranch_execz .LBB195_161
; %bb.152:                              ;   in Loop: Header=BB195_12 Depth=1
	v_mov_b32_e32 v7, v1
	s_mov_b64 s[12:13], 0
	v_mov_b32_e32 v6, v0
                                        ; implicit-def: $sgpr26_sgpr27
	s_branch .LBB195_156
.LBB195_153:                            ;   in Loop: Header=BB195_156 Depth=2
	s_or_b64 exec, exec, s[28:29]
	s_waitcnt lgkmcnt(0)
	s_barrier
	ds_read_b64 v[4:5], v13 offset:3072
	s_waitcnt lgkmcnt(0)
	s_barrier
	v_cmp_eq_f32_e32 vcc, 0, v4
	s_cbranch_vccz .LBB195_159
; %bb.154:                              ;   in Loop: Header=BB195_156 Depth=2
	v_add_co_u32_e32 v6, vcc, s95, v6
	v_addc_co_u32_e32 v7, vcc, 0, v7, vcc
	v_cmp_le_u64_e32 vcc, s[10:11], v[6:7]
	s_mov_b64 s[28:29], 0
	s_orn2_b64 s[44:45], vcc, exec
.LBB195_155:                            ;   in Loop: Header=BB195_156 Depth=2
	s_and_b64 s[44:45], exec, s[44:45]
	s_or_b64 s[12:13], s[44:45], s[12:13]
	s_andn2_b64 s[26:27], s[26:27], exec
	s_and_b64 s[28:29], s[28:29], exec
	s_or_b64 s[26:27], s[26:27], s[28:29]
	s_andn2_b64 exec, exec, s[12:13]
	s_cbranch_execz .LBB195_160
.LBB195_156:                            ;   Parent Loop BB195_12 Depth=1
                                        ; =>  This Inner Loop Header: Depth=2
	v_cmp_gt_u64_e32 vcc, s[60:61], v[6:7]
	s_and_saveexec_b64 s[28:29], vcc
	s_cbranch_execz .LBB195_153
; %bb.157:                              ;   in Loop: Header=BB195_156 Depth=2
	v_mul_lo_u32 v17, v7, s58
	v_mul_lo_u32 v21, v6, s59
	v_mad_u64_u32 v[4:5], s[44:45], v6, s58, 0
	v_add3_u32 v5, v5, v21, v17
	v_lshlrev_b64 v[4:5], 2, v[4:5]
	v_mov_b32_e32 v17, s94
	v_add_co_u32_e32 v4, vcc, s33, v4
	v_addc_co_u32_e32 v5, vcc, v17, v5, vcc
	global_load_dword v17, v[4:5], off
	s_waitcnt vmcnt(0)
	v_cmp_lt_i32_e32 vcc, -1, v17
	v_cndmask_b32_e32 v4, -1, v33, vcc
	v_xor_b32_e32 v4, v4, v17
	v_cmp_o_f32_e32 vcc, v17, v17
	v_cndmask_b32_e32 v4, -1, v4, vcc
	v_and_b32_e32 v4, v4, v9
	v_cmp_eq_u32_e32 vcc, v4, v12
	s_and_b64 exec, exec, vcc
	s_cbranch_execz .LBB195_153
; %bb.158:                              ;   in Loop: Header=BB195_156 Depth=2
	ds_write_b64 v13, v[16:17] offset:3072
	s_branch .LBB195_153
.LBB195_159:                            ;   in Loop: Header=BB195_156 Depth=2
	s_mov_b64 s[44:45], -1
                                        ; implicit-def: $vgpr6_vgpr7
	s_mov_b64 s[28:29], -1
	s_branch .LBB195_155
.LBB195_160:                            ;   in Loop: Header=BB195_12 Depth=1
	s_or_b64 exec, exec, s[12:13]
	s_andn2_b64 s[4:5], s[4:5], exec
	s_and_b64 s[10:11], s[26:27], exec
	s_or_b64 s[4:5], s[4:5], s[10:11]
.LBB195_161:                            ;   in Loop: Header=BB195_12 Depth=1
	s_or_b64 exec, exec, s[8:9]
	s_mov_b64 s[26:27], 0
	s_mov_b64 s[28:29], -1
.LBB195_162:                            ;   in Loop: Header=BB195_12 Depth=1
	s_orn2_b64 s[4:5], s[4:5], exec
.LBB195_163:                            ;   in Loop: Header=BB195_12 Depth=1
	s_or_b64 exec, exec, s[42:43]
	s_mov_b64 s[8:9], 0
	s_and_saveexec_b64 s[42:43], s[4:5]
	s_cbranch_execz .LBB195_276
; %bb.164:                              ;   in Loop: Header=BB195_12 Depth=1
	v_mov_b32_e32 v6, 1
	s_xor_b64 s[10:11], s[30:31], -1
	v_mov_b32_e32 v8, 1
	v_mov_b32_e32 v7, 0
	s_and_saveexec_b64 s[4:5], s[10:11]
	s_cbranch_execz .LBB195_173
; %bb.165:                              ;   in Loop: Header=BB195_12 Depth=1
	v_cmp_ge_u64_e32 vcc, s[20:21], v[2:3]
	s_and_saveexec_b64 s[8:9], vcc
	s_xor_b64 s[8:9], exec, s[8:9]
	s_cbranch_execz .LBB195_170
; %bb.166:                              ;   in Loop: Header=BB195_12 Depth=1
	ds_read_b64 v[6:7], v13 offset:5120
	v_and_b32_e32 v4, s84, v12
	v_lshl_or_b32 v12, 1, s92, v4
	v_or_b32_e32 v9, s93, v9
	s_waitcnt lgkmcnt(0)
	v_cmp_ne_u64_e32 vcc, 0, v[6:7]
	s_cbranch_vccnz .LBB195_170
; %bb.167:                              ;   in Loop: Header=BB195_12 Depth=1
	v_readlane_b32 s2, v48, 12
	v_readlane_b32 s3, v48, 13
	s_and_saveexec_b64 s[10:11], s[2:3]
; %bb.168:                              ;   in Loop: Header=BB195_12 Depth=1
	v_mov_b32_e32 v6, s20
	v_mov_b32_e32 v7, s21
	ds_write_b64 v13, v[6:7] offset:5128
; %bb.169:                              ;   in Loop: Header=BB195_12 Depth=1
	s_or_b64 exec, exec, s[10:11]
	s_waitcnt lgkmcnt(0)
	s_barrier
.LBB195_170:                            ;   in Loop: Header=BB195_12 Depth=1
	s_or_saveexec_b64 s[8:9], s[8:9]
	s_mov_b64 s[10:11], 0
	v_mov_b32_e32 v8, 8
	s_xor_b64 exec, exec, s[8:9]
; %bb.171:                              ;   in Loop: Header=BB195_12 Depth=1
	v_mov_b32_e32 v4, s21
	v_subrev_co_u32_e32 v2, vcc, s20, v2
	s_mov_b64 s[10:11], exec
	v_subb_co_u32_e32 v3, vcc, v3, v4, vcc
	v_mov_b32_e32 v8, 0
; %bb.172:                              ;   in Loop: Header=BB195_12 Depth=1
	s_or_b64 exec, exec, s[8:9]
	v_mov_b32_e32 v7, v3
	s_and_b64 s[8:9], s[10:11], exec
	v_mov_b32_e32 v6, v2
.LBB195_173:                            ;   in Loop: Header=BB195_12 Depth=1
	s_or_b64 exec, exec, s[4:5]
	s_mov_b64 s[4:5], -1
                                        ; implicit-def: $sgpr46_sgpr47
                                        ; implicit-def: $sgpr48_sgpr49
	s_and_saveexec_b64 s[44:45], s[8:9]
	s_cbranch_execz .LBB195_275
; %bb.174:                              ;   in Loop: Header=BB195_12 Depth=1
	s_cmp_eq_u64 s[22:23], 1
	v_cmp_eq_u64_e32 vcc, 1, v[6:7]
	s_cselect_b64 s[4:5], -1, 0
	s_and_b64 s[50:51], s[4:5], vcc
	s_mov_b64 s[4:5], -1
                                        ; implicit-def: $sgpr48_sgpr49
                                        ; implicit-def: $sgpr46_sgpr47
	s_and_saveexec_b64 s[30:31], s[50:51]
	s_cbranch_execz .LBB195_210
; %bb.175:                              ;   in Loop: Header=BB195_12 Depth=1
	ds_read_b64 v[2:3], v13 offset:5120
	v_readlane_b32 s2, v48, 28
	v_readlane_b32 s3, v48, 29
	s_waitcnt lgkmcnt(0)
	s_barrier
	v_readfirstlane_b32 s8, v2
	v_readfirstlane_b32 s9, v3
	s_and_saveexec_b64 s[4:5], s[2:3]
; %bb.176:                              ;   in Loop: Header=BB195_12 Depth=1
	ds_write_b32 v28, v13
; %bb.177:                              ;   in Loop: Header=BB195_12 Depth=1
	s_or_b64 exec, exec, s[4:5]
	v_and_b32_e32 v2, s84, v12
	v_lshl_or_b32 v12, 2, s92, v2
	v_or_b32_e32 v9, s93, v9
	s_mov_b64 s[46:47], -1
	s_mov_b64 s[48:49], 0
	s_cmp_eq_u64 s[8:9], 0
	s_mov_b64 s[4:5], 0
	s_mov_b64 s[10:11], -1
	s_waitcnt lgkmcnt(0)
	s_barrier
                                        ; implicit-def: $vgpr5
	s_cbranch_scc1 .LBB195_194
; %bb.178:                              ;   in Loop: Header=BB195_12 Depth=1
	v_readlane_b32 s2, v48, 32
	s_add_u32 s52, s8, s2
	v_readlane_b32 s2, v48, 34
	s_addc_u32 s5, s9, s2
	s_mov_b32 s4, s85
	s_mov_b32 s3, s73
	s_cmp_lg_u64 s[4:5], 0
	s_cbranch_scc0 .LBB195_227
; %bb.179:                              ;   in Loop: Header=BB195_12 Depth=1
	v_cvt_f32_u32_e32 v2, s95
	s_sub_u32 s4, 0, s95
	s_subb_u32 s12, 0, 0
	v_mac_f32_e32 v2, 0, v34
	v_rcp_f32_e32 v2, v2
	v_mul_f32_e32 v2, 0x5f7ffffc, v2
	v_mul_f32_e32 v3, 0x2f800000, v2
	v_trunc_f32_e32 v3, v3
	v_mac_f32_e32 v2, 0xcf800000, v3
	v_cvt_u32_f32_e32 v3, v3
	v_cvt_u32_f32_e32 v2, v2
	v_readfirstlane_b32 s13, v3
	v_readfirstlane_b32 s10, v2
	s_mul_i32 s11, s4, s13
	s_mul_hi_u32 s54, s4, s10
	s_mul_i32 s53, s12, s10
	s_add_i32 s11, s54, s11
	s_mul_i32 s55, s4, s10
	s_add_i32 s11, s11, s53
	s_mul_hi_u32 s54, s10, s55
	s_mul_i32 s72, s10, s11
	s_mul_hi_u32 s53, s10, s11
	s_add_u32 s54, s54, s72
	s_addc_u32 s53, 0, s53
	s_mul_hi_u32 s73, s13, s55
	s_mul_i32 s55, s13, s55
	s_add_u32 s54, s54, s55
	s_mul_hi_u32 s72, s13, s11
	s_addc_u32 s53, s53, s73
	s_addc_u32 s54, s72, 0
	s_mul_i32 s11, s13, s11
	s_add_u32 s11, s53, s11
	s_addc_u32 s53, 0, s54
	s_add_u32 s54, s10, s11
	s_cselect_b64 s[10:11], -1, 0
	s_cmp_lg_u64 s[10:11], 0
	s_addc_u32 s13, s13, s53
	s_mul_i32 s10, s4, s13
	s_mul_hi_u32 s11, s4, s54
	s_add_i32 s10, s11, s10
	s_mul_i32 s12, s12, s54
	s_add_i32 s10, s10, s12
	s_mul_i32 s4, s4, s54
	s_mul_hi_u32 s12, s13, s4
	s_mul_i32 s53, s13, s4
	s_mul_i32 s72, s54, s10
	s_mul_hi_u32 s4, s54, s4
	s_mul_hi_u32 s55, s54, s10
	s_add_u32 s4, s4, s72
	s_addc_u32 s55, 0, s55
	s_add_u32 s4, s4, s53
	s_mul_hi_u32 s11, s13, s10
	s_addc_u32 s4, s55, s12
	s_addc_u32 s11, s11, 0
	s_mul_i32 s10, s13, s10
	s_add_u32 s4, s4, s10
	s_addc_u32 s12, 0, s11
	s_add_u32 s4, s54, s4
	s_cselect_b64 s[10:11], -1, 0
	s_cmp_lg_u64 s[10:11], 0
	s_addc_u32 s10, s13, s12
	s_mul_i32 s12, s52, s10
	s_mul_hi_u32 s13, s52, s4
	s_mul_hi_u32 s11, s52, s10
	s_add_u32 s12, s13, s12
	s_addc_u32 s11, 0, s11
	s_mul_hi_u32 s53, s5, s4
	s_mul_i32 s4, s5, s4
	s_add_u32 s4, s12, s4
	s_mul_hi_u32 s13, s5, s10
	s_addc_u32 s4, s11, s53
	s_addc_u32 s11, s13, 0
	s_mul_i32 s10, s5, s10
	s_add_u32 s4, s4, s10
	s_addc_u32 s10, 0, s11
	s_mul_i32 s10, s95, s10
	s_mul_hi_u32 s11, s95, s4
	s_add_i32 s12, s11, s10
	s_mul_i32 s4, s95, s4
	s_sub_u32 s4, s52, s4
	s_cselect_b64 s[10:11], -1, 0
	s_cmp_lg_u64 s[10:11], 0
	s_subb_u32 s12, s5, s12
	s_sub_u32 s13, s4, s95
	s_cselect_b64 s[10:11], -1, 0
	s_cmp_lg_u64 s[10:11], 0
	s_subb_u32 s53, s12, 0
	;; [unrolled: 4-line block ×3, first 2 shown]
	s_cmp_ge_u32 s13, s95
	s_cselect_b32 s11, -1, 0
	s_cmp_eq_u32 s53, 0
	s_cselect_b32 s11, s11, -1
	s_cmp_lg_u32 s11, 0
	s_cselect_b32 s10, s10, s53
	s_cselect_b32 s13, s54, s13
	s_cmp_ge_u32 s4, s95
	s_cselect_b32 s11, -1, 0
	s_cmp_eq_u32 s12, 0
	s_cselect_b32 s11, s11, -1
	s_cmp_lg_u32 s11, 0
	s_cselect_b32 s11, s10, s12
	s_cselect_b32 s10, s13, s4
	s_cbranch_execnz .LBB195_181
.LBB195_180:                            ;   in Loop: Header=BB195_12 Depth=1
	v_cvt_f32_u32_e32 v2, s95
	s_sub_i32 s4, 0, s95
	s_mov_b32 s2, s84
	v_rcp_iflag_f32_e32 v2, v2
	v_mul_f32_e32 v2, 0x4f7ffffe, v2
	v_cvt_u32_f32_e32 v2, v2
	v_readfirstlane_b32 s10, v2
	s_mul_i32 s4, s4, s10
	s_mul_hi_u32 s4, s10, s4
	s_add_i32 s10, s10, s4
	s_mul_hi_u32 s4, s52, s10
	s_mul_i32 s4, s4, s95
	s_sub_i32 s4, s52, s4
	s_sub_i32 s10, s4, s95
	s_cmp_ge_u32 s4, s95
	s_cselect_b32 s4, s10, s4
	s_sub_i32 s10, s4, s95
	s_cmp_ge_u32 s4, s95
	s_cselect_b32 s84, s10, s4
	s_mov_b64 s[10:11], s[84:85]
	s_mov_b32 s84, s2
.LBB195_181:                            ;   in Loop: Header=BB195_12 Depth=1
	s_sub_u32 s52, s52, s10
	s_subb_u32 s53, s5, s11
	v_cmp_gt_u64_e32 vcc, s[52:53], v[0:1]
	s_mov_b64 s[10:11], 0
	s_mov_b64 s[4:5], 0
                                        ; implicit-def: $vgpr5
	s_and_saveexec_b64 s[12:13], vcc
	s_cbranch_execz .LBB195_193
; %bb.182:                              ;   in Loop: Header=BB195_12 Depth=1
	v_mov_b32_e32 v3, v1
	v_mov_b32_e32 v21, v14
	;; [unrolled: 1-line block ×3, first 2 shown]
                                        ; implicit-def: $sgpr54_sgpr55
	s_branch .LBB195_186
.LBB195_183:                            ;   in Loop: Header=BB195_186 Depth=2
	s_or_b64 exec, exec, s[72:73]
	s_waitcnt lgkmcnt(0)
	s_barrier
	ds_read_b64 v[4:5], v13 offset:3072
	s_waitcnt lgkmcnt(0)
	s_barrier
	v_cmp_neq_f32_e32 vcc, 0, v4
	s_cbranch_vccnz .LBB195_189
; %bb.184:                              ;   in Loop: Header=BB195_186 Depth=2
	v_add_co_u32_e32 v2, vcc, s95, v2
	v_addc_co_u32_e32 v3, vcc, 0, v3, vcc
	v_cmp_le_u64_e32 vcc, s[52:53], v[2:3]
	v_add_u32_e32 v21, s1, v21
	s_mov_b64 s[72:73], 0
	s_orn2_b64 s[86:87], vcc, exec
.LBB195_185:                            ;   in Loop: Header=BB195_186 Depth=2
	s_and_b64 s[86:87], exec, s[86:87]
	s_or_b64 s[4:5], s[86:87], s[4:5]
	s_andn2_b64 s[54:55], s[54:55], exec
	s_and_b64 s[72:73], s[72:73], exec
	s_or_b64 s[54:55], s[54:55], s[72:73]
	s_andn2_b64 exec, exec, s[4:5]
	s_cbranch_execz .LBB195_192
.LBB195_186:                            ;   Parent Loop BB195_12 Depth=1
                                        ; =>  This Inner Loop Header: Depth=2
	v_cmp_gt_u64_e32 vcc, s[8:9], v[2:3]
	s_and_saveexec_b64 s[72:73], vcc
	s_cbranch_execz .LBB195_183
; %bb.187:                              ;   in Loop: Header=BB195_186 Depth=2
	ds_read_b32 v17, v21
	s_waitcnt lgkmcnt(0)
	v_cmp_lt_i32_e32 vcc, -1, v17
	v_cndmask_b32_e32 v4, -1, v33, vcc
	v_xor_b32_e32 v4, v4, v17
	v_cmp_o_f32_e32 vcc, v17, v17
	v_cndmask_b32_e32 v4, -1, v4, vcc
	v_and_b32_e32 v4, v4, v9
	v_cmp_eq_u32_e32 vcc, v4, v12
	s_and_b64 exec, exec, vcc
	s_cbranch_execz .LBB195_183
; %bb.188:                              ;   in Loop: Header=BB195_186 Depth=2
	ds_write_b64 v13, v[16:17] offset:3072
	s_branch .LBB195_183
.LBB195_189:                            ;   in Loop: Header=BB195_186 Depth=2
	s_mov_b64 s[86:87], -1
                                        ; implicit-def: $vgpr2_vgpr3
                                        ; implicit-def: $vgpr21
	s_mov_b64 s[72:73], -1
	s_branch .LBB195_185
.LBB195_190:                            ;   in Loop: Header=BB195_12 Depth=1
                                        ; implicit-def: $sgpr10_sgpr11
	s_branch .LBB195_133
.LBB195_191:                            ;   in Loop: Header=BB195_12 Depth=1
                                        ; implicit-def: $sgpr8_sgpr9
	s_branch .LBB195_150
.LBB195_192:                            ;   in Loop: Header=BB195_12 Depth=1
	s_or_b64 exec, exec, s[4:5]
	s_and_b64 s[4:5], s[54:55], exec
.LBB195_193:                            ;   in Loop: Header=BB195_12 Depth=1
	s_or_b64 exec, exec, s[12:13]
	s_mov_b32 s73, s3
.LBB195_194:                            ;   in Loop: Header=BB195_12 Depth=1
	s_and_b64 vcc, exec, s[10:11]
	s_cbranch_vccz .LBB195_209
; %bb.195:                              ;   in Loop: Header=BB195_12 Depth=1
	s_mov_b32 s72, s85
	s_cmp_lg_u64 s[72:73], 0
	s_cbranch_scc0 .LBB195_228
; %bb.196:                              ;   in Loop: Header=BB195_12 Depth=1
	v_cvt_f32_u32_e32 v2, s95
	s_sub_u32 s10, 0, s95
	s_subb_u32 s11, 0, 0
	v_readlane_b32 s2, v48, 33
	v_mac_f32_e32 v2, 0, v34
	v_rcp_f32_e32 v2, v2
	v_mul_f32_e32 v2, 0x5f7ffffc, v2
	v_mul_f32_e32 v3, 0x2f800000, v2
	v_trunc_f32_e32 v3, v3
	v_mac_f32_e32 v2, 0xcf800000, v3
	v_cvt_u32_f32_e32 v3, v3
	v_cvt_u32_f32_e32 v2, v2
	v_readfirstlane_b32 s12, v3
	v_readfirstlane_b32 s8, v2
	s_mul_i32 s9, s10, s12
	s_mul_hi_u32 s46, s10, s8
	s_mul_i32 s13, s11, s8
	s_add_i32 s9, s46, s9
	s_mul_i32 s47, s10, s8
	s_add_i32 s9, s9, s13
	s_mul_hi_u32 s46, s8, s47
	s_mul_i32 s48, s8, s9
	s_mul_hi_u32 s13, s8, s9
	s_add_u32 s46, s46, s48
	s_addc_u32 s13, 0, s13
	s_mul_hi_u32 s49, s12, s47
	s_mul_i32 s47, s12, s47
	s_add_u32 s46, s46, s47
	s_mul_hi_u32 s48, s12, s9
	s_addc_u32 s13, s13, s49
	s_addc_u32 s46, s48, 0
	s_mul_i32 s9, s12, s9
	s_add_u32 s9, s13, s9
	s_addc_u32 s13, 0, s46
	s_add_u32 s46, s8, s9
	s_cselect_b64 s[8:9], -1, 0
	s_cmp_lg_u64 s[8:9], 0
	s_addc_u32 s12, s12, s13
	s_mul_i32 s8, s10, s12
	s_mul_hi_u32 s9, s10, s46
	s_add_i32 s8, s9, s8
	s_mul_i32 s11, s11, s46
	s_add_i32 s8, s8, s11
	s_mul_i32 s10, s10, s46
	s_mul_hi_u32 s11, s12, s10
	s_mul_i32 s13, s12, s10
	s_mul_i32 s48, s46, s8
	s_mul_hi_u32 s10, s46, s10
	s_mul_hi_u32 s47, s46, s8
	s_add_u32 s10, s10, s48
	s_addc_u32 s47, 0, s47
	s_add_u32 s10, s10, s13
	s_mul_hi_u32 s9, s12, s8
	s_addc_u32 s10, s47, s11
	s_addc_u32 s9, s9, 0
	s_mul_i32 s8, s12, s8
	s_add_u32 s8, s10, s8
	s_addc_u32 s10, 0, s9
	s_add_u32 s11, s46, s8
	s_cselect_b64 s[8:9], -1, 0
	s_cmp_lg_u64 s[8:9], 0
	s_addc_u32 s8, s12, s10
	s_mul_i32 s10, s2, s8
	s_mul_hi_u32 s12, s2, s11
	s_mul_hi_u32 s9, s2, s8
	s_add_u32 s10, s12, s10
	s_addc_u32 s9, 0, s9
	s_mul_hi_u32 s13, s73, s11
	s_mul_i32 s11, s73, s11
	s_add_u32 s10, s10, s11
	s_mul_hi_u32 s12, s73, s8
	s_addc_u32 s9, s9, s13
	s_addc_u32 s10, s12, 0
	s_mul_i32 s8, s73, s8
	s_add_u32 s8, s9, s8
	s_addc_u32 s9, 0, s10
	s_mul_i32 s9, s95, s9
	s_mul_hi_u32 s10, s95, s8
	s_add_i32 s10, s10, s9
	s_mul_i32 s8, s95, s8
	s_sub_u32 s11, s2, s8
	s_cselect_b64 s[8:9], -1, 0
	s_cmp_lg_u64 s[8:9], 0
	s_subb_u32 s10, s73, s10
	s_sub_u32 s12, s11, s95
	s_cselect_b64 s[8:9], -1, 0
	s_cmp_lg_u64 s[8:9], 0
	s_subb_u32 s13, s10, 0
	;; [unrolled: 4-line block ×3, first 2 shown]
	s_cmp_ge_u32 s12, s95
	s_cselect_b32 s9, -1, 0
	s_cmp_eq_u32 s13, 0
	s_cselect_b32 s9, s9, -1
	s_cmp_lg_u32 s9, 0
	s_cselect_b32 s8, s8, s13
	s_cselect_b32 s12, s46, s12
	s_cmp_ge_u32 s11, s95
	s_cselect_b32 s9, -1, 0
	s_cmp_eq_u32 s10, 0
	s_cselect_b32 s9, s9, -1
	s_cmp_lg_u32 s9, 0
	s_cselect_b32 s9, s8, s10
	s_cselect_b32 s8, s12, s11
	s_cbranch_execnz .LBB195_198
.LBB195_197:                            ;   in Loop: Header=BB195_12 Depth=1
	v_cvt_f32_u32_e32 v2, s95
	s_sub_i32 s8, 0, s95
	v_readlane_b32 s2, v48, 33
	v_rcp_iflag_f32_e32 v2, v2
	v_mul_f32_e32 v2, 0x4f7ffffe, v2
	v_cvt_u32_f32_e32 v2, v2
	v_readfirstlane_b32 s9, v2
	s_mul_i32 s8, s8, s9
	s_mul_hi_u32 s8, s9, s8
	s_add_i32 s9, s9, s8
	s_mul_hi_u32 s8, s2, s9
	s_mul_i32 s8, s8, s95
	s_sub_i32 s8, s2, s8
	s_sub_i32 s9, s8, s95
	s_cmp_ge_u32 s8, s95
	s_cselect_b32 s8, s9, s8
	s_sub_i32 s9, s8, s95
	s_cmp_ge_u32 s8, s95
	s_mov_b32 s2, s84
	s_cselect_b32 s84, s9, s8
	s_mov_b64 s[8:9], s[84:85]
	s_mov_b32 s84, s2
.LBB195_198:                            ;   in Loop: Header=BB195_12 Depth=1
	v_readlane_b32 s2, v48, 33
	s_sub_u32 s10, s2, s8
	s_subb_u32 s11, s73, s9
	v_cmp_gt_u64_e32 vcc, s[10:11], v[0:1]
                                        ; implicit-def: $vgpr5
	s_and_saveexec_b64 s[8:9], vcc
	s_cbranch_execz .LBB195_208
; %bb.199:                              ;   in Loop: Header=BB195_12 Depth=1
	v_mov_b32_e32 v3, v1
	s_mov_b64 s[12:13], 0
	v_mov_b32_e32 v2, v0
                                        ; implicit-def: $sgpr46_sgpr47
	s_branch .LBB195_203
.LBB195_200:                            ;   in Loop: Header=BB195_203 Depth=2
	s_or_b64 exec, exec, s[48:49]
	s_waitcnt lgkmcnt(0)
	s_barrier
	ds_read_b64 v[4:5], v13 offset:3072
	s_waitcnt lgkmcnt(0)
	s_barrier
	v_cmp_eq_f32_e32 vcc, 0, v4
	s_cbranch_vccz .LBB195_206
; %bb.201:                              ;   in Loop: Header=BB195_203 Depth=2
	v_add_co_u32_e32 v2, vcc, s95, v2
	v_addc_co_u32_e32 v3, vcc, 0, v3, vcc
	v_cmp_le_u64_e32 vcc, s[10:11], v[2:3]
	s_mov_b64 s[48:49], 0
	s_orn2_b64 s[52:53], vcc, exec
.LBB195_202:                            ;   in Loop: Header=BB195_203 Depth=2
	s_and_b64 s[52:53], exec, s[52:53]
	s_or_b64 s[12:13], s[52:53], s[12:13]
	s_andn2_b64 s[46:47], s[46:47], exec
	s_and_b64 s[48:49], s[48:49], exec
	s_or_b64 s[46:47], s[46:47], s[48:49]
	s_andn2_b64 exec, exec, s[12:13]
	s_cbranch_execz .LBB195_207
.LBB195_203:                            ;   Parent Loop BB195_12 Depth=1
                                        ; =>  This Inner Loop Header: Depth=2
	v_cmp_gt_u64_e32 vcc, s[60:61], v[2:3]
	s_and_saveexec_b64 s[48:49], vcc
	s_cbranch_execz .LBB195_200
; %bb.204:                              ;   in Loop: Header=BB195_203 Depth=2
	v_mul_lo_u32 v17, v3, s58
	v_mul_lo_u32 v21, v2, s59
	v_mad_u64_u32 v[4:5], s[52:53], v2, s58, 0
	v_add3_u32 v5, v5, v21, v17
	v_lshlrev_b64 v[4:5], 2, v[4:5]
	v_mov_b32_e32 v17, s94
	v_add_co_u32_e32 v4, vcc, s33, v4
	v_addc_co_u32_e32 v5, vcc, v17, v5, vcc
	global_load_dword v17, v[4:5], off
	s_waitcnt vmcnt(0)
	v_cmp_lt_i32_e32 vcc, -1, v17
	v_cndmask_b32_e32 v4, -1, v33, vcc
	v_xor_b32_e32 v4, v4, v17
	v_cmp_o_f32_e32 vcc, v17, v17
	v_cndmask_b32_e32 v4, -1, v4, vcc
	v_and_b32_e32 v4, v4, v9
	v_cmp_eq_u32_e32 vcc, v4, v12
	s_and_b64 exec, exec, vcc
	s_cbranch_execz .LBB195_200
; %bb.205:                              ;   in Loop: Header=BB195_203 Depth=2
	ds_write_b64 v13, v[16:17] offset:3072
	s_branch .LBB195_200
.LBB195_206:                            ;   in Loop: Header=BB195_203 Depth=2
	s_mov_b64 s[52:53], -1
                                        ; implicit-def: $vgpr2_vgpr3
	s_mov_b64 s[48:49], -1
	s_branch .LBB195_202
.LBB195_207:                            ;   in Loop: Header=BB195_12 Depth=1
	s_or_b64 exec, exec, s[12:13]
	s_andn2_b64 s[4:5], s[4:5], exec
	s_and_b64 s[10:11], s[46:47], exec
	s_or_b64 s[4:5], s[4:5], s[10:11]
.LBB195_208:                            ;   in Loop: Header=BB195_12 Depth=1
	s_or_b64 exec, exec, s[8:9]
	s_mov_b64 s[46:47], 0
	s_mov_b64 s[48:49], -1
.LBB195_209:                            ;   in Loop: Header=BB195_12 Depth=1
	s_orn2_b64 s[4:5], s[4:5], exec
.LBB195_210:                            ;   in Loop: Header=BB195_12 Depth=1
	s_or_b64 exec, exec, s[30:31]
	s_mov_b64 s[8:9], 0
	s_and_saveexec_b64 s[30:31], s[4:5]
	s_cbranch_execz .LBB195_274
; %bb.211:                              ;   in Loop: Header=BB195_12 Depth=1
	v_mov_b32_e32 v2, 1
	s_xor_b64 s[10:11], s[50:51], -1
	v_mov_b32_e32 v8, 1
	v_mov_b32_e32 v3, 0
	s_and_saveexec_b64 s[4:5], s[10:11]
	s_cbranch_execz .LBB195_220
; %bb.212:                              ;   in Loop: Header=BB195_12 Depth=1
	v_cmp_ge_u64_e32 vcc, s[22:23], v[6:7]
	s_and_saveexec_b64 s[8:9], vcc
	s_xor_b64 s[8:9], exec, s[8:9]
	s_cbranch_execz .LBB195_217
; %bb.213:                              ;   in Loop: Header=BB195_12 Depth=1
	ds_read_b64 v[2:3], v13 offset:5120
	v_and_b32_e32 v4, s84, v12
	v_lshl_or_b32 v12, 2, s92, v4
	v_or_b32_e32 v9, s93, v9
	s_waitcnt lgkmcnt(0)
	v_cmp_ne_u64_e32 vcc, 0, v[2:3]
	s_cbranch_vccnz .LBB195_217
; %bb.214:                              ;   in Loop: Header=BB195_12 Depth=1
	v_readlane_b32 s2, v48, 12
	v_readlane_b32 s3, v48, 13
	s_and_saveexec_b64 s[10:11], s[2:3]
; %bb.215:                              ;   in Loop: Header=BB195_12 Depth=1
	v_mov_b32_e32 v2, s22
	v_mov_b32_e32 v3, s23
	ds_write_b64 v13, v[2:3] offset:5128
; %bb.216:                              ;   in Loop: Header=BB195_12 Depth=1
	s_or_b64 exec, exec, s[10:11]
	s_waitcnt lgkmcnt(0)
	s_barrier
.LBB195_217:                            ;   in Loop: Header=BB195_12 Depth=1
	s_or_saveexec_b64 s[8:9], s[8:9]
	s_mov_b64 s[10:11], 0
	v_mov_b32_e32 v8, 8
	s_xor_b64 exec, exec, s[8:9]
; %bb.218:                              ;   in Loop: Header=BB195_12 Depth=1
	v_mov_b32_e32 v2, s23
	v_subrev_co_u32_e32 v6, vcc, s22, v6
	s_mov_b64 s[10:11], exec
	v_subb_co_u32_e32 v7, vcc, v7, v2, vcc
	v_mov_b32_e32 v8, 0
; %bb.219:                              ;   in Loop: Header=BB195_12 Depth=1
	s_or_b64 exec, exec, s[8:9]
	v_mov_b32_e32 v2, v6
	s_and_b64 s[8:9], s[10:11], exec
	v_mov_b32_e32 v3, v7
.LBB195_220:                            ;   in Loop: Header=BB195_12 Depth=1
	s_or_b64 exec, exec, s[4:5]
	s_mov_b64 s[4:5], -1
                                        ; implicit-def: $sgpr54_sgpr55
                                        ; implicit-def: $sgpr52_sgpr53
	s_and_saveexec_b64 s[50:51], s[8:9]
	s_cbranch_execz .LBB195_273
; %bb.221:                              ;   in Loop: Header=BB195_12 Depth=1
	s_cmp_eq_u64 s[24:25], 1
	v_cmp_eq_u64_e32 vcc, 1, v[2:3]
	s_cselect_b64 s[4:5], -1, 0
	s_mov_b64 s[8:9], -1
	s_and_b64 s[2:3], s[4:5], vcc
                                        ; implicit-def: $sgpr54_sgpr55
                                        ; implicit-def: $sgpr52_sgpr53
	s_mov_b64 s[4:5], exec
	v_writelane_b32 v48, s2, 53
	v_writelane_b32 v48, s3, 54
	;; [unrolled: 1-line block ×4, first 2 shown]
	s_and_b64 s[4:5], s[4:5], s[2:3]
	s_mov_b64 exec, s[4:5]
	s_cbranch_execz .LBB195_261
; %bb.222:                              ;   in Loop: Header=BB195_12 Depth=1
	ds_read_b64 v[4:5], v13 offset:5120
	v_readlane_b32 s2, v48, 28
	v_readlane_b32 s3, v48, 29
	s_waitcnt lgkmcnt(0)
	s_barrier
	v_readfirstlane_b32 s8, v4
	v_readfirstlane_b32 s9, v5
	s_and_saveexec_b64 s[4:5], s[2:3]
; %bb.223:                              ;   in Loop: Header=BB195_12 Depth=1
	ds_write_b32 v28, v13
; %bb.224:                              ;   in Loop: Header=BB195_12 Depth=1
	s_or_b64 exec, exec, s[4:5]
	v_or_b32_e32 v12, s93, v12
	v_or_b32_e32 v9, s93, v9
	s_mov_b64 s[52:53], -1
	s_mov_b64 s[54:55], 0
	s_cmp_eq_u64 s[8:9], 0
	s_mov_b64 s[4:5], 0
	s_mov_b64 s[10:11], -1
	s_waitcnt lgkmcnt(0)
	s_barrier
                                        ; implicit-def: $vgpr5
	s_cbranch_scc1 .LBB195_243
; %bb.225:                              ;   in Loop: Header=BB195_12 Depth=1
	v_writelane_b32 v48, s72, 57
	v_writelane_b32 v48, s73, 58
	;; [unrolled: 1-line block ×4, first 2 shown]
	v_readlane_b32 s4, v48, 32
	s_add_u32 s72, s8, s4
	v_readlane_b32 s4, v48, 34
	s_addc_u32 s5, s9, s4
	s_mov_b32 s4, s85
	s_mov_b32 s2, s84
	s_cmp_lg_u64 s[4:5], 0
	s_cbranch_scc0 .LBB195_229
; %bb.226:                              ;   in Loop: Header=BB195_12 Depth=1
	v_cvt_f32_u32_e32 v4, s95
	s_sub_u32 s4, 0, s95
	s_subb_u32 s12, 0, 0
	v_mac_f32_e32 v4, 0, v34
	v_rcp_f32_e32 v4, v4
	v_mul_f32_e32 v4, 0x5f7ffffc, v4
	v_mul_f32_e32 v5, 0x2f800000, v4
	v_trunc_f32_e32 v5, v5
	v_mac_f32_e32 v4, 0xcf800000, v5
	v_cvt_u32_f32_e32 v5, v5
	v_cvt_u32_f32_e32 v4, v4
	v_readfirstlane_b32 s13, v5
	v_readfirstlane_b32 s10, v4
	s_mul_i32 s11, s4, s13
	s_mul_hi_u32 s84, s4, s10
	s_mul_i32 s73, s12, s10
	s_add_i32 s11, s84, s11
	s_mul_i32 s86, s4, s10
	s_add_i32 s11, s11, s73
	s_mul_hi_u32 s84, s10, s86
	s_mul_i32 s87, s10, s11
	s_mul_hi_u32 s73, s10, s11
	s_add_u32 s84, s84, s87
	s_addc_u32 s73, 0, s73
	s_mul_hi_u32 s88, s13, s86
	s_mul_i32 s86, s13, s86
	s_add_u32 s84, s84, s86
	s_mul_hi_u32 s87, s13, s11
	s_addc_u32 s73, s73, s88
	s_addc_u32 s84, s87, 0
	s_mul_i32 s11, s13, s11
	s_add_u32 s11, s73, s11
	s_addc_u32 s73, 0, s84
	s_add_u32 s84, s10, s11
	s_cselect_b64 s[10:11], -1, 0
	s_cmp_lg_u64 s[10:11], 0
	s_addc_u32 s13, s13, s73
	s_mul_i32 s10, s4, s13
	s_mul_hi_u32 s11, s4, s84
	s_add_i32 s10, s11, s10
	s_mul_i32 s12, s12, s84
	s_add_i32 s10, s10, s12
	s_mul_i32 s4, s4, s84
	s_mul_hi_u32 s12, s13, s4
	s_mul_i32 s73, s13, s4
	s_mul_i32 s87, s84, s10
	s_mul_hi_u32 s4, s84, s4
	s_mul_hi_u32 s86, s84, s10
	s_add_u32 s4, s4, s87
	s_addc_u32 s86, 0, s86
	s_add_u32 s4, s4, s73
	s_mul_hi_u32 s11, s13, s10
	s_addc_u32 s4, s86, s12
	s_addc_u32 s11, s11, 0
	s_mul_i32 s10, s13, s10
	s_add_u32 s4, s4, s10
	s_addc_u32 s12, 0, s11
	s_add_u32 s4, s84, s4
	s_cselect_b64 s[10:11], -1, 0
	s_cmp_lg_u64 s[10:11], 0
	s_addc_u32 s10, s13, s12
	s_mul_i32 s12, s72, s10
	s_mul_hi_u32 s13, s72, s4
	s_mul_hi_u32 s11, s72, s10
	s_add_u32 s12, s13, s12
	s_addc_u32 s11, 0, s11
	s_mul_hi_u32 s73, s5, s4
	s_mul_i32 s4, s5, s4
	s_add_u32 s4, s12, s4
	s_mul_hi_u32 s13, s5, s10
	s_addc_u32 s4, s11, s73
	s_addc_u32 s11, s13, 0
	s_mul_i32 s10, s5, s10
	s_add_u32 s4, s4, s10
	s_addc_u32 s10, 0, s11
	s_mul_i32 s10, s95, s10
	s_mul_hi_u32 s11, s95, s4
	s_add_i32 s12, s11, s10
	s_mul_i32 s4, s95, s4
	s_sub_u32 s4, s72, s4
	s_cselect_b64 s[10:11], -1, 0
	s_cmp_lg_u64 s[10:11], 0
	s_subb_u32 s12, s5, s12
	s_sub_u32 s13, s4, s95
	s_cselect_b64 s[10:11], -1, 0
	s_cmp_lg_u64 s[10:11], 0
	s_subb_u32 s73, s12, 0
	;; [unrolled: 4-line block ×3, first 2 shown]
	s_cmp_ge_u32 s13, s95
	s_cselect_b32 s11, -1, 0
	s_cmp_eq_u32 s73, 0
	s_cselect_b32 s11, s11, -1
	s_cmp_lg_u32 s11, 0
	s_cselect_b32 s10, s10, s73
	s_cselect_b32 s13, s84, s13
	s_cmp_ge_u32 s4, s95
	s_cselect_b32 s11, -1, 0
	s_cmp_eq_u32 s12, 0
	s_cselect_b32 s11, s11, -1
	s_cmp_lg_u32 s11, 0
	s_cselect_b32 s11, s10, s12
	s_cselect_b32 s10, s13, s4
	s_mov_b64 s[12:13], 0
	s_branch .LBB195_230
.LBB195_227:                            ;   in Loop: Header=BB195_12 Depth=1
                                        ; implicit-def: $sgpr10_sgpr11
	s_branch .LBB195_180
.LBB195_228:                            ;   in Loop: Header=BB195_12 Depth=1
                                        ; implicit-def: $sgpr8_sgpr9
	s_branch .LBB195_197
.LBB195_229:                            ;   in Loop: Header=BB195_12 Depth=1
	s_mov_b64 s[12:13], -1
                                        ; implicit-def: $sgpr10_sgpr11
.LBB195_230:                            ;   in Loop: Header=BB195_12 Depth=1
	s_andn2_b64 vcc, exec, s[12:13]
	s_cbranch_vccnz .LBB195_232
; %bb.231:                              ;   in Loop: Header=BB195_12 Depth=1
	v_cvt_f32_u32_e32 v4, s95
	s_sub_i32 s4, 0, s95
	v_rcp_iflag_f32_e32 v4, v4
	v_mul_f32_e32 v4, 0x4f7ffffe, v4
	v_cvt_u32_f32_e32 v4, v4
	v_readfirstlane_b32 s10, v4
	s_mul_i32 s4, s4, s10
	s_mul_hi_u32 s4, s10, s4
	s_add_i32 s10, s10, s4
	s_mul_hi_u32 s4, s72, s10
	s_mul_i32 s4, s4, s95
	s_sub_i32 s4, s72, s4
	s_sub_i32 s10, s4, s95
	s_cmp_ge_u32 s4, s95
	s_cselect_b32 s4, s10, s4
	s_sub_i32 s10, s4, s95
	s_cmp_ge_u32 s4, s95
	s_cselect_b32 s84, s10, s4
	s_mov_b64 s[10:11], s[84:85]
.LBB195_232:                            ;   in Loop: Header=BB195_12 Depth=1
	s_sub_u32 s72, s72, s10
	s_subb_u32 s73, s5, s11
	v_cmp_gt_u64_e32 vcc, s[72:73], v[0:1]
	s_mov_b64 s[10:11], 0
	s_mov_b64 s[4:5], 0
                                        ; implicit-def: $vgpr5
	s_and_saveexec_b64 s[12:13], vcc
	s_mov_b32 s84, s2
	s_cbranch_execz .LBB195_242
; %bb.233:                              ;   in Loop: Header=BB195_12 Depth=1
	v_mov_b32_e32 v7, v1
	v_mov_b32_e32 v21, v14
	;; [unrolled: 1-line block ×3, first 2 shown]
                                        ; implicit-def: $sgpr86_sgpr87
	s_branch .LBB195_237
.LBB195_234:                            ;   in Loop: Header=BB195_237 Depth=2
	s_or_b64 exec, exec, s[88:89]
	s_waitcnt lgkmcnt(0)
	s_barrier
	ds_read_b64 v[4:5], v13 offset:3072
	s_waitcnt lgkmcnt(0)
	s_barrier
	v_cmp_neq_f32_e32 vcc, 0, v4
	s_cbranch_vccnz .LBB195_240
; %bb.235:                              ;   in Loop: Header=BB195_237 Depth=2
	v_add_co_u32_e32 v6, vcc, s95, v6
	v_addc_co_u32_e32 v7, vcc, 0, v7, vcc
	v_cmp_le_u64_e32 vcc, s[72:73], v[6:7]
	v_add_u32_e32 v21, s1, v21
	s_mov_b64 s[88:89], 0
	s_orn2_b64 s[90:91], vcc, exec
.LBB195_236:                            ;   in Loop: Header=BB195_237 Depth=2
	s_and_b64 s[90:91], exec, s[90:91]
	s_or_b64 s[4:5], s[90:91], s[4:5]
	s_andn2_b64 s[86:87], s[86:87], exec
	s_and_b64 s[88:89], s[88:89], exec
	s_or_b64 s[86:87], s[86:87], s[88:89]
	s_andn2_b64 exec, exec, s[4:5]
	s_cbranch_execz .LBB195_241
.LBB195_237:                            ;   Parent Loop BB195_12 Depth=1
                                        ; =>  This Inner Loop Header: Depth=2
	v_cmp_gt_u64_e32 vcc, s[8:9], v[6:7]
	s_and_saveexec_b64 s[88:89], vcc
	s_cbranch_execz .LBB195_234
; %bb.238:                              ;   in Loop: Header=BB195_237 Depth=2
	ds_read_b32 v17, v21
	s_waitcnt lgkmcnt(0)
	v_cmp_lt_i32_e32 vcc, -1, v17
	v_cndmask_b32_e32 v4, -1, v33, vcc
	v_xor_b32_e32 v4, v4, v17
	v_cmp_o_f32_e32 vcc, v17, v17
	v_cndmask_b32_e32 v4, -1, v4, vcc
	v_and_b32_e32 v4, v4, v9
	v_cmp_eq_u32_e32 vcc, v4, v12
	s_and_b64 exec, exec, vcc
	s_cbranch_execz .LBB195_234
; %bb.239:                              ;   in Loop: Header=BB195_237 Depth=2
	ds_write_b64 v13, v[16:17] offset:3072
	s_branch .LBB195_234
.LBB195_240:                            ;   in Loop: Header=BB195_237 Depth=2
	s_mov_b64 s[90:91], -1
                                        ; implicit-def: $vgpr6_vgpr7
                                        ; implicit-def: $vgpr21
	s_mov_b64 s[88:89], -1
	s_branch .LBB195_236
.LBB195_241:                            ;   in Loop: Header=BB195_12 Depth=1
	s_or_b64 exec, exec, s[4:5]
	v_readlane_b32 s90, v48, 49
	s_and_b64 s[4:5], s[86:87], exec
	v_readlane_b32 s91, v48, 50
.LBB195_242:                            ;   in Loop: Header=BB195_12 Depth=1
	s_or_b64 exec, exec, s[12:13]
	v_readlane_b32 s88, v48, 59
	v_readlane_b32 s72, v48, 57
	;; [unrolled: 1-line block ×4, first 2 shown]
.LBB195_243:                            ;   in Loop: Header=BB195_12 Depth=1
	s_and_b64 vcc, exec, s[10:11]
	s_cbranch_vccz .LBB195_260
; %bb.244:                              ;   in Loop: Header=BB195_12 Depth=1
	s_mov_b32 s72, s85
	s_cmp_lg_u64 s[72:73], 0
	s_cbranch_scc0 .LBB195_246
; %bb.245:                              ;   in Loop: Header=BB195_12 Depth=1
	v_cvt_f32_u32_e32 v4, s95
	s_sub_u32 s10, 0, s95
	s_subb_u32 s11, 0, 0
	v_readlane_b32 s2, v48, 33
	v_mac_f32_e32 v4, 0, v34
	v_rcp_f32_e32 v4, v4
	v_mul_f32_e32 v4, 0x5f7ffffc, v4
	v_mul_f32_e32 v5, 0x2f800000, v4
	v_trunc_f32_e32 v5, v5
	v_mac_f32_e32 v4, 0xcf800000, v5
	v_cvt_u32_f32_e32 v5, v5
	v_cvt_u32_f32_e32 v4, v4
	v_readfirstlane_b32 s12, v5
	v_readfirstlane_b32 s8, v4
	s_mul_i32 s9, s10, s12
	s_mul_hi_u32 s52, s10, s8
	s_mul_i32 s13, s11, s8
	s_add_i32 s9, s52, s9
	s_mul_i32 s53, s10, s8
	s_add_i32 s9, s9, s13
	s_mul_hi_u32 s52, s8, s53
	s_mul_i32 s54, s8, s9
	s_mul_hi_u32 s13, s8, s9
	s_add_u32 s52, s52, s54
	s_addc_u32 s13, 0, s13
	s_mul_hi_u32 s55, s12, s53
	s_mul_i32 s53, s12, s53
	s_add_u32 s52, s52, s53
	s_mul_hi_u32 s54, s12, s9
	s_addc_u32 s13, s13, s55
	s_addc_u32 s52, s54, 0
	s_mul_i32 s9, s12, s9
	s_add_u32 s9, s13, s9
	s_addc_u32 s13, 0, s52
	s_add_u32 s52, s8, s9
	s_cselect_b64 s[8:9], -1, 0
	s_cmp_lg_u64 s[8:9], 0
	s_addc_u32 s12, s12, s13
	s_mul_i32 s8, s10, s12
	s_mul_hi_u32 s9, s10, s52
	s_add_i32 s8, s9, s8
	s_mul_i32 s11, s11, s52
	s_add_i32 s8, s8, s11
	s_mul_i32 s10, s10, s52
	s_mul_hi_u32 s11, s12, s10
	s_mul_i32 s13, s12, s10
	s_mul_i32 s54, s52, s8
	s_mul_hi_u32 s10, s52, s10
	s_mul_hi_u32 s53, s52, s8
	s_add_u32 s10, s10, s54
	s_addc_u32 s53, 0, s53
	s_add_u32 s10, s10, s13
	s_mul_hi_u32 s9, s12, s8
	s_addc_u32 s10, s53, s11
	s_addc_u32 s9, s9, 0
	s_mul_i32 s8, s12, s8
	s_add_u32 s8, s10, s8
	s_addc_u32 s10, 0, s9
	s_add_u32 s11, s52, s8
	s_cselect_b64 s[8:9], -1, 0
	s_cmp_lg_u64 s[8:9], 0
	s_addc_u32 s8, s12, s10
	s_mul_i32 s10, s2, s8
	s_mul_hi_u32 s12, s2, s11
	s_mul_hi_u32 s9, s2, s8
	s_add_u32 s10, s12, s10
	s_addc_u32 s9, 0, s9
	s_mul_hi_u32 s13, s73, s11
	s_mul_i32 s11, s73, s11
	s_add_u32 s10, s10, s11
	s_mul_hi_u32 s12, s73, s8
	s_addc_u32 s9, s9, s13
	s_addc_u32 s10, s12, 0
	s_mul_i32 s8, s73, s8
	s_add_u32 s8, s9, s8
	s_addc_u32 s9, 0, s10
	s_mul_i32 s9, s95, s9
	s_mul_hi_u32 s10, s95, s8
	s_add_i32 s10, s10, s9
	s_mul_i32 s8, s95, s8
	s_sub_u32 s11, s2, s8
	s_cselect_b64 s[8:9], -1, 0
	s_cmp_lg_u64 s[8:9], 0
	s_subb_u32 s10, s73, s10
	s_sub_u32 s12, s11, s95
	s_cselect_b64 s[8:9], -1, 0
	s_cmp_lg_u64 s[8:9], 0
	s_subb_u32 s13, s10, 0
	;; [unrolled: 4-line block ×3, first 2 shown]
	s_cmp_ge_u32 s12, s95
	s_cselect_b32 s9, -1, 0
	s_cmp_eq_u32 s13, 0
	s_cselect_b32 s9, s9, -1
	s_cmp_lg_u32 s9, 0
	s_cselect_b32 s8, s8, s13
	s_cselect_b32 s12, s52, s12
	s_cmp_ge_u32 s11, s95
	s_cselect_b32 s9, -1, 0
	s_cmp_eq_u32 s10, 0
	s_cselect_b32 s9, s9, -1
	s_cmp_lg_u32 s9, 0
	s_cselect_b32 s9, s8, s10
	s_cselect_b32 s8, s12, s11
	s_mov_b64 s[10:11], 0
	s_branch .LBB195_247
.LBB195_246:                            ;   in Loop: Header=BB195_12 Depth=1
	s_mov_b64 s[10:11], -1
                                        ; implicit-def: $sgpr8_sgpr9
.LBB195_247:                            ;   in Loop: Header=BB195_12 Depth=1
	s_andn2_b64 vcc, exec, s[10:11]
	s_cbranch_vccnz .LBB195_249
; %bb.248:                              ;   in Loop: Header=BB195_12 Depth=1
	v_cvt_f32_u32_e32 v4, s95
	s_sub_i32 s8, 0, s95
	v_readlane_b32 s2, v48, 33
	v_rcp_iflag_f32_e32 v4, v4
	v_mul_f32_e32 v4, 0x4f7ffffe, v4
	v_cvt_u32_f32_e32 v4, v4
	v_readfirstlane_b32 s9, v4
	s_mul_i32 s8, s8, s9
	s_mul_hi_u32 s8, s9, s8
	s_add_i32 s9, s9, s8
	s_mul_hi_u32 s8, s2, s9
	s_mul_i32 s8, s8, s95
	s_sub_i32 s8, s2, s8
	s_sub_i32 s9, s8, s95
	s_cmp_ge_u32 s8, s95
	s_cselect_b32 s8, s9, s8
	s_sub_i32 s9, s8, s95
	s_cmp_ge_u32 s8, s95
	s_mov_b32 s2, s84
	s_cselect_b32 s84, s9, s8
	s_mov_b64 s[8:9], s[84:85]
	s_mov_b32 s84, s2
.LBB195_249:                            ;   in Loop: Header=BB195_12 Depth=1
	v_readlane_b32 s2, v48, 33
	s_sub_u32 s10, s2, s8
	s_subb_u32 s11, s73, s9
	v_cmp_gt_u64_e32 vcc, s[10:11], v[0:1]
                                        ; implicit-def: $vgpr5
	s_and_saveexec_b64 s[8:9], vcc
	s_cbranch_execz .LBB195_259
; %bb.250:                              ;   in Loop: Header=BB195_12 Depth=1
	v_mov_b32_e32 v7, v1
	s_mov_b32 s3, s73
	s_mov_b64 s[12:13], 0
	v_mov_b32_e32 v6, v0
                                        ; implicit-def: $sgpr52_sgpr53
	s_branch .LBB195_254
.LBB195_251:                            ;   in Loop: Header=BB195_254 Depth=2
	s_or_b64 exec, exec, s[54:55]
	s_waitcnt lgkmcnt(0)
	s_barrier
	ds_read_b64 v[4:5], v13 offset:3072
	s_waitcnt lgkmcnt(0)
	s_barrier
	v_cmp_eq_f32_e32 vcc, 0, v4
	s_cbranch_vccz .LBB195_257
; %bb.252:                              ;   in Loop: Header=BB195_254 Depth=2
	v_add_co_u32_e32 v6, vcc, s95, v6
	v_addc_co_u32_e32 v7, vcc, 0, v7, vcc
	v_cmp_le_u64_e32 vcc, s[10:11], v[6:7]
	s_mov_b64 s[54:55], 0
	s_orn2_b64 s[72:73], vcc, exec
.LBB195_253:                            ;   in Loop: Header=BB195_254 Depth=2
	s_and_b64 s[72:73], exec, s[72:73]
	s_or_b64 s[12:13], s[72:73], s[12:13]
	s_andn2_b64 s[52:53], s[52:53], exec
	s_and_b64 s[54:55], s[54:55], exec
	s_or_b64 s[52:53], s[52:53], s[54:55]
	s_andn2_b64 exec, exec, s[12:13]
	s_cbranch_execz .LBB195_258
.LBB195_254:                            ;   Parent Loop BB195_12 Depth=1
                                        ; =>  This Inner Loop Header: Depth=2
	v_cmp_gt_u64_e32 vcc, s[60:61], v[6:7]
	s_and_saveexec_b64 s[54:55], vcc
	s_cbranch_execz .LBB195_251
; %bb.255:                              ;   in Loop: Header=BB195_254 Depth=2
	v_mul_lo_u32 v17, v7, s58
	v_mul_lo_u32 v21, v6, s59
	v_mad_u64_u32 v[4:5], s[72:73], v6, s58, 0
	v_add3_u32 v5, v5, v21, v17
	v_lshlrev_b64 v[4:5], 2, v[4:5]
	v_mov_b32_e32 v17, s94
	v_add_co_u32_e32 v4, vcc, s33, v4
	v_addc_co_u32_e32 v5, vcc, v17, v5, vcc
	global_load_dword v17, v[4:5], off
	s_waitcnt vmcnt(0)
	v_cmp_lt_i32_e32 vcc, -1, v17
	v_cndmask_b32_e32 v4, -1, v33, vcc
	v_xor_b32_e32 v4, v4, v17
	v_cmp_o_f32_e32 vcc, v17, v17
	v_cndmask_b32_e32 v4, -1, v4, vcc
	v_and_b32_e32 v4, v4, v9
	v_cmp_eq_u32_e32 vcc, v4, v12
	s_and_b64 exec, exec, vcc
	s_cbranch_execz .LBB195_251
; %bb.256:                              ;   in Loop: Header=BB195_254 Depth=2
	ds_write_b64 v13, v[16:17] offset:3072
	s_branch .LBB195_251
.LBB195_257:                            ;   in Loop: Header=BB195_254 Depth=2
	s_mov_b64 s[72:73], -1
                                        ; implicit-def: $vgpr6_vgpr7
	s_mov_b64 s[54:55], -1
	s_branch .LBB195_253
.LBB195_258:                            ;   in Loop: Header=BB195_12 Depth=1
	s_or_b64 exec, exec, s[12:13]
	s_andn2_b64 s[4:5], s[4:5], exec
	s_and_b64 s[10:11], s[52:53], exec
	s_or_b64 s[4:5], s[4:5], s[10:11]
	s_mov_b32 s73, s3
.LBB195_259:                            ;   in Loop: Header=BB195_12 Depth=1
	s_or_b64 exec, exec, s[8:9]
	s_mov_b64 s[52:53], 0
	s_mov_b64 s[54:55], -1
.LBB195_260:                            ;   in Loop: Header=BB195_12 Depth=1
	s_orn2_b64 s[8:9], s[4:5], exec
.LBB195_261:                            ;   in Loop: Header=BB195_12 Depth=1
	v_readlane_b32 s2, v48, 55
	v_readlane_b32 s3, v48, 56
	s_or_b64 exec, exec, s[2:3]
	s_mov_b64 s[10:11], 0
	s_and_saveexec_b64 s[4:5], s[8:9]
	s_cbranch_execz .LBB195_272
; %bb.262:                              ;   in Loop: Header=BB195_12 Depth=1
	v_readlane_b32 s2, v48, 53
	v_readlane_b32 s3, v48, 54
	v_mov_b32_e32 v6, 1
	s_xor_b64 s[10:11], s[2:3], -1
	v_mov_b32_e32 v7, 0
	v_mov_b32_e32 v8, 1
	s_and_saveexec_b64 s[8:9], s[10:11]
	s_cbranch_execz .LBB195_271
; %bb.263:                              ;   in Loop: Header=BB195_12 Depth=1
	v_cmp_ge_u64_e32 vcc, s[24:25], v[2:3]
	s_and_saveexec_b64 s[10:11], vcc
	s_xor_b64 s[10:11], exec, s[10:11]
	s_cbranch_execz .LBB195_268
; %bb.264:                              ;   in Loop: Header=BB195_12 Depth=1
	ds_read_b64 v[6:7], v13 offset:5120
	v_or_b32_e32 v12, s93, v12
	v_or_b32_e32 v9, s93, v9
	s_waitcnt lgkmcnt(0)
	v_cmp_ne_u64_e32 vcc, 0, v[6:7]
	s_cbranch_vccnz .LBB195_268
; %bb.265:                              ;   in Loop: Header=BB195_12 Depth=1
	v_readlane_b32 s2, v48, 12
	s_mov_b32 s87, s73
	v_readlane_b32 s3, v48, 13
	s_and_saveexec_b64 s[12:13], s[2:3]
; %bb.266:                              ;   in Loop: Header=BB195_12 Depth=1
	v_mov_b32_e32 v6, s24
	v_mov_b32_e32 v7, s25
	ds_write_b64 v13, v[6:7] offset:5128
; %bb.267:                              ;   in Loop: Header=BB195_12 Depth=1
	s_or_b64 exec, exec, s[12:13]
	s_mov_b32 s73, s87
	s_waitcnt lgkmcnt(0)
	s_barrier
.LBB195_268:                            ;   in Loop: Header=BB195_12 Depth=1
	s_andn2_saveexec_b64 s[10:11], s[10:11]
; %bb.269:                              ;   in Loop: Header=BB195_12 Depth=1
	v_mov_b32_e32 v4, s25
	v_subrev_co_u32_e32 v2, vcc, s24, v2
	v_subb_co_u32_e32 v3, vcc, v3, v4, vcc
; %bb.270:                              ;   in Loop: Header=BB195_12 Depth=1
	s_or_b64 exec, exec, s[10:11]
	v_mov_b32_e32 v7, v3
	v_mov_b32_e32 v8, 8
	;; [unrolled: 1-line block ×3, first 2 shown]
.LBB195_271:                            ;   in Loop: Header=BB195_12 Depth=1
	s_or_b64 exec, exec, s[8:9]
	v_mov_b32_e32 v2, v6
	s_mov_b64 s[10:11], exec
	v_mov_b32_e32 v3, v7
.LBB195_272:                            ;   in Loop: Header=BB195_12 Depth=1
	s_or_b64 exec, exec, s[4:5]
	s_orn2_b64 s[4:5], s[10:11], exec
.LBB195_273:                            ;   in Loop: Header=BB195_12 Depth=1
	s_or_b64 exec, exec, s[50:51]
	s_andn2_b64 s[8:9], s[48:49], exec
	s_and_b64 s[10:11], s[54:55], exec
	s_or_b64 s[48:49], s[8:9], s[10:11]
	s_andn2_b64 s[8:9], s[46:47], exec
	s_and_b64 s[10:11], s[52:53], exec
	v_mov_b32_e32 v7, v3
	s_or_b64 s[46:47], s[8:9], s[10:11]
	s_and_b64 s[8:9], s[4:5], exec
	v_mov_b32_e32 v6, v2
.LBB195_274:                            ;   in Loop: Header=BB195_12 Depth=1
	s_or_b64 exec, exec, s[30:31]
	s_orn2_b64 s[4:5], s[8:9], exec
.LBB195_275:                            ;   in Loop: Header=BB195_12 Depth=1
	s_or_b64 exec, exec, s[44:45]
	s_andn2_b64 s[8:9], s[28:29], exec
	s_and_b64 s[10:11], s[48:49], exec
	s_or_b64 s[28:29], s[8:9], s[10:11]
	s_andn2_b64 s[8:9], s[26:27], exec
	s_and_b64 s[10:11], s[46:47], exec
	v_mov_b32_e32 v2, v6
	s_or_b64 s[26:27], s[8:9], s[10:11]
	s_and_b64 s[8:9], s[4:5], exec
	v_mov_b32_e32 v3, v7
.LBB195_276:                            ;   in Loop: Header=BB195_12 Depth=1
	s_or_b64 exec, exec, s[42:43]
	s_orn2_b64 s[4:5], s[8:9], exec
.LBB195_277:                            ;   in Loop: Header=BB195_12 Depth=1
	s_or_b64 exec, exec, s[6:7]
	s_mov_b64 s[6:7], 0
	s_mov_b64 s[8:9], 0
	s_and_saveexec_b64 s[10:11], s[4:5]
	s_xor_b64 s[4:5], exec, s[10:11]
; %bb.278:                              ;   in Loop: Header=BB195_12 Depth=1
	v_cmp_eq_u32_e32 vcc, 8, v8
	v_cmp_ne_u32_e64 s[6:7], 8, v8
	s_and_b64 s[8:9], s[6:7], exec
	s_and_b64 s[6:7], vcc, exec
; %bb.279:                              ;   in Loop: Header=BB195_12 Depth=1
	s_or_b64 exec, exec, s[4:5]
	s_andn2_b64 s[4:5], s[36:37], exec
	s_and_b64 s[10:11], s[28:29], exec
	s_or_b64 s[36:37], s[4:5], s[10:11]
	s_andn2_b64 s[4:5], s[34:35], exec
	s_and_b64 s[10:11], s[26:27], exec
	s_or_b64 s[34:35], s[4:5], s[10:11]
	s_and_b64 s[26:27], s[8:9], exec
	s_and_b64 s[28:29], s[6:7], exec
.LBB195_280:                            ;   in Loop: Header=BB195_12 Depth=1
	s_or_b64 exec, exec, s[40:41]
.LBB195_281:                            ;   in Loop: Header=BB195_12 Depth=1
	s_and_b64 vcc, exec, s[38:39]
	s_cbranch_vccz .LBB195_298
; %bb.282:                              ;   in Loop: Header=BB195_12 Depth=1
	s_cmp_eq_u64 s[24:25], 1
	s_cselect_b64 s[4:5], -1, 0
	s_and_b64 s[6:7], s[4:5], s[14:15]
	s_mov_b64 s[4:5], -1
                                        ; implicit-def: $sgpr14_sgpr15
                                        ; implicit-def: $sgpr18_sgpr19
	s_and_saveexec_b64 s[30:31], s[6:7]
	s_cbranch_execz .LBB195_317
; %bb.283:                              ;   in Loop: Header=BB195_12 Depth=1
	ds_read_b64 v[2:3], v13 offset:5120
	v_readlane_b32 s2, v48, 28
	v_readlane_b32 s3, v48, 29
	s_waitcnt lgkmcnt(0)
	s_barrier
	v_readfirstlane_b32 s8, v2
	v_readfirstlane_b32 s9, v3
	s_and_saveexec_b64 s[4:5], s[2:3]
; %bb.284:                              ;   in Loop: Header=BB195_12 Depth=1
	ds_write_b32 v28, v13
; %bb.285:                              ;   in Loop: Header=BB195_12 Depth=1
	s_or_b64 exec, exec, s[4:5]
	v_or_b32_e32 v30, s93, v30
	v_or_b32_e32 v35, s93, v35
	s_mov_b64 s[18:19], -1
	s_mov_b64 s[14:15], 0
	s_cmp_eq_u64 s[8:9], 0
	s_mov_b64 s[4:5], 0
	s_mov_b64 s[10:11], -1
	s_waitcnt lgkmcnt(0)
	s_barrier
                                        ; implicit-def: $vgpr18
	s_cbranch_scc1 .LBB195_301
; %bb.286:                              ;   in Loop: Header=BB195_12 Depth=1
	v_readlane_b32 s2, v48, 32
	s_add_u32 s34, s8, s2
	v_readlane_b32 s2, v48, 34
	s_addc_u32 s5, s9, s2
	s_mov_b32 s4, s85
	s_cmp_lg_u64 s[4:5], 0
	s_cbranch_scc0 .LBB195_344
; %bb.287:                              ;   in Loop: Header=BB195_12 Depth=1
	v_cvt_f32_u32_e32 v2, s95
	s_sub_u32 s4, 0, s95
	s_subb_u32 s12, 0, 0
	v_mac_f32_e32 v2, 0, v34
	v_rcp_f32_e32 v2, v2
	v_mul_f32_e32 v2, 0x5f7ffffc, v2
	v_mul_f32_e32 v3, 0x2f800000, v2
	v_trunc_f32_e32 v3, v3
	v_mac_f32_e32 v2, 0xcf800000, v3
	v_cvt_u32_f32_e32 v3, v3
	v_cvt_u32_f32_e32 v2, v2
	v_readfirstlane_b32 s13, v3
	v_readfirstlane_b32 s10, v2
	s_mul_i32 s11, s4, s13
	s_mul_hi_u32 s36, s4, s10
	s_mul_i32 s35, s12, s10
	s_add_i32 s11, s36, s11
	s_mul_i32 s37, s4, s10
	s_add_i32 s11, s11, s35
	s_mul_hi_u32 s36, s10, s37
	s_mul_i32 s38, s10, s11
	s_mul_hi_u32 s35, s10, s11
	s_add_u32 s36, s36, s38
	s_addc_u32 s35, 0, s35
	s_mul_hi_u32 s39, s13, s37
	s_mul_i32 s37, s13, s37
	s_add_u32 s36, s36, s37
	s_mul_hi_u32 s38, s13, s11
	s_addc_u32 s35, s35, s39
	s_addc_u32 s36, s38, 0
	s_mul_i32 s11, s13, s11
	s_add_u32 s11, s35, s11
	s_addc_u32 s35, 0, s36
	s_add_u32 s36, s10, s11
	s_cselect_b64 s[10:11], -1, 0
	s_cmp_lg_u64 s[10:11], 0
	s_addc_u32 s13, s13, s35
	s_mul_i32 s10, s4, s13
	s_mul_hi_u32 s11, s4, s36
	s_add_i32 s10, s11, s10
	s_mul_i32 s12, s12, s36
	s_add_i32 s10, s10, s12
	s_mul_i32 s4, s4, s36
	s_mul_hi_u32 s12, s13, s4
	s_mul_i32 s35, s13, s4
	s_mul_i32 s38, s36, s10
	s_mul_hi_u32 s4, s36, s4
	s_mul_hi_u32 s37, s36, s10
	s_add_u32 s4, s4, s38
	s_addc_u32 s37, 0, s37
	s_add_u32 s4, s4, s35
	s_mul_hi_u32 s11, s13, s10
	s_addc_u32 s4, s37, s12
	s_addc_u32 s11, s11, 0
	s_mul_i32 s10, s13, s10
	s_add_u32 s4, s4, s10
	s_addc_u32 s12, 0, s11
	s_add_u32 s4, s36, s4
	s_cselect_b64 s[10:11], -1, 0
	s_cmp_lg_u64 s[10:11], 0
	s_addc_u32 s10, s13, s12
	s_mul_i32 s12, s34, s10
	s_mul_hi_u32 s13, s34, s4
	s_mul_hi_u32 s11, s34, s10
	s_add_u32 s12, s13, s12
	s_addc_u32 s11, 0, s11
	s_mul_hi_u32 s35, s5, s4
	s_mul_i32 s4, s5, s4
	s_add_u32 s4, s12, s4
	s_mul_hi_u32 s13, s5, s10
	s_addc_u32 s4, s11, s35
	s_addc_u32 s11, s13, 0
	s_mul_i32 s10, s5, s10
	s_add_u32 s4, s4, s10
	s_addc_u32 s10, 0, s11
	s_mul_i32 s10, s95, s10
	s_mul_hi_u32 s11, s95, s4
	s_add_i32 s12, s11, s10
	s_mul_i32 s4, s95, s4
	s_sub_u32 s4, s34, s4
	s_cselect_b64 s[10:11], -1, 0
	s_cmp_lg_u64 s[10:11], 0
	s_subb_u32 s12, s5, s12
	s_sub_u32 s13, s4, s95
	s_cselect_b64 s[10:11], -1, 0
	s_cmp_lg_u64 s[10:11], 0
	s_subb_u32 s35, s12, 0
	;; [unrolled: 4-line block ×3, first 2 shown]
	s_cmp_ge_u32 s13, s95
	s_cselect_b32 s11, -1, 0
	s_cmp_eq_u32 s35, 0
	s_cselect_b32 s11, s11, -1
	s_cmp_lg_u32 s11, 0
	s_cselect_b32 s10, s10, s35
	s_cselect_b32 s13, s36, s13
	s_cmp_ge_u32 s4, s95
	s_cselect_b32 s11, -1, 0
	s_cmp_eq_u32 s12, 0
	s_cselect_b32 s11, s11, -1
	s_cmp_lg_u32 s11, 0
	s_cselect_b32 s11, s10, s12
	s_cselect_b32 s10, s13, s4
	s_cbranch_execnz .LBB195_289
.LBB195_288:                            ;   in Loop: Header=BB195_12 Depth=1
	v_cvt_f32_u32_e32 v2, s95
	s_sub_i32 s4, 0, s95
	s_mov_b32 s2, s84
	v_rcp_iflag_f32_e32 v2, v2
	v_mul_f32_e32 v2, 0x4f7ffffe, v2
	v_cvt_u32_f32_e32 v2, v2
	v_readfirstlane_b32 s10, v2
	s_mul_i32 s4, s4, s10
	s_mul_hi_u32 s4, s10, s4
	s_add_i32 s10, s10, s4
	s_mul_hi_u32 s4, s34, s10
	s_mul_i32 s4, s4, s95
	s_sub_i32 s4, s34, s4
	s_sub_i32 s10, s4, s95
	s_cmp_ge_u32 s4, s95
	s_cselect_b32 s4, s10, s4
	s_sub_i32 s10, s4, s95
	s_cmp_ge_u32 s4, s95
	s_cselect_b32 s84, s10, s4
	s_mov_b64 s[10:11], s[84:85]
	s_mov_b32 s84, s2
.LBB195_289:                            ;   in Loop: Header=BB195_12 Depth=1
	s_sub_u32 s34, s34, s10
	s_subb_u32 s35, s5, s11
	v_cmp_gt_u64_e32 vcc, s[34:35], v[0:1]
	s_mov_b64 s[10:11], 0
	s_mov_b64 s[4:5], 0
                                        ; implicit-def: $vgpr18
	s_and_saveexec_b64 s[12:13], vcc
	s_cbranch_execz .LBB195_300
; %bb.290:                              ;   in Loop: Header=BB195_12 Depth=1
	v_mov_b32_e32 v3, v1
	v_mov_b32_e32 v4, v14
	;; [unrolled: 1-line block ×3, first 2 shown]
                                        ; implicit-def: $sgpr36_sgpr37
	s_branch .LBB195_294
.LBB195_291:                            ;   in Loop: Header=BB195_294 Depth=2
	s_or_b64 exec, exec, s[38:39]
	s_waitcnt lgkmcnt(0)
	s_barrier
	ds_read_b64 v[17:18], v13 offset:3072
	s_waitcnt lgkmcnt(0)
	s_barrier
	v_cmp_neq_f32_e32 vcc, 0, v17
	s_cbranch_vccnz .LBB195_297
; %bb.292:                              ;   in Loop: Header=BB195_294 Depth=2
	v_add_co_u32_e32 v2, vcc, s95, v2
	v_addc_co_u32_e32 v3, vcc, 0, v3, vcc
	v_cmp_le_u64_e32 vcc, s[34:35], v[2:3]
	v_add_u32_e32 v4, s1, v4
	s_mov_b64 s[38:39], 0
	s_orn2_b64 s[40:41], vcc, exec
.LBB195_293:                            ;   in Loop: Header=BB195_294 Depth=2
	s_and_b64 s[40:41], exec, s[40:41]
	s_or_b64 s[4:5], s[40:41], s[4:5]
	s_andn2_b64 s[36:37], s[36:37], exec
	s_and_b64 s[38:39], s[38:39], exec
	s_or_b64 s[36:37], s[36:37], s[38:39]
	s_andn2_b64 exec, exec, s[4:5]
	s_cbranch_execz .LBB195_299
.LBB195_294:                            ;   Parent Loop BB195_12 Depth=1
                                        ; =>  This Inner Loop Header: Depth=2
	v_cmp_gt_u64_e32 vcc, s[8:9], v[2:3]
	s_and_saveexec_b64 s[38:39], vcc
	s_cbranch_execz .LBB195_291
; %bb.295:                              ;   in Loop: Header=BB195_294 Depth=2
	ds_read_b32 v17, v4
	s_waitcnt lgkmcnt(0)
	v_cmp_lt_i32_e32 vcc, -1, v17
	v_cndmask_b32_e32 v5, -1, v33, vcc
	v_xor_b32_e32 v5, v5, v17
	v_cmp_o_f32_e32 vcc, v17, v17
	v_cndmask_b32_e32 v5, -1, v5, vcc
	v_and_b32_e32 v5, v5, v35
	v_cmp_eq_u32_e32 vcc, v5, v30
	s_and_b64 exec, exec, vcc
	s_cbranch_execz .LBB195_291
; %bb.296:                              ;   in Loop: Header=BB195_294 Depth=2
	ds_write_b64 v13, v[16:17] offset:3072
	s_branch .LBB195_291
.LBB195_297:                            ;   in Loop: Header=BB195_294 Depth=2
	s_mov_b64 s[40:41], -1
                                        ; implicit-def: $vgpr2_vgpr3
                                        ; implicit-def: $vgpr4
	s_mov_b64 s[38:39], -1
	s_branch .LBB195_293
.LBB195_298:                            ;   in Loop: Header=BB195_12 Depth=1
	s_mov_b64 s[14:15], 0
	v_mov_b32_e32 v30, v12
	v_mov_b32_e32 v35, v9
	;; [unrolled: 1-line block ×3, first 2 shown]
	s_and_saveexec_b64 s[4:5], s[28:29]
	s_cbranch_execnz .LBB195_482
	s_branch .LBB195_483
.LBB195_299:                            ;   in Loop: Header=BB195_12 Depth=1
	s_or_b64 exec, exec, s[4:5]
	s_and_b64 s[4:5], s[36:37], exec
.LBB195_300:                            ;   in Loop: Header=BB195_12 Depth=1
	s_or_b64 exec, exec, s[12:13]
.LBB195_301:                            ;   in Loop: Header=BB195_12 Depth=1
	s_and_b64 vcc, exec, s[10:11]
	s_cbranch_vccz .LBB195_316
; %bb.302:                              ;   in Loop: Header=BB195_12 Depth=1
	s_mov_b32 s72, s85
	s_cmp_lg_u64 s[72:73], 0
	s_cbranch_scc0 .LBB195_345
; %bb.303:                              ;   in Loop: Header=BB195_12 Depth=1
	v_cvt_f32_u32_e32 v2, s95
	s_sub_u32 s10, 0, s95
	s_subb_u32 s11, 0, 0
	v_readlane_b32 s2, v48, 33
	v_mac_f32_e32 v2, 0, v34
	v_rcp_f32_e32 v2, v2
	v_mul_f32_e32 v2, 0x5f7ffffc, v2
	v_mul_f32_e32 v3, 0x2f800000, v2
	v_trunc_f32_e32 v3, v3
	v_mac_f32_e32 v2, 0xcf800000, v3
	v_cvt_u32_f32_e32 v3, v3
	v_cvt_u32_f32_e32 v2, v2
	v_readfirstlane_b32 s12, v3
	v_readfirstlane_b32 s8, v2
	s_mul_i32 s9, s10, s12
	s_mul_hi_u32 s14, s10, s8
	s_mul_i32 s13, s11, s8
	s_add_i32 s9, s14, s9
	s_mul_i32 s15, s10, s8
	s_add_i32 s9, s9, s13
	s_mul_hi_u32 s14, s8, s15
	s_mul_i32 s18, s8, s9
	s_mul_hi_u32 s13, s8, s9
	s_add_u32 s14, s14, s18
	s_addc_u32 s13, 0, s13
	s_mul_hi_u32 s19, s12, s15
	s_mul_i32 s15, s12, s15
	s_add_u32 s14, s14, s15
	s_mul_hi_u32 s18, s12, s9
	s_addc_u32 s13, s13, s19
	s_addc_u32 s14, s18, 0
	s_mul_i32 s9, s12, s9
	s_add_u32 s9, s13, s9
	s_addc_u32 s13, 0, s14
	s_add_u32 s14, s8, s9
	s_cselect_b64 s[8:9], -1, 0
	s_cmp_lg_u64 s[8:9], 0
	s_addc_u32 s12, s12, s13
	s_mul_i32 s8, s10, s12
	s_mul_hi_u32 s9, s10, s14
	s_add_i32 s8, s9, s8
	s_mul_i32 s11, s11, s14
	s_add_i32 s8, s8, s11
	s_mul_i32 s10, s10, s14
	s_mul_hi_u32 s11, s12, s10
	s_mul_i32 s13, s12, s10
	s_mul_i32 s18, s14, s8
	s_mul_hi_u32 s10, s14, s10
	s_mul_hi_u32 s15, s14, s8
	s_add_u32 s10, s10, s18
	s_addc_u32 s15, 0, s15
	s_add_u32 s10, s10, s13
	s_mul_hi_u32 s9, s12, s8
	s_addc_u32 s10, s15, s11
	s_addc_u32 s9, s9, 0
	s_mul_i32 s8, s12, s8
	s_add_u32 s8, s10, s8
	s_addc_u32 s10, 0, s9
	s_add_u32 s11, s14, s8
	s_cselect_b64 s[8:9], -1, 0
	s_cmp_lg_u64 s[8:9], 0
	s_addc_u32 s8, s12, s10
	s_mul_i32 s10, s2, s8
	s_mul_hi_u32 s12, s2, s11
	s_mul_hi_u32 s9, s2, s8
	s_add_u32 s10, s12, s10
	s_addc_u32 s9, 0, s9
	s_mul_hi_u32 s13, s73, s11
	s_mul_i32 s11, s73, s11
	s_add_u32 s10, s10, s11
	s_mul_hi_u32 s12, s73, s8
	s_addc_u32 s9, s9, s13
	s_addc_u32 s10, s12, 0
	s_mul_i32 s8, s73, s8
	s_add_u32 s8, s9, s8
	s_addc_u32 s9, 0, s10
	s_mul_i32 s9, s95, s9
	s_mul_hi_u32 s10, s95, s8
	s_add_i32 s10, s10, s9
	s_mul_i32 s8, s95, s8
	s_sub_u32 s11, s2, s8
	s_cselect_b64 s[8:9], -1, 0
	s_cmp_lg_u64 s[8:9], 0
	s_subb_u32 s10, s73, s10
	s_sub_u32 s12, s11, s95
	s_cselect_b64 s[8:9], -1, 0
	s_cmp_lg_u64 s[8:9], 0
	s_subb_u32 s13, s10, 0
	;; [unrolled: 4-line block ×3, first 2 shown]
	s_cmp_ge_u32 s12, s95
	s_cselect_b32 s9, -1, 0
	s_cmp_eq_u32 s13, 0
	s_cselect_b32 s9, s9, -1
	s_cmp_lg_u32 s9, 0
	s_cselect_b32 s8, s8, s13
	s_cselect_b32 s12, s14, s12
	s_cmp_ge_u32 s11, s95
	s_cselect_b32 s9, -1, 0
	s_cmp_eq_u32 s10, 0
	s_cselect_b32 s9, s9, -1
	s_cmp_lg_u32 s9, 0
	s_cselect_b32 s9, s8, s10
	s_cselect_b32 s8, s12, s11
	s_cbranch_execnz .LBB195_305
.LBB195_304:                            ;   in Loop: Header=BB195_12 Depth=1
	v_cvt_f32_u32_e32 v2, s95
	s_sub_i32 s8, 0, s95
	v_readlane_b32 s2, v48, 33
	v_rcp_iflag_f32_e32 v2, v2
	v_mul_f32_e32 v2, 0x4f7ffffe, v2
	v_cvt_u32_f32_e32 v2, v2
	v_readfirstlane_b32 s9, v2
	s_mul_i32 s8, s8, s9
	s_mul_hi_u32 s8, s9, s8
	s_add_i32 s9, s9, s8
	s_mul_hi_u32 s8, s2, s9
	s_mul_i32 s8, s8, s95
	s_sub_i32 s8, s2, s8
	s_sub_i32 s9, s8, s95
	s_cmp_ge_u32 s8, s95
	s_cselect_b32 s8, s9, s8
	s_sub_i32 s9, s8, s95
	s_cmp_ge_u32 s8, s95
	s_mov_b32 s2, s84
	s_cselect_b32 s84, s9, s8
	s_mov_b64 s[8:9], s[84:85]
	s_mov_b32 s84, s2
.LBB195_305:                            ;   in Loop: Header=BB195_12 Depth=1
	v_readlane_b32 s2, v48, 33
	s_sub_u32 s10, s2, s8
	s_subb_u32 s11, s73, s9
	v_cmp_gt_u64_e32 vcc, s[10:11], v[0:1]
                                        ; implicit-def: $vgpr18
	s_and_saveexec_b64 s[8:9], vcc
	s_cbranch_execz .LBB195_315
; %bb.306:                              ;   in Loop: Header=BB195_12 Depth=1
	v_mov_b32_e32 v3, v1
	s_mov_b64 s[12:13], 0
	v_mov_b32_e32 v2, v0
                                        ; implicit-def: $sgpr14_sgpr15
	s_branch .LBB195_310
.LBB195_307:                            ;   in Loop: Header=BB195_310 Depth=2
	s_or_b64 exec, exec, s[18:19]
	s_waitcnt lgkmcnt(0)
	s_barrier
	ds_read_b64 v[17:18], v13 offset:3072
	s_waitcnt lgkmcnt(0)
	s_barrier
	v_cmp_neq_f32_e32 vcc, 0, v17
	s_cbranch_vccnz .LBB195_313
; %bb.308:                              ;   in Loop: Header=BB195_310 Depth=2
	v_add_co_u32_e32 v2, vcc, s95, v2
	v_addc_co_u32_e32 v3, vcc, 0, v3, vcc
	v_cmp_le_u64_e32 vcc, s[10:11], v[2:3]
	s_mov_b64 s[18:19], 0
	s_orn2_b64 s[34:35], vcc, exec
.LBB195_309:                            ;   in Loop: Header=BB195_310 Depth=2
	s_and_b64 s[34:35], exec, s[34:35]
	s_or_b64 s[12:13], s[34:35], s[12:13]
	s_andn2_b64 s[14:15], s[14:15], exec
	s_and_b64 s[18:19], s[18:19], exec
	s_or_b64 s[14:15], s[14:15], s[18:19]
	s_andn2_b64 exec, exec, s[12:13]
	s_cbranch_execz .LBB195_314
.LBB195_310:                            ;   Parent Loop BB195_12 Depth=1
                                        ; =>  This Inner Loop Header: Depth=2
	v_cmp_gt_u64_e32 vcc, s[60:61], v[2:3]
	s_and_saveexec_b64 s[18:19], vcc
	s_cbranch_execz .LBB195_307
; %bb.311:                              ;   in Loop: Header=BB195_310 Depth=2
	v_mul_lo_u32 v6, v3, s58
	v_mul_lo_u32 v7, v2, s59
	v_mad_u64_u32 v[4:5], s[34:35], v2, s58, 0
	v_add3_u32 v5, v5, v7, v6
	v_lshlrev_b64 v[4:5], 2, v[4:5]
	v_mov_b32_e32 v6, s94
	v_add_co_u32_e32 v4, vcc, s33, v4
	v_addc_co_u32_e32 v5, vcc, v6, v5, vcc
	global_load_dword v17, v[4:5], off
	s_waitcnt vmcnt(0)
	v_cmp_lt_i32_e32 vcc, -1, v17
	v_cndmask_b32_e32 v4, -1, v33, vcc
	v_xor_b32_e32 v4, v4, v17
	v_cmp_o_f32_e32 vcc, v17, v17
	v_cndmask_b32_e32 v4, -1, v4, vcc
	v_and_b32_e32 v4, v4, v35
	v_cmp_eq_u32_e32 vcc, v4, v30
	s_and_b64 exec, exec, vcc
	s_cbranch_execz .LBB195_307
; %bb.312:                              ;   in Loop: Header=BB195_310 Depth=2
	ds_write_b64 v13, v[16:17] offset:3072
	s_branch .LBB195_307
.LBB195_313:                            ;   in Loop: Header=BB195_310 Depth=2
	s_mov_b64 s[34:35], -1
                                        ; implicit-def: $vgpr2_vgpr3
	s_mov_b64 s[18:19], -1
	s_branch .LBB195_309
.LBB195_314:                            ;   in Loop: Header=BB195_12 Depth=1
	s_or_b64 exec, exec, s[12:13]
	s_andn2_b64 s[4:5], s[4:5], exec
	s_and_b64 s[10:11], s[14:15], exec
	s_or_b64 s[4:5], s[4:5], s[10:11]
.LBB195_315:                            ;   in Loop: Header=BB195_12 Depth=1
	s_or_b64 exec, exec, s[8:9]
	s_mov_b64 s[18:19], 0
	s_mov_b64 s[14:15], -1
.LBB195_316:                            ;   in Loop: Header=BB195_12 Depth=1
	s_orn2_b64 s[4:5], s[4:5], exec
.LBB195_317:                            ;   in Loop: Header=BB195_12 Depth=1
	s_or_b64 exec, exec, s[30:31]
                                        ; implicit-def: $vgpr2_vgpr3
                                        ; implicit-def: $vgpr8
	s_and_saveexec_b64 s[34:35], s[4:5]
	s_cbranch_execz .LBB195_481
; %bb.318:                              ;   in Loop: Header=BB195_12 Depth=1
	v_mov_b32_e32 v2, 1
	s_xor_b64 s[8:9], s[6:7], -1
	v_mov_b32_e32 v8, 1
	v_mov_b32_e32 v3, 0
	s_mov_b64 s[6:7], 0
	s_and_saveexec_b64 s[4:5], s[8:9]
	s_cbranch_execz .LBB195_327
; %bb.319:                              ;   in Loop: Header=BB195_12 Depth=1
	v_cmp_ge_u64_e32 vcc, s[24:25], v[19:20]
	s_and_saveexec_b64 s[6:7], vcc
	s_xor_b64 s[6:7], exec, s[6:7]
	s_cbranch_execz .LBB195_324
; %bb.320:                              ;   in Loop: Header=BB195_12 Depth=1
	ds_read_b64 v[2:3], v13 offset:5120
	v_or_b32_e32 v30, s93, v30
	v_or_b32_e32 v35, s93, v35
	s_waitcnt lgkmcnt(0)
	v_cmp_ne_u64_e32 vcc, 0, v[2:3]
	s_cbranch_vccnz .LBB195_324
; %bb.321:                              ;   in Loop: Header=BB195_12 Depth=1
	v_readlane_b32 s2, v48, 12
	v_readlane_b32 s3, v48, 13
	s_and_saveexec_b64 s[8:9], s[2:3]
; %bb.322:                              ;   in Loop: Header=BB195_12 Depth=1
	v_mov_b32_e32 v2, s24
	v_mov_b32_e32 v3, s25
	ds_write_b64 v13, v[2:3] offset:5128
; %bb.323:                              ;   in Loop: Header=BB195_12 Depth=1
	s_or_b64 exec, exec, s[8:9]
	s_waitcnt lgkmcnt(0)
	s_barrier
.LBB195_324:                            ;   in Loop: Header=BB195_12 Depth=1
	s_or_saveexec_b64 s[6:7], s[6:7]
	s_mov_b64 s[8:9], 0
	v_mov_b32_e32 v8, 5
	s_xor_b64 exec, exec, s[6:7]
; %bb.325:                              ;   in Loop: Header=BB195_12 Depth=1
	v_mov_b32_e32 v2, s25
	v_subrev_co_u32_e32 v19, vcc, s24, v19
	s_mov_b64 s[8:9], exec
	v_subb_co_u32_e32 v20, vcc, v20, v2, vcc
	v_mov_b32_e32 v8, 0
; %bb.326:                              ;   in Loop: Header=BB195_12 Depth=1
	s_or_b64 exec, exec, s[6:7]
	v_mov_b32_e32 v2, v19
	s_and_b64 s[6:7], s[8:9], exec
	v_mov_b32_e32 v3, v20
.LBB195_327:                            ;   in Loop: Header=BB195_12 Depth=1
	s_or_b64 exec, exec, s[4:5]
	s_mov_b64 s[4:5], -1
                                        ; implicit-def: $sgpr24_sgpr25
                                        ; implicit-def: $sgpr36_sgpr37
	s_and_saveexec_b64 s[8:9], s[6:7]
	s_xor_b64 s[6:7], exec, s[8:9]
	s_cbranch_execz .LBB195_478
; %bb.328:                              ;   in Loop: Header=BB195_12 Depth=1
	s_cmp_eq_u64 s[22:23], 1
	v_cmp_eq_u64_e32 vcc, 1, v[2:3]
	s_cselect_b64 s[4:5], -1, 0
	s_and_b64 s[30:31], s[4:5], vcc
	s_mov_b64 s[4:5], -1
                                        ; implicit-def: $sgpr36_sgpr37
                                        ; implicit-def: $sgpr24_sgpr25
	s_and_saveexec_b64 s[38:39], s[30:31]
	s_cbranch_execz .LBB195_364
; %bb.329:                              ;   in Loop: Header=BB195_12 Depth=1
	ds_read_b64 v[4:5], v13 offset:5120
	v_readlane_b32 s2, v48, 28
	v_readlane_b32 s3, v48, 29
	s_waitcnt lgkmcnt(0)
	s_barrier
	v_readfirstlane_b32 s8, v4
	v_readfirstlane_b32 s9, v5
	s_and_saveexec_b64 s[4:5], s[2:3]
; %bb.330:                              ;   in Loop: Header=BB195_12 Depth=1
	ds_write_b32 v28, v13
; %bb.331:                              ;   in Loop: Header=BB195_12 Depth=1
	s_or_b64 exec, exec, s[4:5]
	v_and_b32_e32 v4, s84, v30
	v_lshl_or_b32 v30, 2, s92, v4
	v_or_b32_e32 v35, s93, v35
	s_mov_b64 s[24:25], -1
	s_mov_b64 s[36:37], 0
	s_cmp_eq_u64 s[8:9], 0
	s_mov_b64 s[4:5], 0
	s_mov_b64 s[10:11], -1
	s_waitcnt lgkmcnt(0)
	s_barrier
                                        ; implicit-def: $vgpr18
	s_cbranch_scc1 .LBB195_348
; %bb.332:                              ;   in Loop: Header=BB195_12 Depth=1
	v_readlane_b32 s2, v48, 32
	s_add_u32 s40, s8, s2
	v_readlane_b32 s2, v48, 34
	s_addc_u32 s5, s9, s2
	s_mov_b32 s4, s85
	s_cmp_lg_u64 s[4:5], 0
	s_cbranch_scc0 .LBB195_391
; %bb.333:                              ;   in Loop: Header=BB195_12 Depth=1
	v_cvt_f32_u32_e32 v4, s95
	s_sub_u32 s4, 0, s95
	s_subb_u32 s12, 0, 0
	v_mac_f32_e32 v4, 0, v34
	v_rcp_f32_e32 v4, v4
	v_mul_f32_e32 v4, 0x5f7ffffc, v4
	v_mul_f32_e32 v5, 0x2f800000, v4
	v_trunc_f32_e32 v5, v5
	v_mac_f32_e32 v4, 0xcf800000, v5
	v_cvt_u32_f32_e32 v5, v5
	v_cvt_u32_f32_e32 v4, v4
	v_readfirstlane_b32 s13, v5
	v_readfirstlane_b32 s10, v4
	s_mul_i32 s11, s4, s13
	s_mul_hi_u32 s42, s4, s10
	s_mul_i32 s41, s12, s10
	s_add_i32 s11, s42, s11
	s_mul_i32 s43, s4, s10
	s_add_i32 s11, s11, s41
	s_mul_hi_u32 s42, s10, s43
	s_mul_i32 s44, s10, s11
	s_mul_hi_u32 s41, s10, s11
	s_add_u32 s42, s42, s44
	s_addc_u32 s41, 0, s41
	s_mul_hi_u32 s45, s13, s43
	s_mul_i32 s43, s13, s43
	s_add_u32 s42, s42, s43
	s_mul_hi_u32 s44, s13, s11
	s_addc_u32 s41, s41, s45
	s_addc_u32 s42, s44, 0
	s_mul_i32 s11, s13, s11
	s_add_u32 s11, s41, s11
	s_addc_u32 s41, 0, s42
	s_add_u32 s42, s10, s11
	s_cselect_b64 s[10:11], -1, 0
	s_cmp_lg_u64 s[10:11], 0
	s_addc_u32 s13, s13, s41
	s_mul_i32 s10, s4, s13
	s_mul_hi_u32 s11, s4, s42
	s_add_i32 s10, s11, s10
	s_mul_i32 s12, s12, s42
	s_add_i32 s10, s10, s12
	s_mul_i32 s4, s4, s42
	s_mul_hi_u32 s12, s13, s4
	s_mul_i32 s41, s13, s4
	s_mul_i32 s44, s42, s10
	s_mul_hi_u32 s4, s42, s4
	s_mul_hi_u32 s43, s42, s10
	s_add_u32 s4, s4, s44
	s_addc_u32 s43, 0, s43
	s_add_u32 s4, s4, s41
	s_mul_hi_u32 s11, s13, s10
	s_addc_u32 s4, s43, s12
	s_addc_u32 s11, s11, 0
	s_mul_i32 s10, s13, s10
	s_add_u32 s4, s4, s10
	s_addc_u32 s12, 0, s11
	s_add_u32 s4, s42, s4
	s_cselect_b64 s[10:11], -1, 0
	s_cmp_lg_u64 s[10:11], 0
	s_addc_u32 s10, s13, s12
	s_mul_i32 s12, s40, s10
	s_mul_hi_u32 s13, s40, s4
	s_mul_hi_u32 s11, s40, s10
	s_add_u32 s12, s13, s12
	s_addc_u32 s11, 0, s11
	s_mul_hi_u32 s41, s5, s4
	s_mul_i32 s4, s5, s4
	s_add_u32 s4, s12, s4
	s_mul_hi_u32 s13, s5, s10
	s_addc_u32 s4, s11, s41
	s_addc_u32 s11, s13, 0
	s_mul_i32 s10, s5, s10
	s_add_u32 s4, s4, s10
	s_addc_u32 s10, 0, s11
	s_mul_i32 s10, s95, s10
	s_mul_hi_u32 s11, s95, s4
	s_add_i32 s12, s11, s10
	s_mul_i32 s4, s95, s4
	s_sub_u32 s4, s40, s4
	s_cselect_b64 s[10:11], -1, 0
	s_cmp_lg_u64 s[10:11], 0
	s_subb_u32 s12, s5, s12
	s_sub_u32 s13, s4, s95
	s_cselect_b64 s[10:11], -1, 0
	s_cmp_lg_u64 s[10:11], 0
	s_subb_u32 s41, s12, 0
	;; [unrolled: 4-line block ×3, first 2 shown]
	s_cmp_ge_u32 s13, s95
	s_cselect_b32 s11, -1, 0
	s_cmp_eq_u32 s41, 0
	s_cselect_b32 s11, s11, -1
	s_cmp_lg_u32 s11, 0
	s_cselect_b32 s10, s10, s41
	s_cselect_b32 s13, s42, s13
	s_cmp_ge_u32 s4, s95
	s_cselect_b32 s11, -1, 0
	s_cmp_eq_u32 s12, 0
	s_cselect_b32 s11, s11, -1
	s_cmp_lg_u32 s11, 0
	s_cselect_b32 s11, s10, s12
	s_cselect_b32 s10, s13, s4
	s_cbranch_execnz .LBB195_335
.LBB195_334:                            ;   in Loop: Header=BB195_12 Depth=1
	v_cvt_f32_u32_e32 v4, s95
	s_sub_i32 s4, 0, s95
	s_mov_b32 s2, s84
	v_rcp_iflag_f32_e32 v4, v4
	v_mul_f32_e32 v4, 0x4f7ffffe, v4
	v_cvt_u32_f32_e32 v4, v4
	v_readfirstlane_b32 s10, v4
	s_mul_i32 s4, s4, s10
	s_mul_hi_u32 s4, s10, s4
	s_add_i32 s10, s10, s4
	s_mul_hi_u32 s4, s40, s10
	s_mul_i32 s4, s4, s95
	s_sub_i32 s4, s40, s4
	s_sub_i32 s10, s4, s95
	s_cmp_ge_u32 s4, s95
	s_cselect_b32 s4, s10, s4
	s_sub_i32 s10, s4, s95
	s_cmp_ge_u32 s4, s95
	s_cselect_b32 s84, s10, s4
	s_mov_b64 s[10:11], s[84:85]
	s_mov_b32 s84, s2
.LBB195_335:                            ;   in Loop: Header=BB195_12 Depth=1
	s_sub_u32 s40, s40, s10
	s_subb_u32 s41, s5, s11
	v_cmp_gt_u64_e32 vcc, s[40:41], v[0:1]
	s_mov_b64 s[10:11], 0
	s_mov_b64 s[4:5], 0
                                        ; implicit-def: $vgpr18
	s_and_saveexec_b64 s[12:13], vcc
	s_cbranch_execz .LBB195_347
; %bb.336:                              ;   in Loop: Header=BB195_12 Depth=1
	v_mov_b32_e32 v5, v1
	v_mov_b32_e32 v6, v14
	v_mov_b32_e32 v4, v0
                                        ; implicit-def: $sgpr42_sgpr43
	s_branch .LBB195_340
.LBB195_337:                            ;   in Loop: Header=BB195_340 Depth=2
	s_or_b64 exec, exec, s[44:45]
	s_waitcnt lgkmcnt(0)
	s_barrier
	ds_read_b64 v[17:18], v13 offset:3072
	s_waitcnt lgkmcnt(0)
	s_barrier
	v_cmp_neq_f32_e32 vcc, 0, v17
	s_cbranch_vccnz .LBB195_343
; %bb.338:                              ;   in Loop: Header=BB195_340 Depth=2
	v_add_co_u32_e32 v4, vcc, s95, v4
	v_addc_co_u32_e32 v5, vcc, 0, v5, vcc
	v_cmp_le_u64_e32 vcc, s[40:41], v[4:5]
	v_add_u32_e32 v6, s1, v6
	s_mov_b64 s[44:45], 0
	s_orn2_b64 s[46:47], vcc, exec
.LBB195_339:                            ;   in Loop: Header=BB195_340 Depth=2
	s_and_b64 s[46:47], exec, s[46:47]
	s_or_b64 s[4:5], s[46:47], s[4:5]
	s_andn2_b64 s[42:43], s[42:43], exec
	s_and_b64 s[44:45], s[44:45], exec
	s_or_b64 s[42:43], s[42:43], s[44:45]
	s_andn2_b64 exec, exec, s[4:5]
	s_cbranch_execz .LBB195_346
.LBB195_340:                            ;   Parent Loop BB195_12 Depth=1
                                        ; =>  This Inner Loop Header: Depth=2
	v_cmp_gt_u64_e32 vcc, s[8:9], v[4:5]
	s_and_saveexec_b64 s[44:45], vcc
	s_cbranch_execz .LBB195_337
; %bb.341:                              ;   in Loop: Header=BB195_340 Depth=2
	ds_read_b32 v17, v6
	s_waitcnt lgkmcnt(0)
	v_cmp_lt_i32_e32 vcc, -1, v17
	v_cndmask_b32_e32 v7, -1, v33, vcc
	v_xor_b32_e32 v7, v7, v17
	v_cmp_o_f32_e32 vcc, v17, v17
	v_cndmask_b32_e32 v7, -1, v7, vcc
	v_and_b32_e32 v7, v7, v35
	v_cmp_eq_u32_e32 vcc, v7, v30
	s_and_b64 exec, exec, vcc
	s_cbranch_execz .LBB195_337
; %bb.342:                              ;   in Loop: Header=BB195_340 Depth=2
	ds_write_b64 v13, v[16:17] offset:3072
	s_branch .LBB195_337
.LBB195_343:                            ;   in Loop: Header=BB195_340 Depth=2
	s_mov_b64 s[46:47], -1
                                        ; implicit-def: $vgpr4_vgpr5
                                        ; implicit-def: $vgpr6
	s_mov_b64 s[44:45], -1
	s_branch .LBB195_339
.LBB195_344:                            ;   in Loop: Header=BB195_12 Depth=1
                                        ; implicit-def: $sgpr10_sgpr11
	s_branch .LBB195_288
.LBB195_345:                            ;   in Loop: Header=BB195_12 Depth=1
                                        ; implicit-def: $sgpr8_sgpr9
	s_branch .LBB195_304
.LBB195_346:                            ;   in Loop: Header=BB195_12 Depth=1
	s_or_b64 exec, exec, s[4:5]
	s_and_b64 s[4:5], s[42:43], exec
.LBB195_347:                            ;   in Loop: Header=BB195_12 Depth=1
	s_or_b64 exec, exec, s[12:13]
.LBB195_348:                            ;   in Loop: Header=BB195_12 Depth=1
	s_and_b64 vcc, exec, s[10:11]
	s_cbranch_vccz .LBB195_363
; %bb.349:                              ;   in Loop: Header=BB195_12 Depth=1
	s_mov_b32 s72, s85
	s_cmp_lg_u64 s[72:73], 0
	s_cbranch_scc0 .LBB195_392
; %bb.350:                              ;   in Loop: Header=BB195_12 Depth=1
	v_cvt_f32_u32_e32 v4, s95
	s_sub_u32 s10, 0, s95
	s_subb_u32 s11, 0, 0
	v_readlane_b32 s2, v48, 33
	v_mac_f32_e32 v4, 0, v34
	v_rcp_f32_e32 v4, v4
	v_mul_f32_e32 v4, 0x5f7ffffc, v4
	v_mul_f32_e32 v5, 0x2f800000, v4
	v_trunc_f32_e32 v5, v5
	v_mac_f32_e32 v4, 0xcf800000, v5
	v_cvt_u32_f32_e32 v5, v5
	v_cvt_u32_f32_e32 v4, v4
	v_readfirstlane_b32 s12, v5
	v_readfirstlane_b32 s8, v4
	s_mul_i32 s9, s10, s12
	s_mul_hi_u32 s24, s10, s8
	s_mul_i32 s13, s11, s8
	s_add_i32 s9, s24, s9
	s_mul_i32 s25, s10, s8
	s_add_i32 s9, s9, s13
	s_mul_hi_u32 s24, s8, s25
	s_mul_i32 s36, s8, s9
	s_mul_hi_u32 s13, s8, s9
	s_add_u32 s24, s24, s36
	s_addc_u32 s13, 0, s13
	s_mul_hi_u32 s37, s12, s25
	s_mul_i32 s25, s12, s25
	s_add_u32 s24, s24, s25
	s_mul_hi_u32 s36, s12, s9
	s_addc_u32 s13, s13, s37
	s_addc_u32 s24, s36, 0
	s_mul_i32 s9, s12, s9
	s_add_u32 s9, s13, s9
	s_addc_u32 s13, 0, s24
	s_add_u32 s24, s8, s9
	s_cselect_b64 s[8:9], -1, 0
	s_cmp_lg_u64 s[8:9], 0
	s_addc_u32 s12, s12, s13
	s_mul_i32 s8, s10, s12
	s_mul_hi_u32 s9, s10, s24
	s_add_i32 s8, s9, s8
	s_mul_i32 s11, s11, s24
	s_add_i32 s8, s8, s11
	s_mul_i32 s10, s10, s24
	s_mul_hi_u32 s11, s12, s10
	s_mul_i32 s13, s12, s10
	s_mul_i32 s36, s24, s8
	s_mul_hi_u32 s10, s24, s10
	s_mul_hi_u32 s25, s24, s8
	s_add_u32 s10, s10, s36
	s_addc_u32 s25, 0, s25
	s_add_u32 s10, s10, s13
	s_mul_hi_u32 s9, s12, s8
	s_addc_u32 s10, s25, s11
	s_addc_u32 s9, s9, 0
	s_mul_i32 s8, s12, s8
	s_add_u32 s8, s10, s8
	s_addc_u32 s10, 0, s9
	s_add_u32 s11, s24, s8
	s_cselect_b64 s[8:9], -1, 0
	s_cmp_lg_u64 s[8:9], 0
	s_addc_u32 s8, s12, s10
	s_mul_i32 s10, s2, s8
	s_mul_hi_u32 s12, s2, s11
	s_mul_hi_u32 s9, s2, s8
	s_add_u32 s10, s12, s10
	s_addc_u32 s9, 0, s9
	s_mul_hi_u32 s13, s73, s11
	s_mul_i32 s11, s73, s11
	s_add_u32 s10, s10, s11
	s_mul_hi_u32 s12, s73, s8
	s_addc_u32 s9, s9, s13
	s_addc_u32 s10, s12, 0
	s_mul_i32 s8, s73, s8
	s_add_u32 s8, s9, s8
	s_addc_u32 s9, 0, s10
	s_mul_i32 s9, s95, s9
	s_mul_hi_u32 s10, s95, s8
	s_add_i32 s10, s10, s9
	s_mul_i32 s8, s95, s8
	s_sub_u32 s11, s2, s8
	s_cselect_b64 s[8:9], -1, 0
	s_cmp_lg_u64 s[8:9], 0
	s_subb_u32 s10, s73, s10
	s_sub_u32 s12, s11, s95
	s_cselect_b64 s[8:9], -1, 0
	s_cmp_lg_u64 s[8:9], 0
	s_subb_u32 s13, s10, 0
	;; [unrolled: 4-line block ×3, first 2 shown]
	s_cmp_ge_u32 s12, s95
	s_cselect_b32 s9, -1, 0
	s_cmp_eq_u32 s13, 0
	s_cselect_b32 s9, s9, -1
	s_cmp_lg_u32 s9, 0
	s_cselect_b32 s8, s8, s13
	s_cselect_b32 s12, s24, s12
	s_cmp_ge_u32 s11, s95
	s_cselect_b32 s9, -1, 0
	s_cmp_eq_u32 s10, 0
	s_cselect_b32 s9, s9, -1
	s_cmp_lg_u32 s9, 0
	s_cselect_b32 s9, s8, s10
	s_cselect_b32 s8, s12, s11
	s_cbranch_execnz .LBB195_352
.LBB195_351:                            ;   in Loop: Header=BB195_12 Depth=1
	v_cvt_f32_u32_e32 v4, s95
	s_sub_i32 s8, 0, s95
	v_readlane_b32 s2, v48, 33
	v_rcp_iflag_f32_e32 v4, v4
	v_mul_f32_e32 v4, 0x4f7ffffe, v4
	v_cvt_u32_f32_e32 v4, v4
	v_readfirstlane_b32 s9, v4
	s_mul_i32 s8, s8, s9
	s_mul_hi_u32 s8, s9, s8
	s_add_i32 s9, s9, s8
	s_mul_hi_u32 s8, s2, s9
	s_mul_i32 s8, s8, s95
	s_sub_i32 s8, s2, s8
	s_sub_i32 s9, s8, s95
	s_cmp_ge_u32 s8, s95
	s_cselect_b32 s8, s9, s8
	s_sub_i32 s9, s8, s95
	s_cmp_ge_u32 s8, s95
	s_mov_b32 s2, s84
	s_cselect_b32 s84, s9, s8
	s_mov_b64 s[8:9], s[84:85]
	s_mov_b32 s84, s2
.LBB195_352:                            ;   in Loop: Header=BB195_12 Depth=1
	v_readlane_b32 s2, v48, 33
	s_sub_u32 s10, s2, s8
	s_subb_u32 s11, s73, s9
	v_cmp_gt_u64_e32 vcc, s[10:11], v[0:1]
                                        ; implicit-def: $vgpr18
	s_and_saveexec_b64 s[8:9], vcc
	s_cbranch_execz .LBB195_362
; %bb.353:                              ;   in Loop: Header=BB195_12 Depth=1
	v_mov_b32_e32 v5, v1
	s_mov_b64 s[12:13], 0
	v_mov_b32_e32 v4, v0
                                        ; implicit-def: $sgpr24_sgpr25
	s_branch .LBB195_357
.LBB195_354:                            ;   in Loop: Header=BB195_357 Depth=2
	s_or_b64 exec, exec, s[36:37]
	s_waitcnt lgkmcnt(0)
	s_barrier
	ds_read_b64 v[17:18], v13 offset:3072
	s_waitcnt lgkmcnt(0)
	s_barrier
	v_cmp_eq_f32_e32 vcc, 0, v17
	s_cbranch_vccz .LBB195_360
; %bb.355:                              ;   in Loop: Header=BB195_357 Depth=2
	v_add_co_u32_e32 v4, vcc, s95, v4
	v_addc_co_u32_e32 v5, vcc, 0, v5, vcc
	v_cmp_le_u64_e32 vcc, s[10:11], v[4:5]
	s_mov_b64 s[36:37], 0
	s_orn2_b64 s[40:41], vcc, exec
.LBB195_356:                            ;   in Loop: Header=BB195_357 Depth=2
	s_and_b64 s[40:41], exec, s[40:41]
	s_or_b64 s[12:13], s[40:41], s[12:13]
	s_andn2_b64 s[24:25], s[24:25], exec
	s_and_b64 s[36:37], s[36:37], exec
	s_or_b64 s[24:25], s[24:25], s[36:37]
	s_andn2_b64 exec, exec, s[12:13]
	s_cbranch_execz .LBB195_361
.LBB195_357:                            ;   Parent Loop BB195_12 Depth=1
                                        ; =>  This Inner Loop Header: Depth=2
	v_cmp_gt_u64_e32 vcc, s[60:61], v[4:5]
	s_and_saveexec_b64 s[36:37], vcc
	s_cbranch_execz .LBB195_354
; %bb.358:                              ;   in Loop: Header=BB195_357 Depth=2
	v_mul_lo_u32 v9, v5, s58
	v_mul_lo_u32 v12, v4, s59
	v_mad_u64_u32 v[6:7], s[40:41], v4, s58, 0
	v_add3_u32 v7, v7, v12, v9
	v_lshlrev_b64 v[6:7], 2, v[6:7]
	v_mov_b32_e32 v9, s94
	v_add_co_u32_e32 v6, vcc, s33, v6
	v_addc_co_u32_e32 v7, vcc, v9, v7, vcc
	global_load_dword v17, v[6:7], off
	s_waitcnt vmcnt(0)
	v_cmp_lt_i32_e32 vcc, -1, v17
	v_cndmask_b32_e32 v6, -1, v33, vcc
	v_xor_b32_e32 v6, v6, v17
	v_cmp_o_f32_e32 vcc, v17, v17
	v_cndmask_b32_e32 v6, -1, v6, vcc
	v_and_b32_e32 v6, v6, v35
	v_cmp_eq_u32_e32 vcc, v6, v30
	s_and_b64 exec, exec, vcc
	s_cbranch_execz .LBB195_354
; %bb.359:                              ;   in Loop: Header=BB195_357 Depth=2
	ds_write_b64 v13, v[16:17] offset:3072
	s_branch .LBB195_354
.LBB195_360:                            ;   in Loop: Header=BB195_357 Depth=2
	s_mov_b64 s[40:41], -1
                                        ; implicit-def: $vgpr4_vgpr5
	s_mov_b64 s[36:37], -1
	s_branch .LBB195_356
.LBB195_361:                            ;   in Loop: Header=BB195_12 Depth=1
	s_or_b64 exec, exec, s[12:13]
	s_andn2_b64 s[4:5], s[4:5], exec
	s_and_b64 s[10:11], s[24:25], exec
	s_or_b64 s[4:5], s[4:5], s[10:11]
.LBB195_362:                            ;   in Loop: Header=BB195_12 Depth=1
	s_or_b64 exec, exec, s[8:9]
	s_mov_b64 s[24:25], 0
	s_mov_b64 s[36:37], -1
.LBB195_363:                            ;   in Loop: Header=BB195_12 Depth=1
	s_orn2_b64 s[4:5], s[4:5], exec
.LBB195_364:                            ;   in Loop: Header=BB195_12 Depth=1
	s_or_b64 exec, exec, s[38:39]
	s_mov_b64 s[8:9], 0
	s_and_saveexec_b64 s[38:39], s[4:5]
	s_cbranch_execz .LBB195_477
; %bb.365:                              ;   in Loop: Header=BB195_12 Depth=1
	v_mov_b32_e32 v4, 1
	s_xor_b64 s[10:11], s[30:31], -1
	v_mov_b32_e32 v8, 1
	v_mov_b32_e32 v5, 0
	s_and_saveexec_b64 s[4:5], s[10:11]
	s_cbranch_execz .LBB195_374
; %bb.366:                              ;   in Loop: Header=BB195_12 Depth=1
	v_cmp_ge_u64_e32 vcc, s[22:23], v[2:3]
	s_and_saveexec_b64 s[8:9], vcc
	s_xor_b64 s[8:9], exec, s[8:9]
	s_cbranch_execz .LBB195_371
; %bb.367:                              ;   in Loop: Header=BB195_12 Depth=1
	ds_read_b64 v[4:5], v13 offset:5120
	v_and_b32_e32 v6, s84, v30
	v_lshl_or_b32 v30, 2, s92, v6
	v_or_b32_e32 v35, s93, v35
	s_waitcnt lgkmcnt(0)
	v_cmp_ne_u64_e32 vcc, 0, v[4:5]
	s_cbranch_vccnz .LBB195_371
; %bb.368:                              ;   in Loop: Header=BB195_12 Depth=1
	v_readlane_b32 s2, v48, 12
	v_readlane_b32 s3, v48, 13
	s_and_saveexec_b64 s[10:11], s[2:3]
; %bb.369:                              ;   in Loop: Header=BB195_12 Depth=1
	v_mov_b32_e32 v4, s22
	v_mov_b32_e32 v5, s23
	ds_write_b64 v13, v[4:5] offset:5128
; %bb.370:                              ;   in Loop: Header=BB195_12 Depth=1
	s_or_b64 exec, exec, s[10:11]
	s_waitcnt lgkmcnt(0)
	s_barrier
.LBB195_371:                            ;   in Loop: Header=BB195_12 Depth=1
	s_or_saveexec_b64 s[8:9], s[8:9]
	s_mov_b64 s[10:11], 0
	v_mov_b32_e32 v8, 5
	s_xor_b64 exec, exec, s[8:9]
; %bb.372:                              ;   in Loop: Header=BB195_12 Depth=1
	v_mov_b32_e32 v4, s23
	v_subrev_co_u32_e32 v2, vcc, s22, v2
	s_mov_b64 s[10:11], exec
	v_subb_co_u32_e32 v3, vcc, v3, v4, vcc
	v_mov_b32_e32 v8, 0
; %bb.373:                              ;   in Loop: Header=BB195_12 Depth=1
	s_or_b64 exec, exec, s[8:9]
	v_mov_b32_e32 v5, v3
	s_and_b64 s[8:9], s[10:11], exec
	v_mov_b32_e32 v4, v2
.LBB195_374:                            ;   in Loop: Header=BB195_12 Depth=1
	s_or_b64 exec, exec, s[4:5]
	s_mov_b64 s[4:5], -1
                                        ; implicit-def: $sgpr40_sgpr41
                                        ; implicit-def: $sgpr42_sgpr43
	s_and_saveexec_b64 s[22:23], s[8:9]
	s_cbranch_execz .LBB195_476
; %bb.375:                              ;   in Loop: Header=BB195_12 Depth=1
	s_cmp_eq_u64 s[20:21], 1
	v_cmp_eq_u64_e32 vcc, 1, v[4:5]
	s_cselect_b64 s[4:5], -1, 0
	s_and_b64 s[44:45], s[4:5], vcc
	s_mov_b64 s[4:5], -1
                                        ; implicit-def: $sgpr42_sgpr43
                                        ; implicit-def: $sgpr40_sgpr41
	s_and_saveexec_b64 s[30:31], s[44:45]
	s_cbranch_execz .LBB195_411
; %bb.376:                              ;   in Loop: Header=BB195_12 Depth=1
	ds_read_b64 v[2:3], v13 offset:5120
	v_readlane_b32 s2, v48, 28
	v_readlane_b32 s3, v48, 29
	s_waitcnt lgkmcnt(0)
	s_barrier
	v_readfirstlane_b32 s8, v2
	v_readfirstlane_b32 s9, v3
	s_and_saveexec_b64 s[4:5], s[2:3]
; %bb.377:                              ;   in Loop: Header=BB195_12 Depth=1
	ds_write_b32 v28, v13
; %bb.378:                              ;   in Loop: Header=BB195_12 Depth=1
	s_or_b64 exec, exec, s[4:5]
	v_and_b32_e32 v2, s84, v30
	v_lshl_or_b32 v30, 1, s92, v2
	v_or_b32_e32 v35, s93, v35
	s_mov_b64 s[40:41], -1
	s_mov_b64 s[42:43], 0
	s_cmp_eq_u64 s[8:9], 0
	s_mov_b64 s[4:5], 0
	s_mov_b64 s[10:11], -1
	s_waitcnt lgkmcnt(0)
	s_barrier
                                        ; implicit-def: $vgpr18
	s_cbranch_scc1 .LBB195_395
; %bb.379:                              ;   in Loop: Header=BB195_12 Depth=1
	v_readlane_b32 s2, v48, 32
	s_add_u32 s46, s8, s2
	v_readlane_b32 s2, v48, 34
	s_addc_u32 s5, s9, s2
	s_mov_b32 s4, s85
	s_cmp_lg_u64 s[4:5], 0
	s_cbranch_scc0 .LBB195_428
; %bb.380:                              ;   in Loop: Header=BB195_12 Depth=1
	v_cvt_f32_u32_e32 v2, s95
	s_sub_u32 s4, 0, s95
	s_subb_u32 s12, 0, 0
	v_mac_f32_e32 v2, 0, v34
	v_rcp_f32_e32 v2, v2
	v_mul_f32_e32 v2, 0x5f7ffffc, v2
	v_mul_f32_e32 v3, 0x2f800000, v2
	v_trunc_f32_e32 v3, v3
	v_mac_f32_e32 v2, 0xcf800000, v3
	v_cvt_u32_f32_e32 v3, v3
	v_cvt_u32_f32_e32 v2, v2
	v_readfirstlane_b32 s13, v3
	v_readfirstlane_b32 s10, v2
	s_mul_i32 s11, s4, s13
	s_mul_hi_u32 s48, s4, s10
	s_mul_i32 s47, s12, s10
	s_add_i32 s11, s48, s11
	s_mul_i32 s49, s4, s10
	s_add_i32 s11, s11, s47
	s_mul_hi_u32 s48, s10, s49
	s_mul_i32 s50, s10, s11
	s_mul_hi_u32 s47, s10, s11
	s_add_u32 s48, s48, s50
	s_addc_u32 s47, 0, s47
	s_mul_hi_u32 s51, s13, s49
	s_mul_i32 s49, s13, s49
	s_add_u32 s48, s48, s49
	s_mul_hi_u32 s50, s13, s11
	s_addc_u32 s47, s47, s51
	s_addc_u32 s48, s50, 0
	s_mul_i32 s11, s13, s11
	s_add_u32 s11, s47, s11
	s_addc_u32 s47, 0, s48
	s_add_u32 s48, s10, s11
	s_cselect_b64 s[10:11], -1, 0
	s_cmp_lg_u64 s[10:11], 0
	s_addc_u32 s13, s13, s47
	s_mul_i32 s10, s4, s13
	s_mul_hi_u32 s11, s4, s48
	s_add_i32 s10, s11, s10
	s_mul_i32 s12, s12, s48
	s_add_i32 s10, s10, s12
	s_mul_i32 s4, s4, s48
	s_mul_hi_u32 s12, s13, s4
	s_mul_i32 s47, s13, s4
	s_mul_i32 s50, s48, s10
	s_mul_hi_u32 s4, s48, s4
	s_mul_hi_u32 s49, s48, s10
	s_add_u32 s4, s4, s50
	s_addc_u32 s49, 0, s49
	s_add_u32 s4, s4, s47
	s_mul_hi_u32 s11, s13, s10
	s_addc_u32 s4, s49, s12
	s_addc_u32 s11, s11, 0
	s_mul_i32 s10, s13, s10
	s_add_u32 s4, s4, s10
	s_addc_u32 s12, 0, s11
	s_add_u32 s4, s48, s4
	s_cselect_b64 s[10:11], -1, 0
	s_cmp_lg_u64 s[10:11], 0
	s_addc_u32 s10, s13, s12
	s_mul_i32 s12, s46, s10
	s_mul_hi_u32 s13, s46, s4
	s_mul_hi_u32 s11, s46, s10
	s_add_u32 s12, s13, s12
	s_addc_u32 s11, 0, s11
	s_mul_hi_u32 s47, s5, s4
	s_mul_i32 s4, s5, s4
	s_add_u32 s4, s12, s4
	s_mul_hi_u32 s13, s5, s10
	s_addc_u32 s4, s11, s47
	s_addc_u32 s11, s13, 0
	s_mul_i32 s10, s5, s10
	s_add_u32 s4, s4, s10
	s_addc_u32 s10, 0, s11
	s_mul_i32 s10, s95, s10
	s_mul_hi_u32 s11, s95, s4
	s_add_i32 s12, s11, s10
	s_mul_i32 s4, s95, s4
	s_sub_u32 s4, s46, s4
	s_cselect_b64 s[10:11], -1, 0
	s_cmp_lg_u64 s[10:11], 0
	s_subb_u32 s12, s5, s12
	s_sub_u32 s13, s4, s95
	s_cselect_b64 s[10:11], -1, 0
	s_cmp_lg_u64 s[10:11], 0
	s_subb_u32 s47, s12, 0
	;; [unrolled: 4-line block ×3, first 2 shown]
	s_cmp_ge_u32 s13, s95
	s_cselect_b32 s11, -1, 0
	s_cmp_eq_u32 s47, 0
	s_cselect_b32 s11, s11, -1
	s_cmp_lg_u32 s11, 0
	s_cselect_b32 s10, s10, s47
	s_cselect_b32 s13, s48, s13
	s_cmp_ge_u32 s4, s95
	s_cselect_b32 s11, -1, 0
	s_cmp_eq_u32 s12, 0
	s_cselect_b32 s11, s11, -1
	s_cmp_lg_u32 s11, 0
	s_cselect_b32 s11, s10, s12
	s_cselect_b32 s10, s13, s4
	s_cbranch_execnz .LBB195_382
.LBB195_381:                            ;   in Loop: Header=BB195_12 Depth=1
	v_cvt_f32_u32_e32 v2, s95
	s_sub_i32 s4, 0, s95
	s_mov_b32 s2, s84
	v_rcp_iflag_f32_e32 v2, v2
	v_mul_f32_e32 v2, 0x4f7ffffe, v2
	v_cvt_u32_f32_e32 v2, v2
	v_readfirstlane_b32 s10, v2
	s_mul_i32 s4, s4, s10
	s_mul_hi_u32 s4, s10, s4
	s_add_i32 s10, s10, s4
	s_mul_hi_u32 s4, s46, s10
	s_mul_i32 s4, s4, s95
	s_sub_i32 s4, s46, s4
	s_sub_i32 s10, s4, s95
	s_cmp_ge_u32 s4, s95
	s_cselect_b32 s4, s10, s4
	s_sub_i32 s10, s4, s95
	s_cmp_ge_u32 s4, s95
	s_cselect_b32 s84, s10, s4
	s_mov_b64 s[10:11], s[84:85]
	s_mov_b32 s84, s2
.LBB195_382:                            ;   in Loop: Header=BB195_12 Depth=1
	s_sub_u32 s46, s46, s10
	s_subb_u32 s47, s5, s11
	v_cmp_gt_u64_e32 vcc, s[46:47], v[0:1]
	s_mov_b64 s[10:11], 0
	s_mov_b64 s[4:5], 0
                                        ; implicit-def: $vgpr18
	s_and_saveexec_b64 s[12:13], vcc
	s_cbranch_execz .LBB195_394
; %bb.383:                              ;   in Loop: Header=BB195_12 Depth=1
	v_mov_b32_e32 v3, v1
	v_mov_b32_e32 v6, v14
	;; [unrolled: 1-line block ×3, first 2 shown]
                                        ; implicit-def: $sgpr48_sgpr49
	s_branch .LBB195_387
.LBB195_384:                            ;   in Loop: Header=BB195_387 Depth=2
	s_or_b64 exec, exec, s[50:51]
	s_waitcnt lgkmcnt(0)
	s_barrier
	ds_read_b64 v[17:18], v13 offset:3072
	s_waitcnt lgkmcnt(0)
	s_barrier
	v_cmp_neq_f32_e32 vcc, 0, v17
	s_cbranch_vccnz .LBB195_390
; %bb.385:                              ;   in Loop: Header=BB195_387 Depth=2
	v_add_co_u32_e32 v2, vcc, s95, v2
	v_addc_co_u32_e32 v3, vcc, 0, v3, vcc
	v_cmp_le_u64_e32 vcc, s[46:47], v[2:3]
	v_add_u32_e32 v6, s1, v6
	s_mov_b64 s[50:51], 0
	s_orn2_b64 s[52:53], vcc, exec
.LBB195_386:                            ;   in Loop: Header=BB195_387 Depth=2
	s_and_b64 s[52:53], exec, s[52:53]
	s_or_b64 s[4:5], s[52:53], s[4:5]
	s_andn2_b64 s[48:49], s[48:49], exec
	s_and_b64 s[50:51], s[50:51], exec
	s_or_b64 s[48:49], s[48:49], s[50:51]
	s_andn2_b64 exec, exec, s[4:5]
	s_cbranch_execz .LBB195_393
.LBB195_387:                            ;   Parent Loop BB195_12 Depth=1
                                        ; =>  This Inner Loop Header: Depth=2
	v_cmp_gt_u64_e32 vcc, s[8:9], v[2:3]
	s_and_saveexec_b64 s[50:51], vcc
	s_cbranch_execz .LBB195_384
; %bb.388:                              ;   in Loop: Header=BB195_387 Depth=2
	ds_read_b32 v17, v6
	s_waitcnt lgkmcnt(0)
	v_cmp_lt_i32_e32 vcc, -1, v17
	v_cndmask_b32_e32 v7, -1, v33, vcc
	v_xor_b32_e32 v7, v7, v17
	v_cmp_o_f32_e32 vcc, v17, v17
	v_cndmask_b32_e32 v7, -1, v7, vcc
	v_and_b32_e32 v7, v7, v35
	v_cmp_eq_u32_e32 vcc, v7, v30
	s_and_b64 exec, exec, vcc
	s_cbranch_execz .LBB195_384
; %bb.389:                              ;   in Loop: Header=BB195_387 Depth=2
	ds_write_b64 v13, v[16:17] offset:3072
	s_branch .LBB195_384
.LBB195_390:                            ;   in Loop: Header=BB195_387 Depth=2
	s_mov_b64 s[52:53], -1
                                        ; implicit-def: $vgpr2_vgpr3
                                        ; implicit-def: $vgpr6
	s_mov_b64 s[50:51], -1
	s_branch .LBB195_386
.LBB195_391:                            ;   in Loop: Header=BB195_12 Depth=1
                                        ; implicit-def: $sgpr10_sgpr11
	s_branch .LBB195_334
.LBB195_392:                            ;   in Loop: Header=BB195_12 Depth=1
                                        ; implicit-def: $sgpr8_sgpr9
	s_branch .LBB195_351
.LBB195_393:                            ;   in Loop: Header=BB195_12 Depth=1
	s_or_b64 exec, exec, s[4:5]
	s_and_b64 s[4:5], s[48:49], exec
.LBB195_394:                            ;   in Loop: Header=BB195_12 Depth=1
	s_or_b64 exec, exec, s[12:13]
.LBB195_395:                            ;   in Loop: Header=BB195_12 Depth=1
	s_and_b64 vcc, exec, s[10:11]
	s_cbranch_vccz .LBB195_410
; %bb.396:                              ;   in Loop: Header=BB195_12 Depth=1
	s_mov_b32 s72, s85
	s_cmp_lg_u64 s[72:73], 0
	s_cbranch_scc0 .LBB195_429
; %bb.397:                              ;   in Loop: Header=BB195_12 Depth=1
	v_cvt_f32_u32_e32 v2, s95
	s_sub_u32 s10, 0, s95
	s_subb_u32 s11, 0, 0
	v_readlane_b32 s2, v48, 33
	v_mac_f32_e32 v2, 0, v34
	v_rcp_f32_e32 v2, v2
	v_mul_f32_e32 v2, 0x5f7ffffc, v2
	v_mul_f32_e32 v3, 0x2f800000, v2
	v_trunc_f32_e32 v3, v3
	v_mac_f32_e32 v2, 0xcf800000, v3
	v_cvt_u32_f32_e32 v3, v3
	v_cvt_u32_f32_e32 v2, v2
	v_readfirstlane_b32 s12, v3
	v_readfirstlane_b32 s8, v2
	s_mul_i32 s9, s10, s12
	s_mul_hi_u32 s40, s10, s8
	s_mul_i32 s13, s11, s8
	s_add_i32 s9, s40, s9
	s_mul_i32 s41, s10, s8
	s_add_i32 s9, s9, s13
	s_mul_hi_u32 s40, s8, s41
	s_mul_i32 s42, s8, s9
	s_mul_hi_u32 s13, s8, s9
	s_add_u32 s40, s40, s42
	s_addc_u32 s13, 0, s13
	s_mul_hi_u32 s43, s12, s41
	s_mul_i32 s41, s12, s41
	s_add_u32 s40, s40, s41
	s_mul_hi_u32 s42, s12, s9
	s_addc_u32 s13, s13, s43
	s_addc_u32 s40, s42, 0
	s_mul_i32 s9, s12, s9
	s_add_u32 s9, s13, s9
	s_addc_u32 s13, 0, s40
	s_add_u32 s40, s8, s9
	s_cselect_b64 s[8:9], -1, 0
	s_cmp_lg_u64 s[8:9], 0
	s_addc_u32 s12, s12, s13
	s_mul_i32 s8, s10, s12
	s_mul_hi_u32 s9, s10, s40
	s_add_i32 s8, s9, s8
	s_mul_i32 s11, s11, s40
	s_add_i32 s8, s8, s11
	s_mul_i32 s10, s10, s40
	s_mul_hi_u32 s11, s12, s10
	s_mul_i32 s13, s12, s10
	s_mul_i32 s42, s40, s8
	s_mul_hi_u32 s10, s40, s10
	s_mul_hi_u32 s41, s40, s8
	s_add_u32 s10, s10, s42
	s_addc_u32 s41, 0, s41
	s_add_u32 s10, s10, s13
	s_mul_hi_u32 s9, s12, s8
	s_addc_u32 s10, s41, s11
	s_addc_u32 s9, s9, 0
	s_mul_i32 s8, s12, s8
	s_add_u32 s8, s10, s8
	s_addc_u32 s10, 0, s9
	s_add_u32 s11, s40, s8
	s_cselect_b64 s[8:9], -1, 0
	s_cmp_lg_u64 s[8:9], 0
	s_addc_u32 s8, s12, s10
	s_mul_i32 s10, s2, s8
	s_mul_hi_u32 s12, s2, s11
	s_mul_hi_u32 s9, s2, s8
	s_add_u32 s10, s12, s10
	s_addc_u32 s9, 0, s9
	s_mul_hi_u32 s13, s73, s11
	s_mul_i32 s11, s73, s11
	s_add_u32 s10, s10, s11
	s_mul_hi_u32 s12, s73, s8
	s_addc_u32 s9, s9, s13
	s_addc_u32 s10, s12, 0
	s_mul_i32 s8, s73, s8
	s_add_u32 s8, s9, s8
	s_addc_u32 s9, 0, s10
	s_mul_i32 s9, s95, s9
	s_mul_hi_u32 s10, s95, s8
	s_add_i32 s10, s10, s9
	s_mul_i32 s8, s95, s8
	s_sub_u32 s11, s2, s8
	s_cselect_b64 s[8:9], -1, 0
	s_cmp_lg_u64 s[8:9], 0
	s_subb_u32 s10, s73, s10
	s_sub_u32 s12, s11, s95
	s_cselect_b64 s[8:9], -1, 0
	s_cmp_lg_u64 s[8:9], 0
	s_subb_u32 s13, s10, 0
	;; [unrolled: 4-line block ×3, first 2 shown]
	s_cmp_ge_u32 s12, s95
	s_cselect_b32 s9, -1, 0
	s_cmp_eq_u32 s13, 0
	s_cselect_b32 s9, s9, -1
	s_cmp_lg_u32 s9, 0
	s_cselect_b32 s8, s8, s13
	s_cselect_b32 s12, s40, s12
	s_cmp_ge_u32 s11, s95
	s_cselect_b32 s9, -1, 0
	s_cmp_eq_u32 s10, 0
	s_cselect_b32 s9, s9, -1
	s_cmp_lg_u32 s9, 0
	s_cselect_b32 s9, s8, s10
	s_cselect_b32 s8, s12, s11
	s_cbranch_execnz .LBB195_399
.LBB195_398:                            ;   in Loop: Header=BB195_12 Depth=1
	v_cvt_f32_u32_e32 v2, s95
	s_sub_i32 s8, 0, s95
	v_readlane_b32 s2, v48, 33
	v_rcp_iflag_f32_e32 v2, v2
	v_mul_f32_e32 v2, 0x4f7ffffe, v2
	v_cvt_u32_f32_e32 v2, v2
	v_readfirstlane_b32 s9, v2
	s_mul_i32 s8, s8, s9
	s_mul_hi_u32 s8, s9, s8
	s_add_i32 s9, s9, s8
	s_mul_hi_u32 s8, s2, s9
	s_mul_i32 s8, s8, s95
	s_sub_i32 s8, s2, s8
	s_sub_i32 s9, s8, s95
	s_cmp_ge_u32 s8, s95
	s_cselect_b32 s8, s9, s8
	s_sub_i32 s9, s8, s95
	s_cmp_ge_u32 s8, s95
	s_mov_b32 s2, s84
	s_cselect_b32 s84, s9, s8
	s_mov_b64 s[8:9], s[84:85]
	s_mov_b32 s84, s2
.LBB195_399:                            ;   in Loop: Header=BB195_12 Depth=1
	v_readlane_b32 s2, v48, 33
	s_sub_u32 s10, s2, s8
	s_subb_u32 s11, s73, s9
	v_cmp_gt_u64_e32 vcc, s[10:11], v[0:1]
                                        ; implicit-def: $vgpr18
	s_and_saveexec_b64 s[8:9], vcc
	s_cbranch_execz .LBB195_409
; %bb.400:                              ;   in Loop: Header=BB195_12 Depth=1
	v_mov_b32_e32 v3, v1
	s_mov_b64 s[12:13], 0
	v_mov_b32_e32 v2, v0
                                        ; implicit-def: $sgpr40_sgpr41
	s_branch .LBB195_404
.LBB195_401:                            ;   in Loop: Header=BB195_404 Depth=2
	s_or_b64 exec, exec, s[42:43]
	s_waitcnt lgkmcnt(0)
	s_barrier
	ds_read_b64 v[17:18], v13 offset:3072
	s_waitcnt lgkmcnt(0)
	s_barrier
	v_cmp_eq_f32_e32 vcc, 0, v17
	s_cbranch_vccz .LBB195_407
; %bb.402:                              ;   in Loop: Header=BB195_404 Depth=2
	v_add_co_u32_e32 v2, vcc, s95, v2
	v_addc_co_u32_e32 v3, vcc, 0, v3, vcc
	v_cmp_le_u64_e32 vcc, s[10:11], v[2:3]
	s_mov_b64 s[42:43], 0
	s_orn2_b64 s[46:47], vcc, exec
.LBB195_403:                            ;   in Loop: Header=BB195_404 Depth=2
	s_and_b64 s[46:47], exec, s[46:47]
	s_or_b64 s[12:13], s[46:47], s[12:13]
	s_andn2_b64 s[40:41], s[40:41], exec
	s_and_b64 s[42:43], s[42:43], exec
	s_or_b64 s[40:41], s[40:41], s[42:43]
	s_andn2_b64 exec, exec, s[12:13]
	s_cbranch_execz .LBB195_408
.LBB195_404:                            ;   Parent Loop BB195_12 Depth=1
                                        ; =>  This Inner Loop Header: Depth=2
	v_cmp_gt_u64_e32 vcc, s[60:61], v[2:3]
	s_and_saveexec_b64 s[42:43], vcc
	s_cbranch_execz .LBB195_401
; %bb.405:                              ;   in Loop: Header=BB195_404 Depth=2
	v_mul_lo_u32 v9, v3, s58
	v_mul_lo_u32 v12, v2, s59
	v_mad_u64_u32 v[6:7], s[46:47], v2, s58, 0
	v_add3_u32 v7, v7, v12, v9
	v_lshlrev_b64 v[6:7], 2, v[6:7]
	v_mov_b32_e32 v9, s94
	v_add_co_u32_e32 v6, vcc, s33, v6
	v_addc_co_u32_e32 v7, vcc, v9, v7, vcc
	global_load_dword v17, v[6:7], off
	s_waitcnt vmcnt(0)
	v_cmp_lt_i32_e32 vcc, -1, v17
	v_cndmask_b32_e32 v6, -1, v33, vcc
	v_xor_b32_e32 v6, v6, v17
	v_cmp_o_f32_e32 vcc, v17, v17
	v_cndmask_b32_e32 v6, -1, v6, vcc
	v_and_b32_e32 v6, v6, v35
	v_cmp_eq_u32_e32 vcc, v6, v30
	s_and_b64 exec, exec, vcc
	s_cbranch_execz .LBB195_401
; %bb.406:                              ;   in Loop: Header=BB195_404 Depth=2
	ds_write_b64 v13, v[16:17] offset:3072
	s_branch .LBB195_401
.LBB195_407:                            ;   in Loop: Header=BB195_404 Depth=2
	s_mov_b64 s[46:47], -1
                                        ; implicit-def: $vgpr2_vgpr3
	s_mov_b64 s[42:43], -1
	s_branch .LBB195_403
.LBB195_408:                            ;   in Loop: Header=BB195_12 Depth=1
	s_or_b64 exec, exec, s[12:13]
	s_andn2_b64 s[4:5], s[4:5], exec
	s_and_b64 s[10:11], s[40:41], exec
	s_or_b64 s[4:5], s[4:5], s[10:11]
.LBB195_409:                            ;   in Loop: Header=BB195_12 Depth=1
	s_or_b64 exec, exec, s[8:9]
	s_mov_b64 s[40:41], 0
	s_mov_b64 s[42:43], -1
.LBB195_410:                            ;   in Loop: Header=BB195_12 Depth=1
	s_orn2_b64 s[4:5], s[4:5], exec
.LBB195_411:                            ;   in Loop: Header=BB195_12 Depth=1
	s_or_b64 exec, exec, s[30:31]
	s_mov_b64 s[8:9], 0
	s_and_saveexec_b64 s[30:31], s[4:5]
	s_cbranch_execz .LBB195_475
; %bb.412:                              ;   in Loop: Header=BB195_12 Depth=1
	v_mov_b32_e32 v2, 1
	s_xor_b64 s[10:11], s[44:45], -1
	v_mov_b32_e32 v8, 1
	v_mov_b32_e32 v3, 0
	s_and_saveexec_b64 s[4:5], s[10:11]
	s_cbranch_execz .LBB195_421
; %bb.413:                              ;   in Loop: Header=BB195_12 Depth=1
	v_cmp_ge_u64_e32 vcc, s[20:21], v[4:5]
	s_and_saveexec_b64 s[8:9], vcc
	s_xor_b64 s[8:9], exec, s[8:9]
	s_cbranch_execz .LBB195_418
; %bb.414:                              ;   in Loop: Header=BB195_12 Depth=1
	ds_read_b64 v[2:3], v13 offset:5120
	v_and_b32_e32 v6, s84, v30
	v_lshl_or_b32 v30, 1, s92, v6
	v_or_b32_e32 v35, s93, v35
	s_waitcnt lgkmcnt(0)
	v_cmp_ne_u64_e32 vcc, 0, v[2:3]
	s_cbranch_vccnz .LBB195_418
; %bb.415:                              ;   in Loop: Header=BB195_12 Depth=1
	v_readlane_b32 s2, v48, 12
	v_readlane_b32 s3, v48, 13
	s_and_saveexec_b64 s[10:11], s[2:3]
; %bb.416:                              ;   in Loop: Header=BB195_12 Depth=1
	v_mov_b32_e32 v2, s20
	v_mov_b32_e32 v3, s21
	ds_write_b64 v13, v[2:3] offset:5128
; %bb.417:                              ;   in Loop: Header=BB195_12 Depth=1
	s_or_b64 exec, exec, s[10:11]
	s_waitcnt lgkmcnt(0)
	s_barrier
.LBB195_418:                            ;   in Loop: Header=BB195_12 Depth=1
	s_or_saveexec_b64 s[8:9], s[8:9]
	s_mov_b64 s[10:11], 0
	v_mov_b32_e32 v8, 5
	s_xor_b64 exec, exec, s[8:9]
; %bb.419:                              ;   in Loop: Header=BB195_12 Depth=1
	v_mov_b32_e32 v2, s21
	v_subrev_co_u32_e32 v4, vcc, s20, v4
	s_mov_b64 s[10:11], exec
	v_subb_co_u32_e32 v5, vcc, v5, v2, vcc
	v_mov_b32_e32 v8, 0
; %bb.420:                              ;   in Loop: Header=BB195_12 Depth=1
	s_or_b64 exec, exec, s[8:9]
	v_mov_b32_e32 v2, v4
	s_and_b64 s[8:9], s[10:11], exec
	v_mov_b32_e32 v3, v5
.LBB195_421:                            ;   in Loop: Header=BB195_12 Depth=1
	s_or_b64 exec, exec, s[4:5]
	s_mov_b64 s[4:5], -1
                                        ; implicit-def: $sgpr50_sgpr51
                                        ; implicit-def: $sgpr48_sgpr49
	s_and_saveexec_b64 s[20:21], s[8:9]
	s_cbranch_execz .LBB195_474
; %bb.422:                              ;   in Loop: Header=BB195_12 Depth=1
	s_cmp_eq_u64 s[16:17], 1
	v_cmp_eq_u64_e32 vcc, 1, v[2:3]
	s_cselect_b64 s[4:5], -1, 0
	s_and_b64 s[44:45], s[4:5], vcc
	s_mov_b64 s[8:9], -1
                                        ; implicit-def: $sgpr50_sgpr51
                                        ; implicit-def: $sgpr48_sgpr49
	s_and_saveexec_b64 s[46:47], s[44:45]
	s_cbranch_execz .LBB195_462
; %bb.423:                              ;   in Loop: Header=BB195_12 Depth=1
	ds_read_b64 v[4:5], v13 offset:5120
	v_readlane_b32 s2, v48, 28
	v_readlane_b32 s3, v48, 29
	s_waitcnt lgkmcnt(0)
	s_barrier
	v_readfirstlane_b32 s8, v4
	v_readfirstlane_b32 s9, v5
	s_and_saveexec_b64 s[4:5], s[2:3]
; %bb.424:                              ;   in Loop: Header=BB195_12 Depth=1
	ds_write_b32 v28, v13
; %bb.425:                              ;   in Loop: Header=BB195_12 Depth=1
	s_or_b64 exec, exec, s[4:5]
	v_and_b32_e32 v30, s84, v30
	v_or_b32_e32 v35, s93, v35
	s_mov_b64 s[48:49], -1
	s_mov_b64 s[50:51], 0
	s_cmp_eq_u64 s[8:9], 0
	s_mov_b64 s[4:5], 0
	s_mov_b64 s[10:11], -1
	s_waitcnt lgkmcnt(0)
	s_barrier
                                        ; implicit-def: $vgpr18
	s_cbranch_scc1 .LBB195_444
; %bb.426:                              ;   in Loop: Header=BB195_12 Depth=1
	v_readlane_b32 s2, v48, 32
	s_add_u32 s52, s8, s2
	v_readlane_b32 s2, v48, 34
	s_addc_u32 s5, s9, s2
	s_mov_b32 s4, s85
	s_mov_b32 s3, s73
	s_cmp_lg_u64 s[4:5], 0
	s_cbranch_scc0 .LBB195_430
; %bb.427:                              ;   in Loop: Header=BB195_12 Depth=1
	v_cvt_f32_u32_e32 v4, s95
	s_sub_u32 s4, 0, s95
	s_subb_u32 s12, 0, 0
	v_mac_f32_e32 v4, 0, v34
	v_rcp_f32_e32 v4, v4
	v_mul_f32_e32 v4, 0x5f7ffffc, v4
	v_mul_f32_e32 v5, 0x2f800000, v4
	v_trunc_f32_e32 v5, v5
	v_mac_f32_e32 v4, 0xcf800000, v5
	v_cvt_u32_f32_e32 v5, v5
	v_cvt_u32_f32_e32 v4, v4
	v_readfirstlane_b32 s13, v5
	v_readfirstlane_b32 s10, v4
	s_mul_i32 s11, s4, s13
	s_mul_hi_u32 s54, s4, s10
	s_mul_i32 s53, s12, s10
	s_add_i32 s11, s54, s11
	s_mul_i32 s55, s4, s10
	s_add_i32 s11, s11, s53
	s_mul_hi_u32 s54, s10, s55
	s_mul_i32 s72, s10, s11
	s_mul_hi_u32 s53, s10, s11
	s_add_u32 s54, s54, s72
	s_addc_u32 s53, 0, s53
	s_mul_hi_u32 s73, s13, s55
	s_mul_i32 s55, s13, s55
	s_add_u32 s54, s54, s55
	s_mul_hi_u32 s72, s13, s11
	s_addc_u32 s53, s53, s73
	s_addc_u32 s54, s72, 0
	s_mul_i32 s11, s13, s11
	s_add_u32 s11, s53, s11
	s_addc_u32 s53, 0, s54
	s_add_u32 s54, s10, s11
	s_cselect_b64 s[10:11], -1, 0
	s_cmp_lg_u64 s[10:11], 0
	s_addc_u32 s13, s13, s53
	s_mul_i32 s10, s4, s13
	s_mul_hi_u32 s11, s4, s54
	s_add_i32 s10, s11, s10
	s_mul_i32 s12, s12, s54
	s_add_i32 s10, s10, s12
	s_mul_i32 s4, s4, s54
	s_mul_hi_u32 s12, s13, s4
	s_mul_i32 s53, s13, s4
	s_mul_i32 s72, s54, s10
	s_mul_hi_u32 s4, s54, s4
	s_mul_hi_u32 s55, s54, s10
	s_add_u32 s4, s4, s72
	s_addc_u32 s55, 0, s55
	s_add_u32 s4, s4, s53
	s_mul_hi_u32 s11, s13, s10
	s_addc_u32 s4, s55, s12
	s_addc_u32 s11, s11, 0
	s_mul_i32 s10, s13, s10
	s_add_u32 s4, s4, s10
	s_addc_u32 s12, 0, s11
	s_add_u32 s4, s54, s4
	s_cselect_b64 s[10:11], -1, 0
	s_cmp_lg_u64 s[10:11], 0
	s_addc_u32 s10, s13, s12
	s_mul_i32 s12, s52, s10
	s_mul_hi_u32 s13, s52, s4
	s_mul_hi_u32 s11, s52, s10
	s_add_u32 s12, s13, s12
	s_addc_u32 s11, 0, s11
	s_mul_hi_u32 s53, s5, s4
	s_mul_i32 s4, s5, s4
	s_add_u32 s4, s12, s4
	s_mul_hi_u32 s13, s5, s10
	s_addc_u32 s4, s11, s53
	s_addc_u32 s11, s13, 0
	s_mul_i32 s10, s5, s10
	s_add_u32 s4, s4, s10
	s_addc_u32 s10, 0, s11
	s_mul_i32 s10, s95, s10
	s_mul_hi_u32 s11, s95, s4
	s_add_i32 s12, s11, s10
	s_mul_i32 s4, s95, s4
	s_sub_u32 s4, s52, s4
	s_cselect_b64 s[10:11], -1, 0
	s_cmp_lg_u64 s[10:11], 0
	s_subb_u32 s12, s5, s12
	s_sub_u32 s13, s4, s95
	s_cselect_b64 s[10:11], -1, 0
	s_cmp_lg_u64 s[10:11], 0
	s_subb_u32 s53, s12, 0
	;; [unrolled: 4-line block ×3, first 2 shown]
	s_cmp_ge_u32 s13, s95
	s_cselect_b32 s11, -1, 0
	s_cmp_eq_u32 s53, 0
	s_cselect_b32 s11, s11, -1
	s_cmp_lg_u32 s11, 0
	s_cselect_b32 s10, s10, s53
	s_cselect_b32 s13, s54, s13
	s_cmp_ge_u32 s4, s95
	s_cselect_b32 s11, -1, 0
	s_cmp_eq_u32 s12, 0
	s_cselect_b32 s11, s11, -1
	s_cmp_lg_u32 s11, 0
	s_cselect_b32 s11, s10, s12
	s_cselect_b32 s10, s13, s4
	s_mov_b64 s[12:13], 0
	s_branch .LBB195_431
.LBB195_428:                            ;   in Loop: Header=BB195_12 Depth=1
                                        ; implicit-def: $sgpr10_sgpr11
	s_branch .LBB195_381
.LBB195_429:                            ;   in Loop: Header=BB195_12 Depth=1
                                        ; implicit-def: $sgpr8_sgpr9
	s_branch .LBB195_398
.LBB195_430:                            ;   in Loop: Header=BB195_12 Depth=1
	s_mov_b64 s[12:13], -1
                                        ; implicit-def: $sgpr10_sgpr11
.LBB195_431:                            ;   in Loop: Header=BB195_12 Depth=1
	s_andn2_b64 vcc, exec, s[12:13]
	s_cbranch_vccnz .LBB195_433
; %bb.432:                              ;   in Loop: Header=BB195_12 Depth=1
	v_cvt_f32_u32_e32 v4, s95
	s_sub_i32 s4, 0, s95
	s_mov_b32 s2, s84
	v_rcp_iflag_f32_e32 v4, v4
	v_mul_f32_e32 v4, 0x4f7ffffe, v4
	v_cvt_u32_f32_e32 v4, v4
	v_readfirstlane_b32 s10, v4
	s_mul_i32 s4, s4, s10
	s_mul_hi_u32 s4, s10, s4
	s_add_i32 s10, s10, s4
	s_mul_hi_u32 s4, s52, s10
	s_mul_i32 s4, s4, s95
	s_sub_i32 s4, s52, s4
	s_sub_i32 s10, s4, s95
	s_cmp_ge_u32 s4, s95
	s_cselect_b32 s4, s10, s4
	s_sub_i32 s10, s4, s95
	s_cmp_ge_u32 s4, s95
	s_cselect_b32 s84, s10, s4
	s_mov_b64 s[10:11], s[84:85]
	s_mov_b32 s84, s2
.LBB195_433:                            ;   in Loop: Header=BB195_12 Depth=1
	s_sub_u32 s52, s52, s10
	s_subb_u32 s53, s5, s11
	v_cmp_gt_u64_e32 vcc, s[52:53], v[0:1]
	s_mov_b64 s[10:11], 0
	s_mov_b64 s[4:5], 0
                                        ; implicit-def: $vgpr18
	s_and_saveexec_b64 s[12:13], vcc
	s_cbranch_execz .LBB195_443
; %bb.434:                              ;   in Loop: Header=BB195_12 Depth=1
	v_mov_b32_e32 v5, v1
	v_mov_b32_e32 v6, v14
	;; [unrolled: 1-line block ×3, first 2 shown]
                                        ; implicit-def: $sgpr54_sgpr55
	s_branch .LBB195_438
.LBB195_435:                            ;   in Loop: Header=BB195_438 Depth=2
	s_or_b64 exec, exec, s[72:73]
	s_waitcnt lgkmcnt(0)
	s_barrier
	ds_read_b64 v[17:18], v13 offset:3072
	s_waitcnt lgkmcnt(0)
	s_barrier
	v_cmp_neq_f32_e32 vcc, 0, v17
	s_cbranch_vccnz .LBB195_441
; %bb.436:                              ;   in Loop: Header=BB195_438 Depth=2
	v_add_co_u32_e32 v4, vcc, s95, v4
	v_addc_co_u32_e32 v5, vcc, 0, v5, vcc
	v_cmp_le_u64_e32 vcc, s[52:53], v[4:5]
	v_add_u32_e32 v6, s1, v6
	s_mov_b64 s[72:73], 0
	s_orn2_b64 s[86:87], vcc, exec
.LBB195_437:                            ;   in Loop: Header=BB195_438 Depth=2
	s_and_b64 s[86:87], exec, s[86:87]
	s_or_b64 s[4:5], s[86:87], s[4:5]
	s_andn2_b64 s[54:55], s[54:55], exec
	s_and_b64 s[72:73], s[72:73], exec
	s_or_b64 s[54:55], s[54:55], s[72:73]
	s_andn2_b64 exec, exec, s[4:5]
	s_cbranch_execz .LBB195_442
.LBB195_438:                            ;   Parent Loop BB195_12 Depth=1
                                        ; =>  This Inner Loop Header: Depth=2
	v_cmp_gt_u64_e32 vcc, s[8:9], v[4:5]
	s_and_saveexec_b64 s[72:73], vcc
	s_cbranch_execz .LBB195_435
; %bb.439:                              ;   in Loop: Header=BB195_438 Depth=2
	ds_read_b32 v17, v6
	s_waitcnt lgkmcnt(0)
	v_cmp_lt_i32_e32 vcc, -1, v17
	v_cndmask_b32_e32 v7, -1, v33, vcc
	v_xor_b32_e32 v7, v7, v17
	v_cmp_o_f32_e32 vcc, v17, v17
	v_cndmask_b32_e32 v7, -1, v7, vcc
	v_and_b32_e32 v7, v7, v35
	v_cmp_eq_u32_e32 vcc, v7, v30
	s_and_b64 exec, exec, vcc
	s_cbranch_execz .LBB195_435
; %bb.440:                              ;   in Loop: Header=BB195_438 Depth=2
	ds_write_b64 v13, v[16:17] offset:3072
	s_branch .LBB195_435
.LBB195_441:                            ;   in Loop: Header=BB195_438 Depth=2
	s_mov_b64 s[86:87], -1
                                        ; implicit-def: $vgpr4_vgpr5
                                        ; implicit-def: $vgpr6
	s_mov_b64 s[72:73], -1
	s_branch .LBB195_437
.LBB195_442:                            ;   in Loop: Header=BB195_12 Depth=1
	s_or_b64 exec, exec, s[4:5]
	s_and_b64 s[4:5], s[54:55], exec
.LBB195_443:                            ;   in Loop: Header=BB195_12 Depth=1
	s_or_b64 exec, exec, s[12:13]
	s_mov_b32 s73, s3
.LBB195_444:                            ;   in Loop: Header=BB195_12 Depth=1
	s_and_b64 vcc, exec, s[10:11]
	s_cbranch_vccz .LBB195_461
; %bb.445:                              ;   in Loop: Header=BB195_12 Depth=1
	s_mov_b32 s72, s85
	s_cmp_lg_u64 s[72:73], 0
	s_cbranch_scc0 .LBB195_447
; %bb.446:                              ;   in Loop: Header=BB195_12 Depth=1
	v_cvt_f32_u32_e32 v4, s95
	s_sub_u32 s10, 0, s95
	s_subb_u32 s11, 0, 0
	v_readlane_b32 s2, v48, 33
	v_mac_f32_e32 v4, 0, v34
	v_rcp_f32_e32 v4, v4
	v_mul_f32_e32 v4, 0x5f7ffffc, v4
	v_mul_f32_e32 v5, 0x2f800000, v4
	v_trunc_f32_e32 v5, v5
	v_mac_f32_e32 v4, 0xcf800000, v5
	v_cvt_u32_f32_e32 v5, v5
	v_cvt_u32_f32_e32 v4, v4
	v_readfirstlane_b32 s12, v5
	v_readfirstlane_b32 s8, v4
	s_mul_i32 s9, s10, s12
	s_mul_hi_u32 s48, s10, s8
	s_mul_i32 s13, s11, s8
	s_add_i32 s9, s48, s9
	s_mul_i32 s49, s10, s8
	s_add_i32 s9, s9, s13
	s_mul_hi_u32 s48, s8, s49
	s_mul_i32 s50, s8, s9
	s_mul_hi_u32 s13, s8, s9
	s_add_u32 s48, s48, s50
	s_addc_u32 s13, 0, s13
	s_mul_hi_u32 s51, s12, s49
	s_mul_i32 s49, s12, s49
	s_add_u32 s48, s48, s49
	s_mul_hi_u32 s50, s12, s9
	s_addc_u32 s13, s13, s51
	s_addc_u32 s48, s50, 0
	s_mul_i32 s9, s12, s9
	s_add_u32 s9, s13, s9
	s_addc_u32 s13, 0, s48
	s_add_u32 s48, s8, s9
	s_cselect_b64 s[8:9], -1, 0
	s_cmp_lg_u64 s[8:9], 0
	s_addc_u32 s12, s12, s13
	s_mul_i32 s8, s10, s12
	s_mul_hi_u32 s9, s10, s48
	s_add_i32 s8, s9, s8
	s_mul_i32 s11, s11, s48
	s_add_i32 s8, s8, s11
	s_mul_i32 s10, s10, s48
	s_mul_hi_u32 s11, s12, s10
	s_mul_i32 s13, s12, s10
	s_mul_i32 s50, s48, s8
	s_mul_hi_u32 s10, s48, s10
	s_mul_hi_u32 s49, s48, s8
	s_add_u32 s10, s10, s50
	s_addc_u32 s49, 0, s49
	s_add_u32 s10, s10, s13
	s_mul_hi_u32 s9, s12, s8
	s_addc_u32 s10, s49, s11
	s_addc_u32 s9, s9, 0
	s_mul_i32 s8, s12, s8
	s_add_u32 s8, s10, s8
	s_addc_u32 s10, 0, s9
	s_add_u32 s11, s48, s8
	s_cselect_b64 s[8:9], -1, 0
	s_cmp_lg_u64 s[8:9], 0
	s_addc_u32 s8, s12, s10
	s_mul_i32 s10, s2, s8
	s_mul_hi_u32 s12, s2, s11
	s_mul_hi_u32 s9, s2, s8
	s_add_u32 s10, s12, s10
	s_addc_u32 s9, 0, s9
	s_mul_hi_u32 s13, s73, s11
	s_mul_i32 s11, s73, s11
	s_add_u32 s10, s10, s11
	s_mul_hi_u32 s12, s73, s8
	s_addc_u32 s9, s9, s13
	s_addc_u32 s10, s12, 0
	s_mul_i32 s8, s73, s8
	s_add_u32 s8, s9, s8
	s_addc_u32 s9, 0, s10
	s_mul_i32 s9, s95, s9
	s_mul_hi_u32 s10, s95, s8
	s_add_i32 s10, s10, s9
	s_mul_i32 s8, s95, s8
	s_sub_u32 s11, s2, s8
	s_cselect_b64 s[8:9], -1, 0
	s_cmp_lg_u64 s[8:9], 0
	s_subb_u32 s10, s73, s10
	s_sub_u32 s12, s11, s95
	s_cselect_b64 s[8:9], -1, 0
	s_cmp_lg_u64 s[8:9], 0
	s_subb_u32 s13, s10, 0
	;; [unrolled: 4-line block ×3, first 2 shown]
	s_cmp_ge_u32 s12, s95
	s_cselect_b32 s9, -1, 0
	s_cmp_eq_u32 s13, 0
	s_cselect_b32 s9, s9, -1
	s_cmp_lg_u32 s9, 0
	s_cselect_b32 s8, s8, s13
	s_cselect_b32 s12, s48, s12
	s_cmp_ge_u32 s11, s95
	s_cselect_b32 s9, -1, 0
	s_cmp_eq_u32 s10, 0
	s_cselect_b32 s9, s9, -1
	s_cmp_lg_u32 s9, 0
	s_cselect_b32 s9, s8, s10
	s_cselect_b32 s8, s12, s11
	s_mov_b64 s[10:11], 0
	s_branch .LBB195_448
.LBB195_447:                            ;   in Loop: Header=BB195_12 Depth=1
	s_mov_b64 s[10:11], -1
                                        ; implicit-def: $sgpr8_sgpr9
.LBB195_448:                            ;   in Loop: Header=BB195_12 Depth=1
	s_andn2_b64 vcc, exec, s[10:11]
	s_cbranch_vccnz .LBB195_450
; %bb.449:                              ;   in Loop: Header=BB195_12 Depth=1
	v_cvt_f32_u32_e32 v4, s95
	s_sub_i32 s8, 0, s95
	v_readlane_b32 s2, v48, 33
	v_rcp_iflag_f32_e32 v4, v4
	v_mul_f32_e32 v4, 0x4f7ffffe, v4
	v_cvt_u32_f32_e32 v4, v4
	v_readfirstlane_b32 s9, v4
	s_mul_i32 s8, s8, s9
	s_mul_hi_u32 s8, s9, s8
	s_add_i32 s9, s9, s8
	s_mul_hi_u32 s8, s2, s9
	s_mul_i32 s8, s8, s95
	s_sub_i32 s8, s2, s8
	s_sub_i32 s9, s8, s95
	s_cmp_ge_u32 s8, s95
	s_cselect_b32 s8, s9, s8
	s_sub_i32 s9, s8, s95
	s_cmp_ge_u32 s8, s95
	s_mov_b32 s2, s84
	s_cselect_b32 s84, s9, s8
	s_mov_b64 s[8:9], s[84:85]
	s_mov_b32 s84, s2
.LBB195_450:                            ;   in Loop: Header=BB195_12 Depth=1
	v_readlane_b32 s2, v48, 33
	s_sub_u32 s10, s2, s8
	s_subb_u32 s11, s73, s9
	v_cmp_gt_u64_e32 vcc, s[10:11], v[0:1]
                                        ; implicit-def: $vgpr18
	s_and_saveexec_b64 s[8:9], vcc
	s_cbranch_execz .LBB195_460
; %bb.451:                              ;   in Loop: Header=BB195_12 Depth=1
	v_mov_b32_e32 v5, v1
	s_mov_b64 s[12:13], 0
	v_mov_b32_e32 v4, v0
                                        ; implicit-def: $sgpr48_sgpr49
	s_branch .LBB195_455
.LBB195_452:                            ;   in Loop: Header=BB195_455 Depth=2
	s_or_b64 exec, exec, s[50:51]
	s_waitcnt lgkmcnt(0)
	s_barrier
	ds_read_b64 v[17:18], v13 offset:3072
	s_waitcnt lgkmcnt(0)
	s_barrier
	v_cmp_eq_f32_e32 vcc, 0, v17
	s_cbranch_vccz .LBB195_458
; %bb.453:                              ;   in Loop: Header=BB195_455 Depth=2
	v_add_co_u32_e32 v4, vcc, s95, v4
	v_addc_co_u32_e32 v5, vcc, 0, v5, vcc
	v_cmp_le_u64_e32 vcc, s[10:11], v[4:5]
	s_mov_b64 s[50:51], 0
	s_orn2_b64 s[52:53], vcc, exec
.LBB195_454:                            ;   in Loop: Header=BB195_455 Depth=2
	s_and_b64 s[52:53], exec, s[52:53]
	s_or_b64 s[12:13], s[52:53], s[12:13]
	s_andn2_b64 s[48:49], s[48:49], exec
	s_and_b64 s[50:51], s[50:51], exec
	s_or_b64 s[48:49], s[48:49], s[50:51]
	s_andn2_b64 exec, exec, s[12:13]
	s_cbranch_execz .LBB195_459
.LBB195_455:                            ;   Parent Loop BB195_12 Depth=1
                                        ; =>  This Inner Loop Header: Depth=2
	v_cmp_gt_u64_e32 vcc, s[60:61], v[4:5]
	s_and_saveexec_b64 s[50:51], vcc
	s_cbranch_execz .LBB195_452
; %bb.456:                              ;   in Loop: Header=BB195_455 Depth=2
	v_mul_lo_u32 v9, v5, s58
	v_mul_lo_u32 v12, v4, s59
	v_mad_u64_u32 v[6:7], s[52:53], v4, s58, 0
	v_add3_u32 v7, v7, v12, v9
	v_lshlrev_b64 v[6:7], 2, v[6:7]
	v_mov_b32_e32 v9, s94
	v_add_co_u32_e32 v6, vcc, s33, v6
	v_addc_co_u32_e32 v7, vcc, v9, v7, vcc
	global_load_dword v17, v[6:7], off
	s_waitcnt vmcnt(0)
	v_cmp_lt_i32_e32 vcc, -1, v17
	v_cndmask_b32_e32 v6, -1, v33, vcc
	v_xor_b32_e32 v6, v6, v17
	v_cmp_o_f32_e32 vcc, v17, v17
	v_cndmask_b32_e32 v6, -1, v6, vcc
	v_and_b32_e32 v6, v6, v35
	v_cmp_eq_u32_e32 vcc, v6, v30
	s_and_b64 exec, exec, vcc
	s_cbranch_execz .LBB195_452
; %bb.457:                              ;   in Loop: Header=BB195_455 Depth=2
	ds_write_b64 v13, v[16:17] offset:3072
	s_branch .LBB195_452
.LBB195_458:                            ;   in Loop: Header=BB195_455 Depth=2
	s_mov_b64 s[52:53], -1
                                        ; implicit-def: $vgpr4_vgpr5
	s_mov_b64 s[50:51], -1
	s_branch .LBB195_454
.LBB195_459:                            ;   in Loop: Header=BB195_12 Depth=1
	s_or_b64 exec, exec, s[12:13]
	s_andn2_b64 s[4:5], s[4:5], exec
	s_and_b64 s[10:11], s[48:49], exec
	s_or_b64 s[4:5], s[4:5], s[10:11]
.LBB195_460:                            ;   in Loop: Header=BB195_12 Depth=1
	s_or_b64 exec, exec, s[8:9]
	s_mov_b64 s[48:49], 0
	s_mov_b64 s[50:51], -1
.LBB195_461:                            ;   in Loop: Header=BB195_12 Depth=1
	s_orn2_b64 s[8:9], s[4:5], exec
.LBB195_462:                            ;   in Loop: Header=BB195_12 Depth=1
	s_or_b64 exec, exec, s[46:47]
	s_mov_b64 s[10:11], 0
	s_and_saveexec_b64 s[4:5], s[8:9]
	s_cbranch_execz .LBB195_473
; %bb.463:                              ;   in Loop: Header=BB195_12 Depth=1
	v_mov_b32_e32 v4, 1
	s_xor_b64 s[10:11], s[44:45], -1
	v_mov_b32_e32 v5, 0
	v_mov_b32_e32 v8, 1
	s_and_saveexec_b64 s[8:9], s[10:11]
	s_cbranch_execz .LBB195_472
; %bb.464:                              ;   in Loop: Header=BB195_12 Depth=1
	v_cmp_ge_u64_e32 vcc, s[16:17], v[2:3]
	s_and_saveexec_b64 s[10:11], vcc
	s_xor_b64 s[10:11], exec, s[10:11]
	s_cbranch_execz .LBB195_469
; %bb.465:                              ;   in Loop: Header=BB195_12 Depth=1
	ds_read_b64 v[4:5], v13 offset:5120
	v_and_b32_e32 v30, s84, v30
	v_or_b32_e32 v35, s93, v35
	s_waitcnt lgkmcnt(0)
	v_cmp_ne_u64_e32 vcc, 0, v[4:5]
	s_cbranch_vccnz .LBB195_469
; %bb.466:                              ;   in Loop: Header=BB195_12 Depth=1
	v_readlane_b32 s2, v48, 12
	v_readlane_b32 s3, v48, 13
	s_and_saveexec_b64 s[12:13], s[2:3]
; %bb.467:                              ;   in Loop: Header=BB195_12 Depth=1
	v_mov_b32_e32 v4, s16
	v_mov_b32_e32 v5, s17
	ds_write_b64 v13, v[4:5] offset:5128
; %bb.468:                              ;   in Loop: Header=BB195_12 Depth=1
	s_or_b64 exec, exec, s[12:13]
	s_waitcnt lgkmcnt(0)
	s_barrier
.LBB195_469:                            ;   in Loop: Header=BB195_12 Depth=1
	s_andn2_saveexec_b64 s[10:11], s[10:11]
; %bb.470:                              ;   in Loop: Header=BB195_12 Depth=1
	v_mov_b32_e32 v4, s17
	v_subrev_co_u32_e32 v2, vcc, s16, v2
	v_subb_co_u32_e32 v3, vcc, v3, v4, vcc
; %bb.471:                              ;   in Loop: Header=BB195_12 Depth=1
	s_or_b64 exec, exec, s[10:11]
	v_mov_b32_e32 v5, v3
	v_mov_b32_e32 v8, 5
	;; [unrolled: 1-line block ×3, first 2 shown]
.LBB195_472:                            ;   in Loop: Header=BB195_12 Depth=1
	s_or_b64 exec, exec, s[8:9]
	v_mov_b32_e32 v2, v4
	s_mov_b64 s[10:11], exec
	v_mov_b32_e32 v3, v5
.LBB195_473:                            ;   in Loop: Header=BB195_12 Depth=1
	s_or_b64 exec, exec, s[4:5]
	s_orn2_b64 s[4:5], s[10:11], exec
.LBB195_474:                            ;   in Loop: Header=BB195_12 Depth=1
	s_or_b64 exec, exec, s[20:21]
	s_andn2_b64 s[8:9], s[42:43], exec
	s_and_b64 s[10:11], s[50:51], exec
	s_or_b64 s[42:43], s[8:9], s[10:11]
	s_andn2_b64 s[8:9], s[40:41], exec
	s_and_b64 s[10:11], s[48:49], exec
	v_mov_b32_e32 v5, v3
	s_or_b64 s[40:41], s[8:9], s[10:11]
	s_and_b64 s[8:9], s[4:5], exec
	v_mov_b32_e32 v4, v2
.LBB195_475:                            ;   in Loop: Header=BB195_12 Depth=1
	s_or_b64 exec, exec, s[30:31]
	s_orn2_b64 s[4:5], s[8:9], exec
.LBB195_476:                            ;   in Loop: Header=BB195_12 Depth=1
	s_or_b64 exec, exec, s[22:23]
	s_andn2_b64 s[8:9], s[36:37], exec
	s_and_b64 s[10:11], s[42:43], exec
	s_or_b64 s[36:37], s[8:9], s[10:11]
	s_andn2_b64 s[8:9], s[24:25], exec
	s_and_b64 s[10:11], s[40:41], exec
	v_mov_b32_e32 v2, v4
	s_or_b64 s[24:25], s[8:9], s[10:11]
	s_and_b64 s[8:9], s[4:5], exec
	v_mov_b32_e32 v3, v5
.LBB195_477:                            ;   in Loop: Header=BB195_12 Depth=1
	s_or_b64 exec, exec, s[38:39]
	s_orn2_b64 s[4:5], s[8:9], exec
.LBB195_478:                            ;   in Loop: Header=BB195_12 Depth=1
	s_or_b64 exec, exec, s[6:7]
	s_mov_b64 s[6:7], s[28:29]
	s_mov_b64 s[8:9], s[26:27]
	s_and_saveexec_b64 s[10:11], s[4:5]
; %bb.479:                              ;   in Loop: Header=BB195_12 Depth=1
	v_cmp_ne_u32_e64 s[6:7], 5, v8
	v_cmp_eq_u32_e32 vcc, 5, v8
	s_andn2_b64 s[4:5], s[26:27], exec
	s_and_b64 s[6:7], s[6:7], exec
	s_or_b64 s[8:9], s[4:5], s[6:7]
	s_andn2_b64 s[4:5], s[28:29], exec
	s_and_b64 s[6:7], vcc, exec
	s_or_b64 s[6:7], s[4:5], s[6:7]
; %bb.480:                              ;   in Loop: Header=BB195_12 Depth=1
	s_or_b64 exec, exec, s[10:11]
	s_andn2_b64 s[4:5], s[14:15], exec
	s_and_b64 s[10:11], s[36:37], exec
	s_or_b64 s[14:15], s[4:5], s[10:11]
	s_andn2_b64 s[4:5], s[18:19], exec
	s_and_b64 s[10:11], s[24:25], exec
	s_or_b64 s[18:19], s[4:5], s[10:11]
	;; [unrolled: 3-line block ×4, first 2 shown]
.LBB195_481:                            ;   in Loop: Header=BB195_12 Depth=1
	s_or_b64 exec, exec, s[34:35]
	s_mov_b64 s[34:35], 0
	s_mov_b64 s[36:37], 0
	s_and_saveexec_b64 s[4:5], s[28:29]
.LBB195_482:                            ;   in Loop: Header=BB195_12 Depth=1
	v_mov_b32_e32 v8, 0
	s_or_b64 s[26:27], s[26:27], exec
.LBB195_483:                            ;   in Loop: Header=BB195_12 Depth=1
	s_or_b64 exec, exec, s[4:5]
	s_andn2_b64 s[4:5], s[80:81], exec
	s_and_b64 s[8:9], s[14:15], exec
	s_or_b64 s[80:81], s[4:5], s[8:9]
	s_andn2_b64 s[4:5], s[74:75], exec
	s_and_b64 s[8:9], s[18:19], exec
	v_readlane_b32 s2, v48, 51
	s_or_b64 s[74:75], s[4:5], s[8:9]
	s_andn2_b64 s[4:5], s[56:57], exec
	s_and_b64 s[8:9], s[36:37], exec
	v_readlane_b32 s3, v48, 52
	s_or_b64 s[56:57], s[4:5], s[8:9]
	s_andn2_b64 s[2:3], s[2:3], exec
	s_and_b64 s[4:5], s[34:35], exec
	v_mov_b32_e32 v20, v3
	s_mov_b64 s[6:7], -1
	s_andn2_b64 s[82:83], s[82:83], exec
	s_or_b64 s[22:23], s[2:3], s[4:5]
	v_mov_b32_e32 v19, v2
	s_and_saveexec_b64 s[4:5], s[26:27]
	s_xor_b64 s[4:5], exec, s[4:5]
	s_cbranch_execz .LBB195_11
; %bb.484:                              ;   in Loop: Header=BB195_12 Depth=1
	v_cmp_eq_u32_e32 vcc, 0, v8
	s_mov_b64 s[8:9], -1
	s_and_saveexec_b64 s[10:11], vcc
	s_cbranch_execz .LBB195_10
; %bb.485:                              ;   in Loop: Header=BB195_12 Depth=1
	v_readlane_b32 s2, v48, 48
	s_xor_b32 s2, s2, 1
	s_add_i32 s12, s92, -2
	s_cmp_eq_u32 s92, 0
	s_cselect_b64 s[6:7], -1, 0
	s_xor_b64 s[8:9], exec, -1
	s_orn2_b64 s[6:7], s[6:7], exec
	s_mov_b32 s92, s12
	v_writelane_b32 v48, s2, 48
	s_branch .LBB195_10
.LBB195_486:
	s_or_b64 exec, exec, s[64:65]
	s_xor_b64 s[4:5], s[78:79], -1
	s_xor_b64 s[8:9], s[76:77], -1
	;; [unrolled: 1-line block ×5, first 2 shown]
	s_mov_b64 s[6:7], 0
	s_and_saveexec_b64 s[10:11], s[0:1]
	s_xor_b64 s[10:11], exec, s[10:11]
	s_cbranch_execnz .LBB195_491
; %bb.487:
	s_andn2_saveexec_b64 s[0:1], s[10:11]
	s_cbranch_execnz .LBB195_510
.LBB195_488:
	s_or_b64 exec, exec, s[0:1]
	s_and_saveexec_b64 s[0:1], s[6:7]
.LBB195_489:
	; divergent unreachable
.LBB195_490:
	s_endpgm
.LBB195_491:
	s_and_saveexec_b64 s[0:1], s[12:13]
	s_xor_b64 s[12:13], exec, s[0:1]
	s_cbranch_execz .LBB195_508
; %bb.492:
	s_and_saveexec_b64 s[0:1], s[8:9]
	s_xor_b64 s[14:15], exec, s[0:1]
	s_cbranch_execz .LBB195_506
; %bb.493:
	;; [unrolled: 4-line block ×3, first 2 shown]
	s_and_saveexec_b64 s[0:1], s[2:3]
	s_xor_b64 s[2:3], exec, s[0:1]
; %bb.495:
	v_bfrev_b32_e32 v2, 1
	v_cmp_lt_i32_e32 vcc, -1, v30
	v_cndmask_b32_e64 v2, v2, -1, vcc
	v_xor_b32_e32 v18, v2, v30
; %bb.496:
	s_or_b64 exec, exec, s[2:3]
	s_mov_b64 s[2:3], exec
	v_readlane_b32 s0, v48, 12
	v_readlane_b32 s1, v48, 13
	;; [unrolled: 1-line block ×4, first 2 shown]
	s_and_b64 s[0:1], s[2:3], s[0:1]
	v_readlane_b32 s43, v48, 21
	v_readlane_b32 s23, v48, 43
	;; [unrolled: 1-line block ×4, first 2 shown]
	s_mov_b64 exec, s[0:1]
; %bb.497:
	v_mov_b32_e32 v2, 0
	v_mov_b32_e32 v3, v2
	ds_write_b64 v2, v[2:3] offset:5136
; %bb.498:
	s_or_b64 exec, exec, s[2:3]
	v_mov_b32_e32 v16, 0
	s_waitcnt lgkmcnt(0)
	s_barrier
	s_mov_b64 s[2:3], exec
	v_readlane_b32 s0, v48, 26
	v_readlane_b32 s1, v48, 27
	s_and_b64 s[0:1], s[2:3], s[0:1]
	s_mov_b64 exec, s[0:1]
	s_cbranch_execz .LBB195_500
; %bb.499:
	global_load_dword v16, v[10:11], off
.LBB195_500:
	s_or_b64 exec, exec, s[2:3]
	s_add_u32 s0, s60, 63
	s_addc_u32 s9, s61, 0
	s_and_b32 s8, s0, 0xffffffc0
	v_readlane_b32 s2, v48, 2
	v_readlane_b32 s0, v48, 0
	;; [unrolled: 1-line block ×4, first 2 shown]
	s_mov_b32 s4, s0
	s_mul_i32 s0, s0, s3
	s_mul_hi_u32 s1, s4, s2
	s_add_i32 s1, s1, s0
	s_mul_i32 s0, s4, s2
	v_readlane_b32 s24, v48, 16
	s_sub_u32 s0, s6, s0
	v_readlane_b32 s26, v48, 18
	v_readlane_b32 s27, v48, 19
	s_subb_u32 s1, 0, s1
	s_mul_i32 s2, s0, s27
	s_mul_hi_u32 s3, s0, s26
	v_readlane_b32 s25, v48, 17
	s_add_i32 s2, s3, s2
	s_mul_i32 s1, s1, s26
	s_add_i32 s1, s2, s1
	s_mul_i32 s2, s4, s25
	s_mul_hi_u32 s3, s4, s24
	s_add_i32 s3, s3, s2
	s_mul_i32 s2, s4, s24
	v_readlane_b32 s18, v48, 6
	v_readlane_b32 s4, v48, 4
	;; [unrolled: 1-line block ×4, first 2 shown]
	s_mov_b32 s20, s4
	s_mul_i32 s4, s4, s19
	s_mul_hi_u32 s5, s20, s18
	s_mul_i32 s0, s0, s26
	s_add_i32 s5, s5, s4
	s_mul_i32 s4, s20, s18
	v_readlane_b32 s24, v48, 44
	s_sub_u32 s4, s6, s4
	v_readlane_b32 s26, v48, 46
	v_readlane_b32 s27, v48, 47
	s_subb_u32 s5, 0, s5
	s_mul_i32 s6, s4, s27
	s_mul_hi_u32 s7, s4, s26
	v_readlane_b32 s25, v48, 45
	s_add_i32 s6, s7, s6
	s_mul_i32 s5, s5, s26
	s_add_i32 s5, s6, s5
	s_mul_i32 s6, s20, s25
	s_mul_hi_u32 s7, s20, s24
	s_add_i32 s7, s7, s6
	s_lshl_b64 s[2:3], s[2:3], 2
	v_readlane_b32 s18, v48, 10
	v_readlane_b32 s19, v48, 11
	s_add_u32 s2, s18, s2
	s_addc_u32 s3, s19, s3
	s_lshl_b64 s[0:1], s[0:1], 2
	s_mul_i32 s6, s20, s24
	s_add_u32 s0, s2, s0
	v_bfrev_b32_e32 v15, 1
	v_cmp_lt_i32_e32 vcc, -1, v18
	s_addc_u32 s1, s3, s1
	s_lshl_b64 s[2:3], s[6:7], 3
	v_readlane_b32 s6, v48, 8
	s_load_dwordx2 s[18:19], s[22:23], 0x368
	s_load_dwordx2 s[20:21], s[22:23], 0x510
	v_cndmask_b32_e32 v2, -1, v15, vcc
	s_mul_i32 s4, s4, s26
	v_readlane_b32 s7, v48, 9
	s_add_u32 s6, s6, s2
	v_xor_b32_e32 v2, v2, v18
	v_cmp_o_f32_e32 vcc, v18, v18
	s_addc_u32 s7, s7, s3
	s_lshl_b64 s[2:3], s[4:5], 3
	v_cndmask_b32_e32 v14, -1, v2, vcc
	s_add_u32 s38, s6, s2
	v_cmp_gt_u64_e32 vcc, s[8:9], v[0:1]
	s_addc_u32 s39, s7, s3
	s_mov_b64 s[24:25], -1
	s_mov_b64 s[2:3], 0
	s_mov_b64 s[4:5], 0
	s_and_saveexec_b64 s[22:23], vcc
	s_cbranch_execnz .LBB195_511
; %bb.501:
	s_or_b64 exec, exec, s[22:23]
	s_and_saveexec_b64 s[6:7], s[24:25]
	s_cbranch_execnz .LBB195_528
.LBB195_502:
	s_or_b64 exec, exec, s[6:7]
	s_and_saveexec_b64 s[0:1], s[4:5]
	s_xor_b64 s[0:1], exec, s[0:1]
	s_cbranch_execnz .LBB195_551
.LBB195_503:
	s_or_b64 exec, exec, s[0:1]
	s_and_b64 s[6:7], s[2:3], exec
.LBB195_504:
	s_andn2_saveexec_b64 s[0:1], s[16:17]
	s_cbranch_execnz .LBB195_553
.LBB195_505:
	s_or_b64 exec, exec, s[0:1]
	s_and_b64 s[6:7], s[6:7], exec
.LBB195_506:
	s_andn2_saveexec_b64 s[0:1], s[14:15]
	s_cbranch_execnz .LBB195_552
.LBB195_507:
	s_or_b64 exec, exec, s[0:1]
	s_and_b64 s[6:7], s[6:7], exec
.LBB195_508:
	s_andn2_saveexec_b64 s[0:1], s[12:13]
	s_cbranch_execnz .LBB195_547
.LBB195_509:
	s_or_b64 exec, exec, s[0:1]
	s_and_b64 s[6:7], s[6:7], exec
	s_andn2_saveexec_b64 s[0:1], s[10:11]
	s_cbranch_execz .LBB195_488
.LBB195_510:
	s_or_b64 s[6:7], s[6:7], exec
	s_trap 2
	s_or_b64 exec, exec, s[0:1]
	s_and_saveexec_b64 s[0:1], s[6:7]
	s_cbranch_execnz .LBB195_489
	s_branch .LBB195_490
.LBB195_511:
	v_mov_b32_e32 v9, v1
	s_mov_b64 s[24:25], 0
	v_mov_b32_e32 v3, 0
	v_mov_b32_e32 v8, v0
                                        ; implicit-def: $sgpr26_sgpr27
                                        ; implicit-def: $vgpr6_vgpr7
	s_branch .LBB195_513
.LBB195_512:                            ;   in Loop: Header=BB195_513 Depth=1
	s_or_b64 exec, exec, s[30:31]
	s_xor_b64 s[4:5], s[28:29], -1
	s_and_b64 s[6:7], exec, s[6:7]
	s_or_b64 s[24:25], s[6:7], s[24:25]
	s_andn2_b64 s[6:7], s[26:27], exec
	s_and_b64 s[4:5], s[4:5], exec
	v_mov_b32_e32 v9, v5
	s_or_b64 s[26:27], s[6:7], s[4:5]
	s_waitcnt vmcnt(0)
	v_mov_b32_e32 v16, v17
	v_mov_b32_e32 v8, v4
	s_andn2_b64 exec, exec, s[24:25]
	s_cbranch_execz .LBB195_527
.LBB195_513:                            ; =>This Inner Loop Header: Depth=1
	v_add_co_u32_e64 v4, s[4:5], s95, v8
	v_addc_co_u32_e64 v5, s[4:5], 0, v9, s[4:5]
	v_cmp_gt_u64_e64 s[4:5], s[60:61], v[4:5]
	v_mov_b32_e32 v17, 0
	s_and_saveexec_b64 s[6:7], s[4:5]
	s_cbranch_execz .LBB195_515
; %bb.514:                              ;   in Loop: Header=BB195_513 Depth=1
	v_mul_lo_u32 v2, v5, s58
	v_mul_lo_u32 v17, v4, s59
	v_mad_u64_u32 v[12:13], s[4:5], v4, s58, 0
	v_add3_u32 v13, v13, v17, v2
	v_lshlrev_b64 v[12:13], 2, v[12:13]
	v_mov_b32_e32 v2, s94
	v_add_co_u32_e64 v12, s[4:5], s33, v12
	v_addc_co_u32_e64 v13, s[4:5], v2, v13, s[4:5]
	global_load_dword v17, v[12:13], off
.LBB195_515:                            ;   in Loop: Header=BB195_513 Depth=1
	s_or_b64 exec, exec, s[6:7]
	v_cmp_gt_u64_e64 s[4:5], s[60:61], v[8:9]
	s_mov_b64 s[28:29], 0
	s_and_saveexec_b64 s[6:7], s[4:5]
	s_cbranch_execz .LBB195_517
; %bb.516:                              ;   in Loop: Header=BB195_513 Depth=1
	s_waitcnt vmcnt(0)
	v_cmp_lt_i32_e64 s[4:5], -1, v16
	v_cndmask_b32_e64 v2, -1, v15, s[4:5]
	v_xor_b32_e32 v2, v2, v16
	v_cmp_o_f32_e64 s[4:5], v16, v16
	v_cndmask_b32_e64 v2, -1, v2, s[4:5]
	v_cmp_gt_u32_e64 s[4:5], v2, v14
	v_cndmask_b32_e64 v12, 0, 1, s[4:5]
	v_cmp_lt_u32_e64 s[4:5], v2, v14
	v_cndmask_b32_e64 v2, 0, 1, s[4:5]
	v_cndmask_b32_e64 v2, v2, v12, s[42:43]
	v_and_b32_e32 v2, 1, v2
	v_cmp_eq_u32_e64 s[4:5], 1, v2
	s_and_b64 s[28:29], s[4:5], exec
.LBB195_517:                            ;   in Loop: Header=BB195_513 Depth=1
	s_or_b64 exec, exec, s[6:7]
	v_cndmask_b32_e64 v2, 0, 1, s[28:29]
	v_cmp_ne_u32_e64 s[4:5], 0, v2
	s_cmp_lg_u64 s[4:5], 0
	s_cselect_b64 s[6:7], -1, 0
	s_and_b64 s[6:7], s[88:89], s[6:7]
	s_and_saveexec_b64 s[30:31], s[6:7]
	s_cbranch_execz .LBB195_521
; %bb.518:                              ;   in Loop: Header=BB195_513 Depth=1
	s_mov_b64 s[36:37], exec
	v_mbcnt_lo_u32_b32 v2, s36, 0
	v_mbcnt_hi_u32_b32 v12, s37, v2
	s_bcnt1_i32_b64 s40, s[4:5]
	v_cmp_eq_u32_e64 s[6:7], 0, v12
                                        ; implicit-def: $vgpr6_vgpr7
	s_and_saveexec_b64 s[34:35], s[6:7]
	s_cbranch_execz .LBB195_520
; %bb.519:                              ;   in Loop: Header=BB195_513 Depth=1
	s_bcnt1_i32_b64 s6, s[36:37]
	s_mul_i32 s6, s40, s6
	v_mov_b32_e32 v2, s6
	s_waitcnt lgkmcnt(0)
	ds_add_rtn_u64 v[6:7], v3, v[2:3] offset:5136
.LBB195_520:                            ;   in Loop: Header=BB195_513 Depth=1
	s_or_b64 exec, exec, s[34:35]
	s_waitcnt lgkmcnt(0)
	v_readfirstlane_b32 s6, v7
	v_readfirstlane_b32 s7, v6
	v_mov_b32_e32 v6, s7
	v_mov_b32_e32 v7, s6
	v_mad_u64_u32 v[6:7], s[6:7], s40, v12, v[6:7]
.LBB195_521:                            ;   in Loop: Header=BB195_513 Depth=1
	s_or_b64 exec, exec, s[30:31]
	s_waitcnt lgkmcnt(0)
	ds_bpermute_b32 v6, v23, v6
	ds_bpermute_b32 v7, v23, v7
	s_mov_b64 s[6:7], -1
	s_mov_b64 s[34:35], -1
	s_and_saveexec_b64 s[30:31], s[28:29]
	s_cbranch_execz .LBB195_525
; %bb.522:                              ;   in Loop: Header=BB195_513 Depth=1
	v_and_b32_e32 v12, s4, v25
	v_and_b32_e32 v2, s5, v24
	v_bcnt_u32_b32 v12, v12, 0
	v_bcnt_u32_b32 v2, v2, v12
	s_waitcnt lgkmcnt(0)
	v_add_co_u32_e64 v12, s[4:5], v6, v2
	v_addc_co_u32_e64 v13, s[4:5], 0, v7, s[4:5]
	v_cmp_gt_u64_e64 s[4:5], s[62:63], v[12:13]
	s_mov_b64 s[28:29], 0
	s_and_saveexec_b64 s[34:35], s[4:5]
	s_cbranch_execz .LBB195_524
; %bb.523:                              ;   in Loop: Header=BB195_513 Depth=1
	v_mul_lo_u32 v2, v13, s18
	v_mul_lo_u32 v20, v12, s19
	v_mad_u64_u32 v[18:19], s[4:5], v12, s18, 0
	v_mul_lo_u32 v21, v13, s20
	v_mul_lo_u32 v22, v12, s21
	v_mad_u64_u32 v[12:13], s[4:5], v12, s20, 0
	v_add3_u32 v19, v19, v20, v2
	v_lshlrev_b64 v[18:19], 2, v[18:19]
	v_add3_u32 v13, v13, v22, v21
	v_mov_b32_e32 v2, s1
	v_add_co_u32_e64 v18, s[4:5], s0, v18
	v_lshlrev_b64 v[12:13], 3, v[12:13]
	v_addc_co_u32_e64 v19, s[4:5], v2, v19, s[4:5]
	v_mov_b32_e32 v2, s39
	v_add_co_u32_e64 v12, s[4:5], s38, v12
	s_mov_b64 s[28:29], exec
	v_addc_co_u32_e64 v13, s[4:5], v2, v13, s[4:5]
	s_waitcnt vmcnt(0)
	global_store_dword v[18:19], v16, off
	global_store_dwordx2 v[12:13], v[8:9], off
.LBB195_524:                            ;   in Loop: Header=BB195_513 Depth=1
	s_or_b64 exec, exec, s[34:35]
	s_orn2_b64 s[34:35], s[28:29], exec
.LBB195_525:                            ;   in Loop: Header=BB195_513 Depth=1
	s_or_b64 exec, exec, s[30:31]
	s_mov_b64 s[28:29], -1
	s_and_saveexec_b64 s[30:31], s[34:35]
	s_cbranch_execz .LBB195_512
; %bb.526:                              ;   in Loop: Header=BB195_513 Depth=1
	v_cmp_le_u64_e64 s[4:5], s[8:9], v[4:5]
	s_xor_b64 s[28:29], exec, -1
	s_orn2_b64 s[6:7], s[4:5], exec
	s_branch .LBB195_512
.LBB195_527:
	s_or_b64 exec, exec, s[24:25]
	s_mov_b64 s[4:5], exec
	s_orn2_b64 s[24:25], s[26:27], exec
	s_or_b64 exec, exec, s[22:23]
	s_and_saveexec_b64 s[6:7], s[24:25]
	s_cbranch_execz .LBB195_502
.LBB195_528:
	v_mov_b32_e32 v12, 0
	s_waitcnt vmcnt(0) lgkmcnt(0)
	s_barrier
	s_mov_b64 s[2:3], exec
	v_readlane_b32 s22, v48, 26
	v_readlane_b32 s23, v48, 27
	s_and_b64 s[22:23], s[2:3], s[22:23]
	s_mov_b64 exec, s[22:23]
	s_cbranch_execz .LBB195_530
; %bb.529:
	global_load_dword v12, v[10:11], off
.LBB195_530:
	s_or_b64 exec, exec, s[2:3]
	s_mov_b64 s[2:3], 0
	s_and_saveexec_b64 s[22:23], vcc
	s_cbranch_execz .LBB195_550
; %bb.531:
	s_mov_b64 s[24:25], 0
	v_bfrev_b32_e32 v10, 1
	v_mov_b32_e32 v3, 0
                                        ; implicit-def: $sgpr26_sgpr27
                                        ; implicit-def: $vgpr6_vgpr7
	s_branch .LBB195_534
.LBB195_532:                            ;   in Loop: Header=BB195_534 Depth=1
	s_or_b64 exec, exec, s[30:31]
	s_orn2_b64 s[34:35], s[36:37], exec
	s_orn2_b64 s[30:31], s[28:29], exec
.LBB195_533:                            ;   in Loop: Header=BB195_534 Depth=1
	s_or_b64 exec, exec, s[2:3]
	s_xor_b64 s[2:3], s[34:35], -1
	s_and_b64 s[28:29], exec, s[30:31]
	s_or_b64 s[24:25], s[28:29], s[24:25]
	s_andn2_b64 s[26:27], s[26:27], exec
	s_and_b64 s[2:3], s[2:3], exec
	v_mov_b32_e32 v0, v4
	s_or_b64 s[26:27], s[26:27], s[2:3]
	v_mov_b32_e32 v1, v5
	v_mov_b32_e32 v12, v11
	s_andn2_b64 exec, exec, s[24:25]
	s_cbranch_execz .LBB195_548
.LBB195_534:                            ; =>This Inner Loop Header: Depth=1
	v_add_co_u32_e32 v4, vcc, s95, v0
	v_addc_co_u32_e32 v5, vcc, 0, v1, vcc
	v_cmp_gt_u64_e32 vcc, s[60:61], v[4:5]
	v_mov_b32_e32 v11, 0
	s_and_saveexec_b64 s[2:3], vcc
	s_cbranch_execz .LBB195_536
; %bb.535:                              ;   in Loop: Header=BB195_534 Depth=1
	v_mul_lo_u32 v2, v5, s58
	v_mul_lo_u32 v11, v4, s59
	v_mad_u64_u32 v[8:9], s[28:29], v4, s58, 0
	v_add3_u32 v9, v9, v11, v2
	v_lshlrev_b64 v[8:9], 2, v[8:9]
	v_mov_b32_e32 v2, s94
	v_add_co_u32_e32 v8, vcc, s33, v8
	v_addc_co_u32_e32 v9, vcc, v2, v9, vcc
	global_load_dword v11, v[8:9], off
.LBB195_536:                            ;   in Loop: Header=BB195_534 Depth=1
	s_or_b64 exec, exec, s[2:3]
	s_waitcnt vmcnt(0)
	v_cmp_lt_i32_e64 s[2:3], -1, v12
	v_cndmask_b32_e64 v2, -1, v10, s[2:3]
	v_xor_b32_e32 v2, v2, v12
	v_cmp_o_f32_e64 s[2:3], v12, v12
	v_cmp_gt_u64_e32 vcc, s[60:61], v[0:1]
	v_cndmask_b32_e64 v2, -1, v2, s[2:3]
	v_cmp_eq_u32_e64 s[2:3], v2, v14
	s_and_b64 s[28:29], vcc, s[2:3]
	v_cndmask_b32_e64 v2, 0, 1, s[28:29]
	v_cmp_ne_u32_e32 vcc, 0, v2
	s_cmp_lg_u64 vcc, 0
	s_cselect_b64 s[2:3], -1, 0
	s_and_b64 s[2:3], s[88:89], s[2:3]
	s_and_saveexec_b64 s[30:31], s[2:3]
	s_cbranch_execz .LBB195_540
; %bb.537:                              ;   in Loop: Header=BB195_534 Depth=1
	s_mov_b64 s[36:37], exec
	v_mbcnt_lo_u32_b32 v2, s36, 0
	v_mbcnt_hi_u32_b32 v8, s37, v2
	s_bcnt1_i32_b64 s40, vcc
	v_cmp_eq_u32_e64 s[2:3], 0, v8
                                        ; implicit-def: $vgpr6_vgpr7
	s_and_saveexec_b64 s[34:35], s[2:3]
; %bb.538:                              ;   in Loop: Header=BB195_534 Depth=1
	s_bcnt1_i32_b64 s2, s[36:37]
	s_mul_i32 s2, s40, s2
	v_mov_b32_e32 v2, s2
	ds_add_rtn_u64 v[6:7], v3, v[2:3] offset:5136
; %bb.539:                              ;   in Loop: Header=BB195_534 Depth=1
	s_or_b64 exec, exec, s[34:35]
	s_waitcnt lgkmcnt(0)
	v_readfirstlane_b32 s2, v7
	v_readfirstlane_b32 s3, v6
	v_mov_b32_e32 v6, s3
	v_mov_b32_e32 v7, s2
	v_mad_u64_u32 v[6:7], s[2:3], s40, v8, v[6:7]
.LBB195_540:                            ;   in Loop: Header=BB195_534 Depth=1
	s_or_b64 exec, exec, s[30:31]
	ds_bpermute_b32 v6, v23, v6
	ds_bpermute_b32 v7, v23, v7
	s_cmp_eq_u64 vcc, 0
	s_cselect_b64 s[34:35], -1, 0
	s_mov_b64 s[30:31], -1
	s_waitcnt lgkmcnt(0)
	v_cmp_gt_u64_e64 s[2:3], s[62:63], v[6:7]
	s_or_b64 s[36:37], s[34:35], s[2:3]
	s_mov_b64 s[34:35], -1
	s_and_saveexec_b64 s[2:3], s[36:37]
	s_cbranch_execz .LBB195_533
; %bb.541:                              ;   in Loop: Header=BB195_534 Depth=1
	v_and_b32_e32 v8, vcc_lo, v25
	v_and_b32_e32 v2, vcc_hi, v24
	v_bcnt_u32_b32 v8, v8, 0
	v_bcnt_u32_b32 v2, v2, v8
	v_mov_b32_e32 v9, s63
	v_sub_co_u32_e32 v8, vcc, s62, v6
	v_subb_co_u32_e32 v9, vcc, v9, v7, vcc
	v_cmp_gt_u64_e32 vcc, v[8:9], v[2:3]
	s_mov_b64 s[36:37], -1
	s_and_b64 s[40:41], s[28:29], vcc
	s_mov_b64 s[28:29], -1
	s_and_saveexec_b64 s[30:31], s[40:41]
	s_cbranch_execz .LBB195_545
; %bb.542:                              ;   in Loop: Header=BB195_534 Depth=1
	v_add_co_u32_e32 v8, vcc, v6, v2
	v_addc_co_u32_e32 v9, vcc, 0, v7, vcc
	v_cmp_gt_u64_e32 vcc, s[62:63], v[8:9]
	s_mov_b64 s[34:35], 0
	s_and_saveexec_b64 s[36:37], vcc
; %bb.543:                              ;   in Loop: Header=BB195_534 Depth=1
	v_mul_lo_u32 v2, v9, s18
	v_mul_lo_u32 v13, v8, s19
	v_mad_u64_u32 v[15:16], s[40:41], v8, s18, 0
	v_mul_lo_u32 v17, v9, s20
	v_mul_lo_u32 v18, v8, s21
	v_mad_u64_u32 v[8:9], s[40:41], v8, s20, 0
	v_add3_u32 v16, v16, v13, v2
	v_lshlrev_b64 v[15:16], 2, v[15:16]
	v_add3_u32 v9, v9, v18, v17
	v_mov_b32_e32 v2, s1
	v_add_co_u32_e32 v15, vcc, s0, v15
	v_lshlrev_b64 v[8:9], 3, v[8:9]
	v_addc_co_u32_e32 v16, vcc, v2, v16, vcc
	v_mov_b32_e32 v2, s39
	v_add_co_u32_e32 v8, vcc, s38, v8
	s_mov_b64 s[34:35], exec
	v_addc_co_u32_e32 v9, vcc, v2, v9, vcc
	global_store_dword v[15:16], v12, off
	global_store_dwordx2 v[8:9], v[0:1], off
; %bb.544:                              ;   in Loop: Header=BB195_534 Depth=1
	s_or_b64 exec, exec, s[36:37]
	s_xor_b64 s[36:37], exec, -1
	s_orn2_b64 s[34:35], s[34:35], exec
.LBB195_545:                            ;   in Loop: Header=BB195_534 Depth=1
	s_or_b64 exec, exec, s[30:31]
	s_and_saveexec_b64 s[30:31], s[34:35]
	s_cbranch_execz .LBB195_532
; %bb.546:                              ;   in Loop: Header=BB195_534 Depth=1
	v_cmp_le_u64_e32 vcc, s[8:9], v[4:5]
	s_or_b64 s[36:37], s[36:37], exec
	s_orn2_b64 s[28:29], vcc, exec
	s_branch .LBB195_532
.LBB195_547:
	s_or_b64 s[6:7], s[6:7], exec
	s_trap 2
	s_branch .LBB195_509
.LBB195_548:
	s_or_b64 exec, exec, s[24:25]
	s_mov_b64 s[0:1], 0
	s_and_saveexec_b64 s[2:3], s[26:27]
	s_xor_b64 s[2:3], exec, s[2:3]
	s_cbranch_execnz .LBB195_554
.LBB195_549:
	s_or_b64 exec, exec, s[2:3]
	s_and_b64 s[2:3], s[0:1], exec
.LBB195_550:
	s_or_b64 exec, exec, s[22:23]
	s_and_b64 s[2:3], s[2:3], exec
	s_andn2_b64 s[4:5], s[4:5], exec
	s_or_b64 exec, exec, s[6:7]
	s_and_saveexec_b64 s[0:1], s[4:5]
	s_xor_b64 s[0:1], exec, s[0:1]
	s_cbranch_execz .LBB195_503
.LBB195_551:
	s_trap 2
	s_or_b64 s[2:3], s[2:3], exec
	s_branch .LBB195_503
.LBB195_552:
	s_or_b64 s[6:7], s[6:7], exec
	s_trap 2
	s_branch .LBB195_507
.LBB195_553:
	s_trap 2
	s_or_b64 s[6:7], s[6:7], exec
	s_branch .LBB195_505
.LBB195_554:
	s_mov_b64 s[0:1], exec
	s_trap 2
	s_branch .LBB195_549
	.section	.rodata,"a",@progbits
	.p2align	6, 0x0
	.amdhsa_kernel _ZN2at6native6sbtopk10gatherTopKIfmLi2ELb0EEEvNS_4cuda6detail10TensorInfoIKT_T0_EES8_S8_bS8_S8_NS5_IS6_S8_EES8_NS5_IlS8_EES8_PS6_
		.amdhsa_group_segment_fixed_size 5152
		.amdhsa_private_segment_fixed_size 0
		.amdhsa_kernarg_size 1568
		.amdhsa_user_sgpr_count 6
		.amdhsa_user_sgpr_private_segment_buffer 1
		.amdhsa_user_sgpr_dispatch_ptr 0
		.amdhsa_user_sgpr_queue_ptr 0
		.amdhsa_user_sgpr_kernarg_segment_ptr 1
		.amdhsa_user_sgpr_dispatch_id 0
		.amdhsa_user_sgpr_flat_scratch_init 0
		.amdhsa_user_sgpr_private_segment_size 0
		.amdhsa_uses_dynamic_stack 0
		.amdhsa_system_sgpr_private_segment_wavefront_offset 0
		.amdhsa_system_sgpr_workgroup_id_x 1
		.amdhsa_system_sgpr_workgroup_id_y 1
		.amdhsa_system_sgpr_workgroup_id_z 1
		.amdhsa_system_sgpr_workgroup_info 0
		.amdhsa_system_vgpr_workitem_id 0
		.amdhsa_next_free_vgpr 49
		.amdhsa_next_free_sgpr 96
		.amdhsa_reserve_vcc 1
		.amdhsa_reserve_flat_scratch 0
		.amdhsa_float_round_mode_32 0
		.amdhsa_float_round_mode_16_64 0
		.amdhsa_float_denorm_mode_32 3
		.amdhsa_float_denorm_mode_16_64 3
		.amdhsa_dx10_clamp 1
		.amdhsa_ieee_mode 1
		.amdhsa_fp16_overflow 0
		.amdhsa_exception_fp_ieee_invalid_op 0
		.amdhsa_exception_fp_denorm_src 0
		.amdhsa_exception_fp_ieee_div_zero 0
		.amdhsa_exception_fp_ieee_overflow 0
		.amdhsa_exception_fp_ieee_underflow 0
		.amdhsa_exception_fp_ieee_inexact 0
		.amdhsa_exception_int_div_zero 0
	.end_amdhsa_kernel
	.section	.text._ZN2at6native6sbtopk10gatherTopKIfmLi2ELb0EEEvNS_4cuda6detail10TensorInfoIKT_T0_EES8_S8_bS8_S8_NS5_IS6_S8_EES8_NS5_IlS8_EES8_PS6_,"axG",@progbits,_ZN2at6native6sbtopk10gatherTopKIfmLi2ELb0EEEvNS_4cuda6detail10TensorInfoIKT_T0_EES8_S8_bS8_S8_NS5_IS6_S8_EES8_NS5_IlS8_EES8_PS6_,comdat
.Lfunc_end195:
	.size	_ZN2at6native6sbtopk10gatherTopKIfmLi2ELb0EEEvNS_4cuda6detail10TensorInfoIKT_T0_EES8_S8_bS8_S8_NS5_IS6_S8_EES8_NS5_IlS8_EES8_PS6_, .Lfunc_end195-_ZN2at6native6sbtopk10gatherTopKIfmLi2ELb0EEEvNS_4cuda6detail10TensorInfoIKT_T0_EES8_S8_bS8_S8_NS5_IS6_S8_EES8_NS5_IlS8_EES8_PS6_
                                        ; -- End function
	.set _ZN2at6native6sbtopk10gatherTopKIfmLi2ELb0EEEvNS_4cuda6detail10TensorInfoIKT_T0_EES8_S8_bS8_S8_NS5_IS6_S8_EES8_NS5_IlS8_EES8_PS6_.num_vgpr, 49
	.set _ZN2at6native6sbtopk10gatherTopKIfmLi2ELb0EEEvNS_4cuda6detail10TensorInfoIKT_T0_EES8_S8_bS8_S8_NS5_IS6_S8_EES8_NS5_IlS8_EES8_PS6_.num_agpr, 0
	.set _ZN2at6native6sbtopk10gatherTopKIfmLi2ELb0EEEvNS_4cuda6detail10TensorInfoIKT_T0_EES8_S8_bS8_S8_NS5_IS6_S8_EES8_NS5_IlS8_EES8_PS6_.numbered_sgpr, 96
	.set _ZN2at6native6sbtopk10gatherTopKIfmLi2ELb0EEEvNS_4cuda6detail10TensorInfoIKT_T0_EES8_S8_bS8_S8_NS5_IS6_S8_EES8_NS5_IlS8_EES8_PS6_.num_named_barrier, 0
	.set _ZN2at6native6sbtopk10gatherTopKIfmLi2ELb0EEEvNS_4cuda6detail10TensorInfoIKT_T0_EES8_S8_bS8_S8_NS5_IS6_S8_EES8_NS5_IlS8_EES8_PS6_.private_seg_size, 0
	.set _ZN2at6native6sbtopk10gatherTopKIfmLi2ELb0EEEvNS_4cuda6detail10TensorInfoIKT_T0_EES8_S8_bS8_S8_NS5_IS6_S8_EES8_NS5_IlS8_EES8_PS6_.uses_vcc, 1
	.set _ZN2at6native6sbtopk10gatherTopKIfmLi2ELb0EEEvNS_4cuda6detail10TensorInfoIKT_T0_EES8_S8_bS8_S8_NS5_IS6_S8_EES8_NS5_IlS8_EES8_PS6_.uses_flat_scratch, 0
	.set _ZN2at6native6sbtopk10gatherTopKIfmLi2ELb0EEEvNS_4cuda6detail10TensorInfoIKT_T0_EES8_S8_bS8_S8_NS5_IS6_S8_EES8_NS5_IlS8_EES8_PS6_.has_dyn_sized_stack, 0
	.set _ZN2at6native6sbtopk10gatherTopKIfmLi2ELb0EEEvNS_4cuda6detail10TensorInfoIKT_T0_EES8_S8_bS8_S8_NS5_IS6_S8_EES8_NS5_IlS8_EES8_PS6_.has_recursion, 0
	.set _ZN2at6native6sbtopk10gatherTopKIfmLi2ELb0EEEvNS_4cuda6detail10TensorInfoIKT_T0_EES8_S8_bS8_S8_NS5_IS6_S8_EES8_NS5_IlS8_EES8_PS6_.has_indirect_call, 0
	.section	.AMDGPU.csdata,"",@progbits
; Kernel info:
; codeLenInByte = 26012
; TotalNumSgprs: 100
; NumVgprs: 49
; ScratchSize: 0
; MemoryBound: 0
; FloatMode: 240
; IeeeMode: 1
; LDSByteSize: 5152 bytes/workgroup (compile time only)
; SGPRBlocks: 12
; VGPRBlocks: 12
; NumSGPRsForWavesPerEU: 100
; NumVGPRsForWavesPerEU: 49
; Occupancy: 4
; WaveLimiterHint : 1
; COMPUTE_PGM_RSRC2:SCRATCH_EN: 0
; COMPUTE_PGM_RSRC2:USER_SGPR: 6
; COMPUTE_PGM_RSRC2:TRAP_HANDLER: 0
; COMPUTE_PGM_RSRC2:TGID_X_EN: 1
; COMPUTE_PGM_RSRC2:TGID_Y_EN: 1
; COMPUTE_PGM_RSRC2:TGID_Z_EN: 1
; COMPUTE_PGM_RSRC2:TIDIG_COMP_CNT: 0
	.section	.text._ZN2at6native6mbtopk23computeBlockDigitCountsIfmjLi3EEEvNS_4cuda6detail10TensorInfoIKT_T0_EEjPjjS8_iijT1_PSB_Ps,"axG",@progbits,_ZN2at6native6mbtopk23computeBlockDigitCountsIfmjLi3EEEvNS_4cuda6detail10TensorInfoIKT_T0_EEjPjjS8_iijT1_PSB_Ps,comdat
	.protected	_ZN2at6native6mbtopk23computeBlockDigitCountsIfmjLi3EEEvNS_4cuda6detail10TensorInfoIKT_T0_EEjPjjS8_iijT1_PSB_Ps ; -- Begin function _ZN2at6native6mbtopk23computeBlockDigitCountsIfmjLi3EEEvNS_4cuda6detail10TensorInfoIKT_T0_EEjPjjS8_iijT1_PSB_Ps
	.globl	_ZN2at6native6mbtopk23computeBlockDigitCountsIfmjLi3EEEvNS_4cuda6detail10TensorInfoIKT_T0_EEjPjjS8_iijT1_PSB_Ps
	.p2align	8
	.type	_ZN2at6native6mbtopk23computeBlockDigitCountsIfmjLi3EEEvNS_4cuda6detail10TensorInfoIKT_T0_EEjPjjS8_iijT1_PSB_Ps,@function
_ZN2at6native6mbtopk23computeBlockDigitCountsIfmjLi3EEEvNS_4cuda6detail10TensorInfoIKT_T0_EEjPjjS8_iijT1_PSB_Ps: ; @_ZN2at6native6mbtopk23computeBlockDigitCountsIfmjLi3EEEvNS_4cuda6detail10TensorInfoIKT_T0_EEjPjjS8_iijT1_PSB_Ps
; %bb.0:
	s_load_dwordx4 s[0:3], s[4:5], 0x1c0
	s_load_dword s9, s[4:5], 0x1b0
	s_load_dwordx2 s[10:11], s[4:5], 0x1e0
	s_mov_b32 s21, 0
	s_waitcnt lgkmcnt(0)
	v_cvt_f32_u32_e32 v1, s2
	s_mul_i32 s8, s11, s8
	s_add_i32 s7, s8, s7
	v_rcp_iflag_f32_e32 v1, v1
	s_mul_i32 s24, s7, s10
	s_sub_i32 s11, 0, s2
	s_add_i32 s24, s24, s6
	v_mul_f32_e32 v1, 0x4f7ffffe, v1
	v_cvt_u32_f32_e32 v1, v1
	v_readfirstlane_b32 s6, v1
	s_mul_i32 s11, s11, s6
	s_mul_hi_u32 s7, s6, s11
	s_add_i32 s6, s6, s7
	s_mul_hi_u32 s6, s24, s6
	s_mul_i32 s7, s6, s2
	s_sub_i32 s7, s24, s7
	s_add_i32 s8, s6, 1
	s_sub_i32 s10, s7, s2
	s_cmp_ge_u32 s7, s2
	s_cselect_b32 s6, s8, s6
	s_cselect_b32 s7, s10, s7
	s_add_i32 s8, s6, 1
	s_cmp_ge_u32 s7, s2
	s_cselect_b32 s20, s8, s6
	s_cmp_ge_u32 s20, s9
	s_cbranch_scc1 .LBB196_25
; %bb.1:
	s_load_dwordx4 s[8:11], s[4:5], 0x1d0
	s_load_dwordx4 s[12:15], s[4:5], 0x10
	s_lshl_b64 s[16:17], s[20:21], 2
	s_mov_b64 s[6:7], 0
	s_waitcnt lgkmcnt(0)
	s_add_u32 s22, s8, s16
	v_mov_b32_e32 v1, s14
	v_mov_b32_e32 v2, s15
	v_cmp_lt_u64_e32 vcc, s[20:21], v[1:2]
	s_addc_u32 s23, s9, s17
	s_mov_b64 s[8:9], 0
	s_cbranch_vccnz .LBB196_3
; %bb.2:
	v_cvt_f32_u32_e32 v1, s14
	s_sub_i32 s7, 0, s14
	s_mov_b32 s9, 0
	v_rcp_iflag_f32_e32 v1, v1
	v_mul_f32_e32 v1, 0x4f7ffffe, v1
	v_cvt_u32_f32_e32 v1, v1
	v_readfirstlane_b32 s8, v1
	s_mul_i32 s7, s7, s8
	s_mul_hi_u32 s7, s8, s7
	s_add_i32 s8, s8, s7
	s_mul_hi_u32 s7, s20, s8
	s_mul_i32 s16, s7, s14
	s_sub_i32 s16, s20, s16
	s_add_i32 s8, s7, 1
	s_sub_i32 s17, s16, s14
	s_cmp_ge_u32 s16, s14
	s_cselect_b32 s7, s8, s7
	s_cselect_b32 s16, s17, s16
	s_add_i32 s8, s7, 1
	s_cmp_ge_u32 s16, s14
	s_cselect_b32 s8, s8, s7
.LBB196_3:
	v_mov_b32_e32 v1, s12
	v_mov_b32_e32 v2, s13
	v_cmp_lt_u64_e32 vcc, s[8:9], v[1:2]
	s_cbranch_vccnz .LBB196_5
; %bb.4:
	v_cvt_f32_u32_e32 v1, s12
	s_sub_i32 s6, 0, s12
	v_rcp_iflag_f32_e32 v1, v1
	v_mul_f32_e32 v1, 0x4f7ffffe, v1
	v_cvt_u32_f32_e32 v1, v1
	v_readfirstlane_b32 s7, v1
	s_mul_i32 s6, s6, s7
	s_mul_hi_u32 s6, s7, s6
	s_add_i32 s7, s7, s6
	s_mul_hi_u32 s6, s8, s7
	s_mul_i32 s16, s6, s12
	s_sub_i32 s16, s8, s16
	s_add_i32 s7, s6, 1
	s_sub_i32 s17, s16, s12
	s_cmp_ge_u32 s16, s12
	s_cselect_b32 s6, s7, s6
	s_cselect_b32 s16, s17, s16
	s_add_i32 s7, s6, 1
	s_cmp_ge_u32 s16, s12
	s_cselect_b32 s6, s7, s6
.LBB196_5:
	s_movk_i32 s7, 0x100
	v_cmp_gt_u32_e32 vcc, s7, v0
	v_lshlrev_b32_e32 v1, 2, v0
	s_and_saveexec_b64 s[16:17], vcc
; %bb.6:
	v_mov_b32_e32 v2, 0
	ds_write_b32 v1, v2
; %bb.7:
	s_or_b64 exec, exec, s[16:17]
	s_load_dword s21, s[4:5], 0x1a0
	s_mul_i32 s7, s20, s2
	s_sub_i32 s7, s24, s7
	s_add_i32 s18, s7, 1
	s_mul_i32 s7, s1, s7
	s_lshl_b32 s7, s7, 8
	s_waitcnt lgkmcnt(0)
	s_sub_i32 s16, s21, s7
	s_add_u32 s16, s16, 0xff
	s_addc_u32 s17, 0, 0
	s_lshr_b64 s[16:17], s[16:17], 8
	s_cmp_lt_u32 s18, s2
	s_cselect_b32 s25, s1, s16
	s_cmp_lt_i32 s25, 1
	s_mov_b32 s1, 0
	s_barrier
	s_cbranch_scc1 .LBB196_23
; %bb.8:
	s_load_dwordx2 s[26:27], s[4:5], 0xe0
	s_load_dwordx4 s[16:19], s[4:5], 0xd0
	s_load_dwordx2 s[28:29], s[4:5], 0x0
	s_load_dword s2, s[22:23], 0x0
	s_mul_i32 s15, s8, s15
	s_mul_hi_u32 s22, s8, s14
	s_add_i32 s22, s22, s15
	s_mul_i32 s14, s8, s14
	s_sub_u32 s14, s20, s14
	s_subb_u32 s15, 0, s22
	s_waitcnt lgkmcnt(0)
	s_mul_i32 s20, s14, s27
	s_mul_hi_u32 s22, s14, s26
	s_add_i32 s20, s22, s20
	s_mul_i32 s15, s15, s26
	s_add_i32 s15, s20, s15
	s_mul_i32 s13, s6, s13
	s_mul_hi_u32 s20, s6, s12
	s_add_i32 s20, s20, s13
	s_mul_i32 s12, s6, s12
	s_sub_u32 s8, s8, s12
	s_subb_u32 s9, s9, s20
	s_mul_i32 s12, s8, s19
	s_mul_hi_u32 s13, s8, s18
	s_add_i32 s12, s13, s12
	s_mul_i32 s9, s9, s18
	s_add_i32 s9, s12, s9
	s_mul_i32 s12, s6, s17
	s_mul_hi_u32 s13, s6, s16
	s_add_i32 s13, s13, s12
	s_mul_i32 s12, s6, s16
	s_lshl_b64 s[12:13], s[12:13], 2
	s_mul_i32 s8, s8, s18
	s_add_u32 s6, s28, s12
	s_addc_u32 s12, s29, s13
	s_lshl_b64 s[8:9], s[8:9], 2
	s_load_dwordx2 s[4:5], s[4:5], 0x1b8
	s_mul_i32 s14, s14, s26
	s_add_u32 s6, s6, s8
	s_addc_u32 s8, s12, s9
	s_lshl_b64 s[12:13], s[14:15], 2
	s_add_u32 s9, s6, s12
	s_addc_u32 s12, s8, s13
	s_and_b32 s8, s0, 0xff
	s_cmp_eq_u32 s25, 1
	v_add_u32_e32 v2, s7, v0
	s_cbranch_scc1 .LBB196_18
; %bb.9:
	s_and_b32 s13, s25, 0x7ffffffe
	s_mov_b32 s14, 0
	v_mov_b32_e32 v3, 1
	v_bfrev_b32_e32 v4, 1
	v_mov_b32_e32 v5, v2
	s_branch .LBB196_11
.LBB196_10:                             ;   in Loop: Header=BB196_11 Depth=1
	s_or_b64 exec, exec, s[6:7]
	s_add_i32 s14, s14, 2
	s_cmp_eq_u32 s13, s14
	v_add_u32_e32 v5, 0x200, v5
	s_cbranch_scc1 .LBB196_17
.LBB196_11:                             ; =>This Inner Loop Header: Depth=1
	v_cmp_gt_u32_e64 s[0:1], s21, v5
	s_and_saveexec_b64 s[6:7], s[0:1]
	s_cbranch_execz .LBB196_14
; %bb.12:                               ;   in Loop: Header=BB196_11 Depth=1
	s_waitcnt lgkmcnt(0)
	v_mad_u64_u32 v[6:7], s[0:1], s4, v5, 0
	v_mad_u64_u32 v[7:8], s[0:1], s5, v5, v[7:8]
	v_mov_b32_e32 v8, s12
	v_lshlrev_b64 v[6:7], 2, v[6:7]
	v_add_co_u32_e64 v6, s[0:1], s9, v6
	v_addc_co_u32_e64 v7, s[0:1], v8, v7, s[0:1]
	global_load_dword v6, v[6:7], off
	s_waitcnt vmcnt(0)
	v_cmp_lt_i32_e64 s[0:1], -1, v6
	v_cndmask_b32_e64 v7, -1, v4, s[0:1]
	v_xor_b32_e32 v7, v7, v6
	v_cmp_o_f32_e64 s[0:1], v6, v6
	v_cndmask_b32_e64 v6, -1, v7, s[0:1]
	v_xor_b32_e32 v7, s2, v6
	v_and_b32_e32 v7, s3, v7
	v_cmp_eq_u32_e64 s[0:1], 0, v7
	s_and_b64 exec, exec, s[0:1]
; %bb.13:                               ;   in Loop: Header=BB196_11 Depth=1
	v_bfe_u32 v6, v6, s8, 8
	v_lshlrev_b32_e32 v6, 2, v6
	ds_add_u32 v6, v3
.LBB196_14:                             ;   in Loop: Header=BB196_11 Depth=1
	s_or_b64 exec, exec, s[6:7]
	v_add_u32_e32 v6, 0x100, v5
	v_cmp_gt_u32_e64 s[0:1], s21, v6
	s_and_saveexec_b64 s[6:7], s[0:1]
	s_cbranch_execz .LBB196_10
; %bb.15:                               ;   in Loop: Header=BB196_11 Depth=1
	s_waitcnt lgkmcnt(0)
	v_mad_u64_u32 v[7:8], s[0:1], s4, v6, 0
	v_mad_u64_u32 v[8:9], s[0:1], s5, v6, v[8:9]
	v_mov_b32_e32 v9, s12
	v_lshlrev_b64 v[6:7], 2, v[7:8]
	v_add_co_u32_e64 v6, s[0:1], s9, v6
	v_addc_co_u32_e64 v7, s[0:1], v9, v7, s[0:1]
	global_load_dword v6, v[6:7], off
	s_waitcnt vmcnt(0)
	v_cmp_lt_i32_e64 s[0:1], -1, v6
	v_cndmask_b32_e64 v7, -1, v4, s[0:1]
	v_xor_b32_e32 v7, v7, v6
	v_cmp_o_f32_e64 s[0:1], v6, v6
	v_cndmask_b32_e64 v6, -1, v7, s[0:1]
	v_xor_b32_e32 v7, s2, v6
	v_and_b32_e32 v7, s3, v7
	v_cmp_eq_u32_e64 s[0:1], 0, v7
	s_and_b64 exec, exec, s[0:1]
	s_cbranch_execz .LBB196_10
; %bb.16:                               ;   in Loop: Header=BB196_11 Depth=1
	v_bfe_u32 v6, v6, s8, 8
	v_lshlrev_b32_e32 v6, 2, v6
	ds_add_u32 v6, v3
	s_branch .LBB196_10
.LBB196_17:
	s_lshl_b32 s1, s13, 8
.LBB196_18:
	s_bitcmp0_b32 s25, 0
	s_cbranch_scc1 .LBB196_23
; %bb.19:
	v_add_u32_e32 v2, s1, v2
	v_cmp_gt_u32_e64 s[0:1], s21, v2
	s_and_saveexec_b64 s[6:7], s[0:1]
	s_cbranch_execz .LBB196_22
; %bb.20:
	s_waitcnt lgkmcnt(0)
	v_mad_u64_u32 v[3:4], s[0:1], s4, v2, 0
	v_mad_u64_u32 v[4:5], s[0:1], s5, v2, v[4:5]
	v_mov_b32_e32 v5, s12
	v_lshlrev_b64 v[2:3], 2, v[3:4]
	v_add_co_u32_e64 v2, s[0:1], s9, v2
	v_addc_co_u32_e64 v3, s[0:1], v5, v3, s[0:1]
	global_load_dword v2, v[2:3], off
	v_bfrev_b32_e32 v3, 1
	s_waitcnt vmcnt(0)
	v_cmp_lt_i32_e64 s[0:1], -1, v2
	v_cndmask_b32_e64 v3, -1, v3, s[0:1]
	v_xor_b32_e32 v3, v3, v2
	v_cmp_o_f32_e64 s[0:1], v2, v2
	v_cndmask_b32_e64 v2, -1, v3, s[0:1]
	v_xor_b32_e32 v3, s2, v2
	v_and_b32_e32 v3, s3, v3
	v_cmp_eq_u32_e64 s[0:1], 0, v3
	s_and_b64 exec, exec, s[0:1]
; %bb.21:
	v_bfe_u32 v2, v2, s8, 8
	v_lshlrev_b32_e32 v2, 2, v2
	v_mov_b32_e32 v3, 1
	ds_add_u32 v2, v3
.LBB196_22:
	s_or_b64 exec, exec, s[6:7]
.LBB196_23:
	s_waitcnt lgkmcnt(0)
	s_barrier
	s_and_saveexec_b64 s[0:1], vcc
	s_cbranch_execz .LBB196_25
; %bb.24:
	v_lshl_or_b32 v2, s24, 8, v0
	v_mov_b32_e32 v3, 0
	ds_read_b32 v5, v1
	v_lshlrev_b64 v[2:3], 1, v[2:3]
	v_mov_b32_e32 v4, s11
	v_add_co_u32_e32 v0, vcc, s10, v2
	v_addc_co_u32_e32 v1, vcc, v4, v3, vcc
	s_waitcnt lgkmcnt(0)
	global_store_short v[0:1], v5, off
.LBB196_25:
	s_endpgm
	.section	.rodata,"a",@progbits
	.p2align	6, 0x0
	.amdhsa_kernel _ZN2at6native6mbtopk23computeBlockDigitCountsIfmjLi3EEEvNS_4cuda6detail10TensorInfoIKT_T0_EEjPjjS8_iijT1_PSB_Ps
		.amdhsa_group_segment_fixed_size 1024
		.amdhsa_private_segment_fixed_size 0
		.amdhsa_kernarg_size 736
		.amdhsa_user_sgpr_count 6
		.amdhsa_user_sgpr_private_segment_buffer 1
		.amdhsa_user_sgpr_dispatch_ptr 0
		.amdhsa_user_sgpr_queue_ptr 0
		.amdhsa_user_sgpr_kernarg_segment_ptr 1
		.amdhsa_user_sgpr_dispatch_id 0
		.amdhsa_user_sgpr_flat_scratch_init 0
		.amdhsa_user_sgpr_private_segment_size 0
		.amdhsa_uses_dynamic_stack 0
		.amdhsa_system_sgpr_private_segment_wavefront_offset 0
		.amdhsa_system_sgpr_workgroup_id_x 1
		.amdhsa_system_sgpr_workgroup_id_y 1
		.amdhsa_system_sgpr_workgroup_id_z 1
		.amdhsa_system_sgpr_workgroup_info 0
		.amdhsa_system_vgpr_workitem_id 0
		.amdhsa_next_free_vgpr 10
		.amdhsa_next_free_sgpr 30
		.amdhsa_reserve_vcc 1
		.amdhsa_reserve_flat_scratch 0
		.amdhsa_float_round_mode_32 0
		.amdhsa_float_round_mode_16_64 0
		.amdhsa_float_denorm_mode_32 3
		.amdhsa_float_denorm_mode_16_64 3
		.amdhsa_dx10_clamp 1
		.amdhsa_ieee_mode 1
		.amdhsa_fp16_overflow 0
		.amdhsa_exception_fp_ieee_invalid_op 0
		.amdhsa_exception_fp_denorm_src 0
		.amdhsa_exception_fp_ieee_div_zero 0
		.amdhsa_exception_fp_ieee_overflow 0
		.amdhsa_exception_fp_ieee_underflow 0
		.amdhsa_exception_fp_ieee_inexact 0
		.amdhsa_exception_int_div_zero 0
	.end_amdhsa_kernel
	.section	.text._ZN2at6native6mbtopk23computeBlockDigitCountsIfmjLi3EEEvNS_4cuda6detail10TensorInfoIKT_T0_EEjPjjS8_iijT1_PSB_Ps,"axG",@progbits,_ZN2at6native6mbtopk23computeBlockDigitCountsIfmjLi3EEEvNS_4cuda6detail10TensorInfoIKT_T0_EEjPjjS8_iijT1_PSB_Ps,comdat
.Lfunc_end196:
	.size	_ZN2at6native6mbtopk23computeBlockDigitCountsIfmjLi3EEEvNS_4cuda6detail10TensorInfoIKT_T0_EEjPjjS8_iijT1_PSB_Ps, .Lfunc_end196-_ZN2at6native6mbtopk23computeBlockDigitCountsIfmjLi3EEEvNS_4cuda6detail10TensorInfoIKT_T0_EEjPjjS8_iijT1_PSB_Ps
                                        ; -- End function
	.set _ZN2at6native6mbtopk23computeBlockDigitCountsIfmjLi3EEEvNS_4cuda6detail10TensorInfoIKT_T0_EEjPjjS8_iijT1_PSB_Ps.num_vgpr, 10
	.set _ZN2at6native6mbtopk23computeBlockDigitCountsIfmjLi3EEEvNS_4cuda6detail10TensorInfoIKT_T0_EEjPjjS8_iijT1_PSB_Ps.num_agpr, 0
	.set _ZN2at6native6mbtopk23computeBlockDigitCountsIfmjLi3EEEvNS_4cuda6detail10TensorInfoIKT_T0_EEjPjjS8_iijT1_PSB_Ps.numbered_sgpr, 30
	.set _ZN2at6native6mbtopk23computeBlockDigitCountsIfmjLi3EEEvNS_4cuda6detail10TensorInfoIKT_T0_EEjPjjS8_iijT1_PSB_Ps.num_named_barrier, 0
	.set _ZN2at6native6mbtopk23computeBlockDigitCountsIfmjLi3EEEvNS_4cuda6detail10TensorInfoIKT_T0_EEjPjjS8_iijT1_PSB_Ps.private_seg_size, 0
	.set _ZN2at6native6mbtopk23computeBlockDigitCountsIfmjLi3EEEvNS_4cuda6detail10TensorInfoIKT_T0_EEjPjjS8_iijT1_PSB_Ps.uses_vcc, 1
	.set _ZN2at6native6mbtopk23computeBlockDigitCountsIfmjLi3EEEvNS_4cuda6detail10TensorInfoIKT_T0_EEjPjjS8_iijT1_PSB_Ps.uses_flat_scratch, 0
	.set _ZN2at6native6mbtopk23computeBlockDigitCountsIfmjLi3EEEvNS_4cuda6detail10TensorInfoIKT_T0_EEjPjjS8_iijT1_PSB_Ps.has_dyn_sized_stack, 0
	.set _ZN2at6native6mbtopk23computeBlockDigitCountsIfmjLi3EEEvNS_4cuda6detail10TensorInfoIKT_T0_EEjPjjS8_iijT1_PSB_Ps.has_recursion, 0
	.set _ZN2at6native6mbtopk23computeBlockDigitCountsIfmjLi3EEEvNS_4cuda6detail10TensorInfoIKT_T0_EEjPjjS8_iijT1_PSB_Ps.has_indirect_call, 0
	.section	.AMDGPU.csdata,"",@progbits
; Kernel info:
; codeLenInByte = 1332
; TotalNumSgprs: 34
; NumVgprs: 10
; ScratchSize: 0
; MemoryBound: 0
; FloatMode: 240
; IeeeMode: 1
; LDSByteSize: 1024 bytes/workgroup (compile time only)
; SGPRBlocks: 4
; VGPRBlocks: 2
; NumSGPRsForWavesPerEU: 34
; NumVGPRsForWavesPerEU: 10
; Occupancy: 10
; WaveLimiterHint : 1
; COMPUTE_PGM_RSRC2:SCRATCH_EN: 0
; COMPUTE_PGM_RSRC2:USER_SGPR: 6
; COMPUTE_PGM_RSRC2:TRAP_HANDLER: 0
; COMPUTE_PGM_RSRC2:TGID_X_EN: 1
; COMPUTE_PGM_RSRC2:TGID_Y_EN: 1
; COMPUTE_PGM_RSRC2:TGID_Z_EN: 1
; COMPUTE_PGM_RSRC2:TIDIG_COMP_CNT: 0
	.section	.text._ZN2at6native6mbtopk10gatherTopKIfmLi3EEEvNS_4cuda6detail10TensorInfoIKT_T0_EES8_S8_bjS8_NS5_IS6_S8_EES8_NS5_IlS8_EES8_jjPS6_PjSD_j,"axG",@progbits,_ZN2at6native6mbtopk10gatherTopKIfmLi3EEEvNS_4cuda6detail10TensorInfoIKT_T0_EES8_S8_bjS8_NS5_IS6_S8_EES8_NS5_IlS8_EES8_jjPS6_PjSD_j,comdat
	.protected	_ZN2at6native6mbtopk10gatherTopKIfmLi3EEEvNS_4cuda6detail10TensorInfoIKT_T0_EES8_S8_bjS8_NS5_IS6_S8_EES8_NS5_IlS8_EES8_jjPS6_PjSD_j ; -- Begin function _ZN2at6native6mbtopk10gatherTopKIfmLi3EEEvNS_4cuda6detail10TensorInfoIKT_T0_EES8_S8_bjS8_NS5_IS6_S8_EES8_NS5_IlS8_EES8_jjPS6_PjSD_j
	.globl	_ZN2at6native6mbtopk10gatherTopKIfmLi3EEEvNS_4cuda6detail10TensorInfoIKT_T0_EES8_S8_bjS8_NS5_IS6_S8_EES8_NS5_IlS8_EES8_jjPS6_PjSD_j
	.p2align	8
	.type	_ZN2at6native6mbtopk10gatherTopKIfmLi3EEEvNS_4cuda6detail10TensorInfoIKT_T0_EES8_S8_bjS8_NS5_IS6_S8_EES8_NS5_IlS8_EES8_jjPS6_PjSD_j,@function
_ZN2at6native6mbtopk10gatherTopKIfmLi3EEEvNS_4cuda6detail10TensorInfoIKT_T0_EES8_S8_bjS8_NS5_IS6_S8_EES8_NS5_IlS8_EES8_jjPS6_PjSD_j: ; @_ZN2at6native6mbtopk10gatherTopKIfmLi3EEEvNS_4cuda6detail10TensorInfoIKT_T0_EES8_S8_bjS8_NS5_IS6_S8_EES8_NS5_IlS8_EES8_jjPS6_PjSD_j
; %bb.0:
	s_load_dwordx2 s[0:1], s[4:5], 0x538
	s_load_dword s2, s[4:5], 0x530
	s_waitcnt lgkmcnt(0)
	s_mul_i32 s1, s1, s8
	s_add_i32 s1, s1, s7
	s_mul_i32 s0, s1, s0
	s_add_i32 s0, s0, s6
	s_cmp_ge_u32 s0, s2
	s_cbranch_scc1 .LBB197_54
; %bb.1:
	s_load_dwordx2 s[34:35], s[4:5], 0x510
	s_load_dwordx4 s[8:11], s[4:5], 0x1a0
	s_load_dwordx4 s[12:15], s[4:5], 0x10
	s_mov_b32 s7, 0
	s_waitcnt lgkmcnt(0)
	v_cvt_f32_u32_e32 v1, s35
	s_sub_i32 s2, 0, s35
	s_lshl_b32 s1, s34, 8
	v_rcp_iflag_f32_e32 v1, v1
	v_mul_f32_e32 v1, 0x4f7ffffe, v1
	v_cvt_u32_f32_e32 v1, v1
	v_readfirstlane_b32 s3, v1
	s_mul_i32 s2, s2, s3
	s_mul_hi_u32 s2, s3, s2
	s_add_i32 s3, s3, s2
	s_mul_hi_u32 s2, s0, s3
	s_mul_i32 s3, s2, s35
	s_sub_i32 s3, s0, s3
	s_add_i32 s6, s2, 1
	s_sub_i32 s16, s3, s35
	s_cmp_ge_u32 s3, s35
	s_cselect_b32 s2, s6, s2
	s_cselect_b32 s3, s16, s3
	s_add_i32 s6, s2, 1
	s_cmp_ge_u32 s3, s35
	s_cselect_b32 s6, s6, s2
	s_mul_i32 s52, s6, s35
	s_sub_i32 s76, s0, s52
	s_add_i32 s0, s76, 1
	s_cmp_lt_u32 s0, s35
	s_mul_i32 s33, s76, s1
	s_cbranch_scc1 .LBB197_3
; %bb.2:
	s_sub_u32 s0, s8, s33
	s_subb_u32 s1, s9, 0
	s_add_u32 s0, s0, 0xff
	s_addc_u32 s1, s1, 0
	s_ashr_i32 s2, s1, 31
	s_lshr_b32 s2, s2, 24
	s_add_u32 s0, s0, s2
	s_addc_u32 s1, s1, 0
	s_lshr_b64 s[0:1], s[0:1], 8
	s_mov_b32 s34, s0
.LBB197_3:
	v_mov_b32_e32 v1, s14
	v_mov_b32_e32 v2, s15
	v_cmp_lt_u64_e32 vcc, s[6:7], v[1:2]
	s_mov_b64 s[50:51], 0
	s_mov_b64 s[48:49], 0
	s_cbranch_vccnz .LBB197_5
; %bb.4:
	v_cvt_f32_u32_e32 v1, s14
	s_sub_i32 s0, 0, s14
	s_mov_b32 s49, 0
	v_rcp_iflag_f32_e32 v1, v1
	v_mul_f32_e32 v1, 0x4f7ffffe, v1
	v_cvt_u32_f32_e32 v1, v1
	v_readfirstlane_b32 s1, v1
	s_mul_i32 s0, s0, s1
	s_mul_hi_u32 s0, s1, s0
	s_add_i32 s1, s1, s0
	s_mul_hi_u32 s0, s6, s1
	s_mul_i32 s2, s0, s14
	s_sub_i32 s2, s6, s2
	s_add_i32 s1, s0, 1
	s_sub_i32 s3, s2, s14
	s_cmp_ge_u32 s2, s14
	s_cselect_b32 s0, s1, s0
	s_cselect_b32 s2, s3, s2
	s_add_i32 s1, s0, 1
	s_cmp_ge_u32 s2, s14
	s_cselect_b32 s48, s1, s0
.LBB197_5:
	s_load_dwordx4 s[24:27], s[4:5], 0x1d0
	v_mov_b32_e32 v1, s12
	v_mov_b32_e32 v2, s13
	v_cmp_lt_u64_e32 vcc, s[48:49], v[1:2]
	s_cbranch_vccnz .LBB197_7
; %bb.6:
	v_cvt_f32_u32_e32 v1, s12
	s_sub_i32 s0, 0, s12
	v_rcp_iflag_f32_e32 v1, v1
	v_mul_f32_e32 v1, 0x4f7ffffe, v1
	v_cvt_u32_f32_e32 v1, v1
	v_readfirstlane_b32 s1, v1
	s_mul_i32 s0, s0, s1
	s_mul_hi_u32 s0, s1, s0
	s_add_i32 s1, s1, s0
	s_mul_hi_u32 s0, s48, s1
	s_mul_i32 s2, s0, s12
	s_sub_i32 s2, s48, s2
	s_add_i32 s1, s0, 1
	s_sub_i32 s3, s2, s12
	s_cmp_ge_u32 s2, s12
	s_cselect_b32 s0, s1, s0
	s_cselect_b32 s2, s3, s2
	s_add_i32 s1, s0, 1
	s_cmp_ge_u32 s2, s12
	s_cselect_b32 s50, s1, s0
.LBB197_7:
	s_waitcnt lgkmcnt(0)
	v_mov_b32_e32 v1, s26
	v_mov_b32_e32 v2, s27
	v_cmp_lt_u64_e32 vcc, s[6:7], v[1:2]
	s_mov_b64 s[56:57], 0
	s_mov_b64 s[54:55], 0
	s_cbranch_vccnz .LBB197_9
; %bb.8:
	v_cvt_f32_u32_e32 v1, s26
	s_sub_i32 s0, 0, s26
	s_mov_b32 s55, 0
	v_rcp_iflag_f32_e32 v1, v1
	v_mul_f32_e32 v1, 0x4f7ffffe, v1
	v_cvt_u32_f32_e32 v1, v1
	v_readfirstlane_b32 s1, v1
	s_mul_i32 s0, s0, s1
	s_mul_hi_u32 s0, s1, s0
	s_add_i32 s1, s1, s0
	s_mul_hi_u32 s0, s6, s1
	s_mul_i32 s2, s0, s26
	s_sub_i32 s2, s6, s2
	s_add_i32 s1, s0, 1
	s_sub_i32 s3, s2, s26
	s_cmp_ge_u32 s2, s26
	s_cselect_b32 s0, s1, s0
	s_cselect_b32 s2, s3, s2
	s_add_i32 s1, s0, 1
	s_cmp_ge_u32 s2, s26
	s_cselect_b32 s54, s1, s0
.LBB197_9:
	s_load_dwordx4 s[28:31], s[4:5], 0x378
	v_mov_b32_e32 v1, s24
	v_mov_b32_e32 v2, s25
	v_cmp_lt_u64_e32 vcc, s[54:55], v[1:2]
	s_cbranch_vccnz .LBB197_11
; %bb.10:
	v_cvt_f32_u32_e32 v1, s24
	s_sub_i32 s0, 0, s24
	v_rcp_iflag_f32_e32 v1, v1
	v_mul_f32_e32 v1, 0x4f7ffffe, v1
	v_cvt_u32_f32_e32 v1, v1
	v_readfirstlane_b32 s1, v1
	s_mul_i32 s0, s0, s1
	s_mul_hi_u32 s0, s1, s0
	s_add_i32 s1, s1, s0
	s_mul_hi_u32 s0, s54, s1
	s_mul_i32 s2, s0, s24
	s_sub_i32 s2, s54, s2
	s_add_i32 s1, s0, 1
	s_sub_i32 s3, s2, s24
	s_cmp_ge_u32 s2, s24
	s_cselect_b32 s0, s1, s0
	s_cselect_b32 s2, s3, s2
	s_add_i32 s1, s0, 1
	s_cmp_ge_u32 s2, s24
	s_cselect_b32 s56, s1, s0
.LBB197_11:
	s_waitcnt lgkmcnt(0)
	v_mov_b32_e32 v1, s30
	v_mov_b32_e32 v2, s31
	v_cmp_lt_u64_e32 vcc, s[6:7], v[1:2]
	s_mov_b64 s[58:59], 0
	s_mov_b64 s[60:61], 0
	s_cbranch_vccnz .LBB197_13
; %bb.12:
	v_cvt_f32_u32_e32 v1, s30
	s_sub_i32 s0, 0, s30
	s_mov_b32 s61, 0
	v_rcp_iflag_f32_e32 v1, v1
	v_mul_f32_e32 v1, 0x4f7ffffe, v1
	v_cvt_u32_f32_e32 v1, v1
	v_readfirstlane_b32 s1, v1
	s_mul_i32 s0, s0, s1
	s_mul_hi_u32 s0, s1, s0
	s_add_i32 s1, s1, s0
	s_mul_hi_u32 s0, s6, s1
	s_mul_i32 s2, s0, s30
	s_sub_i32 s2, s6, s2
	s_add_i32 s1, s0, 1
	s_sub_i32 s3, s2, s30
	s_cmp_ge_u32 s2, s30
	s_cselect_b32 s0, s1, s0
	s_cselect_b32 s2, s3, s2
	s_add_i32 s1, s0, 1
	s_cmp_ge_u32 s2, s30
	s_cselect_b32 s60, s1, s0
.LBB197_13:
	s_load_dwordx2 s[62:63], s[4:5], 0xe0
	s_load_dwordx4 s[40:43], s[4:5], 0xd0
	s_load_dwordx2 s[66:67], s[4:5], 0x2a0
	s_load_dwordx4 s[44:47], s[4:5], 0x290
	;; [unrolled: 2-line block ×3, first 2 shown]
	v_mov_b32_e32 v1, s28
	v_mov_b32_e32 v2, s29
	v_cmp_lt_u64_e32 vcc, s[60:61], v[1:2]
	s_cbranch_vccnz .LBB197_15
; %bb.14:
	v_cvt_f32_u32_e32 v1, s28
	s_sub_i32 s0, 0, s28
	v_rcp_iflag_f32_e32 v1, v1
	v_mul_f32_e32 v1, 0x4f7ffffe, v1
	v_cvt_u32_f32_e32 v1, v1
	v_readfirstlane_b32 s1, v1
	s_mul_i32 s0, s0, s1
	s_mul_hi_u32 s0, s1, s0
	s_add_i32 s1, s1, s0
	s_mul_hi_u32 s0, s60, s1
	s_mul_i32 s2, s0, s28
	s_sub_i32 s2, s60, s2
	s_add_i32 s1, s0, 1
	s_sub_i32 s3, s2, s28
	s_cmp_ge_u32 s2, s28
	s_cselect_b32 s0, s1, s0
	s_cselect_b32 s2, s3, s2
	s_add_i32 s1, s0, 1
	s_cmp_ge_u32 s2, s28
	s_cselect_b32 s58, s1, s0
.LBB197_15:
	s_load_dwordx4 s[16:19], s[4:5], 0x518
	s_load_dwordx2 s[64:65], s[4:5], 0x0
	s_lshl_b64 s[0:1], s[6:7], 2
	s_mov_b32 s53, 0
	v_cmp_eq_u32_e64 s[2:3], 0, v0
	s_waitcnt lgkmcnt(0)
	s_add_u32 s0, s16, s0
	s_addc_u32 s1, s17, s1
	s_load_dword s7, s[0:1], 0x0
	v_cmp_ne_u32_e64 s[0:1], 0, v0
	s_and_saveexec_b64 s[16:17], s[2:3]
	s_cbranch_execz .LBB197_31
; %bb.16:
	s_load_dwordx2 s[70:71], s[4:5], 0x528
	s_lshl_b64 s[72:73], s[52:53], 2
	s_add_u32 s20, s18, s72
	s_addc_u32 s21, s19, s73
	s_mov_b32 s51, 0
	s_waitcnt lgkmcnt(0)
	s_add_u32 s22, s70, s72
	s_addc_u32 s23, s71, s73
	s_mov_b32 s52, 0
	s_cmp_lt_u32 s35, 4
	s_cbranch_scc1 .LBB197_28
; %bb.17:
	s_mov_b32 s57, 0
.LBB197_18:                             ; =>This Inner Loop Header: Depth=1
	s_add_u32 s74, s18, s72
	s_addc_u32 s75, s19, s73
	s_load_dwordx4 s[20:23], s[74:75], 0x0
	s_add_u32 s74, s70, s72
	s_addc_u32 s75, s71, s73
	s_cmp_ge_u32 s57, s76
	s_cbranch_scc0 .LBB197_25
; %bb.19:                               ;   in Loop: Header=BB197_18 Depth=1
	s_add_i32 s59, s57, 1
	s_cmp_ge_u32 s59, s76
	s_cbranch_scc0 .LBB197_26
.LBB197_20:                             ;   in Loop: Header=BB197_18 Depth=1
	s_add_i32 s59, s59, 1
	s_cmp_ge_u32 s59, s76
	s_cbranch_scc0 .LBB197_27
.LBB197_21:                             ;   in Loop: Header=BB197_18 Depth=1
	s_add_i32 s59, s59, 1
	s_cmp_ge_u32 s59, s76
	s_cbranch_scc1 .LBB197_23
.LBB197_22:                             ;   in Loop: Header=BB197_18 Depth=1
	s_load_dword s74, s[74:75], 0xc
	s_waitcnt lgkmcnt(0)
	s_add_i32 s53, s53, s23
	s_add_i32 s51, s74, s51
.LBB197_23:                             ;   in Loop: Header=BB197_18 Depth=1
	s_waitcnt lgkmcnt(0)
	s_add_i32 s20, s20, s52
	s_add_i32 s20, s20, s21
	;; [unrolled: 1-line block ×4, first 2 shown]
	s_add_u32 s18, s18, 16
	s_addc_u32 s19, s19, 0
	s_add_u32 s70, s70, 16
	s_addc_u32 s71, s71, 0
	s_add_i32 s74, s59, 4
	s_add_u32 s22, s70, s72
	s_addc_u32 s23, s71, s73
	s_add_u32 s20, s18, s72
	s_addc_u32 s21, s19, s73
	s_add_i32 s59, s59, 1
	s_cmp_ge_u32 s74, s35
	s_cbranch_scc1 .LBB197_29
; %bb.24:                               ;   in Loop: Header=BB197_18 Depth=1
	s_mov_b32 s57, s59
	s_branch .LBB197_18
.LBB197_25:                             ;   in Loop: Header=BB197_18 Depth=1
	s_load_dword s59, s[74:75], 0x0
	s_waitcnt lgkmcnt(0)
	s_add_i32 s53, s20, s53
	s_add_i32 s51, s59, s51
	;; [unrolled: 1-line block ×3, first 2 shown]
	s_cmp_ge_u32 s59, s76
	s_cbranch_scc1 .LBB197_20
.LBB197_26:                             ;   in Loop: Header=BB197_18 Depth=1
	s_load_dword s77, s[74:75], 0x4
	s_waitcnt lgkmcnt(0)
	s_add_i32 s53, s53, s21
	s_add_i32 s51, s77, s51
	;; [unrolled: 1-line block ×3, first 2 shown]
	s_cmp_ge_u32 s59, s76
	s_cbranch_scc1 .LBB197_21
.LBB197_27:                             ;   in Loop: Header=BB197_18 Depth=1
	s_load_dword s77, s[74:75], 0x8
	s_waitcnt lgkmcnt(0)
	s_add_i32 s53, s53, s22
	s_add_i32 s51, s77, s51
	;; [unrolled: 1-line block ×3, first 2 shown]
	s_cmp_ge_u32 s59, s76
	s_cbranch_scc0 .LBB197_22
	s_branch .LBB197_23
.LBB197_28:
	s_mov_b32 s18, 0
	s_cmp_ge_u32 s18, s35
	s_cbranch_scc0 .LBB197_52
	s_branch .LBB197_30
.LBB197_29:
	s_add_i32 s18, s57, 4
	s_cmp_ge_u32 s18, s35
	s_cbranch_scc0 .LBB197_52
.LBB197_30:
	v_mov_b32_e32 v1, s51
	v_mov_b32_e32 v2, s52
	v_mov_b32_e32 v3, s53
	v_mov_b32_e32 v4, 0
	ds_write_b96 v4, v[1:3] offset:1056
.LBB197_31:
	s_or_b64 exec, exec, s[16:17]
	s_load_dwordx4 s[16:19], s[4:5], 0x1b8
	s_load_dwordx4 s[20:23], s[4:5], 0x360
	s_cmp_eq_u32 s34, 0
	s_waitcnt lgkmcnt(0)
	s_barrier
	s_cbranch_scc1 .LBB197_54
; %bb.32:
	s_mul_i32 s31, s60, s31
	s_mul_hi_u32 s35, s60, s30
	s_add_i32 s35, s35, s31
	s_mul_i32 s30, s60, s30
	s_sub_u32 s30, s6, s30
	s_subb_u32 s31, 0, s35
	s_mul_i32 s35, s30, s69
	s_mul_hi_u32 s51, s30, s68
	s_add_i32 s35, s51, s35
	s_mul_i32 s31, s31, s68
	s_add_i32 s31, s35, s31
	s_mul_i32 s25, s56, s25
	s_mul_hi_u32 s35, s56, s24
	s_add_i32 s35, s35, s25
	s_mul_i32 s24, s56, s24
	s_sub_u32 s24, s54, s24
	s_subb_u32 s25, s55, s35
	s_mul_i32 s47, s24, s47
	s_mul_hi_u32 s51, s24, s46
	s_mul_i32 s25, s25, s46
	s_mul_i32 s46, s24, s46
	s_add_i32 s24, s51, s47
	s_mul_i32 s35, s56, s45
	s_mul_hi_u32 s45, s56, s44
	s_add_i32 s47, s24, s25
	s_mul_i32 s24, s54, s27
	s_mul_hi_u32 s25, s54, s26
	s_add_i32 s45, s45, s35
	s_add_i32 s25, s25, s24
	s_mul_i32 s24, s54, s26
	s_sub_u32 s24, s6, s24
	s_subb_u32 s25, 0, s25
	s_mul_i32 s26, s24, s67
	s_mul_hi_u32 s27, s24, s66
	s_add_i32 s26, s27, s26
	s_mul_i32 s25, s25, s66
	s_add_i32 s27, s26, s25
	s_mul_i32 s26, s24, s66
	s_mul_i32 s13, s50, s13
	s_mul_hi_u32 s24, s50, s12
	s_add_i32 s24, s24, s13
	s_mul_i32 s12, s50, s12
	s_sub_u32 s12, s48, s12
	s_subb_u32 s13, s49, s24
	s_mul_i32 s24, s12, s43
	s_mul_hi_u32 s25, s12, s42
	s_add_i32 s24, s25, s24
	s_mul_i32 s13, s13, s42
	s_add_i32 s13, s24, s13
	s_mul_i32 s24, s50, s41
	s_mul_hi_u32 s25, s50, s40
	s_mul_i32 s15, s48, s15
	s_mul_hi_u32 s35, s48, s14
	s_add_i32 s25, s25, s24
	s_add_i32 s35, s35, s15
	s_mul_i32 s14, s48, s14
	s_sub_u32 s6, s6, s14
	s_subb_u32 s14, 0, s35
	s_mul_i32 s15, s6, s63
	s_mul_hi_u32 s35, s6, s62
	s_add_i32 s15, s35, s15
	s_mul_i32 s14, s14, s62
	s_add_i32 s15, s15, s14
	s_mul_i32 s14, s6, s62
	s_mul_i32 s6, s58, s29
	s_mul_hi_u32 s29, s58, s28
	s_add_i32 s29, s29, s6
	s_mul_i32 s6, s58, s28
	s_sub_u32 s6, s60, s6
	s_subb_u32 s28, s61, s29
	s_mul_i32 s29, s6, s39
	s_mul_hi_u32 s35, s6, s38
	s_add_i32 s29, s35, s29
	s_mul_i32 s28, s28, s38
	s_mul_i32 s24, s50, s40
	s_add_i32 s29, s29, s28
	s_mul_i32 s28, s6, s38
	s_mul_i32 s6, s58, s37
	s_mul_hi_u32 s35, s58, s36
	s_add_i32 s37, s35, s6
	s_lshl_b64 s[24:25], s[24:25], 2
	s_mul_i32 s12, s12, s42
	s_add_u32 s6, s64, s24
	s_addc_u32 s24, s65, s25
	s_lshl_b64 s[12:13], s[12:13], 2
	s_add_u32 s6, s6, s12
	s_addc_u32 s25, s24, s13
	s_lshl_b64 s[12:13], s[14:15], 2
	s_mul_i32 s44, s56, s44
	s_add_u32 s24, s6, s12
	s_addc_u32 s25, s25, s13
	s_lshl_b64 s[12:13], s[44:45], 2
	s_add_u32 s6, s18, s12
	s_addc_u32 s14, s19, s13
	s_lshl_b64 s[12:13], s[46:47], 2
	;; [unrolled: 3-line block ×3, first 2 shown]
	s_mul_i32 s36, s58, s36
	s_add_u32 s18, s6, s12
	s_addc_u32 s19, s14, s13
	s_lshl_b64 s[12:13], s[36:37], 3
	s_add_u32 s6, s22, s12
	s_addc_u32 s14, s23, s13
	s_lshl_b64 s[12:13], s[28:29], 3
	s_mul_i32 s30, s30, s68
	s_add_u32 s6, s6, s12
	s_addc_u32 s14, s14, s13
	s_lshl_b64 s[12:13], s[30:31], 3
	v_mov_b32_e32 v5, 0
	s_add_u32 s22, s6, s12
	ds_read_b96 v[1:3], v5 offset:1056
	s_addc_u32 s23, s14, s13
	s_cmp_gt_i32 s7, -1
	s_cselect_b32 s6, 0x80000000, -1
	v_cmp_o_f32_e64 s[12:13], s7, s7
	s_xor_b32 s14, s6, s7
	s_and_b64 s[6:7], s[12:13], exec
	s_waitcnt lgkmcnt(0)
	v_add_u32_e32 v1, v1, v2
	v_lshrrev_b32_e32 v2, 3, v0
	s_load_dword s6, s[4:5], 0x1b0
	s_load_dwordx2 s[12:13], s[4:5], 0x508
	v_and_b32_e32 v2, 28, v2
	v_lshl_add_u32 v8, v0, 2, v2
	v_lshrrev_b32_e32 v2, 1, v0
	v_and_b32_e32 v9, 0x7c, v2
	v_add_u32_e32 v2, -1, v0
	v_lshrrev_b32_e32 v4, 3, v2
	v_and_b32_e32 v4, 0x1ffffffc, v4
	s_cselect_b32 s26, s14, -1
	s_waitcnt lgkmcnt(0)
	s_bitcmp1_b32 s6, 0
	v_lshl_add_u32 v11, v2, 2, v4
	v_mbcnt_lo_u32_b32 v2, -1, 0
	s_cselect_b64 s[4:5], -1, 0
	v_cmp_gt_u32_e64 s[6:7], 64, v0
	v_lshlrev_b32_e32 v10, 4, v0
	v_add_u32_e32 v4, s33, v0
	v_bfrev_b32_e32 v0, 1
	v_mbcnt_hi_u32_b32 v12, -1, v2
                                        ; implicit-def: $vgpr13
	s_branch .LBB197_35
.LBB197_33:                             ;   in Loop: Header=BB197_35 Depth=1
	s_or_b64 exec, exec, s[14:15]
	v_add_u32_e32 v1, v2, v1
.LBB197_34:                             ;   in Loop: Header=BB197_35 Depth=1
	s_add_i32 s34, s34, -1
	v_add_u32_e32 v3, v14, v3
	s_cmp_lg_u32 s34, 0
	v_add_u32_e32 v4, 0x100, v4
	s_cbranch_scc0 .LBB197_54
.LBB197_35:                             ; =>This Inner Loop Header: Depth=1
	v_cmp_gt_u64_e32 vcc, s[8:9], v[4:5]
	v_mov_b32_e32 v2, v5
	v_mov_b32_e32 v6, v5
	s_and_saveexec_b64 s[14:15], vcc
	s_cbranch_execz .LBB197_37
; %bb.36:                               ;   in Loop: Header=BB197_35 Depth=1
	v_mad_u64_u32 v[6:7], s[28:29], s16, v4, 0
	v_mov_b32_e32 v2, v7
	v_mad_u64_u32 v[13:14], s[28:29], s17, v4, v[2:3]
	v_mov_b32_e32 v2, s25
	v_mov_b32_e32 v7, v13
	v_lshlrev_b64 v[6:7], 2, v[6:7]
	v_add_co_u32_e32 v6, vcc, s24, v6
	v_addc_co_u32_e32 v7, vcc, v2, v7, vcc
	global_load_dword v13, v[6:7], off
	s_waitcnt vmcnt(0)
	v_cmp_lt_i32_e32 vcc, -1, v13
	v_cndmask_b32_e32 v2, -1, v0, vcc
	v_xor_b32_e32 v2, v2, v13
	v_cmp_o_f32_e32 vcc, v13, v13
	v_cndmask_b32_e32 v6, -1, v2, vcc
	v_cmp_lt_u32_e32 vcc, s26, v6
	v_cndmask_b32_e64 v2, 0, 1, vcc
	v_cmp_gt_u32_e32 vcc, s26, v6
	v_cndmask_b32_e64 v7, 0, 1, vcc
	v_cndmask_b32_e64 v2, v7, v2, s[4:5]
	v_cmp_eq_u32_e32 vcc, s26, v6
	v_and_b32_e32 v2, 1, v2
	v_cndmask_b32_e64 v6, 0, 1, vcc
.LBB197_37:                             ;   in Loop: Header=BB197_35 Depth=1
	s_or_b64 exec, exec, s[14:15]
	ds_write_b32 v8, v2
	s_waitcnt vmcnt(0) lgkmcnt(0)
	s_barrier
	s_and_saveexec_b64 s[14:15], s[6:7]
	s_cbranch_execz .LBB197_39
; %bb.38:                               ;   in Loop: Header=BB197_35 Depth=1
	v_add_u32_e32 v7, v9, v10
	ds_read2_b32 v[14:15], v7 offset1:1
	ds_read2_b32 v[16:17], v7 offset0:2 offset1:3
	v_and_b32_e32 v18, 15, v12
	v_cmp_ne_u32_e32 vcc, 0, v18
	s_waitcnt lgkmcnt(1)
	v_add_u32_e32 v15, v15, v14
	s_waitcnt lgkmcnt(0)
	v_add3_u32 v15, v15, v16, v17
	v_bfe_i32 v17, v12, 4, 1
	; wave barrier
	s_nop 0
	v_mov_b32_dpp v16, v15 row_shr:1 row_mask:0xf bank_mask:0xf
	v_cndmask_b32_e32 v16, 0, v16, vcc
	v_add_u32_e32 v15, v16, v15
	v_cmp_lt_u32_e32 vcc, 1, v18
	s_nop 0
	v_mov_b32_dpp v16, v15 row_shr:2 row_mask:0xf bank_mask:0xf
	v_cndmask_b32_e32 v16, 0, v16, vcc
	v_add_u32_e32 v15, v15, v16
	v_cmp_lt_u32_e32 vcc, 3, v18
	;; [unrolled: 5-line block ×4, first 2 shown]
	s_nop 0
	v_mov_b32_dpp v16, v15 row_bcast:15 row_mask:0xf bank_mask:0xf
	v_and_b32_e32 v16, v17, v16
	v_add_u32_e32 v15, v15, v16
	v_and_b32_e32 v17, 64, v12
	s_nop 0
	v_mov_b32_dpp v16, v15 row_bcast:31 row_mask:0xf bank_mask:0xf
	v_cndmask_b32_e32 v16, 0, v16, vcc
	v_add_u32_e32 v15, v15, v16
	v_add_u32_e32 v16, -1, v12
	v_cmp_lt_i32_e32 vcc, v16, v17
	v_cndmask_b32_e32 v16, v16, v12, vcc
	v_lshlrev_b32_e32 v16, 2, v16
	ds_bpermute_b32 v15, v16, v15
	s_waitcnt lgkmcnt(0)
	v_add_u32_e32 v14, v15, v14
	v_cndmask_b32_e64 v16, v14, v2, s[2:3]
	ds_write_b32 v7, v16
	; wave barrier
	ds_read2_b32 v[14:15], v7 offset0:1 offset1:2
	ds_read_b32 v17, v7 offset:12
	s_waitcnt lgkmcnt(1)
	v_add_u32_e32 v14, v14, v16
	v_add_u32_e32 v15, v15, v14
	ds_write2_b32 v7, v14, v15 offset0:1 offset1:2
	s_waitcnt lgkmcnt(1)
	v_add_u32_e32 v14, v17, v15
	ds_write_b32 v7, v14 offset:12
.LBB197_39:                             ;   in Loop: Header=BB197_35 Depth=1
	s_or_b64 exec, exec, s[14:15]
	v_mov_b32_e32 v7, 0
	s_waitcnt lgkmcnt(0)
	s_barrier
	s_and_saveexec_b64 s[14:15], s[0:1]
; %bb.40:                               ;   in Loop: Header=BB197_35 Depth=1
	ds_read_b32 v7, v11
; %bb.41:                               ;   in Loop: Header=BB197_35 Depth=1
	s_or_b64 exec, exec, s[14:15]
	ds_read_b32 v14, v5 offset:1048
	v_cmp_ne_u32_e32 vcc, 0, v2
	s_waitcnt lgkmcnt(0)
	s_barrier
	s_and_saveexec_b64 s[14:15], vcc
	s_cbranch_execz .LBB197_43
; %bb.42:                               ;   in Loop: Header=BB197_35 Depth=1
	v_add_u32_e32 v7, v7, v3
	v_mad_u64_u32 v[15:16], s[28:29], s20, v7, 0
	v_mad_u64_u32 v[17:18], s[28:29], s12, v7, 0
	v_mov_b32_e32 v2, v16
	v_mad_u64_u32 v[19:20], s[28:29], s21, v7, v[2:3]
	v_mov_b32_e32 v2, v18
	v_mov_b32_e32 v20, s19
	;; [unrolled: 1-line block ×3, first 2 shown]
	v_lshlrev_b64 v[15:16], 2, v[15:16]
	v_mad_u64_u32 v[18:19], s[28:29], s13, v7, v[2:3]
	v_add_co_u32_e32 v15, vcc, s18, v15
	v_addc_co_u32_e32 v16, vcc, v20, v16, vcc
	global_store_dword v[15:16], v13, off
	v_lshlrev_b64 v[15:16], 3, v[17:18]
	v_mov_b32_e32 v2, s23
	v_add_co_u32_e32 v15, vcc, s22, v15
	v_addc_co_u32_e32 v16, vcc, v2, v16, vcc
	global_store_dwordx2 v[15:16], v[4:5], off
.LBB197_43:                             ;   in Loop: Header=BB197_35 Depth=1
	s_or_b64 exec, exec, s[14:15]
	v_mov_b32_e32 v2, v5
	v_cmp_le_u64_e32 vcc, s[10:11], v[1:2]
	s_cbranch_vccnz .LBB197_34
; %bb.44:                               ;   in Loop: Header=BB197_35 Depth=1
	ds_write_b32 v8, v6
	s_waitcnt vmcnt(0) lgkmcnt(0)
	s_barrier
	s_and_saveexec_b64 s[14:15], s[6:7]
	s_cbranch_execz .LBB197_46
; %bb.45:                               ;   in Loop: Header=BB197_35 Depth=1
	v_add_u32_e32 v2, v9, v10
	ds_read2_b32 v[15:16], v2 offset1:1
	ds_read2_b32 v[17:18], v2 offset0:2 offset1:3
	v_and_b32_e32 v7, 15, v12
	v_cmp_ne_u32_e32 vcc, 0, v7
	s_waitcnt lgkmcnt(1)
	v_add_u32_e32 v16, v16, v15
	s_waitcnt lgkmcnt(0)
	v_add3_u32 v16, v16, v17, v18
	; wave barrier
	s_nop 1
	v_mov_b32_dpp v17, v16 row_shr:1 row_mask:0xf bank_mask:0xf
	v_cndmask_b32_e32 v17, 0, v17, vcc
	v_add_u32_e32 v16, v17, v16
	v_cmp_lt_u32_e32 vcc, 1, v7
	s_nop 0
	v_mov_b32_dpp v17, v16 row_shr:2 row_mask:0xf bank_mask:0xf
	v_cndmask_b32_e32 v17, 0, v17, vcc
	v_add_u32_e32 v16, v16, v17
	v_cmp_lt_u32_e32 vcc, 3, v7
	s_nop 0
	v_mov_b32_dpp v17, v16 row_shr:4 row_mask:0xf bank_mask:0xf
	v_cndmask_b32_e32 v17, 0, v17, vcc
	v_add_u32_e32 v16, v16, v17
	v_cmp_lt_u32_e32 vcc, 7, v7
	s_nop 0
	v_mov_b32_dpp v17, v16 row_shr:8 row_mask:0xf bank_mask:0xf
	v_cndmask_b32_e32 v7, 0, v17, vcc
	v_add_u32_e32 v7, v16, v7
	v_bfe_i32 v17, v12, 4, 1
	v_cmp_lt_u32_e32 vcc, 31, v12
	v_mov_b32_dpp v16, v7 row_bcast:15 row_mask:0xf bank_mask:0xf
	v_and_b32_e32 v16, v17, v16
	v_add_u32_e32 v7, v7, v16
	v_and_b32_e32 v17, 64, v12
	s_nop 0
	v_mov_b32_dpp v16, v7 row_bcast:31 row_mask:0xf bank_mask:0xf
	v_cndmask_b32_e32 v16, 0, v16, vcc
	v_add_u32_e32 v7, v7, v16
	v_add_u32_e32 v16, -1, v12
	v_cmp_lt_i32_e32 vcc, v16, v17
	v_cndmask_b32_e32 v16, v16, v12, vcc
	v_lshlrev_b32_e32 v16, 2, v16
	ds_bpermute_b32 v7, v16, v7
	s_waitcnt lgkmcnt(0)
	v_add_u32_e32 v7, v7, v15
	v_cndmask_b32_e64 v7, v7, v6, s[2:3]
	ds_write_b32 v2, v7
	; wave barrier
	ds_read2_b32 v[15:16], v2 offset0:1 offset1:2
	ds_read_b32 v17, v2 offset:12
	s_waitcnt lgkmcnt(1)
	v_add_u32_e32 v7, v15, v7
	v_add_u32_e32 v15, v16, v7
	ds_write2_b32 v2, v7, v15 offset0:1 offset1:2
	s_waitcnt lgkmcnt(1)
	v_add_u32_e32 v7, v17, v15
	ds_write_b32 v2, v7 offset:12
.LBB197_46:                             ;   in Loop: Header=BB197_35 Depth=1
	s_or_b64 exec, exec, s[14:15]
	v_mov_b32_e32 v7, 0
	s_waitcnt lgkmcnt(0)
	s_barrier
	s_and_saveexec_b64 s[14:15], s[0:1]
; %bb.47:                               ;   in Loop: Header=BB197_35 Depth=1
	ds_read_b32 v7, v11
; %bb.48:                               ;   in Loop: Header=BB197_35 Depth=1
	s_or_b64 exec, exec, s[14:15]
	ds_read_b32 v2, v5 offset:1048
	v_cmp_ne_u32_e32 vcc, 0, v6
	s_waitcnt lgkmcnt(0)
	s_barrier
	s_and_saveexec_b64 s[14:15], vcc
	s_cbranch_execz .LBB197_33
; %bb.49:                               ;   in Loop: Header=BB197_35 Depth=1
	v_add_u32_e32 v6, v7, v1
	v_mov_b32_e32 v7, v5
	v_cmp_gt_u64_e32 vcc, s[10:11], v[6:7]
	s_and_b64 exec, exec, vcc
	s_cbranch_execz .LBB197_33
; %bb.50:                               ;   in Loop: Header=BB197_35 Depth=1
	v_mad_u64_u32 v[15:16], s[28:29], s20, v6, 0
	v_mad_u64_u32 v[17:18], s[28:29], s12, v6, 0
	v_mov_b32_e32 v7, v16
	v_mad_u64_u32 v[19:20], s[28:29], s21, v6, v[7:8]
	v_mov_b32_e32 v7, v18
	v_mad_u64_u32 v[6:7], s[28:29], s13, v6, v[7:8]
	v_mov_b32_e32 v16, v19
	v_lshlrev_b64 v[15:16], 2, v[15:16]
	v_mov_b32_e32 v18, v6
	v_mov_b32_e32 v20, s19
	v_add_co_u32_e32 v15, vcc, s18, v15
	v_lshlrev_b64 v[6:7], 3, v[17:18]
	v_addc_co_u32_e32 v16, vcc, v20, v16, vcc
	global_store_dword v[15:16], v13, off
	v_mov_b32_e32 v15, s23
	v_add_co_u32_e32 v6, vcc, s22, v6
	v_addc_co_u32_e32 v7, vcc, v15, v7, vcc
	global_store_dwordx2 v[6:7], v[4:5], off
	s_branch .LBB197_33
.LBB197_51:                             ;   in Loop: Header=BB197_52 Depth=1
	s_add_u32 s20, s20, 4
	s_addc_u32 s21, s21, 0
	s_waitcnt lgkmcnt(0)
	s_add_i32 s52, s19, s52
	s_add_u32 s22, s22, 4
	s_addc_u32 s23, s23, 0
	s_add_i32 s18, s18, 1
	s_cmp_lt_u32 s18, s35
	s_cbranch_scc0 .LBB197_30
.LBB197_52:                             ; =>This Inner Loop Header: Depth=1
	s_load_dword s19, s[20:21], 0x0
	s_cmp_ge_u32 s18, s76
	s_cbranch_scc1 .LBB197_51
; %bb.53:                               ;   in Loop: Header=BB197_52 Depth=1
	s_load_dword s57, s[22:23], 0x0
	s_waitcnt lgkmcnt(0)
	s_add_i32 s53, s19, s53
	s_add_i32 s51, s57, s51
	s_branch .LBB197_51
.LBB197_54:
	s_endpgm
	.section	.rodata,"a",@progbits
	.p2align	6, 0x0
	.amdhsa_kernel _ZN2at6native6mbtopk10gatherTopKIfmLi3EEEvNS_4cuda6detail10TensorInfoIKT_T0_EES8_S8_bjS8_NS5_IS6_S8_EES8_NS5_IlS8_EES8_jjPS6_PjSD_j
		.amdhsa_group_segment_fixed_size 1068
		.amdhsa_private_segment_fixed_size 0
		.amdhsa_kernarg_size 1592
		.amdhsa_user_sgpr_count 6
		.amdhsa_user_sgpr_private_segment_buffer 1
		.amdhsa_user_sgpr_dispatch_ptr 0
		.amdhsa_user_sgpr_queue_ptr 0
		.amdhsa_user_sgpr_kernarg_segment_ptr 1
		.amdhsa_user_sgpr_dispatch_id 0
		.amdhsa_user_sgpr_flat_scratch_init 0
		.amdhsa_user_sgpr_private_segment_size 0
		.amdhsa_uses_dynamic_stack 0
		.amdhsa_system_sgpr_private_segment_wavefront_offset 0
		.amdhsa_system_sgpr_workgroup_id_x 1
		.amdhsa_system_sgpr_workgroup_id_y 1
		.amdhsa_system_sgpr_workgroup_id_z 1
		.amdhsa_system_sgpr_workgroup_info 0
		.amdhsa_system_vgpr_workitem_id 0
		.amdhsa_next_free_vgpr 21
		.amdhsa_next_free_sgpr 78
		.amdhsa_reserve_vcc 1
		.amdhsa_reserve_flat_scratch 0
		.amdhsa_float_round_mode_32 0
		.amdhsa_float_round_mode_16_64 0
		.amdhsa_float_denorm_mode_32 3
		.amdhsa_float_denorm_mode_16_64 3
		.amdhsa_dx10_clamp 1
		.amdhsa_ieee_mode 1
		.amdhsa_fp16_overflow 0
		.amdhsa_exception_fp_ieee_invalid_op 0
		.amdhsa_exception_fp_denorm_src 0
		.amdhsa_exception_fp_ieee_div_zero 0
		.amdhsa_exception_fp_ieee_overflow 0
		.amdhsa_exception_fp_ieee_underflow 0
		.amdhsa_exception_fp_ieee_inexact 0
		.amdhsa_exception_int_div_zero 0
	.end_amdhsa_kernel
	.section	.text._ZN2at6native6mbtopk10gatherTopKIfmLi3EEEvNS_4cuda6detail10TensorInfoIKT_T0_EES8_S8_bjS8_NS5_IS6_S8_EES8_NS5_IlS8_EES8_jjPS6_PjSD_j,"axG",@progbits,_ZN2at6native6mbtopk10gatherTopKIfmLi3EEEvNS_4cuda6detail10TensorInfoIKT_T0_EES8_S8_bjS8_NS5_IS6_S8_EES8_NS5_IlS8_EES8_jjPS6_PjSD_j,comdat
.Lfunc_end197:
	.size	_ZN2at6native6mbtopk10gatherTopKIfmLi3EEEvNS_4cuda6detail10TensorInfoIKT_T0_EES8_S8_bjS8_NS5_IS6_S8_EES8_NS5_IlS8_EES8_jjPS6_PjSD_j, .Lfunc_end197-_ZN2at6native6mbtopk10gatherTopKIfmLi3EEEvNS_4cuda6detail10TensorInfoIKT_T0_EES8_S8_bjS8_NS5_IS6_S8_EES8_NS5_IlS8_EES8_jjPS6_PjSD_j
                                        ; -- End function
	.set _ZN2at6native6mbtopk10gatherTopKIfmLi3EEEvNS_4cuda6detail10TensorInfoIKT_T0_EES8_S8_bjS8_NS5_IS6_S8_EES8_NS5_IlS8_EES8_jjPS6_PjSD_j.num_vgpr, 21
	.set _ZN2at6native6mbtopk10gatherTopKIfmLi3EEEvNS_4cuda6detail10TensorInfoIKT_T0_EES8_S8_bjS8_NS5_IS6_S8_EES8_NS5_IlS8_EES8_jjPS6_PjSD_j.num_agpr, 0
	.set _ZN2at6native6mbtopk10gatherTopKIfmLi3EEEvNS_4cuda6detail10TensorInfoIKT_T0_EES8_S8_bjS8_NS5_IS6_S8_EES8_NS5_IlS8_EES8_jjPS6_PjSD_j.numbered_sgpr, 78
	.set _ZN2at6native6mbtopk10gatherTopKIfmLi3EEEvNS_4cuda6detail10TensorInfoIKT_T0_EES8_S8_bjS8_NS5_IS6_S8_EES8_NS5_IlS8_EES8_jjPS6_PjSD_j.num_named_barrier, 0
	.set _ZN2at6native6mbtopk10gatherTopKIfmLi3EEEvNS_4cuda6detail10TensorInfoIKT_T0_EES8_S8_bjS8_NS5_IS6_S8_EES8_NS5_IlS8_EES8_jjPS6_PjSD_j.private_seg_size, 0
	.set _ZN2at6native6mbtopk10gatherTopKIfmLi3EEEvNS_4cuda6detail10TensorInfoIKT_T0_EES8_S8_bjS8_NS5_IS6_S8_EES8_NS5_IlS8_EES8_jjPS6_PjSD_j.uses_vcc, 1
	.set _ZN2at6native6mbtopk10gatherTopKIfmLi3EEEvNS_4cuda6detail10TensorInfoIKT_T0_EES8_S8_bjS8_NS5_IS6_S8_EES8_NS5_IlS8_EES8_jjPS6_PjSD_j.uses_flat_scratch, 0
	.set _ZN2at6native6mbtopk10gatherTopKIfmLi3EEEvNS_4cuda6detail10TensorInfoIKT_T0_EES8_S8_bjS8_NS5_IS6_S8_EES8_NS5_IlS8_EES8_jjPS6_PjSD_j.has_dyn_sized_stack, 0
	.set _ZN2at6native6mbtopk10gatherTopKIfmLi3EEEvNS_4cuda6detail10TensorInfoIKT_T0_EES8_S8_bjS8_NS5_IS6_S8_EES8_NS5_IlS8_EES8_jjPS6_PjSD_j.has_recursion, 0
	.set _ZN2at6native6mbtopk10gatherTopKIfmLi3EEEvNS_4cuda6detail10TensorInfoIKT_T0_EES8_S8_bjS8_NS5_IS6_S8_EES8_NS5_IlS8_EES8_jjPS6_PjSD_j.has_indirect_call, 0
	.section	.AMDGPU.csdata,"",@progbits
; Kernel info:
; codeLenInByte = 3292
; TotalNumSgprs: 82
; NumVgprs: 21
; ScratchSize: 0
; MemoryBound: 0
; FloatMode: 240
; IeeeMode: 1
; LDSByteSize: 1068 bytes/workgroup (compile time only)
; SGPRBlocks: 10
; VGPRBlocks: 5
; NumSGPRsForWavesPerEU: 82
; NumVGPRsForWavesPerEU: 21
; Occupancy: 9
; WaveLimiterHint : 1
; COMPUTE_PGM_RSRC2:SCRATCH_EN: 0
; COMPUTE_PGM_RSRC2:USER_SGPR: 6
; COMPUTE_PGM_RSRC2:TRAP_HANDLER: 0
; COMPUTE_PGM_RSRC2:TGID_X_EN: 1
; COMPUTE_PGM_RSRC2:TGID_Y_EN: 1
; COMPUTE_PGM_RSRC2:TGID_Z_EN: 1
; COMPUTE_PGM_RSRC2:TIDIG_COMP_CNT: 0
	.section	.text._ZN2at6native6sbtopk10gatherTopKIfmLi3ELb0EEEvNS_4cuda6detail10TensorInfoIKT_T0_EES8_S8_bS8_S8_NS5_IS6_S8_EES8_NS5_IlS8_EES8_PS6_,"axG",@progbits,_ZN2at6native6sbtopk10gatherTopKIfmLi3ELb0EEEvNS_4cuda6detail10TensorInfoIKT_T0_EES8_S8_bS8_S8_NS5_IS6_S8_EES8_NS5_IlS8_EES8_PS6_,comdat
	.protected	_ZN2at6native6sbtopk10gatherTopKIfmLi3ELb0EEEvNS_4cuda6detail10TensorInfoIKT_T0_EES8_S8_bS8_S8_NS5_IS6_S8_EES8_NS5_IlS8_EES8_PS6_ ; -- Begin function _ZN2at6native6sbtopk10gatherTopKIfmLi3ELb0EEEvNS_4cuda6detail10TensorInfoIKT_T0_EES8_S8_bS8_S8_NS5_IS6_S8_EES8_NS5_IlS8_EES8_PS6_
	.globl	_ZN2at6native6sbtopk10gatherTopKIfmLi3ELb0EEEvNS_4cuda6detail10TensorInfoIKT_T0_EES8_S8_bS8_S8_NS5_IS6_S8_EES8_NS5_IlS8_EES8_PS6_
	.p2align	8
	.type	_ZN2at6native6sbtopk10gatherTopKIfmLi3ELb0EEEvNS_4cuda6detail10TensorInfoIKT_T0_EES8_S8_bS8_S8_NS5_IS6_S8_EES8_NS5_IlS8_EES8_PS6_,@function
_ZN2at6native6sbtopk10gatherTopKIfmLi3ELb0EEEvNS_4cuda6detail10TensorInfoIKT_T0_EES8_S8_bS8_S8_NS5_IS6_S8_EES8_NS5_IlS8_EES8_PS6_: ; @_ZN2at6native6sbtopk10gatherTopKIfmLi3ELb0EEEvNS_4cuda6detail10TensorInfoIKT_T0_EES8_S8_bS8_S8_NS5_IS6_S8_EES8_NS5_IlS8_EES8_PS6_
; %bb.0:
	s_load_dwordx2 s[18:19], s[4:5], 0x520
	s_load_dwordx4 s[56:59], s[4:5], 0x1b8
	s_mov_b64 s[26:27], s[4:5]
	s_add_u32 s16, s26, 0x520
	s_addc_u32 s17, s27, 0
	s_waitcnt lgkmcnt(0)
	s_mul_i32 s0, s19, s8
	s_add_i32 s0, s0, s7
	s_mul_i32 s0, s0, s18
	s_add_i32 s28, s0, s6
	s_mov_b32 s29, 0
	v_mov_b32_e32 v1, s28
	v_mov_b32_e32 v2, s29
	v_cmp_le_u64_e32 vcc, s[56:57], v[1:2]
	s_cbranch_vccnz .LBB198_496
; %bb.1:
	s_load_dwordx4 s[0:3], s[26:27], 0x10
	s_mov_b64 s[8:9], 0
	s_mov_b64 s[4:5], 0
	s_waitcnt lgkmcnt(0)
	v_mov_b32_e32 v1, s2
	v_mov_b32_e32 v2, s3
	v_cmp_lt_u64_e32 vcc, s[28:29], v[1:2]
	s_cbranch_vccnz .LBB198_3
; %bb.2:
	v_cvt_f32_u32_e32 v1, s2
	s_sub_i32 s4, 0, s2
	s_mov_b32 s5, 0
	v_rcp_iflag_f32_e32 v1, v1
	v_mul_f32_e32 v1, 0x4f7ffffe, v1
	v_cvt_u32_f32_e32 v1, v1
	v_readfirstlane_b32 s7, v1
	s_mul_i32 s4, s4, s7
	s_mul_hi_u32 s4, s7, s4
	s_add_i32 s7, s7, s4
	s_mul_hi_u32 s4, s28, s7
	s_mul_i32 s9, s4, s2
	s_sub_i32 s9, s28, s9
	s_add_i32 s7, s4, 1
	s_sub_i32 s10, s9, s2
	s_cmp_ge_u32 s9, s2
	s_cselect_b32 s4, s7, s4
	s_cselect_b32 s9, s10, s9
	s_add_i32 s7, s4, 1
	s_cmp_ge_u32 s9, s2
	s_cselect_b32 s4, s7, s4
.LBB198_3:
	s_load_dwordx4 s[12:15], s[26:27], 0x1d8
	v_mov_b32_e32 v2, s1
	v_mov_b32_e32 v1, s0
	v_cmp_lt_u64_e32 vcc, s[4:5], v[1:2]
	s_cbranch_vccnz .LBB198_5
; %bb.4:
	v_cvt_f32_u32_e32 v1, s0
	s_sub_i32 s7, 0, s0
	v_rcp_iflag_f32_e32 v1, v1
	v_mul_f32_e32 v1, 0x4f7ffffe, v1
	v_cvt_u32_f32_e32 v1, v1
	v_readfirstlane_b32 s8, v1
	s_mul_i32 s7, s7, s8
	s_mul_hi_u32 s7, s8, s7
	s_add_i32 s8, s8, s7
	s_mul_hi_u32 s7, s4, s8
	s_mul_i32 s9, s7, s0
	s_sub_i32 s9, s4, s9
	s_add_i32 s8, s7, 1
	s_sub_i32 s10, s9, s0
	s_cmp_ge_u32 s9, s0
	s_cselect_b32 s7, s8, s7
	s_cselect_b32 s9, s10, s9
	s_add_i32 s8, s7, 1
	s_cmp_ge_u32 s9, s0
	s_cselect_b32 s8, s8, s7
.LBB198_5:
	s_waitcnt lgkmcnt(0)
	v_mov_b32_e32 v1, s14
	v_mov_b32_e32 v2, s15
	v_cmp_lt_u64_e32 vcc, s[28:29], v[1:2]
	s_mov_b64 s[10:11], 0
                                        ; implicit-def: $vgpr49 : SGPR spill to VGPR lane
	v_writelane_b32 v49, s10, 0
	s_mov_b64 s[20:21], 0
	v_writelane_b32 v49, s11, 1
	s_cbranch_vccnz .LBB198_7
; %bb.6:
	v_cvt_f32_u32_e32 v1, s14
	s_sub_i32 s7, 0, s14
	s_mov_b32 s21, 0
	v_rcp_iflag_f32_e32 v1, v1
	v_mul_f32_e32 v1, 0x4f7ffffe, v1
	v_cvt_u32_f32_e32 v1, v1
	v_readfirstlane_b32 s9, v1
	s_mul_i32 s7, s7, s9
	s_mul_hi_u32 s7, s9, s7
	s_add_i32 s9, s9, s7
	s_mul_hi_u32 s7, s28, s9
	s_mul_i32 s10, s7, s14
	s_sub_i32 s10, s28, s10
	s_add_i32 s9, s7, 1
	s_sub_i32 s11, s10, s14
	s_cmp_ge_u32 s10, s14
	s_cselect_b32 s7, s9, s7
	s_cselect_b32 s10, s11, s10
	s_add_i32 s9, s7, 1
	s_cmp_ge_u32 s10, s14
	s_cselect_b32 s20, s9, s7
.LBB198_7:
	s_load_dwordx4 s[36:39], s[26:27], 0x380
	v_mov_b32_e32 v1, s12
	v_mov_b32_e32 v2, s13
	v_cmp_lt_u64_e32 vcc, s[20:21], v[1:2]
	s_cbranch_vccnz .LBB198_9
; %bb.8:
	v_cvt_f32_u32_e32 v1, s12
	s_sub_i32 s7, 0, s12
	v_rcp_iflag_f32_e32 v1, v1
	v_mul_f32_e32 v1, 0x4f7ffffe, v1
	v_cvt_u32_f32_e32 v1, v1
	v_readfirstlane_b32 s9, v1
	s_mul_i32 s7, s7, s9
	s_mul_hi_u32 s7, s9, s7
	s_add_i32 s9, s9, s7
	s_mul_hi_u32 s7, s20, s9
	s_mul_i32 s10, s7, s12
	s_sub_i32 s10, s20, s10
	s_add_i32 s9, s7, 1
	s_sub_i32 s11, s10, s12
	s_cmp_ge_u32 s10, s12
	s_cselect_b32 s7, s9, s7
	s_cselect_b32 s10, s11, s10
	s_add_i32 s9, s7, 1
	s_cmp_ge_u32 s10, s12
	s_cselect_b32 s10, s9, s7
	v_writelane_b32 v49, s10, 0
	v_writelane_b32 v49, s11, 1
.LBB198_9:
	v_writelane_b32 v49, s20, 2
	v_writelane_b32 v49, s21, 3
	;; [unrolled: 1-line block ×6, first 2 shown]
	s_load_dwordx2 s[10:11], s[26:27], 0xe0
	s_load_dwordx4 s[12:15], s[26:27], 0xd0
	s_waitcnt lgkmcnt(0)
	v_mov_b32_e32 v1, s38
	v_mov_b32_e32 v2, s39
	v_cmp_lt_u64_e32 vcc, s[28:29], v[1:2]
	s_mov_b64 s[20:21], 0
	v_writelane_b32 v49, s20, 8
	s_mov_b64 s[22:23], 0
	v_writelane_b32 v49, s21, 9
	s_cbranch_vccnz .LBB198_11
; %bb.10:
	v_cvt_f32_u32_e32 v1, s38
	s_sub_i32 s7, 0, s38
	s_mov_b32 s23, 0
	v_rcp_iflag_f32_e32 v1, v1
	v_mul_f32_e32 v1, 0x4f7ffffe, v1
	v_cvt_u32_f32_e32 v1, v1
	v_readfirstlane_b32 s9, v1
	s_mul_i32 s7, s7, s9
	s_mul_hi_u32 s7, s9, s7
	s_add_i32 s9, s9, s7
	s_mul_hi_u32 s7, s28, s9
	s_mul_i32 s19, s7, s38
	s_sub_i32 s19, s28, s19
	s_add_i32 s9, s7, 1
	s_sub_i32 s20, s19, s38
	s_cmp_ge_u32 s19, s38
	s_cselect_b32 s7, s9, s7
	s_cselect_b32 s19, s20, s19
	s_add_i32 s9, s7, 1
	s_cmp_ge_u32 s19, s38
	s_cselect_b32 s22, s9, s7
.LBB198_11:
	s_load_dwordx2 s[20:21], s[26:27], 0x450
	s_load_dwordx4 s[40:43], s[26:27], 0x440
	v_mov_b32_e32 v1, s36
	v_mov_b32_e32 v2, s37
	s_waitcnt lgkmcnt(0)
	v_writelane_b32 v49, s20, 10
	v_writelane_b32 v49, s21, 11
	s_load_dwordx2 s[20:21], s[26:27], 0x2a8
	v_writelane_b32 v49, s40, 12
	v_writelane_b32 v49, s41, 13
	;; [unrolled: 1-line block ×4, first 2 shown]
	s_load_dwordx4 s[40:43], s[26:27], 0x298
	s_waitcnt lgkmcnt(0)
	v_writelane_b32 v49, s20, 16
	v_writelane_b32 v49, s21, 17
	s_load_dwordx2 s[20:21], s[26:27], 0x0
	v_writelane_b32 v49, s40, 18
	v_writelane_b32 v49, s41, 19
	;; [unrolled: 1-line block ×5, first 2 shown]
	v_cmp_lt_u64_e32 vcc, s[22:23], v[1:2]
	v_writelane_b32 v49, s23, 23
	s_cbranch_vccnz .LBB198_13
; %bb.12:
	v_cvt_f32_u32_e32 v1, s36
	s_sub_i32 s7, 0, s36
	v_readlane_b32 s22, v49, 22
	v_readlane_b32 s23, v49, 23
	v_rcp_iflag_f32_e32 v1, v1
	v_mul_f32_e32 v1, 0x4f7ffffe, v1
	v_cvt_u32_f32_e32 v1, v1
	v_readfirstlane_b32 s9, v1
	s_mul_i32 s7, s7, s9
	s_mul_hi_u32 s7, s9, s7
	s_add_i32 s9, s9, s7
	s_mul_hi_u32 s7, s22, s9
	s_mul_i32 s19, s7, s36
	s_sub_i32 s19, s22, s19
	s_add_i32 s9, s7, 1
	s_sub_i32 s22, s19, s36
	s_cmp_ge_u32 s19, s36
	s_cselect_b32 s7, s9, s7
	s_cselect_b32 s19, s22, s19
	s_add_i32 s9, s7, 1
	s_cmp_ge_u32 s19, s36
	s_cselect_b32 s22, s9, s7
	v_writelane_b32 v49, s22, 8
	v_writelane_b32 v49, s23, 9
.LBB198_13:
	s_load_dwordx2 s[22:23], s[26:27], 0x370
	v_writelane_b32 v49, s36, 24
	v_writelane_b32 v49, s37, 25
	;; [unrolled: 1-line block ×4, first 2 shown]
	s_waitcnt lgkmcnt(0)
	v_writelane_b32 v49, s22, 28
	v_writelane_b32 v49, s23, 29
	s_load_dwordx2 s[22:23], s[26:27], 0x1c8
	s_load_dwordx4 s[60:63], s[26:27], 0x1a0
	s_mov_b32 s91, 0
	v_cmp_eq_u32_e64 s[24:25], 0, v0
	s_waitcnt lgkmcnt(0)
	v_writelane_b32 v49, s22, 30
	v_writelane_b32 v49, s23, 31
	s_mov_b64 s[22:23], exec
	v_writelane_b32 v49, s24, 32
	v_writelane_b32 v49, s25, 33
	s_and_b64 s[24:25], s[22:23], s[24:25]
	s_mov_b64 exec, s[24:25]
	s_cbranch_execz .LBB198_15
; %bb.14:
	v_mov_b32_e32 v1, 0
	v_mov_b32_e32 v3, s60
	;; [unrolled: 1-line block ×4, first 2 shown]
	ds_write_b32 v1, v1 offset:5144
	ds_write_b128 v1, v[1:4] offset:5120
.LBB198_15:
	s_or_b64 exec, exec, s[22:23]
	s_mul_i32 s1, s8, s1
	s_mul_hi_u32 s7, s8, s0
	s_add_i32 s7, s7, s1
	s_mul_i32 s0, s8, s0
	s_sub_u32 s0, s4, s0
	s_subb_u32 s1, s5, s7
	s_mul_i32 s5, s0, s15
	s_mul_hi_u32 s7, s0, s14
	s_add_i32 s5, s7, s5
	s_mul_i32 s1, s1, s14
	s_add_i32 s1, s5, s1
	s_mul_i32 s5, s8, s13
	s_mul_hi_u32 s7, s8, s12
	s_add_i32 s9, s7, s5
	s_mul_i32 s3, s4, s3
	s_mul_hi_u32 s5, s4, s2
	s_add_i32 s5, s5, s3
	s_mul_i32 s2, s4, s2
	s_mov_b32 s4, s28
	v_writelane_b32 v49, s4, 34
	s_sub_u32 s2, s28, s2
	v_writelane_b32 v49, s5, 35
	s_subb_u32 s3, 0, s5
	s_mul_i32 s4, s2, s11
	s_mul_hi_u32 s5, s2, s10
	s_mul_i32 s8, s8, s12
	s_add_i32 s4, s5, s4
	s_mul_i32 s3, s3, s10
	s_add_i32 s3, s4, s3
	s_lshl_b64 s[4:5], s[8:9], 2
	s_mul_i32 s0, s0, s14
	s_add_u32 s4, s20, s4
	s_addc_u32 s5, s21, s5
	s_lshl_b64 s[0:1], s[0:1], 2
	v_writelane_b32 v49, s26, 36
	s_load_dword s7, s[26:27], 0x1b0
	s_mul_i32 s2, s2, s10
	s_add_u32 s4, s4, s0
	s_addc_u32 s5, s5, s1
	s_lshl_b64 s[0:1], s[2:3], 2
	s_add_u32 s33, s4, s0
	s_addc_u32 s74, s5, s1
	s_waitcnt lgkmcnt(0)
	s_bitcmp1_b32 s7, 0
	v_writelane_b32 v49, s27, 37
	s_cselect_b64 s[0:1], -1, 0
	v_mbcnt_lo_u32_b32 v1, -1, 0
	v_writelane_b32 v49, s0, 38
	v_mbcnt_hi_u32_b32 v26, -1, v1
	v_writelane_b32 v49, s1, 39
	s_xor_b64 s[92:93], s[0:1], -1
	v_cmp_gt_u32_e32 vcc, 64, v0
	v_cmp_gt_i32_e64 s[10:11], 4, v26
	v_mad_u64_u32 v[2:3], s[0:1], s58, v0, 0
	v_mov_b32_e32 v4, 0x300
	s_and_b64 s[0:1], vcc, s[10:11]
	v_mov_b32_e32 v5, 0
	v_writelane_b32 v49, s0, 40
	v_writelane_b32 v49, s1, 41
	v_cmp_gt_u64_e64 s[0:1], s[60:61], v[4:5]
	v_mov_b32_e32 v1, v3
	v_writelane_b32 v49, s0, 42
	v_mov_b32_e32 v13, 0
	v_writelane_b32 v49, s1, 43
	v_mad_u64_u32 v[3:4], s[0:1], s59, v0, v[1:2]
	v_mov_b32_e32 v1, v13
	v_cmp_gt_u64_e64 s[0:1], s[60:61], v[0:1]
	v_writelane_b32 v49, s0, 44
	v_writelane_b32 v49, s1, 45
	v_cmp_gt_u32_e64 s[0:1], 2, v0
	v_writelane_b32 v49, s0, 46
	s_barrier
	v_writelane_b32 v49, s1, 47
	s_load_dword s0, s[16:17], 0xc
	v_lshlrev_b64 v[2:3], 2, v[2:3]
	v_mov_b32_e32 v27, s74
	v_add_co_u32_e32 v10, vcc, s33, v2
	s_waitcnt lgkmcnt(0)
	s_and_b32 s75, s0, 0xffff
	s_bfe_u32 s0, s0, 0xa0006
	s_cmp_gt_u32 s75, 63
	s_cselect_b64 s[2:3], -1, 0
	v_writelane_b32 v49, s2, 48
	s_add_u32 s1, s75, -1
	v_writelane_b32 v49, s3, 49
	s_addc_u32 s2, 0, -1
	v_writelane_b32 v49, s1, 50
	s_add_u32 s1, s1, s60
	v_writelane_b32 v49, s1, 51
	v_writelane_b32 v49, s2, 52
	s_addc_u32 s1, s2, s61
	v_writelane_b32 v49, s0, 53
	s_cmp_lt_u32 s6, s18
	v_writelane_b32 v49, s1, 54
	s_cselect_b32 s1, 12, 18
	s_add_u32 s2, s16, s1
	s_addc_u32 s3, s17, 0
	v_writelane_b32 v49, s2, 55
	s_add_i32 s1, s0, -1
	v_writelane_b32 v49, s3, 56
	s_bfe_u32 s2, s75, 0x30006
	s_and_b32 s1, s1, 0xffff
	s_cmp_gt_u32 s1, 6
	s_cselect_b64 s[4:5], -1, 0
	v_writelane_b32 v49, s4, 57
	s_and_b32 s0, s0, 0x3f8
	v_writelane_b32 v49, s5, 58
	s_cmp_lg_u32 s2, 0
	v_addc_co_u32_e32 v11, vcc, v27, v3, vcc
	v_lshlrev_b64 v[2:3], v26, -1
	v_writelane_b32 v49, s2, 59
	s_cselect_b64 s[2:3], -1, 0
	v_writelane_b32 v49, s2, 60
	v_not_b32_e32 v25, v2
	v_lshrrev_b32_e32 v2, 1, v0
	v_writelane_b32 v49, s3, 61
	s_mov_b32 s4, 0
	v_cmp_eq_u32_e64 s[94:95], 0, v26
	v_and_b32_e32 v2, 0x1e0, v2
	v_writelane_b32 v49, s4, 62
                                        ; implicit-def: $vgpr48 : SGPR spill to VGPR lane
	v_lshlrev_b32_e32 v14, 2, v0
	v_lshlrev_b32_e32 v4, 2, v26
	v_or_b32_e32 v29, 0xc00, v2
	v_mov_b32_e32 v2, 0xc00
	v_mov_b32_e32 v19, s62
	v_writelane_b32 v49, s94, 63
	v_writelane_b32 v48, s95, 0
	v_mov_b32_e32 v15, v13
	v_add_u32_e32 v28, 0xc00, v14
	v_and_b32_e32 v23, 0x100, v4
	v_not_b32_e32 v24, v3
	v_lshlrev_b32_e32 v31, 4, v0
	v_lshl_or_b32 v32, v26, 3, v2
	s_lshl_b32 s1, s75, 2
	s_mov_b32 s72, 30
	s_mov_b64 s[82:83], 0
	v_mov_b32_e32 v20, s63
	v_mov_b32_e32 v16, 1.0
	v_bfrev_b32_e32 v33, 1
	v_mov_b32_e32 v34, 0x4f800000
	v_mov_b32_e32 v18, 0
	;; [unrolled: 1-line block ×4, first 2 shown]
	v_writelane_b32 v48, s92, 1
                                        ; implicit-def: $sgpr84_sgpr85
                                        ; implicit-def: $sgpr2_sgpr3
                                        ; implicit-def: $sgpr66_sgpr67
                                        ; implicit-def: $sgpr68_sgpr69
                                        ; implicit-def: $sgpr64_sgpr65
                                        ; implicit-def: $sgpr70_sgpr71
                                        ; implicit-def: $sgpr56_sgpr57
                                        ; implicit-def: $sgpr86_sgpr87
                                        ; implicit-def: $sgpr76_sgpr77
                                        ; implicit-def: $sgpr78_sgpr79
	v_writelane_b32 v48, s93, 2
	s_branch .LBB198_18
.LBB198_16:                             ;   in Loop: Header=BB198_18 Depth=1
	s_or_b64 exec, exec, s[10:11]
	s_andn2_b64 s[10:11], s[78:79], exec
	s_and_b64 s[8:9], s[8:9], exec
	v_mov_b32_e32 v20, v3
	s_or_b64 s[78:79], s[10:11], s[8:9]
	s_andn2_b64 s[76:77], s[76:77], exec
	s_andn2_b64 s[86:87], s[86:87], exec
	;; [unrolled: 1-line block ×4, first 2 shown]
	s_orn2_b64 s[6:7], s[6:7], exec
	v_mov_b32_e32 v19, v2
.LBB198_17:                             ;   in Loop: Header=BB198_18 Depth=1
	s_or_b64 exec, exec, s[4:5]
	s_and_b64 s[4:5], exec, s[6:7]
	s_or_b64 s[82:83], s[4:5], s[82:83]
	s_andn2_b64 s[4:5], s[64:65], exec
	s_and_b64 s[6:7], s[78:79], exec
	s_or_b64 s[64:65], s[4:5], s[6:7]
	s_andn2_b64 s[4:5], s[68:69], exec
	s_and_b64 s[6:7], s[76:77], exec
	;; [unrolled: 3-line block ×5, first 2 shown]
	s_or_b64 s[84:85], s[4:5], s[6:7]
	s_andn2_b64 exec, exec, s[82:83]
	s_cbranch_execz .LBB198_492
.LBB198_18:                             ; =>This Loop Header: Depth=1
                                        ;     Child Loop BB198_24 Depth 2
                                        ;     Child Loop BB198_37 Depth 2
	;; [unrolled: 1-line block ×24, first 2 shown]
	ds_read_b128 v[2:5], v13 offset:5120
	s_waitcnt lgkmcnt(0)
	v_readfirstlane_b32 s31, v3
	v_readfirstlane_b32 s30, v2
	s_cmp_lg_u64 s[30:31], 0
	s_cbranch_scc1 .LBB198_45
; %bb.19:                               ;   in Loop: Header=BB198_18 Depth=1
	v_readlane_b32 s4, v49, 42
	v_readlane_b32 s5, v49, 43
	s_and_b64 vcc, exec, s[4:5]
	s_cbranch_vccz .LBB198_32
; %bb.20:                               ;   in Loop: Header=BB198_18 Depth=1
	s_mov_b64 s[4:5], 0x301
	v_cmp_gt_u64_e32 vcc, s[4:5], v[4:5]
	s_mov_b64 s[4:5], 0
	s_mov_b64 s[6:7], 0
	s_cbranch_vccz .LBB198_33
; %bb.21:                               ;   in Loop: Header=BB198_18 Depth=1
	s_mov_b64 s[8:9], exec
	v_readlane_b32 s6, v49, 44
	v_readlane_b32 s7, v49, 45
	s_and_b64 s[6:7], s[8:9], s[6:7]
	s_mov_b64 exec, s[6:7]
	s_cbranch_execz .LBB198_101
; %bb.22:                               ;   in Loop: Header=BB198_18 Depth=1
	v_readlane_b32 s6, v49, 55
	v_readlane_b32 s7, v49, 56
	global_load_dword v5, v[10:11], off
	v_mov_b32_e32 v3, v1
	s_mov_b64 s[10:11], 0
	v_mov_b32_e32 v2, v0
	s_nop 0
	global_load_ushort v4, v13, s[6:7]
	s_branch .LBB198_24
.LBB198_23:                             ;   in Loop: Header=BB198_24 Depth=2
	s_or_b64 exec, exec, s[6:7]
	s_waitcnt vmcnt(0)
	v_mov_b32_e32 v5, v6
	s_andn2_b64 exec, exec, s[10:11]
	s_cbranch_execz .LBB198_101
.LBB198_24:                             ;   Parent Loop BB198_18 Depth=1
                                        ; =>  This Inner Loop Header: Depth=2
	s_waitcnt vmcnt(0)
	v_add_co_u32_sdwa v2, vcc, v2, v4 dst_sel:DWORD dst_unused:UNUSED_PAD src0_sel:DWORD src1_sel:WORD_0
	v_addc_co_u32_e32 v3, vcc, 0, v3, vcc
	v_cmp_gt_u64_e64 s[6:7], s[60:61], v[2:3]
	v_cmp_le_u64_e32 vcc, s[60:61], v[2:3]
	s_waitcnt lgkmcnt(0)
	v_mov_b32_e32 v7, 0
	v_mov_b32_e32 v6, 0
	s_and_saveexec_b64 s[12:13], s[6:7]
	s_cbranch_execz .LBB198_26
; %bb.25:                               ;   in Loop: Header=BB198_24 Depth=2
	v_mul_lo_u32 v6, v3, s58
	v_mul_lo_u32 v12, v2, s59
	v_mad_u64_u32 v[8:9], s[6:7], v2, s58, 0
	v_add3_u32 v9, v9, v12, v6
	v_lshlrev_b64 v[8:9], 2, v[8:9]
	v_add_co_u32_e64 v8, s[6:7], s33, v8
	v_addc_co_u32_e64 v9, s[6:7], v27, v9, s[6:7]
	global_load_dword v6, v[8:9], off
.LBB198_26:                             ;   in Loop: Header=BB198_24 Depth=2
	s_or_b64 exec, exec, s[12:13]
	v_cmp_lt_i32_e64 s[6:7], -1, v5
	v_cndmask_b32_e64 v8, -1, v33, s[6:7]
	v_xor_b32_e32 v8, v8, v5
	v_cmp_o_f32_e64 s[6:7], v5, v5
	v_cndmask_b32_e64 v8, -1, v8, s[6:7]
	v_and_b32_e32 v8, v8, v35
	v_cmp_eq_u32_e64 s[14:15], v8, v30
	s_cmp_lg_u64 s[14:15], 0
	s_cselect_b64 s[6:7], -1, 0
	s_and_b64 s[6:7], s[94:95], s[6:7]
	s_and_saveexec_b64 s[12:13], s[6:7]
	s_cbranch_execz .LBB198_30
; %bb.27:                               ;   in Loop: Header=BB198_24 Depth=2
	s_mov_b64 s[18:19], exec
	v_mbcnt_lo_u32_b32 v7, s18, 0
	v_mbcnt_hi_u32_b32 v7, s19, v7
	s_bcnt1_i32_b64 s20, s[14:15]
	v_cmp_eq_u32_e64 s[6:7], 0, v7
                                        ; implicit-def: $vgpr8
	s_and_saveexec_b64 s[16:17], s[6:7]
; %bb.28:                               ;   in Loop: Header=BB198_24 Depth=2
	s_bcnt1_i32_b64 s6, s[18:19]
	s_mul_i32 s6, s20, s6
	v_mov_b32_e32 v8, s6
	ds_add_rtn_u32 v8, v13, v8 offset:5144
; %bb.29:                               ;   in Loop: Header=BB198_24 Depth=2
	s_or_b64 exec, exec, s[16:17]
	s_waitcnt lgkmcnt(0)
	v_readfirstlane_b32 s6, v8
	v_mov_b32_e32 v8, s6
	v_mad_u32_u24 v7, s20, v7, v8
.LBB198_30:                             ;   in Loop: Header=BB198_24 Depth=2
	s_or_b64 exec, exec, s[12:13]
	ds_bpermute_b32 v7, v23, v7
	s_and_b64 s[6:7], exec, vcc
	s_or_b64 s[10:11], s[6:7], s[10:11]
	s_and_saveexec_b64 s[6:7], s[14:15]
	s_cbranch_execz .LBB198_23
; %bb.31:                               ;   in Loop: Header=BB198_24 Depth=2
	v_and_b32_e32 v9, s14, v25
	v_and_b32_e32 v8, s15, v24
	v_bcnt_u32_b32 v9, v9, 0
	v_bcnt_u32_b32 v8, v8, v9
	v_lshlrev_b32_e32 v8, 2, v8
	s_waitcnt lgkmcnt(0)
	v_lshl_add_u32 v7, v7, 2, v8
	ds_write_b32 v7, v5
	s_branch .LBB198_23
.LBB198_32:                             ;   in Loop: Header=BB198_18 Depth=1
	s_mov_b64 s[4:5], -1
	s_mov_b64 s[6:7], 0
.LBB198_33:                             ;   in Loop: Header=BB198_18 Depth=1
	s_and_b64 vcc, exec, s[4:5]
	s_cbranch_vccz .LBB198_43
.LBB198_34:                             ;   in Loop: Header=BB198_18 Depth=1
	s_mov_b64 s[4:5], exec
	v_readlane_b32 s6, v49, 44
	v_readlane_b32 s7, v49, 45
	s_and_b64 s[6:7], s[4:5], s[6:7]
	s_mov_b64 exec, s[6:7]
	s_cbranch_execz .LBB198_40
; %bb.35:                               ;   in Loop: Header=BB198_18 Depth=1
	v_readlane_b32 s6, v49, 55
	v_readlane_b32 s7, v49, 56
	s_nop 4
	global_load_ushort v2, v13, s[6:7]
	global_load_dword v7, v[10:11], off
	s_waitcnt vmcnt(1)
	v_and_b32_e32 v6, 0xffff, v2
	v_add_u32_e32 v12, v6, v0
	v_cmp_gt_u64_e32 vcc, s[60:61], v[12:13]
	v_mov_b32_e32 v2, v0
	s_and_saveexec_b64 s[6:7], vcc
	s_cbranch_execz .LBB198_39
; %bb.36:                               ;   in Loop: Header=BB198_18 Depth=1
	v_mov_b32_e32 v4, v12
	v_mov_b32_e32 v3, v1
	s_mov_b64 s[8:9], 0
	v_mov_b32_e32 v5, v13
	v_mov_b32_e32 v2, v0
.LBB198_37:                             ;   Parent Loop BB198_18 Depth=1
                                        ; =>  This Inner Loop Header: Depth=2
	v_mov_b32_e32 v22, v5
	v_mov_b32_e32 v21, v4
	v_mul_lo_u32 v5, v22, s58
	v_mul_lo_u32 v8, v21, s59
	v_mad_u64_u32 v[3:4], s[10:11], v21, s58, 0
	v_mov_b32_e32 v9, s74
	v_lshlrev_b32_e32 v2, 2, v2
	v_add3_u32 v4, v4, v8, v5
	v_lshlrev_b64 v[3:4], 2, v[3:4]
	s_waitcnt vmcnt(0)
	ds_write_b32 v2, v7
	v_add_co_u32_e32 v3, vcc, s33, v3
	v_addc_co_u32_e32 v4, vcc, v9, v4, vcc
	global_load_dword v8, v[3:4], off
	v_add_co_u32_e32 v4, vcc, v21, v6
	v_addc_co_u32_e32 v5, vcc, 0, v22, vcc
	v_cmp_le_u64_e32 vcc, s[60:61], v[4:5]
	v_mov_b32_e32 v2, v21
	s_or_b64 s[8:9], vcc, s[8:9]
	v_mov_b32_e32 v3, v22
	s_waitcnt vmcnt(0)
	v_mov_b32_e32 v7, v8
	s_andn2_b64 exec, exec, s[8:9]
	s_cbranch_execnz .LBB198_37
; %bb.38:                               ;   in Loop: Header=BB198_18 Depth=1
	s_or_b64 exec, exec, s[8:9]
	v_sub_u32_e32 v2, v4, v6
	v_mov_b32_e32 v7, v8
.LBB198_39:                             ;   in Loop: Header=BB198_18 Depth=1
	s_or_b64 exec, exec, s[6:7]
	v_lshlrev_b32_e32 v2, 2, v2
	s_waitcnt vmcnt(0)
	ds_write_b32 v2, v7
.LBB198_40:                             ;   in Loop: Header=BB198_18 Depth=1
	s_or_b64 exec, exec, s[4:5]
	s_waitcnt lgkmcnt(0)
	s_barrier
	s_mov_b64 s[4:5], exec
	v_readlane_b32 s6, v49, 32
	v_readlane_b32 s7, v49, 33
	s_and_b64 s[6:7], s[4:5], s[6:7]
	s_mov_b64 exec, s[6:7]
; %bb.41:                               ;   in Loop: Header=BB198_18 Depth=1
	v_mov_b32_e32 v2, s60
	v_mov_b32_e32 v3, s61
	ds_write_b64 v13, v[2:3] offset:5120
; %bb.42:                               ;   in Loop: Header=BB198_18 Depth=1
	s_or_b64 exec, exec, s[4:5]
	s_mov_b64 s[6:7], -1
	s_waitcnt lgkmcnt(0)
	s_barrier
.LBB198_43:                             ;   in Loop: Header=BB198_18 Depth=1
	s_mov_b64 s[30:31], 0
	s_and_b64 vcc, exec, s[6:7]
	s_cbranch_vccz .LBB198_45
; %bb.44:                               ;   in Loop: Header=BB198_18 Depth=1
	ds_read_b64 v[2:3], v13 offset:5120
	s_waitcnt lgkmcnt(0)
	v_readfirstlane_b32 s30, v2
.LBB198_45:                             ;   in Loop: Header=BB198_18 Depth=1
	s_cmp_lt_i32 s30, 1
	s_mov_b64 s[4:5], -1
                                        ; implicit-def: $vgpr2_vgpr3
                                        ; implicit-def: $vgpr6_vgpr7
	s_cbranch_scc0 .LBB198_60
; %bb.46:                               ;   in Loop: Header=BB198_18 Depth=1
	v_readlane_b32 s4, v49, 55
	v_readlane_b32 s5, v49, 56
	s_nop 4
	global_load_ushort v12, v13, s[4:5]
	s_mov_b32 s4, s91
	s_waitcnt vmcnt(0)
	v_readfirstlane_b32 s5, v12
	s_and_b32 s5, 0xffff, s5
	s_lshl_b32 s31, s5, 2
	s_mov_b32 s5, s61
	s_cmp_lg_u64 s[4:5], 0
	s_cbranch_scc0 .LBB198_78
; %bb.47:                               ;   in Loop: Header=BB198_18 Depth=1
	v_cvt_f32_u32_e32 v2, s31
	s_sub_u32 s6, 0, s31
	s_subb_u32 s7, 0, 0
	v_mac_f32_e32 v2, 0, v34
	v_rcp_f32_e32 v2, v2
	v_mul_f32_e32 v2, 0x5f7ffffc, v2
	v_mul_f32_e32 v3, 0x2f800000, v2
	v_trunc_f32_e32 v3, v3
	v_mac_f32_e32 v2, 0xcf800000, v3
	v_cvt_u32_f32_e32 v3, v3
	v_cvt_u32_f32_e32 v2, v2
	v_readfirstlane_b32 s8, v3
	v_readfirstlane_b32 s4, v2
	s_mul_i32 s5, s6, s8
	s_mul_hi_u32 s10, s6, s4
	s_mul_i32 s9, s7, s4
	s_add_i32 s5, s10, s5
	s_mul_i32 s11, s6, s4
	s_add_i32 s5, s5, s9
	s_mul_hi_u32 s10, s4, s11
	s_mul_i32 s12, s4, s5
	s_mul_hi_u32 s9, s4, s5
	s_add_u32 s10, s10, s12
	s_addc_u32 s9, 0, s9
	s_mul_hi_u32 s13, s8, s11
	s_mul_i32 s11, s8, s11
	s_add_u32 s10, s10, s11
	s_mul_hi_u32 s12, s8, s5
	s_addc_u32 s9, s9, s13
	s_addc_u32 s10, s12, 0
	s_mul_i32 s5, s8, s5
	s_add_u32 s5, s9, s5
	s_addc_u32 s9, 0, s10
	s_add_u32 s10, s4, s5
	s_cselect_b64 s[4:5], -1, 0
	s_cmp_lg_u64 s[4:5], 0
	s_addc_u32 s8, s8, s9
	s_mul_i32 s4, s6, s8
	s_mul_hi_u32 s5, s6, s10
	s_add_i32 s4, s5, s4
	s_mul_i32 s7, s7, s10
	s_add_i32 s4, s4, s7
	s_mul_i32 s6, s6, s10
	s_mul_hi_u32 s7, s8, s6
	s_mul_i32 s9, s8, s6
	s_mul_i32 s12, s10, s4
	s_mul_hi_u32 s6, s10, s6
	s_mul_hi_u32 s11, s10, s4
	s_add_u32 s6, s6, s12
	s_addc_u32 s11, 0, s11
	s_add_u32 s6, s6, s9
	s_mul_hi_u32 s5, s8, s4
	s_addc_u32 s6, s11, s7
	s_addc_u32 s5, s5, 0
	s_mul_i32 s4, s8, s4
	s_add_u32 s4, s6, s4
	s_addc_u32 s6, 0, s5
	s_add_u32 s7, s10, s4
	s_cselect_b64 s[4:5], -1, 0
	s_cmp_lg_u64 s[4:5], 0
	s_addc_u32 s4, s8, s6
	s_mul_i32 s6, s60, s4
	s_mul_hi_u32 s8, s60, s7
	s_mul_hi_u32 s5, s60, s4
	s_add_u32 s6, s8, s6
	s_addc_u32 s5, 0, s5
	s_mul_hi_u32 s9, s61, s7
	s_mul_i32 s7, s61, s7
	s_add_u32 s6, s6, s7
	s_mul_hi_u32 s8, s61, s4
	s_addc_u32 s5, s5, s9
	s_addc_u32 s6, s8, 0
	s_mul_i32 s4, s61, s4
	s_add_u32 s4, s5, s4
	s_addc_u32 s5, 0, s6
	s_mul_i32 s5, s31, s5
	s_mul_hi_u32 s6, s31, s4
	s_add_i32 s6, s6, s5
	s_mul_i32 s4, s31, s4
	s_sub_u32 s7, s60, s4
	s_cselect_b64 s[4:5], -1, 0
	s_cmp_lg_u64 s[4:5], 0
	s_subb_u32 s6, s61, s6
	s_sub_u32 s8, s7, s31
	s_cselect_b64 s[4:5], -1, 0
	s_cmp_lg_u64 s[4:5], 0
	s_subb_u32 s9, s6, 0
	;; [unrolled: 4-line block ×3, first 2 shown]
	s_cmp_ge_u32 s8, s31
	s_cselect_b32 s5, -1, 0
	s_cmp_eq_u32 s9, 0
	s_cselect_b32 s5, s5, -1
	s_cmp_lg_u32 s5, 0
	s_cselect_b32 s4, s4, s9
	s_cselect_b32 s8, s10, s8
	s_cmp_ge_u32 s7, s31
	s_cselect_b32 s5, -1, 0
	s_cmp_eq_u32 s6, 0
	s_cselect_b32 s5, s5, -1
	s_cmp_lg_u32 s5, 0
	s_cselect_b32 s5, s4, s6
	s_cselect_b32 s4, s8, s7
	s_cbranch_execnz .LBB198_49
.LBB198_48:                             ;   in Loop: Header=BB198_18 Depth=1
	v_cvt_f32_u32_e32 v2, s31
	s_sub_i32 s4, 0, s31
	v_rcp_iflag_f32_e32 v2, v2
	v_mul_f32_e32 v2, 0x4f7ffffe, v2
	v_cvt_u32_f32_e32 v2, v2
	v_readfirstlane_b32 s5, v2
	s_mul_i32 s4, s4, s5
	s_mul_hi_u32 s4, s5, s4
	s_add_i32 s5, s5, s4
	s_mul_hi_u32 s4, s60, s5
	s_mul_i32 s4, s4, s31
	s_sub_i32 s4, s60, s4
	s_sub_i32 s5, s4, s31
	s_cmp_ge_u32 s4, s31
	s_cselect_b32 s4, s5, s4
	s_sub_i32 s5, s4, s31
	s_cmp_ge_u32 s4, s31
	s_cselect_b32 s90, s5, s4
	s_mov_b64 s[4:5], s[90:91]
.LBB198_49:                             ;   in Loop: Header=BB198_18 Depth=1
	s_sub_u32 s54, s60, s4
	s_subb_u32 s55, s61, s5
	v_cmp_gt_u64_e32 vcc, s[54:55], v[14:15]
	v_mov_b32_e32 v2, 0
	v_mov_b32_e32 v4, 0
	;; [unrolled: 1-line block ×8, first 2 shown]
	s_and_saveexec_b64 s[8:9], vcc
	s_cbranch_execz .LBB198_53
; %bb.50:                               ;   in Loop: Header=BB198_18 Depth=1
	v_mov_b32_e32 v22, v15
	s_mov_b64 s[10:11], 0
	s_mov_b64 s[80:81], 0
	;; [unrolled: 1-line block ×5, first 2 shown]
	v_mov_b32_e32 v21, v14
.LBB198_51:                             ;   Parent Loop BB198_18 Depth=1
                                        ; =>  This Inner Loop Header: Depth=2
	v_mul_lo_u32 v4, v22, s58
	v_mul_lo_u32 v5, v21, s59
	v_mad_u64_u32 v[2:3], s[4:5], v21, s58, 0
	v_mov_b32_e32 v6, s74
	s_lshl_b64 s[4:5], s[58:59], 2
	v_add3_u32 v3, v3, v5, v4
	v_lshlrev_b64 v[2:3], 2, v[2:3]
	v_mov_b32_e32 v7, s5
	v_add_co_u32_e64 v2, s[6:7], s33, v2
	v_addc_co_u32_e64 v3, s[6:7], v6, v3, s[6:7]
	global_load_dword v4, v[2:3], off
	v_add_co_u32_e64 v2, s[6:7], s4, v2
	v_addc_co_u32_e64 v3, s[6:7], v3, v7, s[6:7]
	global_load_dword v5, v[2:3], off
	;; [unrolled: 3-line block ×4, first 2 shown]
	v_add_co_u32_e32 v21, vcc, s31, v21
	v_addc_co_u32_e32 v22, vcc, 0, v22, vcc
	v_cmp_le_u64_e32 vcc, s[54:55], v[21:22]
	s_waitcnt vmcnt(3)
	v_cmp_lt_i32_e64 s[6:7], -1, v4
	v_cndmask_b32_e64 v3, -1, v33, s[6:7]
	v_xor_b32_e32 v3, v3, v4
	s_waitcnt vmcnt(2)
	v_cmp_lt_i32_e64 s[6:7], -1, v5
	v_cndmask_b32_e64 v7, -1, v33, s[6:7]
	v_cmp_o_f32_e64 s[6:7], v4, v4
	v_cndmask_b32_e64 v3, -1, v3, s[6:7]
	v_xor_b32_e32 v4, v7, v5
	s_waitcnt vmcnt(1)
	v_cmp_lt_i32_e64 s[6:7], -1, v6
	v_cndmask_b32_e64 v7, -1, v33, s[6:7]
	v_cmp_o_f32_e64 s[6:7], v5, v5
	v_cndmask_b32_e64 v4, -1, v4, s[6:7]
	v_xor_b32_e32 v5, v7, v6
	s_waitcnt vmcnt(0)
	v_cmp_lt_i32_e64 s[6:7], -1, v2
	v_cndmask_b32_e64 v7, -1, v33, s[6:7]
	v_and_b32_e32 v8, v3, v35
	v_bfe_u32 v3, v3, s72, 2
	v_cmp_o_f32_e64 s[6:7], v6, v6
	v_cndmask_b32_e64 v5, -1, v5, s[6:7]
	v_xor_b32_e32 v6, v7, v2
	v_cmp_eq_u32_e64 s[14:15], v8, v30
	v_and_b32_e32 v7, v4, v35
	v_bfe_u32 v4, v4, s72, 2
	v_cmp_eq_u32_e64 s[6:7], 0, v3
	v_cmp_o_f32_e64 s[16:17], v2, v2
	v_cmp_eq_u32_e64 s[34:35], 1, v3
	v_cmp_eq_u32_e64 s[36:37], 2, v3
	;; [unrolled: 1-line block ×3, first 2 shown]
	v_cndmask_b32_e64 v2, -1, v6, s[16:17]
	v_cmp_eq_u32_e64 s[16:17], v7, v30
	v_and_b32_e32 v3, v5, v35
	v_bfe_u32 v5, v5, s72, 2
	v_cmp_eq_u32_e64 s[26:27], 0, v4
	s_and_b64 s[4:5], s[14:15], s[6:7]
	v_cmp_eq_u32_e64 s[38:39], 1, v4
	v_cmp_eq_u32_e64 s[40:41], 2, v4
	;; [unrolled: 1-line block ×3, first 2 shown]
	v_cndmask_b32_e64 v4, 0, 1, s[4:5]
	v_cmp_eq_u32_e64 s[22:23], v3, v30
	v_and_b32_e32 v3, v2, v35
	v_bfe_u32 v2, v2, s72, 2
	v_cmp_eq_u32_e64 s[6:7], 0, v5
	s_and_b64 s[4:5], s[16:17], s[26:27]
	v_cmp_ne_u32_e64 s[46:47], 0, v4
	v_cndmask_b32_e64 v4, 0, 1, s[4:5]
	v_cmp_eq_u32_e64 s[26:27], v3, v30
	v_cmp_eq_u32_e64 s[48:49], 0, v2
	s_and_b64 s[4:5], s[22:23], s[6:7]
	v_cmp_eq_u32_e64 s[50:51], 1, v2
	v_cmp_eq_u32_e64 s[52:53], 2, v2
	v_cmp_eq_u32_e64 s[28:29], 3, v2
	v_cndmask_b32_e64 v2, 0, 1, s[4:5]
	s_and_b64 s[4:5], s[26:27], s[48:49]
	v_cmp_ne_u32_e64 s[6:7], 0, v2
	v_cndmask_b32_e64 v2, 0, 1, s[4:5]
	s_bcnt1_i32_b64 s73, s[46:47]
	v_cmp_ne_u32_e64 s[46:47], 0, v4
	s_bcnt1_i32_b64 s4, s[6:7]
	v_cmp_ne_u32_e64 s[6:7], 0, v2
	s_bcnt1_i32_b64 s46, s[46:47]
	s_bcnt1_i32_b64 s5, s[6:7]
	s_add_u32 s6, s73, s92
	s_addc_u32 s7, 0, s93
	s_add_u32 s6, s6, s46
	s_addc_u32 s7, s7, 0
	;; [unrolled: 2-line block ×4, first 2 shown]
	s_and_b64 s[4:5], s[14:15], s[34:35]
	v_cmp_eq_u32_e64 s[42:43], 1, v5
	v_cndmask_b32_e64 v4, 0, 1, s[4:5]
	s_and_b64 s[4:5], s[16:17], s[38:39]
	v_cmp_eq_u32_e64 s[44:45], 2, v5
	v_cmp_eq_u32_e64 s[24:25], 3, v5
	v_cndmask_b32_e64 v5, 0, 1, s[4:5]
	s_and_b64 s[4:5], s[22:23], s[42:43]
	v_cndmask_b32_e64 v6, 0, 1, s[4:5]
	s_and_b64 s[4:5], s[26:27], s[50:51]
	v_cndmask_b32_e64 v7, 0, 1, s[4:5]
	v_cmp_ne_u32_e64 s[6:7], 0, v4
	v_cmp_ne_u32_e64 s[34:35], 0, v5
	;; [unrolled: 1-line block ×4, first 2 shown]
	s_bcnt1_i32_b64 s4, s[6:7]
	s_bcnt1_i32_b64 s5, s[34:35]
	;; [unrolled: 1-line block ×4, first 2 shown]
	s_add_u32 s4, s4, s12
	s_addc_u32 s12, 0, s13
	s_add_u32 s4, s4, s5
	s_addc_u32 s5, s12, 0
	;; [unrolled: 2-line block ×4, first 2 shown]
	s_and_b64 s[4:5], s[14:15], s[36:37]
	v_cndmask_b32_e64 v6, 0, 1, s[4:5]
	s_and_b64 s[4:5], s[16:17], s[40:41]
	v_cndmask_b32_e64 v7, 0, 1, s[4:5]
	;; [unrolled: 2-line block ×4, first 2 shown]
	v_cmp_ne_u32_e64 s[6:7], 0, v6
	v_cmp_ne_u32_e64 s[34:35], 0, v7
	;; [unrolled: 1-line block ×4, first 2 shown]
	s_bcnt1_i32_b64 s4, s[6:7]
	s_bcnt1_i32_b64 s5, s[34:35]
	;; [unrolled: 1-line block ×4, first 2 shown]
	s_add_u32 s4, s4, s94
	s_addc_u32 s34, 0, s95
	s_add_u32 s4, s4, s5
	s_addc_u32 s5, s34, 0
	;; [unrolled: 2-line block ×4, first 2 shown]
	s_and_b64 s[4:5], s[14:15], s[18:19]
	v_cndmask_b32_e64 v8, 0, 1, s[4:5]
	s_and_b64 s[4:5], s[16:17], s[20:21]
	v_cndmask_b32_e64 v9, 0, 1, s[4:5]
	;; [unrolled: 2-line block ×4, first 2 shown]
	v_cmp_ne_u32_e64 s[6:7], 0, v8
	v_cmp_ne_u32_e64 s[14:15], 0, v9
	;; [unrolled: 1-line block ×4, first 2 shown]
	s_bcnt1_i32_b64 s4, s[6:7]
	s_bcnt1_i32_b64 s5, s[14:15]
	;; [unrolled: 1-line block ×4, first 2 shown]
	s_add_u32 s4, s4, s80
	s_addc_u32 s14, 0, s81
	s_add_u32 s4, s4, s5
	s_addc_u32 s5, s14, 0
	;; [unrolled: 2-line block ×3, first 2 shown]
	s_add_u32 s80, s4, s7
	v_mov_b32_e32 v2, s92
	v_mov_b32_e32 v4, s12
	;; [unrolled: 1-line block ×3, first 2 shown]
	s_addc_u32 s81, s5, 0
	v_mov_b32_e32 v8, s80
	v_mov_b32_e32 v3, s93
	;; [unrolled: 1-line block ×4, first 2 shown]
	s_or_b64 s[10:11], vcc, s[10:11]
	v_mov_b32_e32 v9, s81
	s_andn2_b64 exec, exec, s[10:11]
	s_cbranch_execnz .LBB198_51
; %bb.52:                               ;   in Loop: Header=BB198_18 Depth=1
	s_or_b64 exec, exec, s[10:11]
	v_readlane_b32 s94, v49, 63
	v_readlane_b32 s92, v48, 1
	;; [unrolled: 1-line block ×4, first 2 shown]
.LBB198_53:                             ;   in Loop: Header=BB198_18 Depth=1
	s_or_b64 exec, exec, s[8:9]
	v_mov_b32_e32 v17, s55
	v_add_co_u32_e32 v21, vcc, s54, v0
	v_addc_co_u32_e32 v22, vcc, 0, v17, vcc
	v_cmp_gt_u64_e32 vcc, s[60:61], v[21:22]
	s_and_saveexec_b64 s[4:5], vcc
	s_cbranch_execz .LBB198_59
; %bb.54:                               ;   in Loop: Header=BB198_18 Depth=1
	v_mul_lo_u32 v17, v22, s58
	v_mul_lo_u32 v38, v21, s59
	v_mad_u64_u32 v[36:37], s[6:7], v21, s58, 0
	s_mov_b64 s[8:9], 0
	v_add3_u32 v37, v37, v38, v17
	v_lshlrev_b64 v[36:37], 2, v[36:37]
	v_mov_b32_e32 v17, s74
	v_add_co_u32_e32 v36, vcc, s33, v36
	v_addc_co_u32_e32 v37, vcc, v17, v37, vcc
	global_load_dword v36, v[36:37], off
	s_branch .LBB198_56
.LBB198_55:                             ;   in Loop: Header=BB198_56 Depth=2
	s_or_b64 exec, exec, s[10:11]
	s_and_b64 s[6:7], exec, vcc
	s_waitcnt vmcnt(0)
	v_cmp_lt_i32_e32 vcc, -1, v36
	v_cndmask_b32_e32 v37, -1, v33, vcc
	v_xor_b32_e32 v37, v37, v36
	v_cmp_o_f32_e32 vcc, v36, v36
	v_cndmask_b32_e32 v36, -1, v37, vcc
	v_and_b32_e32 v37, v36, v35
	v_bfe_u32 v36, v36, s72, 2
	s_or_b64 s[8:9], s[6:7], s[8:9]
	v_cmp_eq_u32_e32 vcc, v37, v30
	v_cmp_eq_u32_e64 s[6:7], 0, v36
	s_and_b64 s[6:7], vcc, s[6:7]
	v_cndmask_b32_e64 v37, 0, 1, s[6:7]
	v_cmp_ne_u32_e64 s[6:7], 0, v37
	s_bcnt1_i32_b64 s6, s[6:7]
	v_add_co_u32_e64 v2, s[6:7], s6, v2
	v_addc_co_u32_e64 v3, s[6:7], 0, v3, s[6:7]
	v_cmp_eq_u32_e64 s[6:7], 1, v36
	s_and_b64 s[6:7], vcc, s[6:7]
	v_cndmask_b32_e64 v37, 0, 1, s[6:7]
	v_cmp_ne_u32_e64 s[6:7], 0, v37
	s_bcnt1_i32_b64 s6, s[6:7]
	v_add_co_u32_e64 v4, s[6:7], s6, v4
	v_addc_co_u32_e64 v5, s[6:7], 0, v5, s[6:7]
	v_cmp_eq_u32_e64 s[6:7], 2, v36
	s_and_b64 s[6:7], vcc, s[6:7]
	v_cndmask_b32_e64 v37, 0, 1, s[6:7]
	v_cmp_ne_u32_e64 s[6:7], 0, v37
	s_bcnt1_i32_b64 s6, s[6:7]
	v_add_co_u32_e64 v6, s[6:7], s6, v6
	v_addc_co_u32_e64 v7, s[6:7], 0, v7, s[6:7]
	v_cmp_eq_u32_e64 s[6:7], 3, v36
	s_and_b64 s[6:7], vcc, s[6:7]
	v_cndmask_b32_e64 v36, 0, 1, s[6:7]
	v_cmp_ne_u32_e32 vcc, 0, v36
	s_bcnt1_i32_b64 s6, vcc
	v_add_co_u32_e32 v8, vcc, s6, v8
	v_addc_co_u32_e32 v9, vcc, 0, v9, vcc
	v_mov_b32_e32 v36, v17
	s_andn2_b64 exec, exec, s[8:9]
	s_cbranch_execz .LBB198_58
.LBB198_56:                             ;   Parent Loop BB198_18 Depth=1
                                        ; =>  This Inner Loop Header: Depth=2
	v_add_co_u32_sdwa v21, vcc, v21, v12 dst_sel:DWORD dst_unused:UNUSED_PAD src0_sel:DWORD src1_sel:WORD_0
	v_addc_co_u32_e32 v22, vcc, 0, v22, vcc
	v_cmp_gt_u64_e64 s[6:7], s[60:61], v[21:22]
	v_cmp_le_u64_e32 vcc, s[60:61], v[21:22]
	v_mov_b32_e32 v17, 0
	s_and_saveexec_b64 s[10:11], s[6:7]
	s_cbranch_execz .LBB198_55
; %bb.57:                               ;   in Loop: Header=BB198_56 Depth=2
	v_mul_lo_u32 v17, v22, s58
	v_mul_lo_u32 v39, v21, s59
	v_mad_u64_u32 v[37:38], s[6:7], v21, s58, 0
	v_add3_u32 v38, v38, v39, v17
	v_lshlrev_b64 v[37:38], 2, v[37:38]
	v_mov_b32_e32 v17, s74
	v_add_co_u32_e64 v37, s[6:7], s33, v37
	v_addc_co_u32_e64 v38, s[6:7], v17, v38, s[6:7]
	global_load_dword v17, v[37:38], off
	s_branch .LBB198_55
.LBB198_58:                             ;   in Loop: Header=BB198_18 Depth=1
	s_or_b64 exec, exec, s[8:9]
.LBB198_59:                             ;   in Loop: Header=BB198_18 Depth=1
	s_or_b64 exec, exec, s[4:5]
	s_mov_b64 s[4:5], 0
.LBB198_60:                             ;   in Loop: Header=BB198_18 Depth=1
	s_and_b64 vcc, exec, s[4:5]
	s_cbranch_vccz .LBB198_70
; %bb.61:                               ;   in Loop: Header=BB198_18 Depth=1
	v_readlane_b32 s4, v49, 55
	v_readlane_b32 s5, v49, 56
	v_mov_b32_e32 v6, 0
	v_mov_b32_e32 v7, 0
	s_nop 2
	global_load_ushort v12, v13, s[4:5]
	s_waitcnt vmcnt(0)
	v_readfirstlane_b32 s4, v12
	s_and_b32 s4, 0xffff, s4
	s_lshl_b32 s31, s4, 2
	v_cvt_f32_u32_e32 v2, s31
	s_sub_i32 s5, 0, s31
	v_rcp_iflag_f32_e32 v4, v2
	v_mov_b32_e32 v2, 0
	v_mov_b32_e32 v3, 0
	v_mul_f32_e32 v4, 0x4f7ffffe, v4
	v_cvt_u32_f32_e32 v8, v4
	v_mov_b32_e32 v4, 0
	v_mov_b32_e32 v5, 0
	v_readfirstlane_b32 s6, v8
	s_mul_i32 s5, s5, s6
	s_mul_hi_u32 s5, s6, s5
	s_add_i32 s6, s6, s5
	s_mul_hi_u32 s5, s30, s6
	s_mul_i32 s6, s5, s31
	s_sub_i32 s6, s30, s6
	s_add_i32 s7, s5, 1
	s_sub_i32 s8, s6, s31
	s_cmp_ge_u32 s6, s31
	s_cselect_b32 s5, s7, s5
	s_cselect_b32 s6, s8, s6
	s_add_i32 s7, s5, 1
	s_cmp_ge_u32 s6, s31
	s_cselect_b32 s5, s7, s5
	s_mul_hi_u32 s9, s4, s5
	s_mul_i32 s8, s4, s5
	s_lshl_b64 s[10:11], s[8:9], 2
	v_cmp_gt_u64_e32 vcc, s[10:11], v[14:15]
	v_mov_b32_e32 v8, 0
	v_mov_b32_e32 v9, 0
	s_and_saveexec_b64 s[12:13], vcc
	s_cbranch_execz .LBB198_65
; %bb.62:                               ;   in Loop: Header=BB198_18 Depth=1
	v_mov_b32_e32 v22, v15
	s_lshl_b32 s9, s4, 4
	s_mov_b64 s[80:81], 0
	v_mov_b32_e32 v17, v31
	s_mov_b64 s[92:93], 0
	s_mov_b64 s[94:95], 0
	s_mov_b64 s[4:5], 0
	s_mov_b64 s[88:89], 0
	v_mov_b32_e32 v21, v14
.LBB198_63:                             ;   Parent Loop BB198_18 Depth=1
                                        ; =>  This Inner Loop Header: Depth=2
	ds_read_b128 v[2:5], v17
	v_add_co_u32_e32 v21, vcc, s31, v21
	v_addc_co_u32_e32 v22, vcc, 0, v22, vcc
	s_waitcnt lgkmcnt(0)
	v_cmp_lt_i32_e64 s[6:7], -1, v2
	v_cndmask_b32_e64 v6, -1, v33, s[6:7]
	v_cmp_lt_i32_e64 s[6:7], -1, v3
	v_cndmask_b32_e64 v7, -1, v33, s[6:7]
	;; [unrolled: 2-line block ×4, first 2 shown]
	v_xor_b32_e32 v7, v7, v3
	v_cmp_o_f32_e64 s[6:7], v3, v3
	v_xor_b32_e32 v3, v8, v4
	v_cmp_o_f32_e64 s[14:15], v4, v4
	;; [unrolled: 2-line block ×4, first 2 shown]
	v_cndmask_b32_e64 v2, -1, v5, s[18:19]
	v_cndmask_b32_e64 v5, -1, v7, s[6:7]
	v_and_b32_e32 v6, v2, v35
	v_bfe_u32 v2, v2, s72, 2
	v_cndmask_b32_e64 v3, -1, v3, s[14:15]
	v_and_b32_e32 v7, v5, v35
	v_bfe_u32 v5, v5, s72, 2
	v_cmp_eq_u32_e64 s[20:21], v6, v30
	v_cmp_eq_u32_e64 s[6:7], 0, v2
	v_cndmask_b32_e64 v4, -1, v4, s[16:17]
	v_and_b32_e32 v8, v3, v35
	v_bfe_u32 v3, v3, s72, 2
	v_cmp_eq_u32_e64 s[18:19], v7, v30
	v_cmp_eq_u32_e64 s[34:35], 0, v5
	s_and_b64 s[6:7], s[20:21], s[6:7]
	v_and_b32_e32 v9, v4, v35
	v_bfe_u32 v4, v4, s72, 2
	v_cmp_eq_u32_e64 s[16:17], v8, v30
	v_cmp_eq_u32_e64 s[36:37], 0, v3
	;; [unrolled: 1-line block ×5, first 2 shown]
	v_cndmask_b32_e64 v2, 0, 1, s[6:7]
	s_and_b64 s[6:7], s[18:19], s[34:35]
	v_cmp_eq_u32_e64 s[14:15], v9, v30
	v_cmp_eq_u32_e64 s[38:39], 0, v4
	;; [unrolled: 1-line block ×5, first 2 shown]
	v_cndmask_b32_e64 v3, 0, 1, s[6:7]
	s_and_b64 s[6:7], s[16:17], s[36:37]
	v_cmp_eq_u32_e64 s[46:47], 1, v4
	v_cmp_eq_u32_e64 s[54:55], 2, v4
	;; [unrolled: 1-line block ×3, first 2 shown]
	v_cndmask_b32_e64 v4, 0, 1, s[6:7]
	s_and_b64 s[6:7], s[14:15], s[38:39]
	v_cmp_eq_u32_e64 s[42:43], 1, v5
	v_cmp_eq_u32_e64 s[50:51], 2, v5
	;; [unrolled: 1-line block ×3, first 2 shown]
	v_cndmask_b32_e64 v5, 0, 1, s[6:7]
	v_cmp_ne_u32_e64 s[6:7], 0, v2
	v_cmp_ne_u32_e64 s[34:35], 0, v3
	v_cmp_ne_u32_e64 s[36:37], 0, v4
	v_cmp_ne_u32_e64 s[38:39], 0, v5
	s_bcnt1_i32_b64 s6, s[6:7]
	s_bcnt1_i32_b64 s7, s[34:35]
	s_bcnt1_i32_b64 s34, s[36:37]
	s_bcnt1_i32_b64 s35, s[38:39]
	s_add_u32 s6, s6, s88
	s_addc_u32 s36, 0, s89
	s_add_u32 s6, s6, s7
	s_addc_u32 s7, s36, 0
	s_add_u32 s6, s6, s34
	s_addc_u32 s7, s7, 0
	s_add_u32 s88, s6, s35
	s_addc_u32 s89, s7, 0
	s_and_b64 s[6:7], s[20:21], s[40:41]
	v_cndmask_b32_e64 v4, 0, 1, s[6:7]
	s_and_b64 s[6:7], s[18:19], s[42:43]
	v_cndmask_b32_e64 v5, 0, 1, s[6:7]
	s_and_b64 s[6:7], s[16:17], s[44:45]
	v_cndmask_b32_e64 v6, 0, 1, s[6:7]
	s_and_b64 s[6:7], s[14:15], s[46:47]
	v_cndmask_b32_e64 v7, 0, 1, s[6:7]
	v_cmp_ne_u32_e64 s[6:7], 0, v4
	v_cmp_ne_u32_e64 s[34:35], 0, v5
	v_cmp_ne_u32_e64 s[36:37], 0, v6
	v_cmp_ne_u32_e64 s[38:39], 0, v7
	s_bcnt1_i32_b64 s6, s[6:7]
	s_bcnt1_i32_b64 s7, s[34:35]
	s_bcnt1_i32_b64 s34, s[36:37]
	s_bcnt1_i32_b64 s35, s[38:39]
	s_add_u32 s4, s6, s4
	s_addc_u32 s5, 0, s5
	s_add_u32 s4, s4, s7
	s_addc_u32 s5, s5, 0
	s_add_u32 s4, s4, s34
	s_addc_u32 s5, s5, 0
	s_add_u32 s4, s4, s35
	s_addc_u32 s5, s5, 0
	s_and_b64 s[6:7], s[20:21], s[48:49]
	v_cndmask_b32_e64 v6, 0, 1, s[6:7]
	s_and_b64 s[6:7], s[18:19], s[50:51]
	v_cndmask_b32_e64 v7, 0, 1, s[6:7]
	s_and_b64 s[6:7], s[16:17], s[52:53]
	v_cndmask_b32_e64 v8, 0, 1, s[6:7]
	s_and_b64 s[6:7], s[14:15], s[54:55]
	;; [unrolled: 24-line block ×3, first 2 shown]
	v_cndmask_b32_e64 v37, 0, 1, s[6:7]
	v_cmp_ne_u32_e64 s[6:7], 0, v8
	v_cmp_ne_u32_e64 s[14:15], 0, v9
	;; [unrolled: 1-line block ×4, first 2 shown]
	s_bcnt1_i32_b64 s6, s[6:7]
	s_bcnt1_i32_b64 s7, s[14:15]
	;; [unrolled: 1-line block ×4, first 2 shown]
	s_add_u32 s6, s6, s92
	s_addc_u32 s16, 0, s93
	s_add_u32 s6, s6, s7
	s_addc_u32 s7, s16, 0
	s_add_u32 s6, s6, s14
	s_addc_u32 s7, s7, 0
	v_cmp_le_u64_e32 vcc, s[10:11], v[21:22]
	s_add_u32 s92, s6, s15
	v_mov_b32_e32 v2, s88
	v_mov_b32_e32 v4, s4
	;; [unrolled: 1-line block ×3, first 2 shown]
	s_addc_u32 s93, s7, 0
	v_mov_b32_e32 v8, s92
	v_add_u32_e32 v17, s9, v17
	v_mov_b32_e32 v3, s89
	v_mov_b32_e32 v5, s5
	;; [unrolled: 1-line block ×3, first 2 shown]
	s_or_b64 s[80:81], vcc, s[80:81]
	v_mov_b32_e32 v9, s93
	s_andn2_b64 exec, exec, s[80:81]
	s_cbranch_execnz .LBB198_63
; %bb.64:                               ;   in Loop: Header=BB198_18 Depth=1
	s_or_b64 exec, exec, s[80:81]
	v_readlane_b32 s94, v49, 63
	v_readlane_b32 s92, v48, 1
	;; [unrolled: 1-line block ×4, first 2 shown]
.LBB198_65:                             ;   in Loop: Header=BB198_18 Depth=1
	s_or_b64 exec, exec, s[12:13]
	v_mov_b32_e32 v17, s11
	v_add_co_u32_e32 v21, vcc, s10, v0
	s_and_b32 s90, s30, 0x7fffffff
	v_addc_co_u32_e32 v22, vcc, 0, v17, vcc
	v_cmp_gt_u64_e32 vcc, s[90:91], v[21:22]
	s_and_saveexec_b64 s[4:5], vcc
	s_cbranch_execz .LBB198_69
; %bb.66:                               ;   in Loop: Header=BB198_18 Depth=1
	v_lshl_add_u32 v17, s8, 4, v14
	s_mov_b64 s[8:9], 0
.LBB198_67:                             ;   Parent Loop BB198_18 Depth=1
                                        ; =>  This Inner Loop Header: Depth=2
	ds_read_b32 v36, v17
	v_add_co_u32_sdwa v21, vcc, v21, v12 dst_sel:DWORD dst_unused:UNUSED_PAD src0_sel:DWORD src1_sel:WORD_0
	v_addc_co_u32_e32 v22, vcc, 0, v22, vcc
	s_waitcnt lgkmcnt(0)
	v_cmp_lt_i32_e64 s[6:7], -1, v36
	v_cndmask_b32_e64 v37, -1, v33, s[6:7]
	v_xor_b32_e32 v37, v37, v36
	v_cmp_o_f32_e64 s[6:7], v36, v36
	v_cndmask_b32_e64 v36, -1, v37, s[6:7]
	v_and_b32_e32 v37, v36, v35
	v_bfe_u32 v36, v36, s72, 2
	v_cmp_eq_u32_e64 s[6:7], v37, v30
	v_cmp_eq_u32_e64 s[14:15], 0, v36
	;; [unrolled: 1-line block ×3, first 2 shown]
	s_and_b64 s[10:11], s[6:7], s[14:15]
	v_cmp_eq_u32_e64 s[18:19], 2, v36
	v_cmp_eq_u32_e64 s[20:21], 3, v36
	v_cndmask_b32_e64 v36, 0, 1, s[10:11]
	s_and_b64 s[10:11], s[6:7], s[16:17]
	v_cndmask_b32_e64 v37, 0, 1, s[10:11]
	s_and_b64 s[10:11], s[6:7], s[18:19]
	s_and_b64 s[6:7], s[6:7], s[20:21]
	v_cndmask_b32_e64 v38, 0, 1, s[10:11]
	v_cndmask_b32_e64 v39, 0, 1, s[6:7]
	v_cmp_le_u64_e32 vcc, s[90:91], v[21:22]
	v_cmp_ne_u32_e64 s[6:7], 0, v36
	v_cmp_ne_u32_e64 s[14:15], 0, v37
	;; [unrolled: 1-line block ×4, first 2 shown]
	s_bcnt1_i32_b64 s6, s[6:7]
	s_bcnt1_i32_b64 s7, s[14:15]
	;; [unrolled: 1-line block ×4, first 2 shown]
	s_or_b64 s[8:9], vcc, s[8:9]
	v_add_co_u32_e32 v2, vcc, s6, v2
	v_addc_co_u32_e32 v3, vcc, 0, v3, vcc
	v_add_co_u32_e32 v4, vcc, s7, v4
	v_addc_co_u32_e32 v5, vcc, 0, v5, vcc
	;; [unrolled: 2-line block ×3, first 2 shown]
	v_add_co_u32_e32 v8, vcc, s11, v8
	v_add_u32_e32 v17, s31, v17
	v_addc_co_u32_e32 v9, vcc, 0, v9, vcc
	s_andn2_b64 exec, exec, s[8:9]
	s_cbranch_execnz .LBB198_67
; %bb.68:                               ;   in Loop: Header=BB198_18 Depth=1
	s_or_b64 exec, exec, s[8:9]
.LBB198_69:                             ;   in Loop: Header=BB198_18 Depth=1
	s_or_b64 exec, exec, s[4:5]
.LBB198_70:                             ;   in Loop: Header=BB198_18 Depth=1
	v_readlane_b32 s4, v49, 62
	s_lshl_b32 s6, s4, 6
	s_and_saveexec_b64 s[4:5], s[94:95]
	s_cbranch_execz .LBB198_72
; %bb.71:                               ;   in Loop: Header=BB198_18 Depth=1
	v_lshl_add_u32 v12, s6, 3, v29
	ds_write_b128 v12, v[2:5]
	ds_write_b128 v12, v[6:9] offset:16
.LBB198_72:                             ;   in Loop: Header=BB198_18 Depth=1
	s_or_b64 exec, exec, s[4:5]
	s_waitcnt lgkmcnt(0)
	s_barrier
	s_mov_b64 s[4:5], exec
	v_readlane_b32 s8, v49, 40
	v_readlane_b32 s9, v49, 41
	s_and_b64 s[8:9], s[4:5], s[8:9]
	s_mov_b64 exec, s[8:9]
	s_cbranch_execz .LBB198_84
; %bb.73:                               ;   in Loop: Header=BB198_18 Depth=1
	v_readlane_b32 s8, v49, 48
	v_mov_b32_e32 v2, 0
	v_readlane_b32 s9, v49, 49
	v_mov_b32_e32 v3, 0
	s_andn2_b64 vcc, exec, s[8:9]
	s_cbranch_vccnz .LBB198_83
; %bb.74:                               ;   in Loop: Header=BB198_18 Depth=1
	v_readlane_b32 s8, v49, 57
	v_readlane_b32 s9, v49, 58
	s_andn2_b64 vcc, exec, s[8:9]
	s_cbranch_vccnz .LBB198_79
; %bb.75:                               ;   in Loop: Header=BB198_18 Depth=1
	v_readlane_b32 s7, v49, 62
	v_mov_b32_e32 v2, 0
	v_lshl_add_u32 v4, s7, 9, v32
	v_mov_b32_e32 v3, 0
	s_mov_b32 s7, 0
.LBB198_76:                             ;   Parent Loop BB198_18 Depth=1
                                        ; =>  This Inner Loop Header: Depth=2
	ds_read2_b64 v[5:8], v4 offset1:4
	ds_read2_b64 v[36:39], v4 offset0:8 offset1:12
	ds_read2_b64 v[40:43], v4 offset0:16 offset1:20
	;; [unrolled: 1-line block ×3, first 2 shown]
	s_add_i32 s7, s7, 8
	s_waitcnt lgkmcnt(3)
	v_add_co_u32_e32 v2, vcc, v5, v2
	v_addc_co_u32_e32 v3, vcc, v6, v3, vcc
	v_add_co_u32_e32 v2, vcc, v7, v2
	v_addc_co_u32_e32 v3, vcc, v8, v3, vcc
	s_waitcnt lgkmcnt(2)
	v_add_co_u32_e32 v2, vcc, v36, v2
	v_addc_co_u32_e32 v3, vcc, v37, v3, vcc
	v_add_co_u32_e32 v2, vcc, v38, v2
	v_addc_co_u32_e32 v3, vcc, v39, v3, vcc
	;; [unrolled: 5-line block ×3, first 2 shown]
	s_waitcnt lgkmcnt(0)
	v_add_co_u32_e32 v2, vcc, v44, v2
	v_addc_co_u32_e32 v3, vcc, v45, v3, vcc
	v_add_co_u32_e32 v2, vcc, v46, v2
	v_add_u32_e32 v4, 0x100, v4
	s_cmp_eq_u32 s0, s7
	v_addc_co_u32_e32 v3, vcc, v47, v3, vcc
	s_cbranch_scc0 .LBB198_76
; %bb.77:                               ;   in Loop: Header=BB198_18 Depth=1
	s_mov_b32 s7, s0
	s_branch .LBB198_80
.LBB198_78:                             ;   in Loop: Header=BB198_18 Depth=1
                                        ; implicit-def: $sgpr4_sgpr5
	s_branch .LBB198_48
.LBB198_79:                             ;   in Loop: Header=BB198_18 Depth=1
	v_mov_b32_e32 v2, 0
	v_mov_b32_e32 v3, 0
	s_mov_b32 s7, 0
.LBB198_80:                             ;   in Loop: Header=BB198_18 Depth=1
	v_readlane_b32 s8, v49, 60
	v_readlane_b32 s9, v49, 61
	s_andn2_b64 vcc, exec, s[8:9]
	s_cbranch_vccnz .LBB198_83
; %bb.81:                               ;   in Loop: Header=BB198_18 Depth=1
	v_readlane_b32 s8, v49, 62
	s_lshl_b32 s8, s8, 9
	s_lshl_b32 s7, s7, 5
	s_add_i32 s8, s8, s7
	v_add_u32_e32 v4, s8, v32
	v_readlane_b32 s7, v49, 59
.LBB198_82:                             ;   Parent Loop BB198_18 Depth=1
                                        ; =>  This Inner Loop Header: Depth=2
	ds_read_b64 v[5:6], v4
	s_add_i32 s7, s7, -1
	v_add_u32_e32 v4, 32, v4
	s_cmp_lg_u32 s7, 0
	s_waitcnt lgkmcnt(0)
	v_add_co_u32_e32 v2, vcc, v5, v2
	v_addc_co_u32_e32 v3, vcc, v6, v3, vcc
	s_cbranch_scc1 .LBB198_82
.LBB198_83:                             ;   in Loop: Header=BB198_18 Depth=1
	v_add_lshl_u32 v4, s6, v26, 3
	ds_write_b64 v4, v[2:3] offset:3072
.LBB198_84:                             ;   in Loop: Header=BB198_18 Depth=1
	s_or_b64 exec, exec, s[4:5]
	s_lshl_b32 s4, s6, 3
	v_mov_b32_e32 v6, s4
	s_waitcnt lgkmcnt(0)
	s_barrier
	ds_read_b128 v[2:5], v6 offset:3072
	ds_read_b128 v[6:9], v6 offset:3088
	s_lshl_b32 s73, 3, s72
	v_cmp_eq_u64_e64 s[14:15], 1, v[19:20]
	s_not_b32 s90, s73
	s_waitcnt lgkmcnt(1)
	v_readfirstlane_b32 s17, v3
	v_readfirstlane_b32 s16, v2
	;; [unrolled: 1-line block ×4, first 2 shown]
	s_waitcnt lgkmcnt(0)
	v_readfirstlane_b32 s23, v7
	v_readfirstlane_b32 s22, v6
	;; [unrolled: 1-line block ×4, first 2 shown]
	s_mov_b64 s[38:39], -1
	s_mov_b64 s[18:19], 0
	s_andn2_b64 vcc, exec, s[92:93]
	s_mov_b64 s[28:29], 0
	s_mov_b64 s[26:27], 0
                                        ; implicit-def: $sgpr34_sgpr35
                                        ; implicit-def: $sgpr36_sgpr37
                                        ; implicit-def: $vgpr2_vgpr3
                                        ; implicit-def: $vgpr8
                                        ; implicit-def: $vgpr12
                                        ; implicit-def: $vgpr9
                                        ; implicit-def: $vgpr5
	s_cbranch_vccnz .LBB198_287
; %bb.85:                               ;   in Loop: Header=BB198_18 Depth=1
	s_cmp_eq_u64 s[16:17], 1
	s_cselect_b64 s[4:5], -1, 0
	s_and_b64 s[6:7], s[4:5], s[14:15]
	s_mov_b64 s[4:5], -1
	v_mov_b32_e32 v12, v30
	v_mov_b32_e32 v9, v35
	v_mov_b32_e32 v5, v18
                                        ; implicit-def: $sgpr36_sgpr37
                                        ; implicit-def: $sgpr34_sgpr35
	s_and_saveexec_b64 s[26:27], s[6:7]
	s_cbranch_execz .LBB198_122
; %bb.86:                               ;   in Loop: Header=BB198_18 Depth=1
	ds_read_b64 v[2:3], v13 offset:5120
	s_waitcnt lgkmcnt(0)
	s_barrier
	v_readfirstlane_b32 s8, v2
	v_readfirstlane_b32 s9, v3
	s_mov_b64 s[4:5], exec
	v_readlane_b32 s10, v49, 46
	v_readlane_b32 s11, v49, 47
	s_and_b64 s[10:11], s[4:5], s[10:11]
	s_mov_b64 exec, s[10:11]
; %bb.87:                               ;   in Loop: Header=BB198_18 Depth=1
	ds_write_b32 v28, v13
; %bb.88:                               ;   in Loop: Header=BB198_18 Depth=1
	s_or_b64 exec, exec, s[4:5]
	v_and_b32_e32 v12, s90, v30
	v_or_b32_e32 v9, s73, v35
	s_mov_b64 s[34:35], -1
	s_mov_b64 s[36:37], 0
	s_cmp_eq_u64 s[8:9], 0
	s_mov_b64 s[4:5], 0
	s_mov_b64 s[10:11], -1
	s_waitcnt lgkmcnt(0)
	s_barrier
                                        ; implicit-def: $vgpr5
	s_cbranch_scc1 .LBB198_106
; %bb.89:                               ;   in Loop: Header=BB198_18 Depth=1
	v_readlane_b32 s4, v49, 50
	s_add_u32 s28, s8, s4
	v_readlane_b32 s4, v49, 52
	s_addc_u32 s5, s9, s4
	s_mov_b32 s4, s91
	s_cmp_lg_u64 s[4:5], 0
	s_cbranch_scc0 .LBB198_149
; %bb.90:                               ;   in Loop: Header=BB198_18 Depth=1
	v_cvt_f32_u32_e32 v2, s75
	s_sub_u32 s4, 0, s75
	s_subb_u32 s12, 0, 0
	v_mac_f32_e32 v2, 0, v34
	v_rcp_f32_e32 v2, v2
	v_mul_f32_e32 v2, 0x5f7ffffc, v2
	v_mul_f32_e32 v3, 0x2f800000, v2
	v_trunc_f32_e32 v3, v3
	v_mac_f32_e32 v2, 0xcf800000, v3
	v_cvt_u32_f32_e32 v3, v3
	v_cvt_u32_f32_e32 v2, v2
	v_readfirstlane_b32 s13, v3
	v_readfirstlane_b32 s10, v2
	s_mul_i32 s11, s4, s13
	s_mul_hi_u32 s30, s4, s10
	s_mul_i32 s29, s12, s10
	s_add_i32 s11, s30, s11
	s_mul_i32 s31, s4, s10
	s_add_i32 s11, s11, s29
	s_mul_hi_u32 s30, s10, s31
	s_mul_i32 s38, s10, s11
	s_mul_hi_u32 s29, s10, s11
	s_add_u32 s30, s30, s38
	s_addc_u32 s29, 0, s29
	s_mul_hi_u32 s39, s13, s31
	s_mul_i32 s31, s13, s31
	s_add_u32 s30, s30, s31
	s_mul_hi_u32 s38, s13, s11
	s_addc_u32 s29, s29, s39
	s_addc_u32 s30, s38, 0
	s_mul_i32 s11, s13, s11
	s_add_u32 s11, s29, s11
	s_addc_u32 s29, 0, s30
	s_add_u32 s30, s10, s11
	s_cselect_b64 s[10:11], -1, 0
	s_cmp_lg_u64 s[10:11], 0
	s_addc_u32 s13, s13, s29
	s_mul_i32 s10, s4, s13
	s_mul_hi_u32 s11, s4, s30
	s_add_i32 s10, s11, s10
	s_mul_i32 s12, s12, s30
	s_add_i32 s10, s10, s12
	s_mul_i32 s4, s4, s30
	s_mul_hi_u32 s12, s13, s4
	s_mul_i32 s29, s13, s4
	s_mul_i32 s38, s30, s10
	s_mul_hi_u32 s4, s30, s4
	s_mul_hi_u32 s31, s30, s10
	s_add_u32 s4, s4, s38
	s_addc_u32 s31, 0, s31
	s_add_u32 s4, s4, s29
	s_mul_hi_u32 s11, s13, s10
	s_addc_u32 s4, s31, s12
	s_addc_u32 s11, s11, 0
	s_mul_i32 s10, s13, s10
	s_add_u32 s4, s4, s10
	s_addc_u32 s12, 0, s11
	s_add_u32 s4, s30, s4
	s_cselect_b64 s[10:11], -1, 0
	s_cmp_lg_u64 s[10:11], 0
	s_addc_u32 s10, s13, s12
	s_mul_i32 s12, s28, s10
	s_mul_hi_u32 s13, s28, s4
	s_mul_hi_u32 s11, s28, s10
	s_add_u32 s12, s13, s12
	s_addc_u32 s11, 0, s11
	s_mul_hi_u32 s29, s5, s4
	s_mul_i32 s4, s5, s4
	s_add_u32 s4, s12, s4
	s_mul_hi_u32 s13, s5, s10
	s_addc_u32 s4, s11, s29
	s_addc_u32 s11, s13, 0
	s_mul_i32 s10, s5, s10
	s_add_u32 s4, s4, s10
	s_addc_u32 s10, 0, s11
	s_mul_i32 s10, s75, s10
	s_mul_hi_u32 s11, s75, s4
	s_add_i32 s12, s11, s10
	s_mul_i32 s4, s75, s4
	s_sub_u32 s4, s28, s4
	s_cselect_b64 s[10:11], -1, 0
	s_cmp_lg_u64 s[10:11], 0
	s_subb_u32 s12, s5, s12
	s_sub_u32 s13, s4, s75
	s_cselect_b64 s[10:11], -1, 0
	s_cmp_lg_u64 s[10:11], 0
	s_subb_u32 s29, s12, 0
	;; [unrolled: 4-line block ×3, first 2 shown]
	s_cmp_ge_u32 s13, s75
	s_cselect_b32 s11, -1, 0
	s_cmp_eq_u32 s29, 0
	s_cselect_b32 s11, s11, -1
	s_cmp_lg_u32 s11, 0
	s_cselect_b32 s10, s10, s29
	s_cselect_b32 s13, s30, s13
	s_cmp_ge_u32 s4, s75
	s_cselect_b32 s11, -1, 0
	s_cmp_eq_u32 s12, 0
	s_cselect_b32 s11, s11, -1
	s_cmp_lg_u32 s11, 0
	s_cselect_b32 s11, s10, s12
	s_cselect_b32 s10, s13, s4
	s_cbranch_execnz .LBB198_92
.LBB198_91:                             ;   in Loop: Header=BB198_18 Depth=1
	v_cvt_f32_u32_e32 v2, s75
	s_sub_i32 s4, 0, s75
	s_mov_b32 s12, s90
	v_rcp_iflag_f32_e32 v2, v2
	v_mul_f32_e32 v2, 0x4f7ffffe, v2
	v_cvt_u32_f32_e32 v2, v2
	v_readfirstlane_b32 s10, v2
	s_mul_i32 s4, s4, s10
	s_mul_hi_u32 s4, s10, s4
	s_add_i32 s10, s10, s4
	s_mul_hi_u32 s4, s28, s10
	s_mul_i32 s4, s4, s75
	s_sub_i32 s4, s28, s4
	s_sub_i32 s10, s4, s75
	s_cmp_ge_u32 s4, s75
	s_cselect_b32 s4, s10, s4
	s_sub_i32 s10, s4, s75
	s_cmp_ge_u32 s4, s75
	s_cselect_b32 s90, s10, s4
	s_mov_b64 s[10:11], s[90:91]
	s_mov_b32 s90, s12
.LBB198_92:                             ;   in Loop: Header=BB198_18 Depth=1
	s_sub_u32 s28, s28, s10
	s_subb_u32 s29, s5, s11
	v_cmp_gt_u64_e32 vcc, s[28:29], v[0:1]
	s_mov_b64 s[10:11], 0
	s_mov_b64 s[4:5], 0
                                        ; implicit-def: $vgpr5
	s_and_saveexec_b64 s[12:13], vcc
	s_cbranch_execz .LBB198_105
; %bb.93:                               ;   in Loop: Header=BB198_18 Depth=1
	v_mov_b32_e32 v3, v1
	v_mov_b32_e32 v6, v14
	;; [unrolled: 1-line block ×3, first 2 shown]
                                        ; implicit-def: $sgpr30_sgpr31
	s_branch .LBB198_97
.LBB198_94:                             ;   in Loop: Header=BB198_97 Depth=2
	s_or_b64 exec, exec, s[38:39]
	s_waitcnt lgkmcnt(0)
	s_barrier
	ds_read_b64 v[4:5], v13 offset:3072
	s_waitcnt lgkmcnt(0)
	s_barrier
	v_cmp_neq_f32_e32 vcc, 0, v4
	s_cbranch_vccnz .LBB198_100
; %bb.95:                               ;   in Loop: Header=BB198_97 Depth=2
	v_add_co_u32_e32 v2, vcc, s75, v2
	v_addc_co_u32_e32 v3, vcc, 0, v3, vcc
	v_cmp_le_u64_e32 vcc, s[28:29], v[2:3]
	v_add_u32_e32 v6, s1, v6
	s_mov_b64 s[38:39], 0
	s_orn2_b64 s[40:41], vcc, exec
.LBB198_96:                             ;   in Loop: Header=BB198_97 Depth=2
	s_and_b64 s[40:41], exec, s[40:41]
	s_or_b64 s[4:5], s[40:41], s[4:5]
	s_andn2_b64 s[30:31], s[30:31], exec
	s_and_b64 s[38:39], s[38:39], exec
	s_or_b64 s[30:31], s[30:31], s[38:39]
	s_andn2_b64 exec, exec, s[4:5]
	s_cbranch_execz .LBB198_104
.LBB198_97:                             ;   Parent Loop BB198_18 Depth=1
                                        ; =>  This Inner Loop Header: Depth=2
	v_cmp_gt_u64_e32 vcc, s[8:9], v[2:3]
	s_and_saveexec_b64 s[38:39], vcc
	s_cbranch_execz .LBB198_94
; %bb.98:                               ;   in Loop: Header=BB198_97 Depth=2
	ds_read_b32 v17, v6
	s_waitcnt lgkmcnt(0)
	v_cmp_lt_i32_e32 vcc, -1, v17
	v_cndmask_b32_e32 v4, -1, v33, vcc
	v_xor_b32_e32 v4, v4, v17
	v_cmp_o_f32_e32 vcc, v17, v17
	v_cndmask_b32_e32 v4, -1, v4, vcc
	v_and_b32_e32 v4, v4, v9
	v_cmp_eq_u32_e32 vcc, v4, v12
	s_and_b64 exec, exec, vcc
	s_cbranch_execz .LBB198_94
; %bb.99:                               ;   in Loop: Header=BB198_97 Depth=2
	ds_write_b64 v13, v[16:17] offset:3072
	s_branch .LBB198_94
.LBB198_100:                            ;   in Loop: Header=BB198_97 Depth=2
	s_mov_b64 s[40:41], -1
                                        ; implicit-def: $vgpr2_vgpr3
                                        ; implicit-def: $vgpr6
	s_mov_b64 s[38:39], -1
	s_branch .LBB198_96
.LBB198_101:                            ;   in Loop: Header=BB198_18 Depth=1
	s_or_b64 exec, exec, s[8:9]
	s_waitcnt lgkmcnt(0)
	s_barrier
	s_mov_b64 s[6:7], exec
	v_readlane_b32 s8, v49, 32
	v_readlane_b32 s9, v49, 33
	s_and_b64 s[8:9], s[6:7], s[8:9]
	s_mov_b64 exec, s[8:9]
	s_cbranch_execz .LBB198_103
; %bb.102:                              ;   in Loop: Header=BB198_18 Depth=1
	ds_read_b32 v2, v13 offset:5144
	s_waitcnt lgkmcnt(0)
	v_ashrrev_i32_e32 v3, 31, v2
	ds_write_b64 v13, v[2:3] offset:5120
.LBB198_103:                            ;   in Loop: Header=BB198_18 Depth=1
	s_or_b64 exec, exec, s[6:7]
	s_waitcnt lgkmcnt(0)
	s_barrier
	s_mov_b64 s[6:7], -1
	s_and_b64 vcc, exec, s[4:5]
	s_cbranch_vccnz .LBB198_34
	s_branch .LBB198_43
.LBB198_104:                            ;   in Loop: Header=BB198_18 Depth=1
	s_or_b64 exec, exec, s[4:5]
	s_and_b64 s[4:5], s[30:31], exec
.LBB198_105:                            ;   in Loop: Header=BB198_18 Depth=1
	s_or_b64 exec, exec, s[12:13]
.LBB198_106:                            ;   in Loop: Header=BB198_18 Depth=1
	s_and_b64 vcc, exec, s[10:11]
	s_cbranch_vccz .LBB198_121
; %bb.107:                              ;   in Loop: Header=BB198_18 Depth=1
	v_readlane_b32 s34, v49, 53
	v_readlane_b32 s35, v49, 54
	s_mov_b32 s34, s91
	s_cmp_lg_u64 s[34:35], 0
	v_writelane_b32 v49, s34, 53
	v_writelane_b32 v49, s35, 54
	s_cbranch_scc0 .LBB198_150
; %bb.108:                              ;   in Loop: Header=BB198_18 Depth=1
	v_cvt_f32_u32_e32 v2, s75
	s_sub_u32 s10, 0, s75
	s_subb_u32 s11, 0, 0
	v_mac_f32_e32 v2, 0, v34
	v_rcp_f32_e32 v2, v2
	v_mul_f32_e32 v2, 0x5f7ffffc, v2
	v_mul_f32_e32 v3, 0x2f800000, v2
	v_trunc_f32_e32 v3, v3
	v_mac_f32_e32 v2, 0xcf800000, v3
	v_cvt_u32_f32_e32 v3, v3
	v_cvt_u32_f32_e32 v2, v2
	v_readfirstlane_b32 s12, v3
	v_readfirstlane_b32 s8, v2
	s_mul_i32 s9, s10, s12
	s_mul_hi_u32 s28, s10, s8
	s_mul_i32 s13, s11, s8
	s_add_i32 s9, s28, s9
	s_mul_i32 s29, s10, s8
	s_add_i32 s9, s9, s13
	s_mul_hi_u32 s28, s8, s29
	s_mul_i32 s30, s8, s9
	s_mul_hi_u32 s13, s8, s9
	s_add_u32 s28, s28, s30
	s_addc_u32 s13, 0, s13
	s_mul_hi_u32 s31, s12, s29
	s_mul_i32 s29, s12, s29
	s_add_u32 s28, s28, s29
	s_mul_hi_u32 s30, s12, s9
	s_addc_u32 s13, s13, s31
	s_addc_u32 s28, s30, 0
	s_mul_i32 s9, s12, s9
	s_add_u32 s9, s13, s9
	s_addc_u32 s13, 0, s28
	s_add_u32 s28, s8, s9
	s_cselect_b64 s[8:9], -1, 0
	s_cmp_lg_u64 s[8:9], 0
	s_addc_u32 s12, s12, s13
	s_mul_i32 s8, s10, s12
	s_mul_hi_u32 s9, s10, s28
	s_add_i32 s8, s9, s8
	s_mul_i32 s11, s11, s28
	s_add_i32 s8, s8, s11
	s_mul_i32 s10, s10, s28
	s_mul_hi_u32 s11, s12, s10
	s_mul_i32 s13, s12, s10
	s_mul_i32 s30, s28, s8
	s_mul_hi_u32 s10, s28, s10
	s_mul_hi_u32 s29, s28, s8
	s_add_u32 s10, s10, s30
	s_addc_u32 s29, 0, s29
	s_add_u32 s10, s10, s13
	s_mul_hi_u32 s9, s12, s8
	s_addc_u32 s10, s29, s11
	s_addc_u32 s9, s9, 0
	s_mul_i32 s8, s12, s8
	s_add_u32 s8, s10, s8
	s_addc_u32 s10, 0, s9
	s_add_u32 s11, s28, s8
	s_cselect_b64 s[8:9], -1, 0
	s_cmp_lg_u64 s[8:9], 0
	s_addc_u32 s8, s12, s10
	v_readlane_b32 s28, v49, 51
	s_mul_i32 s10, s28, s8
	s_mul_hi_u32 s12, s28, s11
	s_mul_hi_u32 s9, s28, s8
	s_add_u32 s10, s12, s10
	s_addc_u32 s9, 0, s9
	s_mul_hi_u32 s13, s35, s11
	s_mul_i32 s11, s35, s11
	s_add_u32 s10, s10, s11
	s_mul_hi_u32 s12, s35, s8
	s_addc_u32 s9, s9, s13
	s_addc_u32 s10, s12, 0
	s_mul_i32 s8, s35, s8
	s_add_u32 s8, s9, s8
	s_addc_u32 s9, 0, s10
	s_mul_i32 s9, s75, s9
	s_mul_hi_u32 s10, s75, s8
	s_add_i32 s10, s10, s9
	s_mul_i32 s8, s75, s8
	s_sub_u32 s11, s28, s8
	s_cselect_b64 s[8:9], -1, 0
	s_cmp_lg_u64 s[8:9], 0
	s_subb_u32 s10, s35, s10
	s_sub_u32 s12, s11, s75
	s_cselect_b64 s[8:9], -1, 0
	s_cmp_lg_u64 s[8:9], 0
	s_subb_u32 s13, s10, 0
	;; [unrolled: 4-line block ×3, first 2 shown]
	s_cmp_ge_u32 s12, s75
	s_cselect_b32 s9, -1, 0
	s_cmp_eq_u32 s13, 0
	s_cselect_b32 s9, s9, -1
	s_cmp_lg_u32 s9, 0
	s_cselect_b32 s8, s8, s13
	s_cselect_b32 s12, s28, s12
	s_cmp_ge_u32 s11, s75
	s_cselect_b32 s9, -1, 0
	s_cmp_eq_u32 s10, 0
	s_cselect_b32 s9, s9, -1
	s_cmp_lg_u32 s9, 0
	s_cselect_b32 s9, s8, s10
	s_cselect_b32 s8, s12, s11
	s_cbranch_execnz .LBB198_110
.LBB198_109:                            ;   in Loop: Header=BB198_18 Depth=1
	v_cvt_f32_u32_e32 v2, s75
	s_sub_i32 s8, 0, s75
	v_readlane_b32 s10, v49, 51
	v_rcp_iflag_f32_e32 v2, v2
	v_mul_f32_e32 v2, 0x4f7ffffe, v2
	v_cvt_u32_f32_e32 v2, v2
	v_readfirstlane_b32 s9, v2
	s_mul_i32 s8, s8, s9
	s_mul_hi_u32 s8, s9, s8
	s_add_i32 s9, s9, s8
	s_mul_hi_u32 s8, s10, s9
	s_mul_i32 s8, s8, s75
	s_sub_i32 s8, s10, s8
	s_sub_i32 s9, s8, s75
	s_cmp_ge_u32 s8, s75
	s_cselect_b32 s8, s9, s8
	s_sub_i32 s9, s8, s75
	s_cmp_ge_u32 s8, s75
	s_mov_b32 s10, s90
	s_cselect_b32 s90, s9, s8
	s_mov_b64 s[8:9], s[90:91]
	s_mov_b32 s90, s10
.LBB198_110:                            ;   in Loop: Header=BB198_18 Depth=1
	v_readlane_b32 s10, v49, 51
	v_readlane_b32 s12, v49, 53
	s_sub_u32 s10, s10, s8
	v_readlane_b32 s13, v49, 54
	s_subb_u32 s11, s13, s9
	v_cmp_gt_u64_e32 vcc, s[10:11], v[0:1]
                                        ; implicit-def: $vgpr5
	s_and_saveexec_b64 s[8:9], vcc
	s_cbranch_execz .LBB198_120
; %bb.111:                              ;   in Loop: Header=BB198_18 Depth=1
	v_mov_b32_e32 v3, v1
	s_mov_b64 s[12:13], 0
	v_mov_b32_e32 v2, v0
                                        ; implicit-def: $sgpr28_sgpr29
	s_branch .LBB198_115
.LBB198_112:                            ;   in Loop: Header=BB198_115 Depth=2
	s_or_b64 exec, exec, s[30:31]
	s_waitcnt lgkmcnt(0)
	s_barrier
	ds_read_b64 v[4:5], v13 offset:3072
	s_waitcnt lgkmcnt(0)
	s_barrier
	v_cmp_neq_f32_e32 vcc, 0, v4
	s_cbranch_vccnz .LBB198_118
; %bb.113:                              ;   in Loop: Header=BB198_115 Depth=2
	v_add_co_u32_e32 v2, vcc, s75, v2
	v_addc_co_u32_e32 v3, vcc, 0, v3, vcc
	v_cmp_le_u64_e32 vcc, s[10:11], v[2:3]
	s_mov_b64 s[30:31], 0
	s_orn2_b64 s[34:35], vcc, exec
.LBB198_114:                            ;   in Loop: Header=BB198_115 Depth=2
	s_and_b64 s[34:35], exec, s[34:35]
	s_or_b64 s[12:13], s[34:35], s[12:13]
	s_andn2_b64 s[28:29], s[28:29], exec
	s_and_b64 s[30:31], s[30:31], exec
	s_or_b64 s[28:29], s[28:29], s[30:31]
	s_andn2_b64 exec, exec, s[12:13]
	s_cbranch_execz .LBB198_119
.LBB198_115:                            ;   Parent Loop BB198_18 Depth=1
                                        ; =>  This Inner Loop Header: Depth=2
	v_cmp_gt_u64_e32 vcc, s[60:61], v[2:3]
	s_and_saveexec_b64 s[30:31], vcc
	s_cbranch_execz .LBB198_112
; %bb.116:                              ;   in Loop: Header=BB198_115 Depth=2
	v_mul_lo_u32 v6, v3, s58
	v_mul_lo_u32 v7, v2, s59
	v_mad_u64_u32 v[4:5], s[34:35], v2, s58, 0
	v_add3_u32 v5, v5, v7, v6
	v_lshlrev_b64 v[4:5], 2, v[4:5]
	v_mov_b32_e32 v6, s74
	v_add_co_u32_e32 v4, vcc, s33, v4
	v_addc_co_u32_e32 v5, vcc, v6, v5, vcc
	global_load_dword v17, v[4:5], off
	s_waitcnt vmcnt(0)
	v_cmp_lt_i32_e32 vcc, -1, v17
	v_cndmask_b32_e32 v4, -1, v33, vcc
	v_xor_b32_e32 v4, v4, v17
	v_cmp_o_f32_e32 vcc, v17, v17
	v_cndmask_b32_e32 v4, -1, v4, vcc
	v_and_b32_e32 v4, v4, v9
	v_cmp_eq_u32_e32 vcc, v4, v12
	s_and_b64 exec, exec, vcc
	s_cbranch_execz .LBB198_112
; %bb.117:                              ;   in Loop: Header=BB198_115 Depth=2
	ds_write_b64 v13, v[16:17] offset:3072
	s_branch .LBB198_112
.LBB198_118:                            ;   in Loop: Header=BB198_115 Depth=2
	s_mov_b64 s[34:35], -1
                                        ; implicit-def: $vgpr2_vgpr3
	s_mov_b64 s[30:31], -1
	s_branch .LBB198_114
.LBB198_119:                            ;   in Loop: Header=BB198_18 Depth=1
	s_or_b64 exec, exec, s[12:13]
	s_andn2_b64 s[4:5], s[4:5], exec
	s_and_b64 s[10:11], s[28:29], exec
	s_or_b64 s[4:5], s[4:5], s[10:11]
.LBB198_120:                            ;   in Loop: Header=BB198_18 Depth=1
	s_or_b64 exec, exec, s[8:9]
	s_mov_b64 s[34:35], 0
	s_mov_b64 s[36:37], -1
.LBB198_121:                            ;   in Loop: Header=BB198_18 Depth=1
	s_orn2_b64 s[4:5], s[4:5], exec
.LBB198_122:                            ;   in Loop: Header=BB198_18 Depth=1
	s_or_b64 exec, exec, s[26:27]
	s_mov_b64 s[38:39], 0
	s_mov_b64 s[28:29], 0
	;; [unrolled: 1-line block ×3, first 2 shown]
                                        ; implicit-def: $vgpr2_vgpr3
                                        ; implicit-def: $vgpr8
	s_and_saveexec_b64 s[40:41], s[4:5]
	s_cbranch_execz .LBB198_286
; %bb.123:                              ;   in Loop: Header=BB198_18 Depth=1
	v_mov_b32_e32 v2, 1
	s_xor_b64 s[8:9], s[6:7], -1
	v_mov_b32_e32 v8, 1
	v_mov_b32_e32 v3, 0
	s_mov_b64 s[6:7], 0
	s_and_saveexec_b64 s[4:5], s[8:9]
	s_cbranch_execz .LBB198_132
; %bb.124:                              ;   in Loop: Header=BB198_18 Depth=1
	v_cmp_ge_u64_e32 vcc, s[16:17], v[19:20]
	s_and_saveexec_b64 s[6:7], vcc
	s_xor_b64 s[6:7], exec, s[6:7]
	s_cbranch_execz .LBB198_129
; %bb.125:                              ;   in Loop: Header=BB198_18 Depth=1
	ds_read_b64 v[2:3], v13 offset:5120
	v_and_b32_e32 v12, s90, v12
	v_or_b32_e32 v9, s73, v9
	s_waitcnt lgkmcnt(0)
	v_cmp_ne_u64_e32 vcc, 0, v[2:3]
	s_cbranch_vccnz .LBB198_129
; %bb.126:                              ;   in Loop: Header=BB198_18 Depth=1
	s_mov_b64 s[8:9], exec
	v_readlane_b32 s10, v49, 32
	v_readlane_b32 s11, v49, 33
	s_and_b64 s[10:11], s[8:9], s[10:11]
	s_mov_b64 exec, s[10:11]
; %bb.127:                              ;   in Loop: Header=BB198_18 Depth=1
	v_mov_b32_e32 v2, s16
	v_mov_b32_e32 v3, s17
	ds_write_b64 v13, v[2:3] offset:5128
; %bb.128:                              ;   in Loop: Header=BB198_18 Depth=1
	s_or_b64 exec, exec, s[8:9]
	s_waitcnt lgkmcnt(0)
	s_barrier
.LBB198_129:                            ;   in Loop: Header=BB198_18 Depth=1
	s_or_saveexec_b64 s[6:7], s[6:7]
	v_mov_b32_e32 v2, v19
	s_mov_b64 s[8:9], 0
	v_mov_b32_e32 v8, 8
	v_mov_b32_e32 v3, v20
	s_xor_b64 exec, exec, s[6:7]
; %bb.130:                              ;   in Loop: Header=BB198_18 Depth=1
	v_mov_b32_e32 v3, s17
	v_subrev_co_u32_e32 v2, vcc, s16, v19
	s_mov_b64 s[8:9], exec
	v_subb_co_u32_e32 v3, vcc, v20, v3, vcc
	v_mov_b32_e32 v8, 0
; %bb.131:                              ;   in Loop: Header=BB198_18 Depth=1
	s_or_b64 exec, exec, s[6:7]
	s_and_b64 s[6:7], s[8:9], exec
.LBB198_132:                            ;   in Loop: Header=BB198_18 Depth=1
	s_or_b64 exec, exec, s[4:5]
	s_mov_b64 s[4:5], -1
                                        ; implicit-def: $sgpr26_sgpr27
                                        ; implicit-def: $sgpr28_sgpr29
	s_and_saveexec_b64 s[8:9], s[6:7]
	s_xor_b64 s[6:7], exec, s[8:9]
	s_cbranch_execz .LBB198_283
; %bb.133:                              ;   in Loop: Header=BB198_18 Depth=1
	s_cmp_eq_u64 s[20:21], 1
	v_cmp_eq_u64_e32 vcc, 1, v[2:3]
	s_cselect_b64 s[4:5], -1, 0
	s_and_b64 s[30:31], s[4:5], vcc
	s_mov_b64 s[4:5], -1
                                        ; implicit-def: $sgpr28_sgpr29
                                        ; implicit-def: $sgpr26_sgpr27
	s_and_saveexec_b64 s[42:43], s[30:31]
	s_cbranch_execz .LBB198_169
; %bb.134:                              ;   in Loop: Header=BB198_18 Depth=1
	ds_read_b64 v[4:5], v13 offset:5120
	s_waitcnt lgkmcnt(0)
	s_barrier
	v_readfirstlane_b32 s8, v4
	v_readfirstlane_b32 s9, v5
	s_mov_b64 s[4:5], exec
	v_readlane_b32 s10, v49, 46
	v_readlane_b32 s11, v49, 47
	s_and_b64 s[10:11], s[4:5], s[10:11]
	s_mov_b64 exec, s[10:11]
; %bb.135:                              ;   in Loop: Header=BB198_18 Depth=1
	ds_write_b32 v28, v13
; %bb.136:                              ;   in Loop: Header=BB198_18 Depth=1
	s_or_b64 exec, exec, s[4:5]
	v_and_b32_e32 v4, s90, v12
	v_lshl_or_b32 v12, 1, s72, v4
	v_or_b32_e32 v9, s73, v9
	s_mov_b64 s[26:27], -1
	s_mov_b64 s[28:29], 0
	s_cmp_eq_u64 s[8:9], 0
	s_mov_b64 s[4:5], 0
	s_mov_b64 s[10:11], -1
	s_waitcnt lgkmcnt(0)
	s_barrier
                                        ; implicit-def: $vgpr5
	s_cbranch_scc1 .LBB198_153
; %bb.137:                              ;   in Loop: Header=BB198_18 Depth=1
	v_readlane_b32 s4, v49, 50
	s_add_u32 s44, s8, s4
	v_readlane_b32 s4, v49, 52
	s_addc_u32 s5, s9, s4
	s_mov_b32 s4, s91
	s_cmp_lg_u64 s[4:5], 0
	s_cbranch_scc0 .LBB198_196
; %bb.138:                              ;   in Loop: Header=BB198_18 Depth=1
	v_cvt_f32_u32_e32 v4, s75
	s_sub_u32 s4, 0, s75
	s_subb_u32 s12, 0, 0
	v_mac_f32_e32 v4, 0, v34
	v_rcp_f32_e32 v4, v4
	v_mul_f32_e32 v4, 0x5f7ffffc, v4
	v_mul_f32_e32 v5, 0x2f800000, v4
	v_trunc_f32_e32 v5, v5
	v_mac_f32_e32 v4, 0xcf800000, v5
	v_cvt_u32_f32_e32 v5, v5
	v_cvt_u32_f32_e32 v4, v4
	v_readfirstlane_b32 s13, v5
	v_readfirstlane_b32 s10, v4
	s_mul_i32 s11, s4, s13
	s_mul_hi_u32 s46, s4, s10
	s_mul_i32 s45, s12, s10
	s_add_i32 s11, s46, s11
	s_mul_i32 s47, s4, s10
	s_add_i32 s11, s11, s45
	s_mul_hi_u32 s46, s10, s47
	s_mul_i32 s48, s10, s11
	s_mul_hi_u32 s45, s10, s11
	s_add_u32 s46, s46, s48
	s_addc_u32 s45, 0, s45
	s_mul_hi_u32 s49, s13, s47
	s_mul_i32 s47, s13, s47
	s_add_u32 s46, s46, s47
	s_mul_hi_u32 s48, s13, s11
	s_addc_u32 s45, s45, s49
	s_addc_u32 s46, s48, 0
	s_mul_i32 s11, s13, s11
	s_add_u32 s11, s45, s11
	s_addc_u32 s45, 0, s46
	s_add_u32 s46, s10, s11
	s_cselect_b64 s[10:11], -1, 0
	s_cmp_lg_u64 s[10:11], 0
	s_addc_u32 s13, s13, s45
	s_mul_i32 s10, s4, s13
	s_mul_hi_u32 s11, s4, s46
	s_add_i32 s10, s11, s10
	s_mul_i32 s12, s12, s46
	s_add_i32 s10, s10, s12
	s_mul_i32 s4, s4, s46
	s_mul_hi_u32 s12, s13, s4
	s_mul_i32 s45, s13, s4
	s_mul_i32 s48, s46, s10
	s_mul_hi_u32 s4, s46, s4
	s_mul_hi_u32 s47, s46, s10
	s_add_u32 s4, s4, s48
	s_addc_u32 s47, 0, s47
	s_add_u32 s4, s4, s45
	s_mul_hi_u32 s11, s13, s10
	s_addc_u32 s4, s47, s12
	s_addc_u32 s11, s11, 0
	s_mul_i32 s10, s13, s10
	s_add_u32 s4, s4, s10
	s_addc_u32 s12, 0, s11
	s_add_u32 s4, s46, s4
	s_cselect_b64 s[10:11], -1, 0
	s_cmp_lg_u64 s[10:11], 0
	s_addc_u32 s10, s13, s12
	s_mul_i32 s12, s44, s10
	s_mul_hi_u32 s13, s44, s4
	s_mul_hi_u32 s11, s44, s10
	s_add_u32 s12, s13, s12
	s_addc_u32 s11, 0, s11
	s_mul_hi_u32 s45, s5, s4
	s_mul_i32 s4, s5, s4
	s_add_u32 s4, s12, s4
	s_mul_hi_u32 s13, s5, s10
	s_addc_u32 s4, s11, s45
	s_addc_u32 s11, s13, 0
	s_mul_i32 s10, s5, s10
	s_add_u32 s4, s4, s10
	s_addc_u32 s10, 0, s11
	s_mul_i32 s10, s75, s10
	s_mul_hi_u32 s11, s75, s4
	s_add_i32 s12, s11, s10
	s_mul_i32 s4, s75, s4
	s_sub_u32 s4, s44, s4
	s_cselect_b64 s[10:11], -1, 0
	s_cmp_lg_u64 s[10:11], 0
	s_subb_u32 s12, s5, s12
	s_sub_u32 s13, s4, s75
	s_cselect_b64 s[10:11], -1, 0
	s_cmp_lg_u64 s[10:11], 0
	s_subb_u32 s45, s12, 0
	;; [unrolled: 4-line block ×3, first 2 shown]
	s_cmp_ge_u32 s13, s75
	s_cselect_b32 s11, -1, 0
	s_cmp_eq_u32 s45, 0
	s_cselect_b32 s11, s11, -1
	s_cmp_lg_u32 s11, 0
	s_cselect_b32 s10, s10, s45
	s_cselect_b32 s13, s46, s13
	s_cmp_ge_u32 s4, s75
	s_cselect_b32 s11, -1, 0
	s_cmp_eq_u32 s12, 0
	s_cselect_b32 s11, s11, -1
	s_cmp_lg_u32 s11, 0
	s_cselect_b32 s11, s10, s12
	s_cselect_b32 s10, s13, s4
	s_cbranch_execnz .LBB198_140
.LBB198_139:                            ;   in Loop: Header=BB198_18 Depth=1
	v_cvt_f32_u32_e32 v4, s75
	s_sub_i32 s4, 0, s75
	s_mov_b32 s12, s90
	v_rcp_iflag_f32_e32 v4, v4
	v_mul_f32_e32 v4, 0x4f7ffffe, v4
	v_cvt_u32_f32_e32 v4, v4
	v_readfirstlane_b32 s10, v4
	s_mul_i32 s4, s4, s10
	s_mul_hi_u32 s4, s10, s4
	s_add_i32 s10, s10, s4
	s_mul_hi_u32 s4, s44, s10
	s_mul_i32 s4, s4, s75
	s_sub_i32 s4, s44, s4
	s_sub_i32 s10, s4, s75
	s_cmp_ge_u32 s4, s75
	s_cselect_b32 s4, s10, s4
	s_sub_i32 s10, s4, s75
	s_cmp_ge_u32 s4, s75
	s_cselect_b32 s90, s10, s4
	s_mov_b64 s[10:11], s[90:91]
	s_mov_b32 s90, s12
.LBB198_140:                            ;   in Loop: Header=BB198_18 Depth=1
	s_sub_u32 s44, s44, s10
	s_subb_u32 s45, s5, s11
	v_cmp_gt_u64_e32 vcc, s[44:45], v[0:1]
	s_mov_b64 s[10:11], 0
	s_mov_b64 s[4:5], 0
                                        ; implicit-def: $vgpr5
	s_and_saveexec_b64 s[12:13], vcc
	s_cbranch_execz .LBB198_152
; %bb.141:                              ;   in Loop: Header=BB198_18 Depth=1
	v_mov_b32_e32 v7, v1
	v_mov_b32_e32 v21, v14
	;; [unrolled: 1-line block ×3, first 2 shown]
                                        ; implicit-def: $sgpr46_sgpr47
	s_branch .LBB198_145
.LBB198_142:                            ;   in Loop: Header=BB198_145 Depth=2
	s_or_b64 exec, exec, s[48:49]
	s_waitcnt lgkmcnt(0)
	s_barrier
	ds_read_b64 v[4:5], v13 offset:3072
	s_waitcnt lgkmcnt(0)
	s_barrier
	v_cmp_neq_f32_e32 vcc, 0, v4
	s_cbranch_vccnz .LBB198_148
; %bb.143:                              ;   in Loop: Header=BB198_145 Depth=2
	v_add_co_u32_e32 v6, vcc, s75, v6
	v_addc_co_u32_e32 v7, vcc, 0, v7, vcc
	v_cmp_le_u64_e32 vcc, s[44:45], v[6:7]
	v_add_u32_e32 v21, s1, v21
	s_mov_b64 s[48:49], 0
	s_orn2_b64 s[50:51], vcc, exec
.LBB198_144:                            ;   in Loop: Header=BB198_145 Depth=2
	s_and_b64 s[50:51], exec, s[50:51]
	s_or_b64 s[4:5], s[50:51], s[4:5]
	s_andn2_b64 s[46:47], s[46:47], exec
	s_and_b64 s[48:49], s[48:49], exec
	s_or_b64 s[46:47], s[46:47], s[48:49]
	s_andn2_b64 exec, exec, s[4:5]
	s_cbranch_execz .LBB198_151
.LBB198_145:                            ;   Parent Loop BB198_18 Depth=1
                                        ; =>  This Inner Loop Header: Depth=2
	v_cmp_gt_u64_e32 vcc, s[8:9], v[6:7]
	s_and_saveexec_b64 s[48:49], vcc
	s_cbranch_execz .LBB198_142
; %bb.146:                              ;   in Loop: Header=BB198_145 Depth=2
	ds_read_b32 v17, v21
	s_waitcnt lgkmcnt(0)
	v_cmp_lt_i32_e32 vcc, -1, v17
	v_cndmask_b32_e32 v4, -1, v33, vcc
	v_xor_b32_e32 v4, v4, v17
	v_cmp_o_f32_e32 vcc, v17, v17
	v_cndmask_b32_e32 v4, -1, v4, vcc
	v_and_b32_e32 v4, v4, v9
	v_cmp_eq_u32_e32 vcc, v4, v12
	s_and_b64 exec, exec, vcc
	s_cbranch_execz .LBB198_142
; %bb.147:                              ;   in Loop: Header=BB198_145 Depth=2
	ds_write_b64 v13, v[16:17] offset:3072
	s_branch .LBB198_142
.LBB198_148:                            ;   in Loop: Header=BB198_145 Depth=2
	s_mov_b64 s[50:51], -1
                                        ; implicit-def: $vgpr6_vgpr7
                                        ; implicit-def: $vgpr21
	s_mov_b64 s[48:49], -1
	s_branch .LBB198_144
.LBB198_149:                            ;   in Loop: Header=BB198_18 Depth=1
                                        ; implicit-def: $sgpr10_sgpr11
	s_branch .LBB198_91
.LBB198_150:                            ;   in Loop: Header=BB198_18 Depth=1
                                        ; implicit-def: $sgpr8_sgpr9
	s_branch .LBB198_109
.LBB198_151:                            ;   in Loop: Header=BB198_18 Depth=1
	s_or_b64 exec, exec, s[4:5]
	s_and_b64 s[4:5], s[46:47], exec
.LBB198_152:                            ;   in Loop: Header=BB198_18 Depth=1
	s_or_b64 exec, exec, s[12:13]
.LBB198_153:                            ;   in Loop: Header=BB198_18 Depth=1
	s_and_b64 vcc, exec, s[10:11]
	s_cbranch_vccz .LBB198_168
; %bb.154:                              ;   in Loop: Header=BB198_18 Depth=1
	v_readlane_b32 s44, v49, 53
	v_readlane_b32 s45, v49, 54
	s_mov_b32 s44, s91
	s_cmp_lg_u64 s[44:45], 0
	v_writelane_b32 v49, s44, 53
	v_writelane_b32 v49, s45, 54
	s_cbranch_scc0 .LBB198_197
; %bb.155:                              ;   in Loop: Header=BB198_18 Depth=1
	v_cvt_f32_u32_e32 v4, s75
	s_sub_u32 s10, 0, s75
	s_subb_u32 s11, 0, 0
	v_mac_f32_e32 v4, 0, v34
	v_rcp_f32_e32 v4, v4
	v_mul_f32_e32 v4, 0x5f7ffffc, v4
	v_mul_f32_e32 v5, 0x2f800000, v4
	v_trunc_f32_e32 v5, v5
	v_mac_f32_e32 v4, 0xcf800000, v5
	v_cvt_u32_f32_e32 v5, v5
	v_cvt_u32_f32_e32 v4, v4
	v_readfirstlane_b32 s12, v5
	v_readfirstlane_b32 s8, v4
	s_mul_i32 s9, s10, s12
	s_mul_hi_u32 s26, s10, s8
	s_mul_i32 s13, s11, s8
	s_add_i32 s9, s26, s9
	s_mul_i32 s27, s10, s8
	s_add_i32 s9, s9, s13
	s_mul_hi_u32 s26, s8, s27
	s_mul_i32 s28, s8, s9
	s_mul_hi_u32 s13, s8, s9
	s_add_u32 s26, s26, s28
	s_addc_u32 s13, 0, s13
	s_mul_hi_u32 s29, s12, s27
	s_mul_i32 s27, s12, s27
	s_add_u32 s26, s26, s27
	s_mul_hi_u32 s28, s12, s9
	s_addc_u32 s13, s13, s29
	s_addc_u32 s26, s28, 0
	s_mul_i32 s9, s12, s9
	s_add_u32 s9, s13, s9
	s_addc_u32 s13, 0, s26
	s_add_u32 s26, s8, s9
	s_cselect_b64 s[8:9], -1, 0
	s_cmp_lg_u64 s[8:9], 0
	s_addc_u32 s12, s12, s13
	s_mul_i32 s8, s10, s12
	s_mul_hi_u32 s9, s10, s26
	s_add_i32 s8, s9, s8
	s_mul_i32 s11, s11, s26
	s_add_i32 s8, s8, s11
	s_mul_i32 s10, s10, s26
	s_mul_hi_u32 s11, s12, s10
	s_mul_i32 s13, s12, s10
	s_mul_i32 s28, s26, s8
	s_mul_hi_u32 s10, s26, s10
	s_mul_hi_u32 s27, s26, s8
	s_add_u32 s10, s10, s28
	s_addc_u32 s27, 0, s27
	s_add_u32 s10, s10, s13
	s_mul_hi_u32 s9, s12, s8
	s_addc_u32 s10, s27, s11
	s_addc_u32 s9, s9, 0
	s_mul_i32 s8, s12, s8
	s_add_u32 s8, s10, s8
	s_addc_u32 s10, 0, s9
	s_add_u32 s11, s26, s8
	s_cselect_b64 s[8:9], -1, 0
	s_cmp_lg_u64 s[8:9], 0
	s_addc_u32 s8, s12, s10
	v_readlane_b32 s26, v49, 51
	s_mul_i32 s10, s26, s8
	s_mul_hi_u32 s12, s26, s11
	s_mul_hi_u32 s9, s26, s8
	s_add_u32 s10, s12, s10
	s_addc_u32 s9, 0, s9
	s_mul_hi_u32 s13, s45, s11
	s_mul_i32 s11, s45, s11
	s_add_u32 s10, s10, s11
	s_mul_hi_u32 s12, s45, s8
	s_addc_u32 s9, s9, s13
	s_addc_u32 s10, s12, 0
	s_mul_i32 s8, s45, s8
	s_add_u32 s8, s9, s8
	s_addc_u32 s9, 0, s10
	s_mul_i32 s9, s75, s9
	s_mul_hi_u32 s10, s75, s8
	s_add_i32 s10, s10, s9
	s_mul_i32 s8, s75, s8
	s_sub_u32 s11, s26, s8
	s_cselect_b64 s[8:9], -1, 0
	s_cmp_lg_u64 s[8:9], 0
	s_subb_u32 s10, s45, s10
	s_sub_u32 s12, s11, s75
	s_cselect_b64 s[8:9], -1, 0
	s_cmp_lg_u64 s[8:9], 0
	s_subb_u32 s13, s10, 0
	;; [unrolled: 4-line block ×3, first 2 shown]
	s_cmp_ge_u32 s12, s75
	s_cselect_b32 s9, -1, 0
	s_cmp_eq_u32 s13, 0
	s_cselect_b32 s9, s9, -1
	s_cmp_lg_u32 s9, 0
	s_cselect_b32 s8, s8, s13
	s_cselect_b32 s12, s26, s12
	s_cmp_ge_u32 s11, s75
	s_cselect_b32 s9, -1, 0
	s_cmp_eq_u32 s10, 0
	s_cselect_b32 s9, s9, -1
	s_cmp_lg_u32 s9, 0
	s_cselect_b32 s9, s8, s10
	s_cselect_b32 s8, s12, s11
	s_cbranch_execnz .LBB198_157
.LBB198_156:                            ;   in Loop: Header=BB198_18 Depth=1
	v_cvt_f32_u32_e32 v4, s75
	s_sub_i32 s8, 0, s75
	v_readlane_b32 s10, v49, 51
	v_rcp_iflag_f32_e32 v4, v4
	v_mul_f32_e32 v4, 0x4f7ffffe, v4
	v_cvt_u32_f32_e32 v4, v4
	v_readfirstlane_b32 s9, v4
	s_mul_i32 s8, s8, s9
	s_mul_hi_u32 s8, s9, s8
	s_add_i32 s9, s9, s8
	s_mul_hi_u32 s8, s10, s9
	s_mul_i32 s8, s8, s75
	s_sub_i32 s8, s10, s8
	s_sub_i32 s9, s8, s75
	s_cmp_ge_u32 s8, s75
	s_cselect_b32 s8, s9, s8
	s_sub_i32 s9, s8, s75
	s_cmp_ge_u32 s8, s75
	s_mov_b32 s10, s90
	s_cselect_b32 s90, s9, s8
	s_mov_b64 s[8:9], s[90:91]
	s_mov_b32 s90, s10
.LBB198_157:                            ;   in Loop: Header=BB198_18 Depth=1
	v_readlane_b32 s10, v49, 51
	v_readlane_b32 s12, v49, 53
	s_sub_u32 s10, s10, s8
	v_readlane_b32 s13, v49, 54
	s_subb_u32 s11, s13, s9
	v_cmp_gt_u64_e32 vcc, s[10:11], v[0:1]
                                        ; implicit-def: $vgpr5
	s_and_saveexec_b64 s[8:9], vcc
	s_cbranch_execz .LBB198_167
; %bb.158:                              ;   in Loop: Header=BB198_18 Depth=1
	v_mov_b32_e32 v7, v1
	s_mov_b64 s[12:13], 0
	v_mov_b32_e32 v6, v0
                                        ; implicit-def: $sgpr26_sgpr27
	s_branch .LBB198_162
.LBB198_159:                            ;   in Loop: Header=BB198_162 Depth=2
	s_or_b64 exec, exec, s[28:29]
	s_waitcnt lgkmcnt(0)
	s_barrier
	ds_read_b64 v[4:5], v13 offset:3072
	s_waitcnt lgkmcnt(0)
	s_barrier
	v_cmp_eq_f32_e32 vcc, 0, v4
	s_cbranch_vccz .LBB198_165
; %bb.160:                              ;   in Loop: Header=BB198_162 Depth=2
	v_add_co_u32_e32 v6, vcc, s75, v6
	v_addc_co_u32_e32 v7, vcc, 0, v7, vcc
	v_cmp_le_u64_e32 vcc, s[10:11], v[6:7]
	s_mov_b64 s[28:29], 0
	s_orn2_b64 s[44:45], vcc, exec
.LBB198_161:                            ;   in Loop: Header=BB198_162 Depth=2
	s_and_b64 s[44:45], exec, s[44:45]
	s_or_b64 s[12:13], s[44:45], s[12:13]
	s_andn2_b64 s[26:27], s[26:27], exec
	s_and_b64 s[28:29], s[28:29], exec
	s_or_b64 s[26:27], s[26:27], s[28:29]
	s_andn2_b64 exec, exec, s[12:13]
	s_cbranch_execz .LBB198_166
.LBB198_162:                            ;   Parent Loop BB198_18 Depth=1
                                        ; =>  This Inner Loop Header: Depth=2
	v_cmp_gt_u64_e32 vcc, s[60:61], v[6:7]
	s_and_saveexec_b64 s[28:29], vcc
	s_cbranch_execz .LBB198_159
; %bb.163:                              ;   in Loop: Header=BB198_162 Depth=2
	v_mul_lo_u32 v17, v7, s58
	v_mul_lo_u32 v21, v6, s59
	v_mad_u64_u32 v[4:5], s[44:45], v6, s58, 0
	v_add3_u32 v5, v5, v21, v17
	v_lshlrev_b64 v[4:5], 2, v[4:5]
	v_mov_b32_e32 v17, s74
	v_add_co_u32_e32 v4, vcc, s33, v4
	v_addc_co_u32_e32 v5, vcc, v17, v5, vcc
	global_load_dword v17, v[4:5], off
	s_waitcnt vmcnt(0)
	v_cmp_lt_i32_e32 vcc, -1, v17
	v_cndmask_b32_e32 v4, -1, v33, vcc
	v_xor_b32_e32 v4, v4, v17
	v_cmp_o_f32_e32 vcc, v17, v17
	v_cndmask_b32_e32 v4, -1, v4, vcc
	v_and_b32_e32 v4, v4, v9
	v_cmp_eq_u32_e32 vcc, v4, v12
	s_and_b64 exec, exec, vcc
	s_cbranch_execz .LBB198_159
; %bb.164:                              ;   in Loop: Header=BB198_162 Depth=2
	ds_write_b64 v13, v[16:17] offset:3072
	s_branch .LBB198_159
.LBB198_165:                            ;   in Loop: Header=BB198_162 Depth=2
	s_mov_b64 s[44:45], -1
                                        ; implicit-def: $vgpr6_vgpr7
	s_mov_b64 s[28:29], -1
	s_branch .LBB198_161
.LBB198_166:                            ;   in Loop: Header=BB198_18 Depth=1
	s_or_b64 exec, exec, s[12:13]
	s_andn2_b64 s[4:5], s[4:5], exec
	s_and_b64 s[10:11], s[26:27], exec
	s_or_b64 s[4:5], s[4:5], s[10:11]
.LBB198_167:                            ;   in Loop: Header=BB198_18 Depth=1
	s_or_b64 exec, exec, s[8:9]
	s_mov_b64 s[26:27], 0
	s_mov_b64 s[28:29], -1
.LBB198_168:                            ;   in Loop: Header=BB198_18 Depth=1
	s_orn2_b64 s[4:5], s[4:5], exec
.LBB198_169:                            ;   in Loop: Header=BB198_18 Depth=1
	s_or_b64 exec, exec, s[42:43]
	s_mov_b64 s[8:9], 0
	s_and_saveexec_b64 s[42:43], s[4:5]
	s_cbranch_execz .LBB198_282
; %bb.170:                              ;   in Loop: Header=BB198_18 Depth=1
	v_mov_b32_e32 v6, 1
	s_xor_b64 s[10:11], s[30:31], -1
	v_mov_b32_e32 v8, 1
	v_mov_b32_e32 v7, 0
	s_and_saveexec_b64 s[4:5], s[10:11]
	s_cbranch_execz .LBB198_179
; %bb.171:                              ;   in Loop: Header=BB198_18 Depth=1
	v_cmp_ge_u64_e32 vcc, s[20:21], v[2:3]
	s_and_saveexec_b64 s[8:9], vcc
	s_xor_b64 s[8:9], exec, s[8:9]
	s_cbranch_execz .LBB198_176
; %bb.172:                              ;   in Loop: Header=BB198_18 Depth=1
	ds_read_b64 v[6:7], v13 offset:5120
	v_and_b32_e32 v4, s90, v12
	v_lshl_or_b32 v12, 1, s72, v4
	v_or_b32_e32 v9, s73, v9
	s_waitcnt lgkmcnt(0)
	v_cmp_ne_u64_e32 vcc, 0, v[6:7]
	s_cbranch_vccnz .LBB198_176
; %bb.173:                              ;   in Loop: Header=BB198_18 Depth=1
	s_mov_b64 s[10:11], exec
	v_readlane_b32 s12, v49, 32
	v_readlane_b32 s13, v49, 33
	s_and_b64 s[12:13], s[10:11], s[12:13]
	s_mov_b64 exec, s[12:13]
; %bb.174:                              ;   in Loop: Header=BB198_18 Depth=1
	v_mov_b32_e32 v6, s20
	v_mov_b32_e32 v7, s21
	ds_write_b64 v13, v[6:7] offset:5128
; %bb.175:                              ;   in Loop: Header=BB198_18 Depth=1
	s_or_b64 exec, exec, s[10:11]
	s_waitcnt lgkmcnt(0)
	s_barrier
.LBB198_176:                            ;   in Loop: Header=BB198_18 Depth=1
	s_or_saveexec_b64 s[8:9], s[8:9]
	s_mov_b64 s[10:11], 0
	v_mov_b32_e32 v8, 8
	s_xor_b64 exec, exec, s[8:9]
; %bb.177:                              ;   in Loop: Header=BB198_18 Depth=1
	v_mov_b32_e32 v4, s21
	v_subrev_co_u32_e32 v2, vcc, s20, v2
	s_mov_b64 s[10:11], exec
	v_subb_co_u32_e32 v3, vcc, v3, v4, vcc
	v_mov_b32_e32 v8, 0
; %bb.178:                              ;   in Loop: Header=BB198_18 Depth=1
	s_or_b64 exec, exec, s[8:9]
	v_mov_b32_e32 v7, v3
	s_and_b64 s[8:9], s[10:11], exec
	v_mov_b32_e32 v6, v2
.LBB198_179:                            ;   in Loop: Header=BB198_18 Depth=1
	s_or_b64 exec, exec, s[4:5]
	s_mov_b64 s[4:5], -1
                                        ; implicit-def: $sgpr46_sgpr47
                                        ; implicit-def: $sgpr48_sgpr49
	s_and_saveexec_b64 s[44:45], s[8:9]
	s_cbranch_execz .LBB198_281
; %bb.180:                              ;   in Loop: Header=BB198_18 Depth=1
	s_cmp_eq_u64 s[22:23], 1
	v_cmp_eq_u64_e32 vcc, 1, v[6:7]
	s_cselect_b64 s[4:5], -1, 0
	s_and_b64 s[50:51], s[4:5], vcc
	s_mov_b64 s[4:5], -1
                                        ; implicit-def: $sgpr48_sgpr49
                                        ; implicit-def: $sgpr46_sgpr47
	s_and_saveexec_b64 s[30:31], s[50:51]
	s_cbranch_execz .LBB198_216
; %bb.181:                              ;   in Loop: Header=BB198_18 Depth=1
	ds_read_b64 v[2:3], v13 offset:5120
	s_waitcnt lgkmcnt(0)
	s_barrier
	v_readfirstlane_b32 s8, v2
	v_readfirstlane_b32 s9, v3
	s_mov_b64 s[4:5], exec
	v_readlane_b32 s10, v49, 46
	v_readlane_b32 s11, v49, 47
	s_and_b64 s[10:11], s[4:5], s[10:11]
	s_mov_b64 exec, s[10:11]
; %bb.182:                              ;   in Loop: Header=BB198_18 Depth=1
	ds_write_b32 v28, v13
; %bb.183:                              ;   in Loop: Header=BB198_18 Depth=1
	s_or_b64 exec, exec, s[4:5]
	v_and_b32_e32 v2, s90, v12
	v_lshl_or_b32 v12, 2, s72, v2
	v_or_b32_e32 v9, s73, v9
	s_mov_b64 s[46:47], -1
	s_mov_b64 s[48:49], 0
	s_cmp_eq_u64 s[8:9], 0
	s_mov_b64 s[4:5], 0
	s_mov_b64 s[10:11], -1
	s_waitcnt lgkmcnt(0)
	s_barrier
                                        ; implicit-def: $vgpr5
	s_cbranch_scc1 .LBB198_200
; %bb.184:                              ;   in Loop: Header=BB198_18 Depth=1
	v_readlane_b32 s4, v49, 50
	s_add_u32 s52, s8, s4
	v_readlane_b32 s4, v49, 52
	s_addc_u32 s5, s9, s4
	s_mov_b32 s4, s91
	s_cmp_lg_u64 s[4:5], 0
	s_cbranch_scc0 .LBB198_233
; %bb.185:                              ;   in Loop: Header=BB198_18 Depth=1
	v_cvt_f32_u32_e32 v2, s75
	s_sub_u32 s4, 0, s75
	s_subb_u32 s12, 0, 0
	v_mac_f32_e32 v2, 0, v34
	v_rcp_f32_e32 v2, v2
	v_mul_f32_e32 v2, 0x5f7ffffc, v2
	v_mul_f32_e32 v3, 0x2f800000, v2
	v_trunc_f32_e32 v3, v3
	v_mac_f32_e32 v2, 0xcf800000, v3
	v_cvt_u32_f32_e32 v3, v3
	v_cvt_u32_f32_e32 v2, v2
	v_readfirstlane_b32 s13, v3
	v_readfirstlane_b32 s10, v2
	s_mul_i32 s11, s4, s13
	s_mul_hi_u32 s54, s4, s10
	s_mul_i32 s53, s12, s10
	s_add_i32 s11, s54, s11
	s_mul_i32 s55, s4, s10
	s_add_i32 s11, s11, s53
	s_mul_hi_u32 s54, s10, s55
	s_mul_i32 s80, s10, s11
	s_mul_hi_u32 s53, s10, s11
	s_add_u32 s54, s54, s80
	s_addc_u32 s53, 0, s53
	s_mul_hi_u32 s81, s13, s55
	s_mul_i32 s55, s13, s55
	s_add_u32 s54, s54, s55
	s_mul_hi_u32 s80, s13, s11
	s_addc_u32 s53, s53, s81
	s_addc_u32 s54, s80, 0
	s_mul_i32 s11, s13, s11
	s_add_u32 s11, s53, s11
	s_addc_u32 s53, 0, s54
	s_add_u32 s54, s10, s11
	s_cselect_b64 s[10:11], -1, 0
	s_cmp_lg_u64 s[10:11], 0
	s_addc_u32 s13, s13, s53
	s_mul_i32 s10, s4, s13
	s_mul_hi_u32 s11, s4, s54
	s_add_i32 s10, s11, s10
	s_mul_i32 s12, s12, s54
	s_add_i32 s10, s10, s12
	s_mul_i32 s4, s4, s54
	s_mul_hi_u32 s12, s13, s4
	s_mul_i32 s53, s13, s4
	s_mul_i32 s80, s54, s10
	s_mul_hi_u32 s4, s54, s4
	s_mul_hi_u32 s55, s54, s10
	s_add_u32 s4, s4, s80
	s_addc_u32 s55, 0, s55
	s_add_u32 s4, s4, s53
	s_mul_hi_u32 s11, s13, s10
	s_addc_u32 s4, s55, s12
	s_addc_u32 s11, s11, 0
	s_mul_i32 s10, s13, s10
	s_add_u32 s4, s4, s10
	s_addc_u32 s12, 0, s11
	s_add_u32 s4, s54, s4
	s_cselect_b64 s[10:11], -1, 0
	s_cmp_lg_u64 s[10:11], 0
	s_addc_u32 s10, s13, s12
	s_mul_i32 s12, s52, s10
	s_mul_hi_u32 s13, s52, s4
	s_mul_hi_u32 s11, s52, s10
	s_add_u32 s12, s13, s12
	s_addc_u32 s11, 0, s11
	s_mul_hi_u32 s53, s5, s4
	s_mul_i32 s4, s5, s4
	s_add_u32 s4, s12, s4
	s_mul_hi_u32 s13, s5, s10
	s_addc_u32 s4, s11, s53
	s_addc_u32 s11, s13, 0
	s_mul_i32 s10, s5, s10
	s_add_u32 s4, s4, s10
	s_addc_u32 s10, 0, s11
	s_mul_i32 s10, s75, s10
	s_mul_hi_u32 s11, s75, s4
	s_add_i32 s12, s11, s10
	s_mul_i32 s4, s75, s4
	s_sub_u32 s4, s52, s4
	s_cselect_b64 s[10:11], -1, 0
	s_cmp_lg_u64 s[10:11], 0
	s_subb_u32 s12, s5, s12
	s_sub_u32 s13, s4, s75
	s_cselect_b64 s[10:11], -1, 0
	s_cmp_lg_u64 s[10:11], 0
	s_subb_u32 s53, s12, 0
	;; [unrolled: 4-line block ×3, first 2 shown]
	s_cmp_ge_u32 s13, s75
	s_cselect_b32 s11, -1, 0
	s_cmp_eq_u32 s53, 0
	s_cselect_b32 s11, s11, -1
	s_cmp_lg_u32 s11, 0
	s_cselect_b32 s10, s10, s53
	s_cselect_b32 s13, s54, s13
	s_cmp_ge_u32 s4, s75
	s_cselect_b32 s11, -1, 0
	s_cmp_eq_u32 s12, 0
	s_cselect_b32 s11, s11, -1
	s_cmp_lg_u32 s11, 0
	s_cselect_b32 s11, s10, s12
	s_cselect_b32 s10, s13, s4
	s_cbranch_execnz .LBB198_187
.LBB198_186:                            ;   in Loop: Header=BB198_18 Depth=1
	v_cvt_f32_u32_e32 v2, s75
	s_sub_i32 s4, 0, s75
	s_mov_b32 s12, s90
	v_rcp_iflag_f32_e32 v2, v2
	v_mul_f32_e32 v2, 0x4f7ffffe, v2
	v_cvt_u32_f32_e32 v2, v2
	v_readfirstlane_b32 s10, v2
	s_mul_i32 s4, s4, s10
	s_mul_hi_u32 s4, s10, s4
	s_add_i32 s10, s10, s4
	s_mul_hi_u32 s4, s52, s10
	s_mul_i32 s4, s4, s75
	s_sub_i32 s4, s52, s4
	s_sub_i32 s10, s4, s75
	s_cmp_ge_u32 s4, s75
	s_cselect_b32 s4, s10, s4
	s_sub_i32 s10, s4, s75
	s_cmp_ge_u32 s4, s75
	s_cselect_b32 s90, s10, s4
	s_mov_b64 s[10:11], s[90:91]
	s_mov_b32 s90, s12
.LBB198_187:                            ;   in Loop: Header=BB198_18 Depth=1
	s_sub_u32 s52, s52, s10
	s_subb_u32 s53, s5, s11
	v_cmp_gt_u64_e32 vcc, s[52:53], v[0:1]
	s_mov_b64 s[10:11], 0
	s_mov_b64 s[4:5], 0
                                        ; implicit-def: $vgpr5
	s_and_saveexec_b64 s[12:13], vcc
	s_cbranch_execz .LBB198_199
; %bb.188:                              ;   in Loop: Header=BB198_18 Depth=1
	v_mov_b32_e32 v3, v1
	v_mov_b32_e32 v21, v14
	v_mov_b32_e32 v2, v0
                                        ; implicit-def: $sgpr54_sgpr55
	s_branch .LBB198_192
.LBB198_189:                            ;   in Loop: Header=BB198_192 Depth=2
	s_or_b64 exec, exec, s[80:81]
	s_waitcnt lgkmcnt(0)
	s_barrier
	ds_read_b64 v[4:5], v13 offset:3072
	s_waitcnt lgkmcnt(0)
	s_barrier
	v_cmp_neq_f32_e32 vcc, 0, v4
	s_cbranch_vccnz .LBB198_195
; %bb.190:                              ;   in Loop: Header=BB198_192 Depth=2
	v_add_co_u32_e32 v2, vcc, s75, v2
	v_addc_co_u32_e32 v3, vcc, 0, v3, vcc
	v_cmp_le_u64_e32 vcc, s[52:53], v[2:3]
	v_add_u32_e32 v21, s1, v21
	s_mov_b64 s[80:81], 0
	s_orn2_b64 s[88:89], vcc, exec
.LBB198_191:                            ;   in Loop: Header=BB198_192 Depth=2
	s_and_b64 s[88:89], exec, s[88:89]
	s_or_b64 s[4:5], s[88:89], s[4:5]
	s_andn2_b64 s[54:55], s[54:55], exec
	s_and_b64 s[80:81], s[80:81], exec
	s_or_b64 s[54:55], s[54:55], s[80:81]
	s_andn2_b64 exec, exec, s[4:5]
	s_cbranch_execz .LBB198_198
.LBB198_192:                            ;   Parent Loop BB198_18 Depth=1
                                        ; =>  This Inner Loop Header: Depth=2
	v_cmp_gt_u64_e32 vcc, s[8:9], v[2:3]
	s_and_saveexec_b64 s[80:81], vcc
	s_cbranch_execz .LBB198_189
; %bb.193:                              ;   in Loop: Header=BB198_192 Depth=2
	ds_read_b32 v17, v21
	s_waitcnt lgkmcnt(0)
	v_cmp_lt_i32_e32 vcc, -1, v17
	v_cndmask_b32_e32 v4, -1, v33, vcc
	v_xor_b32_e32 v4, v4, v17
	v_cmp_o_f32_e32 vcc, v17, v17
	v_cndmask_b32_e32 v4, -1, v4, vcc
	v_and_b32_e32 v4, v4, v9
	v_cmp_eq_u32_e32 vcc, v4, v12
	s_and_b64 exec, exec, vcc
	s_cbranch_execz .LBB198_189
; %bb.194:                              ;   in Loop: Header=BB198_192 Depth=2
	ds_write_b64 v13, v[16:17] offset:3072
	s_branch .LBB198_189
.LBB198_195:                            ;   in Loop: Header=BB198_192 Depth=2
	s_mov_b64 s[88:89], -1
                                        ; implicit-def: $vgpr2_vgpr3
                                        ; implicit-def: $vgpr21
	s_mov_b64 s[80:81], -1
	s_branch .LBB198_191
.LBB198_196:                            ;   in Loop: Header=BB198_18 Depth=1
                                        ; implicit-def: $sgpr10_sgpr11
	s_branch .LBB198_139
.LBB198_197:                            ;   in Loop: Header=BB198_18 Depth=1
                                        ; implicit-def: $sgpr8_sgpr9
	s_branch .LBB198_156
.LBB198_198:                            ;   in Loop: Header=BB198_18 Depth=1
	s_or_b64 exec, exec, s[4:5]
	s_and_b64 s[4:5], s[54:55], exec
.LBB198_199:                            ;   in Loop: Header=BB198_18 Depth=1
	s_or_b64 exec, exec, s[12:13]
.LBB198_200:                            ;   in Loop: Header=BB198_18 Depth=1
	s_and_b64 vcc, exec, s[10:11]
	s_cbranch_vccz .LBB198_215
; %bb.201:                              ;   in Loop: Header=BB198_18 Depth=1
	v_readlane_b32 s52, v49, 53
	v_readlane_b32 s53, v49, 54
	s_mov_b32 s52, s91
	s_cmp_lg_u64 s[52:53], 0
	v_writelane_b32 v49, s52, 53
	v_writelane_b32 v49, s53, 54
	s_cbranch_scc0 .LBB198_234
; %bb.202:                              ;   in Loop: Header=BB198_18 Depth=1
	v_cvt_f32_u32_e32 v2, s75
	s_sub_u32 s10, 0, s75
	s_subb_u32 s11, 0, 0
	v_mac_f32_e32 v2, 0, v34
	v_rcp_f32_e32 v2, v2
	v_mul_f32_e32 v2, 0x5f7ffffc, v2
	v_mul_f32_e32 v3, 0x2f800000, v2
	v_trunc_f32_e32 v3, v3
	v_mac_f32_e32 v2, 0xcf800000, v3
	v_cvt_u32_f32_e32 v3, v3
	v_cvt_u32_f32_e32 v2, v2
	v_readfirstlane_b32 s12, v3
	v_readfirstlane_b32 s8, v2
	s_mul_i32 s9, s10, s12
	s_mul_hi_u32 s46, s10, s8
	s_mul_i32 s13, s11, s8
	s_add_i32 s9, s46, s9
	s_mul_i32 s47, s10, s8
	s_add_i32 s9, s9, s13
	s_mul_hi_u32 s46, s8, s47
	s_mul_i32 s48, s8, s9
	s_mul_hi_u32 s13, s8, s9
	s_add_u32 s46, s46, s48
	s_addc_u32 s13, 0, s13
	s_mul_hi_u32 s49, s12, s47
	s_mul_i32 s47, s12, s47
	s_add_u32 s46, s46, s47
	s_mul_hi_u32 s48, s12, s9
	s_addc_u32 s13, s13, s49
	s_addc_u32 s46, s48, 0
	s_mul_i32 s9, s12, s9
	s_add_u32 s9, s13, s9
	s_addc_u32 s13, 0, s46
	s_add_u32 s46, s8, s9
	s_cselect_b64 s[8:9], -1, 0
	s_cmp_lg_u64 s[8:9], 0
	s_addc_u32 s12, s12, s13
	s_mul_i32 s8, s10, s12
	s_mul_hi_u32 s9, s10, s46
	s_add_i32 s8, s9, s8
	s_mul_i32 s11, s11, s46
	s_add_i32 s8, s8, s11
	s_mul_i32 s10, s10, s46
	s_mul_hi_u32 s11, s12, s10
	s_mul_i32 s13, s12, s10
	s_mul_i32 s48, s46, s8
	s_mul_hi_u32 s10, s46, s10
	s_mul_hi_u32 s47, s46, s8
	s_add_u32 s10, s10, s48
	s_addc_u32 s47, 0, s47
	s_add_u32 s10, s10, s13
	s_mul_hi_u32 s9, s12, s8
	s_addc_u32 s10, s47, s11
	s_addc_u32 s9, s9, 0
	s_mul_i32 s8, s12, s8
	s_add_u32 s8, s10, s8
	s_addc_u32 s10, 0, s9
	s_add_u32 s11, s46, s8
	s_cselect_b64 s[8:9], -1, 0
	s_cmp_lg_u64 s[8:9], 0
	s_addc_u32 s8, s12, s10
	v_readlane_b32 s46, v49, 51
	s_mul_i32 s10, s46, s8
	s_mul_hi_u32 s12, s46, s11
	s_mul_hi_u32 s9, s46, s8
	s_add_u32 s10, s12, s10
	s_addc_u32 s9, 0, s9
	s_mul_hi_u32 s13, s53, s11
	s_mul_i32 s11, s53, s11
	s_add_u32 s10, s10, s11
	s_mul_hi_u32 s12, s53, s8
	s_addc_u32 s9, s9, s13
	s_addc_u32 s10, s12, 0
	s_mul_i32 s8, s53, s8
	s_add_u32 s8, s9, s8
	s_addc_u32 s9, 0, s10
	s_mul_i32 s9, s75, s9
	s_mul_hi_u32 s10, s75, s8
	s_add_i32 s10, s10, s9
	s_mul_i32 s8, s75, s8
	s_sub_u32 s11, s46, s8
	s_cselect_b64 s[8:9], -1, 0
	s_cmp_lg_u64 s[8:9], 0
	s_subb_u32 s10, s53, s10
	s_sub_u32 s12, s11, s75
	s_cselect_b64 s[8:9], -1, 0
	s_cmp_lg_u64 s[8:9], 0
	s_subb_u32 s13, s10, 0
	;; [unrolled: 4-line block ×3, first 2 shown]
	s_cmp_ge_u32 s12, s75
	s_cselect_b32 s9, -1, 0
	s_cmp_eq_u32 s13, 0
	s_cselect_b32 s9, s9, -1
	s_cmp_lg_u32 s9, 0
	s_cselect_b32 s8, s8, s13
	s_cselect_b32 s12, s46, s12
	s_cmp_ge_u32 s11, s75
	s_cselect_b32 s9, -1, 0
	s_cmp_eq_u32 s10, 0
	s_cselect_b32 s9, s9, -1
	s_cmp_lg_u32 s9, 0
	s_cselect_b32 s9, s8, s10
	s_cselect_b32 s8, s12, s11
	s_cbranch_execnz .LBB198_204
.LBB198_203:                            ;   in Loop: Header=BB198_18 Depth=1
	v_cvt_f32_u32_e32 v2, s75
	s_sub_i32 s8, 0, s75
	v_readlane_b32 s10, v49, 51
	v_rcp_iflag_f32_e32 v2, v2
	v_mul_f32_e32 v2, 0x4f7ffffe, v2
	v_cvt_u32_f32_e32 v2, v2
	v_readfirstlane_b32 s9, v2
	s_mul_i32 s8, s8, s9
	s_mul_hi_u32 s8, s9, s8
	s_add_i32 s9, s9, s8
	s_mul_hi_u32 s8, s10, s9
	s_mul_i32 s8, s8, s75
	s_sub_i32 s8, s10, s8
	s_sub_i32 s9, s8, s75
	s_cmp_ge_u32 s8, s75
	s_cselect_b32 s8, s9, s8
	s_sub_i32 s9, s8, s75
	s_cmp_ge_u32 s8, s75
	s_mov_b32 s10, s90
	s_cselect_b32 s90, s9, s8
	s_mov_b64 s[8:9], s[90:91]
	s_mov_b32 s90, s10
.LBB198_204:                            ;   in Loop: Header=BB198_18 Depth=1
	v_readlane_b32 s10, v49, 51
	v_readlane_b32 s12, v49, 53
	s_sub_u32 s10, s10, s8
	v_readlane_b32 s13, v49, 54
	s_subb_u32 s11, s13, s9
	v_cmp_gt_u64_e32 vcc, s[10:11], v[0:1]
                                        ; implicit-def: $vgpr5
	s_and_saveexec_b64 s[8:9], vcc
	s_cbranch_execz .LBB198_214
; %bb.205:                              ;   in Loop: Header=BB198_18 Depth=1
	v_mov_b32_e32 v3, v1
	s_mov_b64 s[12:13], 0
	v_mov_b32_e32 v2, v0
                                        ; implicit-def: $sgpr46_sgpr47
	s_branch .LBB198_209
.LBB198_206:                            ;   in Loop: Header=BB198_209 Depth=2
	s_or_b64 exec, exec, s[48:49]
	s_waitcnt lgkmcnt(0)
	s_barrier
	ds_read_b64 v[4:5], v13 offset:3072
	s_waitcnt lgkmcnt(0)
	s_barrier
	v_cmp_eq_f32_e32 vcc, 0, v4
	s_cbranch_vccz .LBB198_212
; %bb.207:                              ;   in Loop: Header=BB198_209 Depth=2
	v_add_co_u32_e32 v2, vcc, s75, v2
	v_addc_co_u32_e32 v3, vcc, 0, v3, vcc
	v_cmp_le_u64_e32 vcc, s[10:11], v[2:3]
	s_mov_b64 s[48:49], 0
	s_orn2_b64 s[52:53], vcc, exec
.LBB198_208:                            ;   in Loop: Header=BB198_209 Depth=2
	s_and_b64 s[52:53], exec, s[52:53]
	s_or_b64 s[12:13], s[52:53], s[12:13]
	s_andn2_b64 s[46:47], s[46:47], exec
	s_and_b64 s[48:49], s[48:49], exec
	s_or_b64 s[46:47], s[46:47], s[48:49]
	s_andn2_b64 exec, exec, s[12:13]
	s_cbranch_execz .LBB198_213
.LBB198_209:                            ;   Parent Loop BB198_18 Depth=1
                                        ; =>  This Inner Loop Header: Depth=2
	v_cmp_gt_u64_e32 vcc, s[60:61], v[2:3]
	s_and_saveexec_b64 s[48:49], vcc
	s_cbranch_execz .LBB198_206
; %bb.210:                              ;   in Loop: Header=BB198_209 Depth=2
	v_mul_lo_u32 v17, v3, s58
	v_mul_lo_u32 v21, v2, s59
	v_mad_u64_u32 v[4:5], s[52:53], v2, s58, 0
	v_add3_u32 v5, v5, v21, v17
	v_lshlrev_b64 v[4:5], 2, v[4:5]
	v_mov_b32_e32 v17, s74
	v_add_co_u32_e32 v4, vcc, s33, v4
	v_addc_co_u32_e32 v5, vcc, v17, v5, vcc
	global_load_dword v17, v[4:5], off
	s_waitcnt vmcnt(0)
	v_cmp_lt_i32_e32 vcc, -1, v17
	v_cndmask_b32_e32 v4, -1, v33, vcc
	v_xor_b32_e32 v4, v4, v17
	v_cmp_o_f32_e32 vcc, v17, v17
	v_cndmask_b32_e32 v4, -1, v4, vcc
	v_and_b32_e32 v4, v4, v9
	v_cmp_eq_u32_e32 vcc, v4, v12
	s_and_b64 exec, exec, vcc
	s_cbranch_execz .LBB198_206
; %bb.211:                              ;   in Loop: Header=BB198_209 Depth=2
	ds_write_b64 v13, v[16:17] offset:3072
	s_branch .LBB198_206
.LBB198_212:                            ;   in Loop: Header=BB198_209 Depth=2
	s_mov_b64 s[52:53], -1
                                        ; implicit-def: $vgpr2_vgpr3
	s_mov_b64 s[48:49], -1
	s_branch .LBB198_208
.LBB198_213:                            ;   in Loop: Header=BB198_18 Depth=1
	s_or_b64 exec, exec, s[12:13]
	s_andn2_b64 s[4:5], s[4:5], exec
	s_and_b64 s[10:11], s[46:47], exec
	s_or_b64 s[4:5], s[4:5], s[10:11]
.LBB198_214:                            ;   in Loop: Header=BB198_18 Depth=1
	s_or_b64 exec, exec, s[8:9]
	s_mov_b64 s[46:47], 0
	s_mov_b64 s[48:49], -1
.LBB198_215:                            ;   in Loop: Header=BB198_18 Depth=1
	s_orn2_b64 s[4:5], s[4:5], exec
.LBB198_216:                            ;   in Loop: Header=BB198_18 Depth=1
	s_or_b64 exec, exec, s[30:31]
	s_mov_b64 s[8:9], 0
	s_and_saveexec_b64 s[30:31], s[4:5]
	s_cbranch_execz .LBB198_280
; %bb.217:                              ;   in Loop: Header=BB198_18 Depth=1
	v_mov_b32_e32 v2, 1
	s_xor_b64 s[10:11], s[50:51], -1
	v_mov_b32_e32 v8, 1
	v_mov_b32_e32 v3, 0
	s_and_saveexec_b64 s[4:5], s[10:11]
	s_cbranch_execz .LBB198_226
; %bb.218:                              ;   in Loop: Header=BB198_18 Depth=1
	v_cmp_ge_u64_e32 vcc, s[22:23], v[6:7]
	s_and_saveexec_b64 s[8:9], vcc
	s_xor_b64 s[8:9], exec, s[8:9]
	s_cbranch_execz .LBB198_223
; %bb.219:                              ;   in Loop: Header=BB198_18 Depth=1
	ds_read_b64 v[2:3], v13 offset:5120
	v_and_b32_e32 v4, s90, v12
	v_lshl_or_b32 v12, 2, s72, v4
	v_or_b32_e32 v9, s73, v9
	s_waitcnt lgkmcnt(0)
	v_cmp_ne_u64_e32 vcc, 0, v[2:3]
	s_cbranch_vccnz .LBB198_223
; %bb.220:                              ;   in Loop: Header=BB198_18 Depth=1
	s_mov_b64 s[10:11], exec
	v_readlane_b32 s12, v49, 32
	v_readlane_b32 s13, v49, 33
	s_and_b64 s[12:13], s[10:11], s[12:13]
	s_mov_b64 exec, s[12:13]
; %bb.221:                              ;   in Loop: Header=BB198_18 Depth=1
	v_mov_b32_e32 v2, s22
	v_mov_b32_e32 v3, s23
	ds_write_b64 v13, v[2:3] offset:5128
; %bb.222:                              ;   in Loop: Header=BB198_18 Depth=1
	s_or_b64 exec, exec, s[10:11]
	s_waitcnt lgkmcnt(0)
	s_barrier
.LBB198_223:                            ;   in Loop: Header=BB198_18 Depth=1
	s_or_saveexec_b64 s[8:9], s[8:9]
	s_mov_b64 s[10:11], 0
	v_mov_b32_e32 v8, 8
	s_xor_b64 exec, exec, s[8:9]
; %bb.224:                              ;   in Loop: Header=BB198_18 Depth=1
	v_mov_b32_e32 v2, s23
	v_subrev_co_u32_e32 v6, vcc, s22, v6
	s_mov_b64 s[10:11], exec
	v_subb_co_u32_e32 v7, vcc, v7, v2, vcc
	v_mov_b32_e32 v8, 0
; %bb.225:                              ;   in Loop: Header=BB198_18 Depth=1
	s_or_b64 exec, exec, s[8:9]
	v_mov_b32_e32 v2, v6
	s_and_b64 s[8:9], s[10:11], exec
	v_mov_b32_e32 v3, v7
.LBB198_226:                            ;   in Loop: Header=BB198_18 Depth=1
	s_or_b64 exec, exec, s[4:5]
	s_mov_b64 s[4:5], -1
                                        ; implicit-def: $sgpr54_sgpr55
                                        ; implicit-def: $sgpr52_sgpr53
	s_and_saveexec_b64 s[50:51], s[8:9]
	s_cbranch_execz .LBB198_279
; %bb.227:                              ;   in Loop: Header=BB198_18 Depth=1
	s_cmp_eq_u64 s[24:25], 1
	v_cmp_eq_u64_e32 vcc, 1, v[2:3]
	s_cselect_b64 s[4:5], -1, 0
	s_mov_b64 s[8:9], -1
	s_and_b64 s[4:5], s[4:5], vcc
                                        ; implicit-def: $sgpr54_sgpr55
                                        ; implicit-def: $sgpr52_sgpr53
	s_mov_b64 s[10:11], exec
	v_writelane_b32 v48, s4, 3
	v_writelane_b32 v48, s5, 4
	;; [unrolled: 1-line block ×3, first 2 shown]
	s_and_b64 s[4:5], s[10:11], s[4:5]
	v_writelane_b32 v48, s11, 6
	s_mov_b64 exec, s[4:5]
	s_cbranch_execz .LBB198_267
; %bb.228:                              ;   in Loop: Header=BB198_18 Depth=1
	ds_read_b64 v[4:5], v13 offset:5120
	s_waitcnt lgkmcnt(0)
	s_barrier
	v_readfirstlane_b32 s8, v4
	v_readfirstlane_b32 s9, v5
	s_mov_b64 s[4:5], exec
	v_readlane_b32 s10, v49, 46
	v_readlane_b32 s11, v49, 47
	s_and_b64 s[10:11], s[4:5], s[10:11]
	s_mov_b64 exec, s[10:11]
; %bb.229:                              ;   in Loop: Header=BB198_18 Depth=1
	ds_write_b32 v28, v13
; %bb.230:                              ;   in Loop: Header=BB198_18 Depth=1
	s_or_b64 exec, exec, s[4:5]
	v_or_b32_e32 v12, s73, v12
	v_or_b32_e32 v9, s73, v9
	s_mov_b64 s[52:53], -1
	s_mov_b64 s[54:55], 0
	s_cmp_eq_u64 s[8:9], 0
	s_mov_b64 s[4:5], 0
	s_mov_b64 s[10:11], -1
	s_waitcnt lgkmcnt(0)
	s_barrier
                                        ; implicit-def: $vgpr5
	s_cbranch_scc1 .LBB198_249
; %bb.231:                              ;   in Loop: Header=BB198_18 Depth=1
	v_readlane_b32 s4, v49, 50
	s_add_u32 s80, s8, s4
	v_readlane_b32 s4, v49, 52
	s_addc_u32 s5, s9, s4
	s_mov_b32 s4, s91
	s_mov_b32 s93, s90
	s_cmp_lg_u64 s[4:5], 0
	s_cbranch_scc0 .LBB198_235
; %bb.232:                              ;   in Loop: Header=BB198_18 Depth=1
	v_cvt_f32_u32_e32 v4, s75
	s_sub_u32 s4, 0, s75
	s_subb_u32 s12, 0, 0
	v_mac_f32_e32 v4, 0, v34
	v_rcp_f32_e32 v4, v4
	v_mul_f32_e32 v4, 0x5f7ffffc, v4
	v_mul_f32_e32 v5, 0x2f800000, v4
	v_trunc_f32_e32 v5, v5
	v_mac_f32_e32 v4, 0xcf800000, v5
	v_cvt_u32_f32_e32 v5, v5
	v_cvt_u32_f32_e32 v4, v4
	v_readfirstlane_b32 s13, v5
	v_readfirstlane_b32 s10, v4
	s_mul_i32 s11, s4, s13
	s_mul_hi_u32 s88, s4, s10
	s_mul_i32 s81, s12, s10
	s_add_i32 s11, s88, s11
	s_mul_i32 s89, s4, s10
	s_add_i32 s11, s11, s81
	s_mul_hi_u32 s88, s10, s89
	s_mul_i32 s90, s10, s11
	s_mul_hi_u32 s81, s10, s11
	s_add_u32 s88, s88, s90
	s_addc_u32 s81, 0, s81
	s_mul_hi_u32 s92, s13, s89
	s_mul_i32 s89, s13, s89
	s_add_u32 s88, s88, s89
	s_mul_hi_u32 s90, s13, s11
	s_addc_u32 s81, s81, s92
	s_addc_u32 s88, s90, 0
	s_mul_i32 s11, s13, s11
	s_add_u32 s11, s81, s11
	s_addc_u32 s81, 0, s88
	s_add_u32 s88, s10, s11
	s_cselect_b64 s[10:11], -1, 0
	s_cmp_lg_u64 s[10:11], 0
	s_addc_u32 s13, s13, s81
	s_mul_i32 s10, s4, s13
	s_mul_hi_u32 s11, s4, s88
	s_add_i32 s10, s11, s10
	s_mul_i32 s12, s12, s88
	s_add_i32 s10, s10, s12
	s_mul_i32 s4, s4, s88
	s_mul_hi_u32 s12, s13, s4
	s_mul_i32 s81, s13, s4
	s_mul_i32 s90, s88, s10
	s_mul_hi_u32 s4, s88, s4
	s_mul_hi_u32 s89, s88, s10
	s_add_u32 s4, s4, s90
	s_addc_u32 s89, 0, s89
	s_add_u32 s4, s4, s81
	s_mul_hi_u32 s11, s13, s10
	s_addc_u32 s4, s89, s12
	s_addc_u32 s11, s11, 0
	s_mul_i32 s10, s13, s10
	s_add_u32 s4, s4, s10
	s_addc_u32 s12, 0, s11
	s_add_u32 s4, s88, s4
	s_cselect_b64 s[10:11], -1, 0
	s_cmp_lg_u64 s[10:11], 0
	s_addc_u32 s10, s13, s12
	s_mul_i32 s12, s80, s10
	s_mul_hi_u32 s13, s80, s4
	s_mul_hi_u32 s11, s80, s10
	s_add_u32 s12, s13, s12
	s_addc_u32 s11, 0, s11
	s_mul_hi_u32 s81, s5, s4
	s_mul_i32 s4, s5, s4
	s_add_u32 s4, s12, s4
	s_mul_hi_u32 s13, s5, s10
	s_addc_u32 s4, s11, s81
	s_addc_u32 s11, s13, 0
	s_mul_i32 s10, s5, s10
	s_add_u32 s4, s4, s10
	s_addc_u32 s10, 0, s11
	s_mul_i32 s10, s75, s10
	s_mul_hi_u32 s11, s75, s4
	s_add_i32 s12, s11, s10
	s_mul_i32 s4, s75, s4
	s_sub_u32 s4, s80, s4
	s_cselect_b64 s[10:11], -1, 0
	s_cmp_lg_u64 s[10:11], 0
	s_subb_u32 s12, s5, s12
	s_sub_u32 s13, s4, s75
	s_cselect_b64 s[10:11], -1, 0
	s_cmp_lg_u64 s[10:11], 0
	s_subb_u32 s81, s12, 0
	;; [unrolled: 4-line block ×3, first 2 shown]
	s_cmp_ge_u32 s13, s75
	s_cselect_b32 s11, -1, 0
	s_cmp_eq_u32 s81, 0
	s_cselect_b32 s11, s11, -1
	s_cmp_lg_u32 s11, 0
	s_cselect_b32 s10, s10, s81
	s_cselect_b32 s13, s88, s13
	s_cmp_ge_u32 s4, s75
	s_cselect_b32 s11, -1, 0
	s_cmp_eq_u32 s12, 0
	s_cselect_b32 s11, s11, -1
	s_cmp_lg_u32 s11, 0
	s_cselect_b32 s11, s10, s12
	s_cselect_b32 s10, s13, s4
	s_mov_b64 s[12:13], 0
	s_branch .LBB198_236
.LBB198_233:                            ;   in Loop: Header=BB198_18 Depth=1
                                        ; implicit-def: $sgpr10_sgpr11
	s_branch .LBB198_186
.LBB198_234:                            ;   in Loop: Header=BB198_18 Depth=1
                                        ; implicit-def: $sgpr8_sgpr9
	s_branch .LBB198_203
.LBB198_235:                            ;   in Loop: Header=BB198_18 Depth=1
	s_mov_b64 s[12:13], -1
                                        ; implicit-def: $sgpr10_sgpr11
.LBB198_236:                            ;   in Loop: Header=BB198_18 Depth=1
	s_andn2_b64 vcc, exec, s[12:13]
	s_cbranch_vccnz .LBB198_238
; %bb.237:                              ;   in Loop: Header=BB198_18 Depth=1
	v_cvt_f32_u32_e32 v4, s75
	s_sub_i32 s4, 0, s75
	v_rcp_iflag_f32_e32 v4, v4
	v_mul_f32_e32 v4, 0x4f7ffffe, v4
	v_cvt_u32_f32_e32 v4, v4
	v_readfirstlane_b32 s10, v4
	s_mul_i32 s4, s4, s10
	s_mul_hi_u32 s4, s10, s4
	s_add_i32 s10, s10, s4
	s_mul_hi_u32 s4, s80, s10
	s_mul_i32 s4, s4, s75
	s_sub_i32 s4, s80, s4
	s_sub_i32 s10, s4, s75
	s_cmp_ge_u32 s4, s75
	s_cselect_b32 s4, s10, s4
	s_sub_i32 s10, s4, s75
	s_cmp_ge_u32 s4, s75
	s_cselect_b32 s90, s10, s4
	s_mov_b64 s[10:11], s[90:91]
.LBB198_238:                            ;   in Loop: Header=BB198_18 Depth=1
	s_sub_u32 s80, s80, s10
	s_subb_u32 s81, s5, s11
	v_cmp_gt_u64_e32 vcc, s[80:81], v[0:1]
	s_mov_b64 s[10:11], 0
	s_mov_b64 s[4:5], 0
                                        ; implicit-def: $vgpr5
	s_and_saveexec_b64 s[12:13], vcc
	s_mov_b32 s90, s93
	s_cbranch_execz .LBB198_248
; %bb.239:                              ;   in Loop: Header=BB198_18 Depth=1
	v_mov_b32_e32 v7, v1
	v_mov_b32_e32 v21, v14
	;; [unrolled: 1-line block ×3, first 2 shown]
                                        ; implicit-def: $sgpr88_sgpr89
	s_branch .LBB198_243
.LBB198_240:                            ;   in Loop: Header=BB198_243 Depth=2
	s_or_b64 exec, exec, s[92:93]
	s_waitcnt lgkmcnt(0)
	s_barrier
	ds_read_b64 v[4:5], v13 offset:3072
	s_waitcnt lgkmcnt(0)
	s_barrier
	v_cmp_neq_f32_e32 vcc, 0, v4
	s_cbranch_vccnz .LBB198_246
; %bb.241:                              ;   in Loop: Header=BB198_243 Depth=2
	v_add_co_u32_e32 v6, vcc, s75, v6
	v_addc_co_u32_e32 v7, vcc, 0, v7, vcc
	v_cmp_le_u64_e32 vcc, s[80:81], v[6:7]
	v_add_u32_e32 v21, s1, v21
	s_mov_b64 s[92:93], 0
	s_orn2_b64 s[94:95], vcc, exec
.LBB198_242:                            ;   in Loop: Header=BB198_243 Depth=2
	s_and_b64 s[94:95], exec, s[94:95]
	s_or_b64 s[4:5], s[94:95], s[4:5]
	s_andn2_b64 s[88:89], s[88:89], exec
	s_and_b64 s[92:93], s[92:93], exec
	s_or_b64 s[88:89], s[88:89], s[92:93]
	s_andn2_b64 exec, exec, s[4:5]
	s_cbranch_execz .LBB198_247
.LBB198_243:                            ;   Parent Loop BB198_18 Depth=1
                                        ; =>  This Inner Loop Header: Depth=2
	v_cmp_gt_u64_e32 vcc, s[8:9], v[6:7]
	s_and_saveexec_b64 s[92:93], vcc
	s_cbranch_execz .LBB198_240
; %bb.244:                              ;   in Loop: Header=BB198_243 Depth=2
	ds_read_b32 v17, v21
	s_waitcnt lgkmcnt(0)
	v_cmp_lt_i32_e32 vcc, -1, v17
	v_cndmask_b32_e32 v4, -1, v33, vcc
	v_xor_b32_e32 v4, v4, v17
	v_cmp_o_f32_e32 vcc, v17, v17
	v_cndmask_b32_e32 v4, -1, v4, vcc
	v_and_b32_e32 v4, v4, v9
	v_cmp_eq_u32_e32 vcc, v4, v12
	s_and_b64 exec, exec, vcc
	s_cbranch_execz .LBB198_240
; %bb.245:                              ;   in Loop: Header=BB198_243 Depth=2
	ds_write_b64 v13, v[16:17] offset:3072
	s_branch .LBB198_240
.LBB198_246:                            ;   in Loop: Header=BB198_243 Depth=2
	s_mov_b64 s[94:95], -1
                                        ; implicit-def: $vgpr6_vgpr7
                                        ; implicit-def: $vgpr21
	s_mov_b64 s[92:93], -1
	s_branch .LBB198_242
.LBB198_247:                            ;   in Loop: Header=BB198_18 Depth=1
	s_or_b64 exec, exec, s[4:5]
	v_readlane_b32 s94, v49, 63
	s_and_b64 s[4:5], s[88:89], exec
	v_readlane_b32 s95, v48, 0
.LBB198_248:                            ;   in Loop: Header=BB198_18 Depth=1
	s_or_b64 exec, exec, s[12:13]
	v_readlane_b32 s92, v48, 1
	v_readlane_b32 s93, v48, 2
.LBB198_249:                            ;   in Loop: Header=BB198_18 Depth=1
	s_and_b64 vcc, exec, s[10:11]
	s_cbranch_vccz .LBB198_266
; %bb.250:                              ;   in Loop: Header=BB198_18 Depth=1
	v_readlane_b32 s80, v49, 53
	v_readlane_b32 s81, v49, 54
	s_mov_b32 s80, s91
	s_cmp_lg_u64 s[80:81], 0
	v_writelane_b32 v49, s80, 53
	v_writelane_b32 v49, s81, 54
	s_cbranch_scc0 .LBB198_252
; %bb.251:                              ;   in Loop: Header=BB198_18 Depth=1
	v_cvt_f32_u32_e32 v4, s75
	s_sub_u32 s10, 0, s75
	s_subb_u32 s11, 0, 0
	v_mac_f32_e32 v4, 0, v34
	v_rcp_f32_e32 v4, v4
	v_mul_f32_e32 v4, 0x5f7ffffc, v4
	v_mul_f32_e32 v5, 0x2f800000, v4
	v_trunc_f32_e32 v5, v5
	v_mac_f32_e32 v4, 0xcf800000, v5
	v_cvt_u32_f32_e32 v5, v5
	v_cvt_u32_f32_e32 v4, v4
	v_readfirstlane_b32 s12, v5
	v_readfirstlane_b32 s8, v4
	s_mul_i32 s9, s10, s12
	s_mul_hi_u32 s52, s10, s8
	s_mul_i32 s13, s11, s8
	s_add_i32 s9, s52, s9
	s_mul_i32 s53, s10, s8
	s_add_i32 s9, s9, s13
	s_mul_hi_u32 s52, s8, s53
	s_mul_i32 s54, s8, s9
	s_mul_hi_u32 s13, s8, s9
	s_add_u32 s52, s52, s54
	s_addc_u32 s13, 0, s13
	s_mul_hi_u32 s55, s12, s53
	s_mul_i32 s53, s12, s53
	s_add_u32 s52, s52, s53
	s_mul_hi_u32 s54, s12, s9
	s_addc_u32 s13, s13, s55
	s_addc_u32 s52, s54, 0
	s_mul_i32 s9, s12, s9
	s_add_u32 s9, s13, s9
	s_addc_u32 s13, 0, s52
	s_add_u32 s52, s8, s9
	s_cselect_b64 s[8:9], -1, 0
	s_cmp_lg_u64 s[8:9], 0
	s_addc_u32 s12, s12, s13
	s_mul_i32 s8, s10, s12
	s_mul_hi_u32 s9, s10, s52
	s_add_i32 s8, s9, s8
	s_mul_i32 s11, s11, s52
	s_add_i32 s8, s8, s11
	s_mul_i32 s10, s10, s52
	s_mul_hi_u32 s11, s12, s10
	s_mul_i32 s13, s12, s10
	s_mul_i32 s54, s52, s8
	s_mul_hi_u32 s10, s52, s10
	s_mul_hi_u32 s53, s52, s8
	s_add_u32 s10, s10, s54
	s_addc_u32 s53, 0, s53
	s_add_u32 s10, s10, s13
	s_mul_hi_u32 s9, s12, s8
	s_addc_u32 s10, s53, s11
	s_addc_u32 s9, s9, 0
	s_mul_i32 s8, s12, s8
	s_add_u32 s8, s10, s8
	s_addc_u32 s10, 0, s9
	s_add_u32 s11, s52, s8
	s_cselect_b64 s[8:9], -1, 0
	s_cmp_lg_u64 s[8:9], 0
	s_addc_u32 s8, s12, s10
	v_readlane_b32 s52, v49, 51
	s_mul_i32 s10, s52, s8
	s_mul_hi_u32 s12, s52, s11
	s_mul_hi_u32 s9, s52, s8
	s_add_u32 s10, s12, s10
	s_addc_u32 s9, 0, s9
	s_mul_hi_u32 s13, s81, s11
	s_mul_i32 s11, s81, s11
	s_add_u32 s10, s10, s11
	s_mul_hi_u32 s12, s81, s8
	s_addc_u32 s9, s9, s13
	s_addc_u32 s10, s12, 0
	s_mul_i32 s8, s81, s8
	s_add_u32 s8, s9, s8
	s_addc_u32 s9, 0, s10
	s_mul_i32 s9, s75, s9
	s_mul_hi_u32 s10, s75, s8
	s_add_i32 s10, s10, s9
	s_mul_i32 s8, s75, s8
	s_sub_u32 s11, s52, s8
	s_cselect_b64 s[8:9], -1, 0
	s_cmp_lg_u64 s[8:9], 0
	s_subb_u32 s10, s81, s10
	s_sub_u32 s12, s11, s75
	s_cselect_b64 s[8:9], -1, 0
	s_cmp_lg_u64 s[8:9], 0
	s_subb_u32 s13, s10, 0
	;; [unrolled: 4-line block ×3, first 2 shown]
	s_cmp_ge_u32 s12, s75
	s_cselect_b32 s9, -1, 0
	s_cmp_eq_u32 s13, 0
	s_cselect_b32 s9, s9, -1
	s_cmp_lg_u32 s9, 0
	s_cselect_b32 s8, s8, s13
	s_cselect_b32 s12, s52, s12
	s_cmp_ge_u32 s11, s75
	s_cselect_b32 s9, -1, 0
	s_cmp_eq_u32 s10, 0
	s_cselect_b32 s9, s9, -1
	s_cmp_lg_u32 s9, 0
	s_cselect_b32 s9, s8, s10
	s_cselect_b32 s8, s12, s11
	s_mov_b64 s[10:11], 0
	s_branch .LBB198_253
.LBB198_252:                            ;   in Loop: Header=BB198_18 Depth=1
	s_mov_b64 s[10:11], -1
                                        ; implicit-def: $sgpr8_sgpr9
.LBB198_253:                            ;   in Loop: Header=BB198_18 Depth=1
	s_andn2_b64 vcc, exec, s[10:11]
	s_cbranch_vccnz .LBB198_255
; %bb.254:                              ;   in Loop: Header=BB198_18 Depth=1
	v_cvt_f32_u32_e32 v4, s75
	s_sub_i32 s8, 0, s75
	v_readlane_b32 s10, v49, 51
	v_rcp_iflag_f32_e32 v4, v4
	v_mul_f32_e32 v4, 0x4f7ffffe, v4
	v_cvt_u32_f32_e32 v4, v4
	v_readfirstlane_b32 s9, v4
	s_mul_i32 s8, s8, s9
	s_mul_hi_u32 s8, s9, s8
	s_add_i32 s9, s9, s8
	s_mul_hi_u32 s8, s10, s9
	s_mul_i32 s8, s8, s75
	s_sub_i32 s8, s10, s8
	s_sub_i32 s9, s8, s75
	s_cmp_ge_u32 s8, s75
	s_cselect_b32 s8, s9, s8
	s_sub_i32 s9, s8, s75
	s_cmp_ge_u32 s8, s75
	s_mov_b32 s10, s90
	s_cselect_b32 s90, s9, s8
	s_mov_b64 s[8:9], s[90:91]
	s_mov_b32 s90, s10
.LBB198_255:                            ;   in Loop: Header=BB198_18 Depth=1
	v_readlane_b32 s10, v49, 51
	v_readlane_b32 s12, v49, 53
	s_sub_u32 s10, s10, s8
	v_readlane_b32 s13, v49, 54
	s_subb_u32 s11, s13, s9
	v_cmp_gt_u64_e32 vcc, s[10:11], v[0:1]
                                        ; implicit-def: $vgpr5
	s_and_saveexec_b64 s[8:9], vcc
	s_cbranch_execz .LBB198_265
; %bb.256:                              ;   in Loop: Header=BB198_18 Depth=1
	v_mov_b32_e32 v7, v1
	s_mov_b64 s[12:13], 0
	v_mov_b32_e32 v6, v0
                                        ; implicit-def: $sgpr52_sgpr53
	s_branch .LBB198_260
.LBB198_257:                            ;   in Loop: Header=BB198_260 Depth=2
	s_or_b64 exec, exec, s[54:55]
	s_waitcnt lgkmcnt(0)
	s_barrier
	ds_read_b64 v[4:5], v13 offset:3072
	s_waitcnt lgkmcnt(0)
	s_barrier
	v_cmp_eq_f32_e32 vcc, 0, v4
	s_cbranch_vccz .LBB198_263
; %bb.258:                              ;   in Loop: Header=BB198_260 Depth=2
	v_add_co_u32_e32 v6, vcc, s75, v6
	v_addc_co_u32_e32 v7, vcc, 0, v7, vcc
	v_cmp_le_u64_e32 vcc, s[10:11], v[6:7]
	s_mov_b64 s[54:55], 0
	s_orn2_b64 s[80:81], vcc, exec
.LBB198_259:                            ;   in Loop: Header=BB198_260 Depth=2
	s_and_b64 s[80:81], exec, s[80:81]
	s_or_b64 s[12:13], s[80:81], s[12:13]
	s_andn2_b64 s[52:53], s[52:53], exec
	s_and_b64 s[54:55], s[54:55], exec
	s_or_b64 s[52:53], s[52:53], s[54:55]
	s_andn2_b64 exec, exec, s[12:13]
	s_cbranch_execz .LBB198_264
.LBB198_260:                            ;   Parent Loop BB198_18 Depth=1
                                        ; =>  This Inner Loop Header: Depth=2
	v_cmp_gt_u64_e32 vcc, s[60:61], v[6:7]
	s_and_saveexec_b64 s[54:55], vcc
	s_cbranch_execz .LBB198_257
; %bb.261:                              ;   in Loop: Header=BB198_260 Depth=2
	v_mul_lo_u32 v17, v7, s58
	v_mul_lo_u32 v21, v6, s59
	v_mad_u64_u32 v[4:5], s[80:81], v6, s58, 0
	v_add3_u32 v5, v5, v21, v17
	v_lshlrev_b64 v[4:5], 2, v[4:5]
	v_mov_b32_e32 v17, s74
	v_add_co_u32_e32 v4, vcc, s33, v4
	v_addc_co_u32_e32 v5, vcc, v17, v5, vcc
	global_load_dword v17, v[4:5], off
	s_waitcnt vmcnt(0)
	v_cmp_lt_i32_e32 vcc, -1, v17
	v_cndmask_b32_e32 v4, -1, v33, vcc
	v_xor_b32_e32 v4, v4, v17
	v_cmp_o_f32_e32 vcc, v17, v17
	v_cndmask_b32_e32 v4, -1, v4, vcc
	v_and_b32_e32 v4, v4, v9
	v_cmp_eq_u32_e32 vcc, v4, v12
	s_and_b64 exec, exec, vcc
	s_cbranch_execz .LBB198_257
; %bb.262:                              ;   in Loop: Header=BB198_260 Depth=2
	ds_write_b64 v13, v[16:17] offset:3072
	s_branch .LBB198_257
.LBB198_263:                            ;   in Loop: Header=BB198_260 Depth=2
	s_mov_b64 s[80:81], -1
                                        ; implicit-def: $vgpr6_vgpr7
	s_mov_b64 s[54:55], -1
	s_branch .LBB198_259
.LBB198_264:                            ;   in Loop: Header=BB198_18 Depth=1
	s_or_b64 exec, exec, s[12:13]
	s_andn2_b64 s[4:5], s[4:5], exec
	s_and_b64 s[10:11], s[52:53], exec
	s_or_b64 s[4:5], s[4:5], s[10:11]
.LBB198_265:                            ;   in Loop: Header=BB198_18 Depth=1
	s_or_b64 exec, exec, s[8:9]
	s_mov_b64 s[52:53], 0
	s_mov_b64 s[54:55], -1
.LBB198_266:                            ;   in Loop: Header=BB198_18 Depth=1
	s_orn2_b64 s[8:9], s[4:5], exec
.LBB198_267:                            ;   in Loop: Header=BB198_18 Depth=1
	v_readlane_b32 s4, v48, 5
	v_readlane_b32 s5, v48, 6
	s_or_b64 exec, exec, s[4:5]
	s_mov_b64 s[10:11], 0
	s_and_saveexec_b64 s[4:5], s[8:9]
	s_cbranch_execz .LBB198_278
; %bb.268:                              ;   in Loop: Header=BB198_18 Depth=1
	v_readlane_b32 s8, v48, 3
	v_readlane_b32 s9, v48, 4
	v_mov_b32_e32 v6, 1
	s_xor_b64 s[10:11], s[8:9], -1
	v_mov_b32_e32 v7, 0
	v_mov_b32_e32 v8, 1
	s_and_saveexec_b64 s[8:9], s[10:11]
	s_cbranch_execz .LBB198_277
; %bb.269:                              ;   in Loop: Header=BB198_18 Depth=1
	v_cmp_ge_u64_e32 vcc, s[24:25], v[2:3]
	s_and_saveexec_b64 s[10:11], vcc
	s_xor_b64 s[10:11], exec, s[10:11]
	s_cbranch_execz .LBB198_274
; %bb.270:                              ;   in Loop: Header=BB198_18 Depth=1
	ds_read_b64 v[6:7], v13 offset:5120
	v_or_b32_e32 v12, s73, v12
	v_or_b32_e32 v9, s73, v9
	s_waitcnt lgkmcnt(0)
	v_cmp_ne_u64_e32 vcc, 0, v[6:7]
	s_cbranch_vccnz .LBB198_274
; %bb.271:                              ;   in Loop: Header=BB198_18 Depth=1
	s_mov_b64 s[12:13], exec
	v_readlane_b32 s80, v49, 32
	v_readlane_b32 s81, v49, 33
	s_and_b64 s[80:81], s[12:13], s[80:81]
	s_mov_b64 exec, s[80:81]
; %bb.272:                              ;   in Loop: Header=BB198_18 Depth=1
	v_mov_b32_e32 v6, s24
	v_mov_b32_e32 v7, s25
	ds_write_b64 v13, v[6:7] offset:5128
; %bb.273:                              ;   in Loop: Header=BB198_18 Depth=1
	s_or_b64 exec, exec, s[12:13]
	s_waitcnt lgkmcnt(0)
	s_barrier
.LBB198_274:                            ;   in Loop: Header=BB198_18 Depth=1
	s_andn2_saveexec_b64 s[10:11], s[10:11]
; %bb.275:                              ;   in Loop: Header=BB198_18 Depth=1
	v_mov_b32_e32 v4, s25
	v_subrev_co_u32_e32 v2, vcc, s24, v2
	v_subb_co_u32_e32 v3, vcc, v3, v4, vcc
; %bb.276:                              ;   in Loop: Header=BB198_18 Depth=1
	s_or_b64 exec, exec, s[10:11]
	v_mov_b32_e32 v7, v3
	v_mov_b32_e32 v8, 8
	;; [unrolled: 1-line block ×3, first 2 shown]
.LBB198_277:                            ;   in Loop: Header=BB198_18 Depth=1
	s_or_b64 exec, exec, s[8:9]
	v_mov_b32_e32 v2, v6
	s_mov_b64 s[10:11], exec
	v_mov_b32_e32 v3, v7
.LBB198_278:                            ;   in Loop: Header=BB198_18 Depth=1
	s_or_b64 exec, exec, s[4:5]
	s_orn2_b64 s[4:5], s[10:11], exec
.LBB198_279:                            ;   in Loop: Header=BB198_18 Depth=1
	s_or_b64 exec, exec, s[50:51]
	s_andn2_b64 s[8:9], s[48:49], exec
	s_and_b64 s[10:11], s[54:55], exec
	s_or_b64 s[48:49], s[8:9], s[10:11]
	s_andn2_b64 s[8:9], s[46:47], exec
	s_and_b64 s[10:11], s[52:53], exec
	v_mov_b32_e32 v7, v3
	s_or_b64 s[46:47], s[8:9], s[10:11]
	s_and_b64 s[8:9], s[4:5], exec
	v_mov_b32_e32 v6, v2
.LBB198_280:                            ;   in Loop: Header=BB198_18 Depth=1
	s_or_b64 exec, exec, s[30:31]
	s_orn2_b64 s[4:5], s[8:9], exec
.LBB198_281:                            ;   in Loop: Header=BB198_18 Depth=1
	s_or_b64 exec, exec, s[44:45]
	s_andn2_b64 s[8:9], s[28:29], exec
	s_and_b64 s[10:11], s[48:49], exec
	s_or_b64 s[28:29], s[8:9], s[10:11]
	s_andn2_b64 s[8:9], s[26:27], exec
	s_and_b64 s[10:11], s[46:47], exec
	v_mov_b32_e32 v2, v6
	s_or_b64 s[26:27], s[8:9], s[10:11]
	s_and_b64 s[8:9], s[4:5], exec
	v_mov_b32_e32 v3, v7
.LBB198_282:                            ;   in Loop: Header=BB198_18 Depth=1
	s_or_b64 exec, exec, s[42:43]
	s_orn2_b64 s[4:5], s[8:9], exec
.LBB198_283:                            ;   in Loop: Header=BB198_18 Depth=1
	s_or_b64 exec, exec, s[6:7]
	s_mov_b64 s[6:7], 0
	s_mov_b64 s[8:9], 0
	s_and_saveexec_b64 s[10:11], s[4:5]
	s_xor_b64 s[4:5], exec, s[10:11]
; %bb.284:                              ;   in Loop: Header=BB198_18 Depth=1
	v_cmp_eq_u32_e32 vcc, 8, v8
	v_cmp_ne_u32_e64 s[6:7], 8, v8
	s_and_b64 s[8:9], s[6:7], exec
	s_and_b64 s[6:7], vcc, exec
; %bb.285:                              ;   in Loop: Header=BB198_18 Depth=1
	s_or_b64 exec, exec, s[4:5]
	s_andn2_b64 s[4:5], s[36:37], exec
	s_and_b64 s[10:11], s[28:29], exec
	s_or_b64 s[36:37], s[4:5], s[10:11]
	s_andn2_b64 s[4:5], s[34:35], exec
	s_and_b64 s[10:11], s[26:27], exec
	s_or_b64 s[34:35], s[4:5], s[10:11]
	s_and_b64 s[26:27], s[8:9], exec
	s_and_b64 s[28:29], s[6:7], exec
.LBB198_286:                            ;   in Loop: Header=BB198_18 Depth=1
	s_or_b64 exec, exec, s[40:41]
.LBB198_287:                            ;   in Loop: Header=BB198_18 Depth=1
	s_and_b64 vcc, exec, s[38:39]
	s_cbranch_vccz .LBB198_304
; %bb.288:                              ;   in Loop: Header=BB198_18 Depth=1
	s_cmp_eq_u64 s[24:25], 1
	s_cselect_b64 s[4:5], -1, 0
	s_and_b64 s[6:7], s[4:5], s[14:15]
	s_mov_b64 s[4:5], -1
                                        ; implicit-def: $sgpr14_sgpr15
                                        ; implicit-def: $sgpr18_sgpr19
	s_and_saveexec_b64 s[30:31], s[6:7]
	s_cbranch_execz .LBB198_323
; %bb.289:                              ;   in Loop: Header=BB198_18 Depth=1
	ds_read_b64 v[2:3], v13 offset:5120
	s_waitcnt lgkmcnt(0)
	s_barrier
	v_readfirstlane_b32 s8, v2
	v_readfirstlane_b32 s9, v3
	s_mov_b64 s[4:5], exec
	v_readlane_b32 s10, v49, 46
	v_readlane_b32 s11, v49, 47
	s_and_b64 s[10:11], s[4:5], s[10:11]
	s_mov_b64 exec, s[10:11]
; %bb.290:                              ;   in Loop: Header=BB198_18 Depth=1
	ds_write_b32 v28, v13
; %bb.291:                              ;   in Loop: Header=BB198_18 Depth=1
	s_or_b64 exec, exec, s[4:5]
	v_or_b32_e32 v30, s73, v30
	v_or_b32_e32 v35, s73, v35
	s_mov_b64 s[18:19], -1
	s_mov_b64 s[14:15], 0
	s_cmp_eq_u64 s[8:9], 0
	s_mov_b64 s[4:5], 0
	s_mov_b64 s[10:11], -1
	s_waitcnt lgkmcnt(0)
	s_barrier
                                        ; implicit-def: $vgpr18
	s_cbranch_scc1 .LBB198_307
; %bb.292:                              ;   in Loop: Header=BB198_18 Depth=1
	v_readlane_b32 s4, v49, 50
	s_add_u32 s34, s8, s4
	v_readlane_b32 s4, v49, 52
	s_addc_u32 s5, s9, s4
	s_mov_b32 s4, s91
	s_cmp_lg_u64 s[4:5], 0
	s_cbranch_scc0 .LBB198_350
; %bb.293:                              ;   in Loop: Header=BB198_18 Depth=1
	v_cvt_f32_u32_e32 v2, s75
	s_sub_u32 s4, 0, s75
	s_subb_u32 s12, 0, 0
	v_mac_f32_e32 v2, 0, v34
	v_rcp_f32_e32 v2, v2
	v_mul_f32_e32 v2, 0x5f7ffffc, v2
	v_mul_f32_e32 v3, 0x2f800000, v2
	v_trunc_f32_e32 v3, v3
	v_mac_f32_e32 v2, 0xcf800000, v3
	v_cvt_u32_f32_e32 v3, v3
	v_cvt_u32_f32_e32 v2, v2
	v_readfirstlane_b32 s13, v3
	v_readfirstlane_b32 s10, v2
	s_mul_i32 s11, s4, s13
	s_mul_hi_u32 s36, s4, s10
	s_mul_i32 s35, s12, s10
	s_add_i32 s11, s36, s11
	s_mul_i32 s37, s4, s10
	s_add_i32 s11, s11, s35
	s_mul_hi_u32 s36, s10, s37
	s_mul_i32 s38, s10, s11
	s_mul_hi_u32 s35, s10, s11
	s_add_u32 s36, s36, s38
	s_addc_u32 s35, 0, s35
	s_mul_hi_u32 s39, s13, s37
	s_mul_i32 s37, s13, s37
	s_add_u32 s36, s36, s37
	s_mul_hi_u32 s38, s13, s11
	s_addc_u32 s35, s35, s39
	s_addc_u32 s36, s38, 0
	s_mul_i32 s11, s13, s11
	s_add_u32 s11, s35, s11
	s_addc_u32 s35, 0, s36
	s_add_u32 s36, s10, s11
	s_cselect_b64 s[10:11], -1, 0
	s_cmp_lg_u64 s[10:11], 0
	s_addc_u32 s13, s13, s35
	s_mul_i32 s10, s4, s13
	s_mul_hi_u32 s11, s4, s36
	s_add_i32 s10, s11, s10
	s_mul_i32 s12, s12, s36
	s_add_i32 s10, s10, s12
	s_mul_i32 s4, s4, s36
	s_mul_hi_u32 s12, s13, s4
	s_mul_i32 s35, s13, s4
	s_mul_i32 s38, s36, s10
	s_mul_hi_u32 s4, s36, s4
	s_mul_hi_u32 s37, s36, s10
	s_add_u32 s4, s4, s38
	s_addc_u32 s37, 0, s37
	s_add_u32 s4, s4, s35
	s_mul_hi_u32 s11, s13, s10
	s_addc_u32 s4, s37, s12
	s_addc_u32 s11, s11, 0
	s_mul_i32 s10, s13, s10
	s_add_u32 s4, s4, s10
	s_addc_u32 s12, 0, s11
	s_add_u32 s4, s36, s4
	s_cselect_b64 s[10:11], -1, 0
	s_cmp_lg_u64 s[10:11], 0
	s_addc_u32 s10, s13, s12
	s_mul_i32 s12, s34, s10
	s_mul_hi_u32 s13, s34, s4
	s_mul_hi_u32 s11, s34, s10
	s_add_u32 s12, s13, s12
	s_addc_u32 s11, 0, s11
	s_mul_hi_u32 s35, s5, s4
	s_mul_i32 s4, s5, s4
	s_add_u32 s4, s12, s4
	s_mul_hi_u32 s13, s5, s10
	s_addc_u32 s4, s11, s35
	s_addc_u32 s11, s13, 0
	s_mul_i32 s10, s5, s10
	s_add_u32 s4, s4, s10
	s_addc_u32 s10, 0, s11
	s_mul_i32 s10, s75, s10
	s_mul_hi_u32 s11, s75, s4
	s_add_i32 s12, s11, s10
	s_mul_i32 s4, s75, s4
	s_sub_u32 s4, s34, s4
	s_cselect_b64 s[10:11], -1, 0
	s_cmp_lg_u64 s[10:11], 0
	s_subb_u32 s12, s5, s12
	s_sub_u32 s13, s4, s75
	s_cselect_b64 s[10:11], -1, 0
	s_cmp_lg_u64 s[10:11], 0
	s_subb_u32 s35, s12, 0
	;; [unrolled: 4-line block ×3, first 2 shown]
	s_cmp_ge_u32 s13, s75
	s_cselect_b32 s11, -1, 0
	s_cmp_eq_u32 s35, 0
	s_cselect_b32 s11, s11, -1
	s_cmp_lg_u32 s11, 0
	s_cselect_b32 s10, s10, s35
	s_cselect_b32 s13, s36, s13
	s_cmp_ge_u32 s4, s75
	s_cselect_b32 s11, -1, 0
	s_cmp_eq_u32 s12, 0
	s_cselect_b32 s11, s11, -1
	s_cmp_lg_u32 s11, 0
	s_cselect_b32 s11, s10, s12
	s_cselect_b32 s10, s13, s4
	s_cbranch_execnz .LBB198_295
.LBB198_294:                            ;   in Loop: Header=BB198_18 Depth=1
	v_cvt_f32_u32_e32 v2, s75
	s_sub_i32 s4, 0, s75
	s_mov_b32 s12, s90
	v_rcp_iflag_f32_e32 v2, v2
	v_mul_f32_e32 v2, 0x4f7ffffe, v2
	v_cvt_u32_f32_e32 v2, v2
	v_readfirstlane_b32 s10, v2
	s_mul_i32 s4, s4, s10
	s_mul_hi_u32 s4, s10, s4
	s_add_i32 s10, s10, s4
	s_mul_hi_u32 s4, s34, s10
	s_mul_i32 s4, s4, s75
	s_sub_i32 s4, s34, s4
	s_sub_i32 s10, s4, s75
	s_cmp_ge_u32 s4, s75
	s_cselect_b32 s4, s10, s4
	s_sub_i32 s10, s4, s75
	s_cmp_ge_u32 s4, s75
	s_cselect_b32 s90, s10, s4
	s_mov_b64 s[10:11], s[90:91]
	s_mov_b32 s90, s12
.LBB198_295:                            ;   in Loop: Header=BB198_18 Depth=1
	s_sub_u32 s34, s34, s10
	s_subb_u32 s35, s5, s11
	v_cmp_gt_u64_e32 vcc, s[34:35], v[0:1]
	s_mov_b64 s[10:11], 0
	s_mov_b64 s[4:5], 0
                                        ; implicit-def: $vgpr18
	s_and_saveexec_b64 s[12:13], vcc
	s_cbranch_execz .LBB198_306
; %bb.296:                              ;   in Loop: Header=BB198_18 Depth=1
	v_mov_b32_e32 v3, v1
	v_mov_b32_e32 v4, v14
	;; [unrolled: 1-line block ×3, first 2 shown]
                                        ; implicit-def: $sgpr36_sgpr37
	s_branch .LBB198_300
.LBB198_297:                            ;   in Loop: Header=BB198_300 Depth=2
	s_or_b64 exec, exec, s[38:39]
	s_waitcnt lgkmcnt(0)
	s_barrier
	ds_read_b64 v[17:18], v13 offset:3072
	s_waitcnt lgkmcnt(0)
	s_barrier
	v_cmp_neq_f32_e32 vcc, 0, v17
	s_cbranch_vccnz .LBB198_303
; %bb.298:                              ;   in Loop: Header=BB198_300 Depth=2
	v_add_co_u32_e32 v2, vcc, s75, v2
	v_addc_co_u32_e32 v3, vcc, 0, v3, vcc
	v_cmp_le_u64_e32 vcc, s[34:35], v[2:3]
	v_add_u32_e32 v4, s1, v4
	s_mov_b64 s[38:39], 0
	s_orn2_b64 s[40:41], vcc, exec
.LBB198_299:                            ;   in Loop: Header=BB198_300 Depth=2
	s_and_b64 s[40:41], exec, s[40:41]
	s_or_b64 s[4:5], s[40:41], s[4:5]
	s_andn2_b64 s[36:37], s[36:37], exec
	s_and_b64 s[38:39], s[38:39], exec
	s_or_b64 s[36:37], s[36:37], s[38:39]
	s_andn2_b64 exec, exec, s[4:5]
	s_cbranch_execz .LBB198_305
.LBB198_300:                            ;   Parent Loop BB198_18 Depth=1
                                        ; =>  This Inner Loop Header: Depth=2
	v_cmp_gt_u64_e32 vcc, s[8:9], v[2:3]
	s_and_saveexec_b64 s[38:39], vcc
	s_cbranch_execz .LBB198_297
; %bb.301:                              ;   in Loop: Header=BB198_300 Depth=2
	ds_read_b32 v17, v4
	s_waitcnt lgkmcnt(0)
	v_cmp_lt_i32_e32 vcc, -1, v17
	v_cndmask_b32_e32 v5, -1, v33, vcc
	v_xor_b32_e32 v5, v5, v17
	v_cmp_o_f32_e32 vcc, v17, v17
	v_cndmask_b32_e32 v5, -1, v5, vcc
	v_and_b32_e32 v5, v5, v35
	v_cmp_eq_u32_e32 vcc, v5, v30
	s_and_b64 exec, exec, vcc
	s_cbranch_execz .LBB198_297
; %bb.302:                              ;   in Loop: Header=BB198_300 Depth=2
	ds_write_b64 v13, v[16:17] offset:3072
	s_branch .LBB198_297
.LBB198_303:                            ;   in Loop: Header=BB198_300 Depth=2
	s_mov_b64 s[40:41], -1
                                        ; implicit-def: $vgpr2_vgpr3
                                        ; implicit-def: $vgpr4
	s_mov_b64 s[38:39], -1
	s_branch .LBB198_299
.LBB198_304:                            ;   in Loop: Header=BB198_18 Depth=1
	s_mov_b64 s[14:15], 0
	v_mov_b32_e32 v30, v12
	v_mov_b32_e32 v35, v9
	;; [unrolled: 1-line block ×3, first 2 shown]
	s_and_saveexec_b64 s[4:5], s[28:29]
	s_cbranch_execnz .LBB198_488
	s_branch .LBB198_489
.LBB198_305:                            ;   in Loop: Header=BB198_18 Depth=1
	s_or_b64 exec, exec, s[4:5]
	s_and_b64 s[4:5], s[36:37], exec
.LBB198_306:                            ;   in Loop: Header=BB198_18 Depth=1
	s_or_b64 exec, exec, s[12:13]
.LBB198_307:                            ;   in Loop: Header=BB198_18 Depth=1
	s_and_b64 vcc, exec, s[10:11]
	s_cbranch_vccz .LBB198_322
; %bb.308:                              ;   in Loop: Header=BB198_18 Depth=1
	v_readlane_b32 s34, v49, 53
	v_readlane_b32 s35, v49, 54
	s_mov_b32 s34, s91
	s_cmp_lg_u64 s[34:35], 0
	v_writelane_b32 v49, s34, 53
	v_writelane_b32 v49, s35, 54
	s_cbranch_scc0 .LBB198_351
; %bb.309:                              ;   in Loop: Header=BB198_18 Depth=1
	v_cvt_f32_u32_e32 v2, s75
	s_sub_u32 s10, 0, s75
	s_subb_u32 s11, 0, 0
	v_mac_f32_e32 v2, 0, v34
	v_rcp_f32_e32 v2, v2
	v_mul_f32_e32 v2, 0x5f7ffffc, v2
	v_mul_f32_e32 v3, 0x2f800000, v2
	v_trunc_f32_e32 v3, v3
	v_mac_f32_e32 v2, 0xcf800000, v3
	v_cvt_u32_f32_e32 v3, v3
	v_cvt_u32_f32_e32 v2, v2
	v_readfirstlane_b32 s12, v3
	v_readfirstlane_b32 s8, v2
	s_mul_i32 s9, s10, s12
	s_mul_hi_u32 s14, s10, s8
	s_mul_i32 s13, s11, s8
	s_add_i32 s9, s14, s9
	s_mul_i32 s15, s10, s8
	s_add_i32 s9, s9, s13
	s_mul_hi_u32 s14, s8, s15
	s_mul_i32 s18, s8, s9
	s_mul_hi_u32 s13, s8, s9
	s_add_u32 s14, s14, s18
	s_addc_u32 s13, 0, s13
	s_mul_hi_u32 s19, s12, s15
	s_mul_i32 s15, s12, s15
	s_add_u32 s14, s14, s15
	s_mul_hi_u32 s18, s12, s9
	s_addc_u32 s13, s13, s19
	s_addc_u32 s14, s18, 0
	s_mul_i32 s9, s12, s9
	s_add_u32 s9, s13, s9
	s_addc_u32 s13, 0, s14
	s_add_u32 s14, s8, s9
	s_cselect_b64 s[8:9], -1, 0
	s_cmp_lg_u64 s[8:9], 0
	s_addc_u32 s12, s12, s13
	s_mul_i32 s8, s10, s12
	s_mul_hi_u32 s9, s10, s14
	s_add_i32 s8, s9, s8
	s_mul_i32 s11, s11, s14
	s_add_i32 s8, s8, s11
	s_mul_i32 s10, s10, s14
	s_mul_hi_u32 s11, s12, s10
	s_mul_i32 s13, s12, s10
	s_mul_i32 s18, s14, s8
	s_mul_hi_u32 s10, s14, s10
	s_mul_hi_u32 s15, s14, s8
	s_add_u32 s10, s10, s18
	s_addc_u32 s15, 0, s15
	s_add_u32 s10, s10, s13
	s_mul_hi_u32 s9, s12, s8
	s_addc_u32 s10, s15, s11
	s_addc_u32 s9, s9, 0
	s_mul_i32 s8, s12, s8
	s_add_u32 s8, s10, s8
	s_addc_u32 s10, 0, s9
	s_add_u32 s11, s14, s8
	s_cselect_b64 s[8:9], -1, 0
	s_cmp_lg_u64 s[8:9], 0
	s_addc_u32 s8, s12, s10
	v_readlane_b32 s14, v49, 51
	s_mul_i32 s10, s14, s8
	s_mul_hi_u32 s12, s14, s11
	s_mul_hi_u32 s9, s14, s8
	s_add_u32 s10, s12, s10
	s_addc_u32 s9, 0, s9
	s_mul_hi_u32 s13, s35, s11
	s_mul_i32 s11, s35, s11
	s_add_u32 s10, s10, s11
	s_mul_hi_u32 s12, s35, s8
	s_addc_u32 s9, s9, s13
	s_addc_u32 s10, s12, 0
	s_mul_i32 s8, s35, s8
	s_add_u32 s8, s9, s8
	s_addc_u32 s9, 0, s10
	s_mul_i32 s9, s75, s9
	s_mul_hi_u32 s10, s75, s8
	s_add_i32 s10, s10, s9
	s_mul_i32 s8, s75, s8
	s_sub_u32 s11, s14, s8
	s_cselect_b64 s[8:9], -1, 0
	s_cmp_lg_u64 s[8:9], 0
	s_subb_u32 s10, s35, s10
	s_sub_u32 s12, s11, s75
	s_cselect_b64 s[8:9], -1, 0
	s_cmp_lg_u64 s[8:9], 0
	s_subb_u32 s13, s10, 0
	;; [unrolled: 4-line block ×3, first 2 shown]
	s_cmp_ge_u32 s12, s75
	s_cselect_b32 s9, -1, 0
	s_cmp_eq_u32 s13, 0
	s_cselect_b32 s9, s9, -1
	s_cmp_lg_u32 s9, 0
	s_cselect_b32 s8, s8, s13
	s_cselect_b32 s12, s14, s12
	s_cmp_ge_u32 s11, s75
	s_cselect_b32 s9, -1, 0
	s_cmp_eq_u32 s10, 0
	s_cselect_b32 s9, s9, -1
	s_cmp_lg_u32 s9, 0
	s_cselect_b32 s9, s8, s10
	s_cselect_b32 s8, s12, s11
	s_cbranch_execnz .LBB198_311
.LBB198_310:                            ;   in Loop: Header=BB198_18 Depth=1
	v_cvt_f32_u32_e32 v2, s75
	s_sub_i32 s8, 0, s75
	v_readlane_b32 s10, v49, 51
	v_rcp_iflag_f32_e32 v2, v2
	v_mul_f32_e32 v2, 0x4f7ffffe, v2
	v_cvt_u32_f32_e32 v2, v2
	v_readfirstlane_b32 s9, v2
	s_mul_i32 s8, s8, s9
	s_mul_hi_u32 s8, s9, s8
	s_add_i32 s9, s9, s8
	s_mul_hi_u32 s8, s10, s9
	s_mul_i32 s8, s8, s75
	s_sub_i32 s8, s10, s8
	s_sub_i32 s9, s8, s75
	s_cmp_ge_u32 s8, s75
	s_cselect_b32 s8, s9, s8
	s_sub_i32 s9, s8, s75
	s_cmp_ge_u32 s8, s75
	s_mov_b32 s10, s90
	s_cselect_b32 s90, s9, s8
	s_mov_b64 s[8:9], s[90:91]
	s_mov_b32 s90, s10
.LBB198_311:                            ;   in Loop: Header=BB198_18 Depth=1
	v_readlane_b32 s10, v49, 51
	v_readlane_b32 s12, v49, 53
	s_sub_u32 s10, s10, s8
	v_readlane_b32 s13, v49, 54
	s_subb_u32 s11, s13, s9
	v_cmp_gt_u64_e32 vcc, s[10:11], v[0:1]
                                        ; implicit-def: $vgpr18
	s_and_saveexec_b64 s[8:9], vcc
	s_cbranch_execz .LBB198_321
; %bb.312:                              ;   in Loop: Header=BB198_18 Depth=1
	v_mov_b32_e32 v3, v1
	s_mov_b64 s[12:13], 0
	v_mov_b32_e32 v2, v0
                                        ; implicit-def: $sgpr14_sgpr15
	s_branch .LBB198_316
.LBB198_313:                            ;   in Loop: Header=BB198_316 Depth=2
	s_or_b64 exec, exec, s[18:19]
	s_waitcnt lgkmcnt(0)
	s_barrier
	ds_read_b64 v[17:18], v13 offset:3072
	s_waitcnt lgkmcnt(0)
	s_barrier
	v_cmp_neq_f32_e32 vcc, 0, v17
	s_cbranch_vccnz .LBB198_319
; %bb.314:                              ;   in Loop: Header=BB198_316 Depth=2
	v_add_co_u32_e32 v2, vcc, s75, v2
	v_addc_co_u32_e32 v3, vcc, 0, v3, vcc
	v_cmp_le_u64_e32 vcc, s[10:11], v[2:3]
	s_mov_b64 s[18:19], 0
	s_orn2_b64 s[34:35], vcc, exec
.LBB198_315:                            ;   in Loop: Header=BB198_316 Depth=2
	s_and_b64 s[34:35], exec, s[34:35]
	s_or_b64 s[12:13], s[34:35], s[12:13]
	s_andn2_b64 s[14:15], s[14:15], exec
	s_and_b64 s[18:19], s[18:19], exec
	s_or_b64 s[14:15], s[14:15], s[18:19]
	s_andn2_b64 exec, exec, s[12:13]
	s_cbranch_execz .LBB198_320
.LBB198_316:                            ;   Parent Loop BB198_18 Depth=1
                                        ; =>  This Inner Loop Header: Depth=2
	v_cmp_gt_u64_e32 vcc, s[60:61], v[2:3]
	s_and_saveexec_b64 s[18:19], vcc
	s_cbranch_execz .LBB198_313
; %bb.317:                              ;   in Loop: Header=BB198_316 Depth=2
	v_mul_lo_u32 v6, v3, s58
	v_mul_lo_u32 v7, v2, s59
	v_mad_u64_u32 v[4:5], s[34:35], v2, s58, 0
	v_add3_u32 v5, v5, v7, v6
	v_lshlrev_b64 v[4:5], 2, v[4:5]
	v_mov_b32_e32 v6, s74
	v_add_co_u32_e32 v4, vcc, s33, v4
	v_addc_co_u32_e32 v5, vcc, v6, v5, vcc
	global_load_dword v17, v[4:5], off
	s_waitcnt vmcnt(0)
	v_cmp_lt_i32_e32 vcc, -1, v17
	v_cndmask_b32_e32 v4, -1, v33, vcc
	v_xor_b32_e32 v4, v4, v17
	v_cmp_o_f32_e32 vcc, v17, v17
	v_cndmask_b32_e32 v4, -1, v4, vcc
	v_and_b32_e32 v4, v4, v35
	v_cmp_eq_u32_e32 vcc, v4, v30
	s_and_b64 exec, exec, vcc
	s_cbranch_execz .LBB198_313
; %bb.318:                              ;   in Loop: Header=BB198_316 Depth=2
	ds_write_b64 v13, v[16:17] offset:3072
	s_branch .LBB198_313
.LBB198_319:                            ;   in Loop: Header=BB198_316 Depth=2
	s_mov_b64 s[34:35], -1
                                        ; implicit-def: $vgpr2_vgpr3
	s_mov_b64 s[18:19], -1
	s_branch .LBB198_315
.LBB198_320:                            ;   in Loop: Header=BB198_18 Depth=1
	s_or_b64 exec, exec, s[12:13]
	s_andn2_b64 s[4:5], s[4:5], exec
	s_and_b64 s[10:11], s[14:15], exec
	s_or_b64 s[4:5], s[4:5], s[10:11]
.LBB198_321:                            ;   in Loop: Header=BB198_18 Depth=1
	s_or_b64 exec, exec, s[8:9]
	s_mov_b64 s[18:19], 0
	s_mov_b64 s[14:15], -1
.LBB198_322:                            ;   in Loop: Header=BB198_18 Depth=1
	s_orn2_b64 s[4:5], s[4:5], exec
.LBB198_323:                            ;   in Loop: Header=BB198_18 Depth=1
	s_or_b64 exec, exec, s[30:31]
                                        ; implicit-def: $vgpr2_vgpr3
                                        ; implicit-def: $vgpr8
	s_and_saveexec_b64 s[34:35], s[4:5]
	s_cbranch_execz .LBB198_487
; %bb.324:                              ;   in Loop: Header=BB198_18 Depth=1
	v_mov_b32_e32 v2, 1
	s_xor_b64 s[8:9], s[6:7], -1
	v_mov_b32_e32 v8, 1
	v_mov_b32_e32 v3, 0
	s_mov_b64 s[6:7], 0
	s_and_saveexec_b64 s[4:5], s[8:9]
	s_cbranch_execz .LBB198_333
; %bb.325:                              ;   in Loop: Header=BB198_18 Depth=1
	v_cmp_ge_u64_e32 vcc, s[24:25], v[19:20]
	s_and_saveexec_b64 s[6:7], vcc
	s_xor_b64 s[6:7], exec, s[6:7]
	s_cbranch_execz .LBB198_330
; %bb.326:                              ;   in Loop: Header=BB198_18 Depth=1
	ds_read_b64 v[2:3], v13 offset:5120
	v_or_b32_e32 v30, s73, v30
	v_or_b32_e32 v35, s73, v35
	s_waitcnt lgkmcnt(0)
	v_cmp_ne_u64_e32 vcc, 0, v[2:3]
	s_cbranch_vccnz .LBB198_330
; %bb.327:                              ;   in Loop: Header=BB198_18 Depth=1
	s_mov_b64 s[8:9], exec
	v_readlane_b32 s10, v49, 32
	v_readlane_b32 s11, v49, 33
	s_and_b64 s[10:11], s[8:9], s[10:11]
	s_mov_b64 exec, s[10:11]
; %bb.328:                              ;   in Loop: Header=BB198_18 Depth=1
	v_mov_b32_e32 v2, s24
	v_mov_b32_e32 v3, s25
	ds_write_b64 v13, v[2:3] offset:5128
; %bb.329:                              ;   in Loop: Header=BB198_18 Depth=1
	s_or_b64 exec, exec, s[8:9]
	s_waitcnt lgkmcnt(0)
	s_barrier
.LBB198_330:                            ;   in Loop: Header=BB198_18 Depth=1
	s_or_saveexec_b64 s[6:7], s[6:7]
	s_mov_b64 s[8:9], 0
	v_mov_b32_e32 v8, 5
	s_xor_b64 exec, exec, s[6:7]
; %bb.331:                              ;   in Loop: Header=BB198_18 Depth=1
	v_mov_b32_e32 v2, s25
	v_subrev_co_u32_e32 v19, vcc, s24, v19
	s_mov_b64 s[8:9], exec
	v_subb_co_u32_e32 v20, vcc, v20, v2, vcc
	v_mov_b32_e32 v8, 0
; %bb.332:                              ;   in Loop: Header=BB198_18 Depth=1
	s_or_b64 exec, exec, s[6:7]
	v_mov_b32_e32 v2, v19
	s_and_b64 s[6:7], s[8:9], exec
	v_mov_b32_e32 v3, v20
.LBB198_333:                            ;   in Loop: Header=BB198_18 Depth=1
	s_or_b64 exec, exec, s[4:5]
	s_mov_b64 s[4:5], -1
                                        ; implicit-def: $sgpr24_sgpr25
                                        ; implicit-def: $sgpr36_sgpr37
	s_and_saveexec_b64 s[8:9], s[6:7]
	s_xor_b64 s[6:7], exec, s[8:9]
	s_cbranch_execz .LBB198_484
; %bb.334:                              ;   in Loop: Header=BB198_18 Depth=1
	s_cmp_eq_u64 s[22:23], 1
	v_cmp_eq_u64_e32 vcc, 1, v[2:3]
	s_cselect_b64 s[4:5], -1, 0
	s_and_b64 s[30:31], s[4:5], vcc
	s_mov_b64 s[4:5], -1
                                        ; implicit-def: $sgpr36_sgpr37
                                        ; implicit-def: $sgpr24_sgpr25
	s_and_saveexec_b64 s[38:39], s[30:31]
	s_cbranch_execz .LBB198_370
; %bb.335:                              ;   in Loop: Header=BB198_18 Depth=1
	ds_read_b64 v[4:5], v13 offset:5120
	s_waitcnt lgkmcnt(0)
	s_barrier
	v_readfirstlane_b32 s8, v4
	v_readfirstlane_b32 s9, v5
	s_mov_b64 s[4:5], exec
	v_readlane_b32 s10, v49, 46
	v_readlane_b32 s11, v49, 47
	s_and_b64 s[10:11], s[4:5], s[10:11]
	s_mov_b64 exec, s[10:11]
; %bb.336:                              ;   in Loop: Header=BB198_18 Depth=1
	ds_write_b32 v28, v13
; %bb.337:                              ;   in Loop: Header=BB198_18 Depth=1
	s_or_b64 exec, exec, s[4:5]
	v_and_b32_e32 v4, s90, v30
	v_lshl_or_b32 v30, 2, s72, v4
	v_or_b32_e32 v35, s73, v35
	s_mov_b64 s[24:25], -1
	s_mov_b64 s[36:37], 0
	s_cmp_eq_u64 s[8:9], 0
	s_mov_b64 s[4:5], 0
	s_mov_b64 s[10:11], -1
	s_waitcnt lgkmcnt(0)
	s_barrier
                                        ; implicit-def: $vgpr18
	s_cbranch_scc1 .LBB198_354
; %bb.338:                              ;   in Loop: Header=BB198_18 Depth=1
	v_readlane_b32 s4, v49, 50
	s_add_u32 s40, s8, s4
	v_readlane_b32 s4, v49, 52
	s_addc_u32 s5, s9, s4
	s_mov_b32 s4, s91
	s_cmp_lg_u64 s[4:5], 0
	s_cbranch_scc0 .LBB198_397
; %bb.339:                              ;   in Loop: Header=BB198_18 Depth=1
	v_cvt_f32_u32_e32 v4, s75
	s_sub_u32 s4, 0, s75
	s_subb_u32 s12, 0, 0
	v_mac_f32_e32 v4, 0, v34
	v_rcp_f32_e32 v4, v4
	v_mul_f32_e32 v4, 0x5f7ffffc, v4
	v_mul_f32_e32 v5, 0x2f800000, v4
	v_trunc_f32_e32 v5, v5
	v_mac_f32_e32 v4, 0xcf800000, v5
	v_cvt_u32_f32_e32 v5, v5
	v_cvt_u32_f32_e32 v4, v4
	v_readfirstlane_b32 s13, v5
	v_readfirstlane_b32 s10, v4
	s_mul_i32 s11, s4, s13
	s_mul_hi_u32 s42, s4, s10
	s_mul_i32 s41, s12, s10
	s_add_i32 s11, s42, s11
	s_mul_i32 s43, s4, s10
	s_add_i32 s11, s11, s41
	s_mul_hi_u32 s42, s10, s43
	s_mul_i32 s44, s10, s11
	s_mul_hi_u32 s41, s10, s11
	s_add_u32 s42, s42, s44
	s_addc_u32 s41, 0, s41
	s_mul_hi_u32 s45, s13, s43
	s_mul_i32 s43, s13, s43
	s_add_u32 s42, s42, s43
	s_mul_hi_u32 s44, s13, s11
	s_addc_u32 s41, s41, s45
	s_addc_u32 s42, s44, 0
	s_mul_i32 s11, s13, s11
	s_add_u32 s11, s41, s11
	s_addc_u32 s41, 0, s42
	s_add_u32 s42, s10, s11
	s_cselect_b64 s[10:11], -1, 0
	s_cmp_lg_u64 s[10:11], 0
	s_addc_u32 s13, s13, s41
	s_mul_i32 s10, s4, s13
	s_mul_hi_u32 s11, s4, s42
	s_add_i32 s10, s11, s10
	s_mul_i32 s12, s12, s42
	s_add_i32 s10, s10, s12
	s_mul_i32 s4, s4, s42
	s_mul_hi_u32 s12, s13, s4
	s_mul_i32 s41, s13, s4
	s_mul_i32 s44, s42, s10
	s_mul_hi_u32 s4, s42, s4
	s_mul_hi_u32 s43, s42, s10
	s_add_u32 s4, s4, s44
	s_addc_u32 s43, 0, s43
	s_add_u32 s4, s4, s41
	s_mul_hi_u32 s11, s13, s10
	s_addc_u32 s4, s43, s12
	s_addc_u32 s11, s11, 0
	s_mul_i32 s10, s13, s10
	s_add_u32 s4, s4, s10
	s_addc_u32 s12, 0, s11
	s_add_u32 s4, s42, s4
	s_cselect_b64 s[10:11], -1, 0
	s_cmp_lg_u64 s[10:11], 0
	s_addc_u32 s10, s13, s12
	s_mul_i32 s12, s40, s10
	s_mul_hi_u32 s13, s40, s4
	s_mul_hi_u32 s11, s40, s10
	s_add_u32 s12, s13, s12
	s_addc_u32 s11, 0, s11
	s_mul_hi_u32 s41, s5, s4
	s_mul_i32 s4, s5, s4
	s_add_u32 s4, s12, s4
	s_mul_hi_u32 s13, s5, s10
	s_addc_u32 s4, s11, s41
	s_addc_u32 s11, s13, 0
	s_mul_i32 s10, s5, s10
	s_add_u32 s4, s4, s10
	s_addc_u32 s10, 0, s11
	s_mul_i32 s10, s75, s10
	s_mul_hi_u32 s11, s75, s4
	s_add_i32 s12, s11, s10
	s_mul_i32 s4, s75, s4
	s_sub_u32 s4, s40, s4
	s_cselect_b64 s[10:11], -1, 0
	s_cmp_lg_u64 s[10:11], 0
	s_subb_u32 s12, s5, s12
	s_sub_u32 s13, s4, s75
	s_cselect_b64 s[10:11], -1, 0
	s_cmp_lg_u64 s[10:11], 0
	s_subb_u32 s41, s12, 0
	;; [unrolled: 4-line block ×3, first 2 shown]
	s_cmp_ge_u32 s13, s75
	s_cselect_b32 s11, -1, 0
	s_cmp_eq_u32 s41, 0
	s_cselect_b32 s11, s11, -1
	s_cmp_lg_u32 s11, 0
	s_cselect_b32 s10, s10, s41
	s_cselect_b32 s13, s42, s13
	s_cmp_ge_u32 s4, s75
	s_cselect_b32 s11, -1, 0
	s_cmp_eq_u32 s12, 0
	s_cselect_b32 s11, s11, -1
	s_cmp_lg_u32 s11, 0
	s_cselect_b32 s11, s10, s12
	s_cselect_b32 s10, s13, s4
	s_cbranch_execnz .LBB198_341
.LBB198_340:                            ;   in Loop: Header=BB198_18 Depth=1
	v_cvt_f32_u32_e32 v4, s75
	s_sub_i32 s4, 0, s75
	s_mov_b32 s12, s90
	v_rcp_iflag_f32_e32 v4, v4
	v_mul_f32_e32 v4, 0x4f7ffffe, v4
	v_cvt_u32_f32_e32 v4, v4
	v_readfirstlane_b32 s10, v4
	s_mul_i32 s4, s4, s10
	s_mul_hi_u32 s4, s10, s4
	s_add_i32 s10, s10, s4
	s_mul_hi_u32 s4, s40, s10
	s_mul_i32 s4, s4, s75
	s_sub_i32 s4, s40, s4
	s_sub_i32 s10, s4, s75
	s_cmp_ge_u32 s4, s75
	s_cselect_b32 s4, s10, s4
	s_sub_i32 s10, s4, s75
	s_cmp_ge_u32 s4, s75
	s_cselect_b32 s90, s10, s4
	s_mov_b64 s[10:11], s[90:91]
	s_mov_b32 s90, s12
.LBB198_341:                            ;   in Loop: Header=BB198_18 Depth=1
	s_sub_u32 s40, s40, s10
	s_subb_u32 s41, s5, s11
	v_cmp_gt_u64_e32 vcc, s[40:41], v[0:1]
	s_mov_b64 s[10:11], 0
	s_mov_b64 s[4:5], 0
                                        ; implicit-def: $vgpr18
	s_and_saveexec_b64 s[12:13], vcc
	s_cbranch_execz .LBB198_353
; %bb.342:                              ;   in Loop: Header=BB198_18 Depth=1
	v_mov_b32_e32 v5, v1
	v_mov_b32_e32 v6, v14
	;; [unrolled: 1-line block ×3, first 2 shown]
                                        ; implicit-def: $sgpr42_sgpr43
	s_branch .LBB198_346
.LBB198_343:                            ;   in Loop: Header=BB198_346 Depth=2
	s_or_b64 exec, exec, s[44:45]
	s_waitcnt lgkmcnt(0)
	s_barrier
	ds_read_b64 v[17:18], v13 offset:3072
	s_waitcnt lgkmcnt(0)
	s_barrier
	v_cmp_neq_f32_e32 vcc, 0, v17
	s_cbranch_vccnz .LBB198_349
; %bb.344:                              ;   in Loop: Header=BB198_346 Depth=2
	v_add_co_u32_e32 v4, vcc, s75, v4
	v_addc_co_u32_e32 v5, vcc, 0, v5, vcc
	v_cmp_le_u64_e32 vcc, s[40:41], v[4:5]
	v_add_u32_e32 v6, s1, v6
	s_mov_b64 s[44:45], 0
	s_orn2_b64 s[46:47], vcc, exec
.LBB198_345:                            ;   in Loop: Header=BB198_346 Depth=2
	s_and_b64 s[46:47], exec, s[46:47]
	s_or_b64 s[4:5], s[46:47], s[4:5]
	s_andn2_b64 s[42:43], s[42:43], exec
	s_and_b64 s[44:45], s[44:45], exec
	s_or_b64 s[42:43], s[42:43], s[44:45]
	s_andn2_b64 exec, exec, s[4:5]
	s_cbranch_execz .LBB198_352
.LBB198_346:                            ;   Parent Loop BB198_18 Depth=1
                                        ; =>  This Inner Loop Header: Depth=2
	v_cmp_gt_u64_e32 vcc, s[8:9], v[4:5]
	s_and_saveexec_b64 s[44:45], vcc
	s_cbranch_execz .LBB198_343
; %bb.347:                              ;   in Loop: Header=BB198_346 Depth=2
	ds_read_b32 v17, v6
	s_waitcnt lgkmcnt(0)
	v_cmp_lt_i32_e32 vcc, -1, v17
	v_cndmask_b32_e32 v7, -1, v33, vcc
	v_xor_b32_e32 v7, v7, v17
	v_cmp_o_f32_e32 vcc, v17, v17
	v_cndmask_b32_e32 v7, -1, v7, vcc
	v_and_b32_e32 v7, v7, v35
	v_cmp_eq_u32_e32 vcc, v7, v30
	s_and_b64 exec, exec, vcc
	s_cbranch_execz .LBB198_343
; %bb.348:                              ;   in Loop: Header=BB198_346 Depth=2
	ds_write_b64 v13, v[16:17] offset:3072
	s_branch .LBB198_343
.LBB198_349:                            ;   in Loop: Header=BB198_346 Depth=2
	s_mov_b64 s[46:47], -1
                                        ; implicit-def: $vgpr4_vgpr5
                                        ; implicit-def: $vgpr6
	s_mov_b64 s[44:45], -1
	s_branch .LBB198_345
.LBB198_350:                            ;   in Loop: Header=BB198_18 Depth=1
                                        ; implicit-def: $sgpr10_sgpr11
	s_branch .LBB198_294
.LBB198_351:                            ;   in Loop: Header=BB198_18 Depth=1
                                        ; implicit-def: $sgpr8_sgpr9
	s_branch .LBB198_310
.LBB198_352:                            ;   in Loop: Header=BB198_18 Depth=1
	s_or_b64 exec, exec, s[4:5]
	s_and_b64 s[4:5], s[42:43], exec
.LBB198_353:                            ;   in Loop: Header=BB198_18 Depth=1
	s_or_b64 exec, exec, s[12:13]
.LBB198_354:                            ;   in Loop: Header=BB198_18 Depth=1
	s_and_b64 vcc, exec, s[10:11]
	s_cbranch_vccz .LBB198_369
; %bb.355:                              ;   in Loop: Header=BB198_18 Depth=1
	v_readlane_b32 s40, v49, 53
	v_readlane_b32 s41, v49, 54
	s_mov_b32 s40, s91
	s_cmp_lg_u64 s[40:41], 0
	v_writelane_b32 v49, s40, 53
	v_writelane_b32 v49, s41, 54
	s_cbranch_scc0 .LBB198_398
; %bb.356:                              ;   in Loop: Header=BB198_18 Depth=1
	v_cvt_f32_u32_e32 v4, s75
	s_sub_u32 s10, 0, s75
	s_subb_u32 s11, 0, 0
	v_mac_f32_e32 v4, 0, v34
	v_rcp_f32_e32 v4, v4
	v_mul_f32_e32 v4, 0x5f7ffffc, v4
	v_mul_f32_e32 v5, 0x2f800000, v4
	v_trunc_f32_e32 v5, v5
	v_mac_f32_e32 v4, 0xcf800000, v5
	v_cvt_u32_f32_e32 v5, v5
	v_cvt_u32_f32_e32 v4, v4
	v_readfirstlane_b32 s12, v5
	v_readfirstlane_b32 s8, v4
	s_mul_i32 s9, s10, s12
	s_mul_hi_u32 s24, s10, s8
	s_mul_i32 s13, s11, s8
	s_add_i32 s9, s24, s9
	s_mul_i32 s25, s10, s8
	s_add_i32 s9, s9, s13
	s_mul_hi_u32 s24, s8, s25
	s_mul_i32 s36, s8, s9
	s_mul_hi_u32 s13, s8, s9
	s_add_u32 s24, s24, s36
	s_addc_u32 s13, 0, s13
	s_mul_hi_u32 s37, s12, s25
	s_mul_i32 s25, s12, s25
	s_add_u32 s24, s24, s25
	s_mul_hi_u32 s36, s12, s9
	s_addc_u32 s13, s13, s37
	s_addc_u32 s24, s36, 0
	s_mul_i32 s9, s12, s9
	s_add_u32 s9, s13, s9
	s_addc_u32 s13, 0, s24
	s_add_u32 s24, s8, s9
	s_cselect_b64 s[8:9], -1, 0
	s_cmp_lg_u64 s[8:9], 0
	s_addc_u32 s12, s12, s13
	s_mul_i32 s8, s10, s12
	s_mul_hi_u32 s9, s10, s24
	s_add_i32 s8, s9, s8
	s_mul_i32 s11, s11, s24
	s_add_i32 s8, s8, s11
	s_mul_i32 s10, s10, s24
	s_mul_hi_u32 s11, s12, s10
	s_mul_i32 s13, s12, s10
	s_mul_i32 s36, s24, s8
	s_mul_hi_u32 s10, s24, s10
	s_mul_hi_u32 s25, s24, s8
	s_add_u32 s10, s10, s36
	s_addc_u32 s25, 0, s25
	s_add_u32 s10, s10, s13
	s_mul_hi_u32 s9, s12, s8
	s_addc_u32 s10, s25, s11
	s_addc_u32 s9, s9, 0
	s_mul_i32 s8, s12, s8
	s_add_u32 s8, s10, s8
	s_addc_u32 s10, 0, s9
	s_add_u32 s11, s24, s8
	s_cselect_b64 s[8:9], -1, 0
	s_cmp_lg_u64 s[8:9], 0
	s_addc_u32 s8, s12, s10
	v_readlane_b32 s24, v49, 51
	s_mul_i32 s10, s24, s8
	s_mul_hi_u32 s12, s24, s11
	s_mul_hi_u32 s9, s24, s8
	s_add_u32 s10, s12, s10
	s_addc_u32 s9, 0, s9
	s_mul_hi_u32 s13, s41, s11
	s_mul_i32 s11, s41, s11
	s_add_u32 s10, s10, s11
	s_mul_hi_u32 s12, s41, s8
	s_addc_u32 s9, s9, s13
	s_addc_u32 s10, s12, 0
	s_mul_i32 s8, s41, s8
	s_add_u32 s8, s9, s8
	s_addc_u32 s9, 0, s10
	s_mul_i32 s9, s75, s9
	s_mul_hi_u32 s10, s75, s8
	s_add_i32 s10, s10, s9
	s_mul_i32 s8, s75, s8
	s_sub_u32 s11, s24, s8
	s_cselect_b64 s[8:9], -1, 0
	s_cmp_lg_u64 s[8:9], 0
	s_subb_u32 s10, s41, s10
	s_sub_u32 s12, s11, s75
	s_cselect_b64 s[8:9], -1, 0
	s_cmp_lg_u64 s[8:9], 0
	s_subb_u32 s13, s10, 0
	;; [unrolled: 4-line block ×3, first 2 shown]
	s_cmp_ge_u32 s12, s75
	s_cselect_b32 s9, -1, 0
	s_cmp_eq_u32 s13, 0
	s_cselect_b32 s9, s9, -1
	s_cmp_lg_u32 s9, 0
	s_cselect_b32 s8, s8, s13
	s_cselect_b32 s12, s24, s12
	s_cmp_ge_u32 s11, s75
	s_cselect_b32 s9, -1, 0
	s_cmp_eq_u32 s10, 0
	s_cselect_b32 s9, s9, -1
	s_cmp_lg_u32 s9, 0
	s_cselect_b32 s9, s8, s10
	s_cselect_b32 s8, s12, s11
	s_cbranch_execnz .LBB198_358
.LBB198_357:                            ;   in Loop: Header=BB198_18 Depth=1
	v_cvt_f32_u32_e32 v4, s75
	s_sub_i32 s8, 0, s75
	v_readlane_b32 s10, v49, 51
	v_rcp_iflag_f32_e32 v4, v4
	v_mul_f32_e32 v4, 0x4f7ffffe, v4
	v_cvt_u32_f32_e32 v4, v4
	v_readfirstlane_b32 s9, v4
	s_mul_i32 s8, s8, s9
	s_mul_hi_u32 s8, s9, s8
	s_add_i32 s9, s9, s8
	s_mul_hi_u32 s8, s10, s9
	s_mul_i32 s8, s8, s75
	s_sub_i32 s8, s10, s8
	s_sub_i32 s9, s8, s75
	s_cmp_ge_u32 s8, s75
	s_cselect_b32 s8, s9, s8
	s_sub_i32 s9, s8, s75
	s_cmp_ge_u32 s8, s75
	s_mov_b32 s10, s90
	s_cselect_b32 s90, s9, s8
	s_mov_b64 s[8:9], s[90:91]
	s_mov_b32 s90, s10
.LBB198_358:                            ;   in Loop: Header=BB198_18 Depth=1
	v_readlane_b32 s10, v49, 51
	v_readlane_b32 s12, v49, 53
	s_sub_u32 s10, s10, s8
	v_readlane_b32 s13, v49, 54
	s_subb_u32 s11, s13, s9
	v_cmp_gt_u64_e32 vcc, s[10:11], v[0:1]
                                        ; implicit-def: $vgpr18
	s_and_saveexec_b64 s[8:9], vcc
	s_cbranch_execz .LBB198_368
; %bb.359:                              ;   in Loop: Header=BB198_18 Depth=1
	v_mov_b32_e32 v5, v1
	s_mov_b64 s[12:13], 0
	v_mov_b32_e32 v4, v0
                                        ; implicit-def: $sgpr24_sgpr25
	s_branch .LBB198_363
.LBB198_360:                            ;   in Loop: Header=BB198_363 Depth=2
	s_or_b64 exec, exec, s[36:37]
	s_waitcnt lgkmcnt(0)
	s_barrier
	ds_read_b64 v[17:18], v13 offset:3072
	s_waitcnt lgkmcnt(0)
	s_barrier
	v_cmp_eq_f32_e32 vcc, 0, v17
	s_cbranch_vccz .LBB198_366
; %bb.361:                              ;   in Loop: Header=BB198_363 Depth=2
	v_add_co_u32_e32 v4, vcc, s75, v4
	v_addc_co_u32_e32 v5, vcc, 0, v5, vcc
	v_cmp_le_u64_e32 vcc, s[10:11], v[4:5]
	s_mov_b64 s[36:37], 0
	s_orn2_b64 s[40:41], vcc, exec
.LBB198_362:                            ;   in Loop: Header=BB198_363 Depth=2
	s_and_b64 s[40:41], exec, s[40:41]
	s_or_b64 s[12:13], s[40:41], s[12:13]
	s_andn2_b64 s[24:25], s[24:25], exec
	s_and_b64 s[36:37], s[36:37], exec
	s_or_b64 s[24:25], s[24:25], s[36:37]
	s_andn2_b64 exec, exec, s[12:13]
	s_cbranch_execz .LBB198_367
.LBB198_363:                            ;   Parent Loop BB198_18 Depth=1
                                        ; =>  This Inner Loop Header: Depth=2
	v_cmp_gt_u64_e32 vcc, s[60:61], v[4:5]
	s_and_saveexec_b64 s[36:37], vcc
	s_cbranch_execz .LBB198_360
; %bb.364:                              ;   in Loop: Header=BB198_363 Depth=2
	v_mul_lo_u32 v9, v5, s58
	v_mul_lo_u32 v12, v4, s59
	v_mad_u64_u32 v[6:7], s[40:41], v4, s58, 0
	v_add3_u32 v7, v7, v12, v9
	v_lshlrev_b64 v[6:7], 2, v[6:7]
	v_mov_b32_e32 v9, s74
	v_add_co_u32_e32 v6, vcc, s33, v6
	v_addc_co_u32_e32 v7, vcc, v9, v7, vcc
	global_load_dword v17, v[6:7], off
	s_waitcnt vmcnt(0)
	v_cmp_lt_i32_e32 vcc, -1, v17
	v_cndmask_b32_e32 v6, -1, v33, vcc
	v_xor_b32_e32 v6, v6, v17
	v_cmp_o_f32_e32 vcc, v17, v17
	v_cndmask_b32_e32 v6, -1, v6, vcc
	v_and_b32_e32 v6, v6, v35
	v_cmp_eq_u32_e32 vcc, v6, v30
	s_and_b64 exec, exec, vcc
	s_cbranch_execz .LBB198_360
; %bb.365:                              ;   in Loop: Header=BB198_363 Depth=2
	ds_write_b64 v13, v[16:17] offset:3072
	s_branch .LBB198_360
.LBB198_366:                            ;   in Loop: Header=BB198_363 Depth=2
	s_mov_b64 s[40:41], -1
                                        ; implicit-def: $vgpr4_vgpr5
	s_mov_b64 s[36:37], -1
	s_branch .LBB198_362
.LBB198_367:                            ;   in Loop: Header=BB198_18 Depth=1
	s_or_b64 exec, exec, s[12:13]
	s_andn2_b64 s[4:5], s[4:5], exec
	s_and_b64 s[10:11], s[24:25], exec
	s_or_b64 s[4:5], s[4:5], s[10:11]
.LBB198_368:                            ;   in Loop: Header=BB198_18 Depth=1
	s_or_b64 exec, exec, s[8:9]
	s_mov_b64 s[24:25], 0
	s_mov_b64 s[36:37], -1
.LBB198_369:                            ;   in Loop: Header=BB198_18 Depth=1
	s_orn2_b64 s[4:5], s[4:5], exec
.LBB198_370:                            ;   in Loop: Header=BB198_18 Depth=1
	s_or_b64 exec, exec, s[38:39]
	s_mov_b64 s[8:9], 0
	s_and_saveexec_b64 s[38:39], s[4:5]
	s_cbranch_execz .LBB198_483
; %bb.371:                              ;   in Loop: Header=BB198_18 Depth=1
	v_mov_b32_e32 v4, 1
	s_xor_b64 s[10:11], s[30:31], -1
	v_mov_b32_e32 v8, 1
	v_mov_b32_e32 v5, 0
	s_and_saveexec_b64 s[4:5], s[10:11]
	s_cbranch_execz .LBB198_380
; %bb.372:                              ;   in Loop: Header=BB198_18 Depth=1
	v_cmp_ge_u64_e32 vcc, s[22:23], v[2:3]
	s_and_saveexec_b64 s[8:9], vcc
	s_xor_b64 s[8:9], exec, s[8:9]
	s_cbranch_execz .LBB198_377
; %bb.373:                              ;   in Loop: Header=BB198_18 Depth=1
	ds_read_b64 v[4:5], v13 offset:5120
	v_and_b32_e32 v6, s90, v30
	v_lshl_or_b32 v30, 2, s72, v6
	v_or_b32_e32 v35, s73, v35
	s_waitcnt lgkmcnt(0)
	v_cmp_ne_u64_e32 vcc, 0, v[4:5]
	s_cbranch_vccnz .LBB198_377
; %bb.374:                              ;   in Loop: Header=BB198_18 Depth=1
	s_mov_b64 s[10:11], exec
	v_readlane_b32 s12, v49, 32
	v_readlane_b32 s13, v49, 33
	s_and_b64 s[12:13], s[10:11], s[12:13]
	s_mov_b64 exec, s[12:13]
; %bb.375:                              ;   in Loop: Header=BB198_18 Depth=1
	v_mov_b32_e32 v4, s22
	v_mov_b32_e32 v5, s23
	ds_write_b64 v13, v[4:5] offset:5128
; %bb.376:                              ;   in Loop: Header=BB198_18 Depth=1
	s_or_b64 exec, exec, s[10:11]
	s_waitcnt lgkmcnt(0)
	s_barrier
.LBB198_377:                            ;   in Loop: Header=BB198_18 Depth=1
	s_or_saveexec_b64 s[8:9], s[8:9]
	s_mov_b64 s[10:11], 0
	v_mov_b32_e32 v8, 5
	s_xor_b64 exec, exec, s[8:9]
; %bb.378:                              ;   in Loop: Header=BB198_18 Depth=1
	v_mov_b32_e32 v4, s23
	v_subrev_co_u32_e32 v2, vcc, s22, v2
	s_mov_b64 s[10:11], exec
	v_subb_co_u32_e32 v3, vcc, v3, v4, vcc
	v_mov_b32_e32 v8, 0
; %bb.379:                              ;   in Loop: Header=BB198_18 Depth=1
	s_or_b64 exec, exec, s[8:9]
	v_mov_b32_e32 v5, v3
	s_and_b64 s[8:9], s[10:11], exec
	v_mov_b32_e32 v4, v2
.LBB198_380:                            ;   in Loop: Header=BB198_18 Depth=1
	s_or_b64 exec, exec, s[4:5]
	s_mov_b64 s[4:5], -1
                                        ; implicit-def: $sgpr40_sgpr41
                                        ; implicit-def: $sgpr42_sgpr43
	s_and_saveexec_b64 s[22:23], s[8:9]
	s_cbranch_execz .LBB198_482
; %bb.381:                              ;   in Loop: Header=BB198_18 Depth=1
	s_cmp_eq_u64 s[20:21], 1
	v_cmp_eq_u64_e32 vcc, 1, v[4:5]
	s_cselect_b64 s[4:5], -1, 0
	s_and_b64 s[44:45], s[4:5], vcc
	s_mov_b64 s[4:5], -1
                                        ; implicit-def: $sgpr42_sgpr43
                                        ; implicit-def: $sgpr40_sgpr41
	s_and_saveexec_b64 s[30:31], s[44:45]
	s_cbranch_execz .LBB198_417
; %bb.382:                              ;   in Loop: Header=BB198_18 Depth=1
	ds_read_b64 v[2:3], v13 offset:5120
	s_waitcnt lgkmcnt(0)
	s_barrier
	v_readfirstlane_b32 s8, v2
	v_readfirstlane_b32 s9, v3
	s_mov_b64 s[4:5], exec
	v_readlane_b32 s10, v49, 46
	v_readlane_b32 s11, v49, 47
	s_and_b64 s[10:11], s[4:5], s[10:11]
	s_mov_b64 exec, s[10:11]
; %bb.383:                              ;   in Loop: Header=BB198_18 Depth=1
	ds_write_b32 v28, v13
; %bb.384:                              ;   in Loop: Header=BB198_18 Depth=1
	s_or_b64 exec, exec, s[4:5]
	v_and_b32_e32 v2, s90, v30
	v_lshl_or_b32 v30, 1, s72, v2
	v_or_b32_e32 v35, s73, v35
	s_mov_b64 s[40:41], -1
	s_mov_b64 s[42:43], 0
	s_cmp_eq_u64 s[8:9], 0
	s_mov_b64 s[4:5], 0
	s_mov_b64 s[10:11], -1
	s_waitcnt lgkmcnt(0)
	s_barrier
                                        ; implicit-def: $vgpr18
	s_cbranch_scc1 .LBB198_401
; %bb.385:                              ;   in Loop: Header=BB198_18 Depth=1
	v_readlane_b32 s4, v49, 50
	s_add_u32 s46, s8, s4
	v_readlane_b32 s4, v49, 52
	s_addc_u32 s5, s9, s4
	s_mov_b32 s4, s91
	s_cmp_lg_u64 s[4:5], 0
	s_cbranch_scc0 .LBB198_434
; %bb.386:                              ;   in Loop: Header=BB198_18 Depth=1
	v_cvt_f32_u32_e32 v2, s75
	s_sub_u32 s4, 0, s75
	s_subb_u32 s12, 0, 0
	v_mac_f32_e32 v2, 0, v34
	v_rcp_f32_e32 v2, v2
	v_mul_f32_e32 v2, 0x5f7ffffc, v2
	v_mul_f32_e32 v3, 0x2f800000, v2
	v_trunc_f32_e32 v3, v3
	v_mac_f32_e32 v2, 0xcf800000, v3
	v_cvt_u32_f32_e32 v3, v3
	v_cvt_u32_f32_e32 v2, v2
	v_readfirstlane_b32 s13, v3
	v_readfirstlane_b32 s10, v2
	s_mul_i32 s11, s4, s13
	s_mul_hi_u32 s48, s4, s10
	s_mul_i32 s47, s12, s10
	s_add_i32 s11, s48, s11
	s_mul_i32 s49, s4, s10
	s_add_i32 s11, s11, s47
	s_mul_hi_u32 s48, s10, s49
	s_mul_i32 s50, s10, s11
	s_mul_hi_u32 s47, s10, s11
	s_add_u32 s48, s48, s50
	s_addc_u32 s47, 0, s47
	s_mul_hi_u32 s51, s13, s49
	s_mul_i32 s49, s13, s49
	s_add_u32 s48, s48, s49
	s_mul_hi_u32 s50, s13, s11
	s_addc_u32 s47, s47, s51
	s_addc_u32 s48, s50, 0
	s_mul_i32 s11, s13, s11
	s_add_u32 s11, s47, s11
	s_addc_u32 s47, 0, s48
	s_add_u32 s48, s10, s11
	s_cselect_b64 s[10:11], -1, 0
	s_cmp_lg_u64 s[10:11], 0
	s_addc_u32 s13, s13, s47
	s_mul_i32 s10, s4, s13
	s_mul_hi_u32 s11, s4, s48
	s_add_i32 s10, s11, s10
	s_mul_i32 s12, s12, s48
	s_add_i32 s10, s10, s12
	s_mul_i32 s4, s4, s48
	s_mul_hi_u32 s12, s13, s4
	s_mul_i32 s47, s13, s4
	s_mul_i32 s50, s48, s10
	s_mul_hi_u32 s4, s48, s4
	s_mul_hi_u32 s49, s48, s10
	s_add_u32 s4, s4, s50
	s_addc_u32 s49, 0, s49
	s_add_u32 s4, s4, s47
	s_mul_hi_u32 s11, s13, s10
	s_addc_u32 s4, s49, s12
	s_addc_u32 s11, s11, 0
	s_mul_i32 s10, s13, s10
	s_add_u32 s4, s4, s10
	s_addc_u32 s12, 0, s11
	s_add_u32 s4, s48, s4
	s_cselect_b64 s[10:11], -1, 0
	s_cmp_lg_u64 s[10:11], 0
	s_addc_u32 s10, s13, s12
	s_mul_i32 s12, s46, s10
	s_mul_hi_u32 s13, s46, s4
	s_mul_hi_u32 s11, s46, s10
	s_add_u32 s12, s13, s12
	s_addc_u32 s11, 0, s11
	s_mul_hi_u32 s47, s5, s4
	s_mul_i32 s4, s5, s4
	s_add_u32 s4, s12, s4
	s_mul_hi_u32 s13, s5, s10
	s_addc_u32 s4, s11, s47
	s_addc_u32 s11, s13, 0
	s_mul_i32 s10, s5, s10
	s_add_u32 s4, s4, s10
	s_addc_u32 s10, 0, s11
	s_mul_i32 s10, s75, s10
	s_mul_hi_u32 s11, s75, s4
	s_add_i32 s12, s11, s10
	s_mul_i32 s4, s75, s4
	s_sub_u32 s4, s46, s4
	s_cselect_b64 s[10:11], -1, 0
	s_cmp_lg_u64 s[10:11], 0
	s_subb_u32 s12, s5, s12
	s_sub_u32 s13, s4, s75
	s_cselect_b64 s[10:11], -1, 0
	s_cmp_lg_u64 s[10:11], 0
	s_subb_u32 s47, s12, 0
	;; [unrolled: 4-line block ×3, first 2 shown]
	s_cmp_ge_u32 s13, s75
	s_cselect_b32 s11, -1, 0
	s_cmp_eq_u32 s47, 0
	s_cselect_b32 s11, s11, -1
	s_cmp_lg_u32 s11, 0
	s_cselect_b32 s10, s10, s47
	s_cselect_b32 s13, s48, s13
	s_cmp_ge_u32 s4, s75
	s_cselect_b32 s11, -1, 0
	s_cmp_eq_u32 s12, 0
	s_cselect_b32 s11, s11, -1
	s_cmp_lg_u32 s11, 0
	s_cselect_b32 s11, s10, s12
	s_cselect_b32 s10, s13, s4
	s_cbranch_execnz .LBB198_388
.LBB198_387:                            ;   in Loop: Header=BB198_18 Depth=1
	v_cvt_f32_u32_e32 v2, s75
	s_sub_i32 s4, 0, s75
	s_mov_b32 s12, s90
	v_rcp_iflag_f32_e32 v2, v2
	v_mul_f32_e32 v2, 0x4f7ffffe, v2
	v_cvt_u32_f32_e32 v2, v2
	v_readfirstlane_b32 s10, v2
	s_mul_i32 s4, s4, s10
	s_mul_hi_u32 s4, s10, s4
	s_add_i32 s10, s10, s4
	s_mul_hi_u32 s4, s46, s10
	s_mul_i32 s4, s4, s75
	s_sub_i32 s4, s46, s4
	s_sub_i32 s10, s4, s75
	s_cmp_ge_u32 s4, s75
	s_cselect_b32 s4, s10, s4
	s_sub_i32 s10, s4, s75
	s_cmp_ge_u32 s4, s75
	s_cselect_b32 s90, s10, s4
	s_mov_b64 s[10:11], s[90:91]
	s_mov_b32 s90, s12
.LBB198_388:                            ;   in Loop: Header=BB198_18 Depth=1
	s_sub_u32 s46, s46, s10
	s_subb_u32 s47, s5, s11
	v_cmp_gt_u64_e32 vcc, s[46:47], v[0:1]
	s_mov_b64 s[10:11], 0
	s_mov_b64 s[4:5], 0
                                        ; implicit-def: $vgpr18
	s_and_saveexec_b64 s[12:13], vcc
	s_cbranch_execz .LBB198_400
; %bb.389:                              ;   in Loop: Header=BB198_18 Depth=1
	v_mov_b32_e32 v3, v1
	v_mov_b32_e32 v6, v14
	;; [unrolled: 1-line block ×3, first 2 shown]
                                        ; implicit-def: $sgpr48_sgpr49
	s_branch .LBB198_393
.LBB198_390:                            ;   in Loop: Header=BB198_393 Depth=2
	s_or_b64 exec, exec, s[50:51]
	s_waitcnt lgkmcnt(0)
	s_barrier
	ds_read_b64 v[17:18], v13 offset:3072
	s_waitcnt lgkmcnt(0)
	s_barrier
	v_cmp_neq_f32_e32 vcc, 0, v17
	s_cbranch_vccnz .LBB198_396
; %bb.391:                              ;   in Loop: Header=BB198_393 Depth=2
	v_add_co_u32_e32 v2, vcc, s75, v2
	v_addc_co_u32_e32 v3, vcc, 0, v3, vcc
	v_cmp_le_u64_e32 vcc, s[46:47], v[2:3]
	v_add_u32_e32 v6, s1, v6
	s_mov_b64 s[50:51], 0
	s_orn2_b64 s[52:53], vcc, exec
.LBB198_392:                            ;   in Loop: Header=BB198_393 Depth=2
	s_and_b64 s[52:53], exec, s[52:53]
	s_or_b64 s[4:5], s[52:53], s[4:5]
	s_andn2_b64 s[48:49], s[48:49], exec
	s_and_b64 s[50:51], s[50:51], exec
	s_or_b64 s[48:49], s[48:49], s[50:51]
	s_andn2_b64 exec, exec, s[4:5]
	s_cbranch_execz .LBB198_399
.LBB198_393:                            ;   Parent Loop BB198_18 Depth=1
                                        ; =>  This Inner Loop Header: Depth=2
	v_cmp_gt_u64_e32 vcc, s[8:9], v[2:3]
	s_and_saveexec_b64 s[50:51], vcc
	s_cbranch_execz .LBB198_390
; %bb.394:                              ;   in Loop: Header=BB198_393 Depth=2
	ds_read_b32 v17, v6
	s_waitcnt lgkmcnt(0)
	v_cmp_lt_i32_e32 vcc, -1, v17
	v_cndmask_b32_e32 v7, -1, v33, vcc
	v_xor_b32_e32 v7, v7, v17
	v_cmp_o_f32_e32 vcc, v17, v17
	v_cndmask_b32_e32 v7, -1, v7, vcc
	v_and_b32_e32 v7, v7, v35
	v_cmp_eq_u32_e32 vcc, v7, v30
	s_and_b64 exec, exec, vcc
	s_cbranch_execz .LBB198_390
; %bb.395:                              ;   in Loop: Header=BB198_393 Depth=2
	ds_write_b64 v13, v[16:17] offset:3072
	s_branch .LBB198_390
.LBB198_396:                            ;   in Loop: Header=BB198_393 Depth=2
	s_mov_b64 s[52:53], -1
                                        ; implicit-def: $vgpr2_vgpr3
                                        ; implicit-def: $vgpr6
	s_mov_b64 s[50:51], -1
	s_branch .LBB198_392
.LBB198_397:                            ;   in Loop: Header=BB198_18 Depth=1
                                        ; implicit-def: $sgpr10_sgpr11
	s_branch .LBB198_340
.LBB198_398:                            ;   in Loop: Header=BB198_18 Depth=1
                                        ; implicit-def: $sgpr8_sgpr9
	s_branch .LBB198_357
.LBB198_399:                            ;   in Loop: Header=BB198_18 Depth=1
	s_or_b64 exec, exec, s[4:5]
	s_and_b64 s[4:5], s[48:49], exec
.LBB198_400:                            ;   in Loop: Header=BB198_18 Depth=1
	s_or_b64 exec, exec, s[12:13]
.LBB198_401:                            ;   in Loop: Header=BB198_18 Depth=1
	s_and_b64 vcc, exec, s[10:11]
	s_cbranch_vccz .LBB198_416
; %bb.402:                              ;   in Loop: Header=BB198_18 Depth=1
	v_readlane_b32 s46, v49, 53
	v_readlane_b32 s47, v49, 54
	s_mov_b32 s46, s91
	s_cmp_lg_u64 s[46:47], 0
	v_writelane_b32 v49, s46, 53
	v_writelane_b32 v49, s47, 54
	s_cbranch_scc0 .LBB198_435
; %bb.403:                              ;   in Loop: Header=BB198_18 Depth=1
	v_cvt_f32_u32_e32 v2, s75
	s_sub_u32 s10, 0, s75
	s_subb_u32 s11, 0, 0
	v_mac_f32_e32 v2, 0, v34
	v_rcp_f32_e32 v2, v2
	v_mul_f32_e32 v2, 0x5f7ffffc, v2
	v_mul_f32_e32 v3, 0x2f800000, v2
	v_trunc_f32_e32 v3, v3
	v_mac_f32_e32 v2, 0xcf800000, v3
	v_cvt_u32_f32_e32 v3, v3
	v_cvt_u32_f32_e32 v2, v2
	v_readfirstlane_b32 s12, v3
	v_readfirstlane_b32 s8, v2
	s_mul_i32 s9, s10, s12
	s_mul_hi_u32 s40, s10, s8
	s_mul_i32 s13, s11, s8
	s_add_i32 s9, s40, s9
	s_mul_i32 s41, s10, s8
	s_add_i32 s9, s9, s13
	s_mul_hi_u32 s40, s8, s41
	s_mul_i32 s42, s8, s9
	s_mul_hi_u32 s13, s8, s9
	s_add_u32 s40, s40, s42
	s_addc_u32 s13, 0, s13
	s_mul_hi_u32 s43, s12, s41
	s_mul_i32 s41, s12, s41
	s_add_u32 s40, s40, s41
	s_mul_hi_u32 s42, s12, s9
	s_addc_u32 s13, s13, s43
	s_addc_u32 s40, s42, 0
	s_mul_i32 s9, s12, s9
	s_add_u32 s9, s13, s9
	s_addc_u32 s13, 0, s40
	s_add_u32 s40, s8, s9
	s_cselect_b64 s[8:9], -1, 0
	s_cmp_lg_u64 s[8:9], 0
	s_addc_u32 s12, s12, s13
	s_mul_i32 s8, s10, s12
	s_mul_hi_u32 s9, s10, s40
	s_add_i32 s8, s9, s8
	s_mul_i32 s11, s11, s40
	s_add_i32 s8, s8, s11
	s_mul_i32 s10, s10, s40
	s_mul_hi_u32 s11, s12, s10
	s_mul_i32 s13, s12, s10
	s_mul_i32 s42, s40, s8
	s_mul_hi_u32 s10, s40, s10
	s_mul_hi_u32 s41, s40, s8
	s_add_u32 s10, s10, s42
	s_addc_u32 s41, 0, s41
	s_add_u32 s10, s10, s13
	s_mul_hi_u32 s9, s12, s8
	s_addc_u32 s10, s41, s11
	s_addc_u32 s9, s9, 0
	s_mul_i32 s8, s12, s8
	s_add_u32 s8, s10, s8
	s_addc_u32 s10, 0, s9
	s_add_u32 s11, s40, s8
	s_cselect_b64 s[8:9], -1, 0
	s_cmp_lg_u64 s[8:9], 0
	s_addc_u32 s8, s12, s10
	v_readlane_b32 s40, v49, 51
	s_mul_i32 s10, s40, s8
	s_mul_hi_u32 s12, s40, s11
	s_mul_hi_u32 s9, s40, s8
	s_add_u32 s10, s12, s10
	s_addc_u32 s9, 0, s9
	s_mul_hi_u32 s13, s47, s11
	s_mul_i32 s11, s47, s11
	s_add_u32 s10, s10, s11
	s_mul_hi_u32 s12, s47, s8
	s_addc_u32 s9, s9, s13
	s_addc_u32 s10, s12, 0
	s_mul_i32 s8, s47, s8
	s_add_u32 s8, s9, s8
	s_addc_u32 s9, 0, s10
	s_mul_i32 s9, s75, s9
	s_mul_hi_u32 s10, s75, s8
	s_add_i32 s10, s10, s9
	s_mul_i32 s8, s75, s8
	s_sub_u32 s11, s40, s8
	s_cselect_b64 s[8:9], -1, 0
	s_cmp_lg_u64 s[8:9], 0
	s_subb_u32 s10, s47, s10
	s_sub_u32 s12, s11, s75
	s_cselect_b64 s[8:9], -1, 0
	s_cmp_lg_u64 s[8:9], 0
	s_subb_u32 s13, s10, 0
	;; [unrolled: 4-line block ×3, first 2 shown]
	s_cmp_ge_u32 s12, s75
	s_cselect_b32 s9, -1, 0
	s_cmp_eq_u32 s13, 0
	s_cselect_b32 s9, s9, -1
	s_cmp_lg_u32 s9, 0
	s_cselect_b32 s8, s8, s13
	s_cselect_b32 s12, s40, s12
	s_cmp_ge_u32 s11, s75
	s_cselect_b32 s9, -1, 0
	s_cmp_eq_u32 s10, 0
	s_cselect_b32 s9, s9, -1
	s_cmp_lg_u32 s9, 0
	s_cselect_b32 s9, s8, s10
	s_cselect_b32 s8, s12, s11
	s_cbranch_execnz .LBB198_405
.LBB198_404:                            ;   in Loop: Header=BB198_18 Depth=1
	v_cvt_f32_u32_e32 v2, s75
	s_sub_i32 s8, 0, s75
	v_readlane_b32 s10, v49, 51
	v_rcp_iflag_f32_e32 v2, v2
	v_mul_f32_e32 v2, 0x4f7ffffe, v2
	v_cvt_u32_f32_e32 v2, v2
	v_readfirstlane_b32 s9, v2
	s_mul_i32 s8, s8, s9
	s_mul_hi_u32 s8, s9, s8
	s_add_i32 s9, s9, s8
	s_mul_hi_u32 s8, s10, s9
	s_mul_i32 s8, s8, s75
	s_sub_i32 s8, s10, s8
	s_sub_i32 s9, s8, s75
	s_cmp_ge_u32 s8, s75
	s_cselect_b32 s8, s9, s8
	s_sub_i32 s9, s8, s75
	s_cmp_ge_u32 s8, s75
	s_mov_b32 s10, s90
	s_cselect_b32 s90, s9, s8
	s_mov_b64 s[8:9], s[90:91]
	s_mov_b32 s90, s10
.LBB198_405:                            ;   in Loop: Header=BB198_18 Depth=1
	v_readlane_b32 s10, v49, 51
	v_readlane_b32 s12, v49, 53
	s_sub_u32 s10, s10, s8
	v_readlane_b32 s13, v49, 54
	s_subb_u32 s11, s13, s9
	v_cmp_gt_u64_e32 vcc, s[10:11], v[0:1]
                                        ; implicit-def: $vgpr18
	s_and_saveexec_b64 s[8:9], vcc
	s_cbranch_execz .LBB198_415
; %bb.406:                              ;   in Loop: Header=BB198_18 Depth=1
	v_mov_b32_e32 v3, v1
	s_mov_b64 s[12:13], 0
	v_mov_b32_e32 v2, v0
                                        ; implicit-def: $sgpr40_sgpr41
	s_branch .LBB198_410
.LBB198_407:                            ;   in Loop: Header=BB198_410 Depth=2
	s_or_b64 exec, exec, s[42:43]
	s_waitcnt lgkmcnt(0)
	s_barrier
	ds_read_b64 v[17:18], v13 offset:3072
	s_waitcnt lgkmcnt(0)
	s_barrier
	v_cmp_eq_f32_e32 vcc, 0, v17
	s_cbranch_vccz .LBB198_413
; %bb.408:                              ;   in Loop: Header=BB198_410 Depth=2
	v_add_co_u32_e32 v2, vcc, s75, v2
	v_addc_co_u32_e32 v3, vcc, 0, v3, vcc
	v_cmp_le_u64_e32 vcc, s[10:11], v[2:3]
	s_mov_b64 s[42:43], 0
	s_orn2_b64 s[46:47], vcc, exec
.LBB198_409:                            ;   in Loop: Header=BB198_410 Depth=2
	s_and_b64 s[46:47], exec, s[46:47]
	s_or_b64 s[12:13], s[46:47], s[12:13]
	s_andn2_b64 s[40:41], s[40:41], exec
	s_and_b64 s[42:43], s[42:43], exec
	s_or_b64 s[40:41], s[40:41], s[42:43]
	s_andn2_b64 exec, exec, s[12:13]
	s_cbranch_execz .LBB198_414
.LBB198_410:                            ;   Parent Loop BB198_18 Depth=1
                                        ; =>  This Inner Loop Header: Depth=2
	v_cmp_gt_u64_e32 vcc, s[60:61], v[2:3]
	s_and_saveexec_b64 s[42:43], vcc
	s_cbranch_execz .LBB198_407
; %bb.411:                              ;   in Loop: Header=BB198_410 Depth=2
	v_mul_lo_u32 v9, v3, s58
	v_mul_lo_u32 v12, v2, s59
	v_mad_u64_u32 v[6:7], s[46:47], v2, s58, 0
	v_add3_u32 v7, v7, v12, v9
	v_lshlrev_b64 v[6:7], 2, v[6:7]
	v_mov_b32_e32 v9, s74
	v_add_co_u32_e32 v6, vcc, s33, v6
	v_addc_co_u32_e32 v7, vcc, v9, v7, vcc
	global_load_dword v17, v[6:7], off
	s_waitcnt vmcnt(0)
	v_cmp_lt_i32_e32 vcc, -1, v17
	v_cndmask_b32_e32 v6, -1, v33, vcc
	v_xor_b32_e32 v6, v6, v17
	v_cmp_o_f32_e32 vcc, v17, v17
	v_cndmask_b32_e32 v6, -1, v6, vcc
	v_and_b32_e32 v6, v6, v35
	v_cmp_eq_u32_e32 vcc, v6, v30
	s_and_b64 exec, exec, vcc
	s_cbranch_execz .LBB198_407
; %bb.412:                              ;   in Loop: Header=BB198_410 Depth=2
	ds_write_b64 v13, v[16:17] offset:3072
	s_branch .LBB198_407
.LBB198_413:                            ;   in Loop: Header=BB198_410 Depth=2
	s_mov_b64 s[46:47], -1
                                        ; implicit-def: $vgpr2_vgpr3
	s_mov_b64 s[42:43], -1
	s_branch .LBB198_409
.LBB198_414:                            ;   in Loop: Header=BB198_18 Depth=1
	s_or_b64 exec, exec, s[12:13]
	s_andn2_b64 s[4:5], s[4:5], exec
	s_and_b64 s[10:11], s[40:41], exec
	s_or_b64 s[4:5], s[4:5], s[10:11]
.LBB198_415:                            ;   in Loop: Header=BB198_18 Depth=1
	s_or_b64 exec, exec, s[8:9]
	s_mov_b64 s[40:41], 0
	s_mov_b64 s[42:43], -1
.LBB198_416:                            ;   in Loop: Header=BB198_18 Depth=1
	s_orn2_b64 s[4:5], s[4:5], exec
.LBB198_417:                            ;   in Loop: Header=BB198_18 Depth=1
	s_or_b64 exec, exec, s[30:31]
	s_mov_b64 s[8:9], 0
	s_and_saveexec_b64 s[30:31], s[4:5]
	s_cbranch_execz .LBB198_481
; %bb.418:                              ;   in Loop: Header=BB198_18 Depth=1
	v_mov_b32_e32 v2, 1
	s_xor_b64 s[10:11], s[44:45], -1
	v_mov_b32_e32 v8, 1
	v_mov_b32_e32 v3, 0
	s_and_saveexec_b64 s[4:5], s[10:11]
	s_cbranch_execz .LBB198_427
; %bb.419:                              ;   in Loop: Header=BB198_18 Depth=1
	v_cmp_ge_u64_e32 vcc, s[20:21], v[4:5]
	s_and_saveexec_b64 s[8:9], vcc
	s_xor_b64 s[8:9], exec, s[8:9]
	s_cbranch_execz .LBB198_424
; %bb.420:                              ;   in Loop: Header=BB198_18 Depth=1
	ds_read_b64 v[2:3], v13 offset:5120
	v_and_b32_e32 v6, s90, v30
	v_lshl_or_b32 v30, 1, s72, v6
	v_or_b32_e32 v35, s73, v35
	s_waitcnt lgkmcnt(0)
	v_cmp_ne_u64_e32 vcc, 0, v[2:3]
	s_cbranch_vccnz .LBB198_424
; %bb.421:                              ;   in Loop: Header=BB198_18 Depth=1
	s_mov_b64 s[10:11], exec
	v_readlane_b32 s12, v49, 32
	v_readlane_b32 s13, v49, 33
	s_and_b64 s[12:13], s[10:11], s[12:13]
	s_mov_b64 exec, s[12:13]
; %bb.422:                              ;   in Loop: Header=BB198_18 Depth=1
	v_mov_b32_e32 v2, s20
	v_mov_b32_e32 v3, s21
	ds_write_b64 v13, v[2:3] offset:5128
; %bb.423:                              ;   in Loop: Header=BB198_18 Depth=1
	s_or_b64 exec, exec, s[10:11]
	s_waitcnt lgkmcnt(0)
	s_barrier
.LBB198_424:                            ;   in Loop: Header=BB198_18 Depth=1
	s_or_saveexec_b64 s[8:9], s[8:9]
	s_mov_b64 s[10:11], 0
	v_mov_b32_e32 v8, 5
	s_xor_b64 exec, exec, s[8:9]
; %bb.425:                              ;   in Loop: Header=BB198_18 Depth=1
	v_mov_b32_e32 v2, s21
	v_subrev_co_u32_e32 v4, vcc, s20, v4
	s_mov_b64 s[10:11], exec
	v_subb_co_u32_e32 v5, vcc, v5, v2, vcc
	v_mov_b32_e32 v8, 0
; %bb.426:                              ;   in Loop: Header=BB198_18 Depth=1
	s_or_b64 exec, exec, s[8:9]
	v_mov_b32_e32 v2, v4
	s_and_b64 s[8:9], s[10:11], exec
	v_mov_b32_e32 v3, v5
.LBB198_427:                            ;   in Loop: Header=BB198_18 Depth=1
	s_or_b64 exec, exec, s[4:5]
	s_mov_b64 s[4:5], -1
                                        ; implicit-def: $sgpr50_sgpr51
                                        ; implicit-def: $sgpr48_sgpr49
	s_and_saveexec_b64 s[20:21], s[8:9]
	s_cbranch_execz .LBB198_480
; %bb.428:                              ;   in Loop: Header=BB198_18 Depth=1
	s_cmp_eq_u64 s[16:17], 1
	v_cmp_eq_u64_e32 vcc, 1, v[2:3]
	s_cselect_b64 s[4:5], -1, 0
	s_and_b64 s[44:45], s[4:5], vcc
	s_mov_b64 s[8:9], -1
                                        ; implicit-def: $sgpr50_sgpr51
                                        ; implicit-def: $sgpr48_sgpr49
	s_and_saveexec_b64 s[46:47], s[44:45]
	s_cbranch_execz .LBB198_468
; %bb.429:                              ;   in Loop: Header=BB198_18 Depth=1
	ds_read_b64 v[4:5], v13 offset:5120
	s_waitcnt lgkmcnt(0)
	s_barrier
	v_readfirstlane_b32 s8, v4
	v_readfirstlane_b32 s9, v5
	s_mov_b64 s[4:5], exec
	v_readlane_b32 s10, v49, 46
	v_readlane_b32 s11, v49, 47
	s_and_b64 s[10:11], s[4:5], s[10:11]
	s_mov_b64 exec, s[10:11]
; %bb.430:                              ;   in Loop: Header=BB198_18 Depth=1
	ds_write_b32 v28, v13
; %bb.431:                              ;   in Loop: Header=BB198_18 Depth=1
	s_or_b64 exec, exec, s[4:5]
	v_and_b32_e32 v30, s90, v30
	v_or_b32_e32 v35, s73, v35
	s_mov_b64 s[48:49], -1
	s_mov_b64 s[50:51], 0
	s_cmp_eq_u64 s[8:9], 0
	s_mov_b64 s[4:5], 0
	s_mov_b64 s[10:11], -1
	s_waitcnt lgkmcnt(0)
	s_barrier
                                        ; implicit-def: $vgpr18
	s_cbranch_scc1 .LBB198_450
; %bb.432:                              ;   in Loop: Header=BB198_18 Depth=1
	v_readlane_b32 s4, v49, 50
	s_add_u32 s52, s8, s4
	v_readlane_b32 s4, v49, 52
	s_addc_u32 s5, s9, s4
	s_mov_b32 s4, s91
	s_cmp_lg_u64 s[4:5], 0
	s_cbranch_scc0 .LBB198_436
; %bb.433:                              ;   in Loop: Header=BB198_18 Depth=1
	v_cvt_f32_u32_e32 v4, s75
	s_sub_u32 s4, 0, s75
	s_subb_u32 s12, 0, 0
	v_mac_f32_e32 v4, 0, v34
	v_rcp_f32_e32 v4, v4
	v_mul_f32_e32 v4, 0x5f7ffffc, v4
	v_mul_f32_e32 v5, 0x2f800000, v4
	v_trunc_f32_e32 v5, v5
	v_mac_f32_e32 v4, 0xcf800000, v5
	v_cvt_u32_f32_e32 v5, v5
	v_cvt_u32_f32_e32 v4, v4
	v_readfirstlane_b32 s13, v5
	v_readfirstlane_b32 s10, v4
	s_mul_i32 s11, s4, s13
	s_mul_hi_u32 s54, s4, s10
	s_mul_i32 s53, s12, s10
	s_add_i32 s11, s54, s11
	s_mul_i32 s55, s4, s10
	s_add_i32 s11, s11, s53
	s_mul_hi_u32 s54, s10, s55
	s_mul_i32 s80, s10, s11
	s_mul_hi_u32 s53, s10, s11
	s_add_u32 s54, s54, s80
	s_addc_u32 s53, 0, s53
	s_mul_hi_u32 s81, s13, s55
	s_mul_i32 s55, s13, s55
	s_add_u32 s54, s54, s55
	s_mul_hi_u32 s80, s13, s11
	s_addc_u32 s53, s53, s81
	s_addc_u32 s54, s80, 0
	s_mul_i32 s11, s13, s11
	s_add_u32 s11, s53, s11
	s_addc_u32 s53, 0, s54
	s_add_u32 s54, s10, s11
	s_cselect_b64 s[10:11], -1, 0
	s_cmp_lg_u64 s[10:11], 0
	s_addc_u32 s13, s13, s53
	s_mul_i32 s10, s4, s13
	s_mul_hi_u32 s11, s4, s54
	s_add_i32 s10, s11, s10
	s_mul_i32 s12, s12, s54
	s_add_i32 s10, s10, s12
	s_mul_i32 s4, s4, s54
	s_mul_hi_u32 s12, s13, s4
	s_mul_i32 s53, s13, s4
	s_mul_i32 s80, s54, s10
	s_mul_hi_u32 s4, s54, s4
	s_mul_hi_u32 s55, s54, s10
	s_add_u32 s4, s4, s80
	s_addc_u32 s55, 0, s55
	s_add_u32 s4, s4, s53
	s_mul_hi_u32 s11, s13, s10
	s_addc_u32 s4, s55, s12
	s_addc_u32 s11, s11, 0
	s_mul_i32 s10, s13, s10
	s_add_u32 s4, s4, s10
	s_addc_u32 s12, 0, s11
	s_add_u32 s4, s54, s4
	s_cselect_b64 s[10:11], -1, 0
	s_cmp_lg_u64 s[10:11], 0
	s_addc_u32 s10, s13, s12
	s_mul_i32 s12, s52, s10
	s_mul_hi_u32 s13, s52, s4
	s_mul_hi_u32 s11, s52, s10
	s_add_u32 s12, s13, s12
	s_addc_u32 s11, 0, s11
	s_mul_hi_u32 s53, s5, s4
	s_mul_i32 s4, s5, s4
	s_add_u32 s4, s12, s4
	s_mul_hi_u32 s13, s5, s10
	s_addc_u32 s4, s11, s53
	s_addc_u32 s11, s13, 0
	s_mul_i32 s10, s5, s10
	s_add_u32 s4, s4, s10
	s_addc_u32 s10, 0, s11
	s_mul_i32 s10, s75, s10
	s_mul_hi_u32 s11, s75, s4
	s_add_i32 s12, s11, s10
	s_mul_i32 s4, s75, s4
	s_sub_u32 s4, s52, s4
	s_cselect_b64 s[10:11], -1, 0
	s_cmp_lg_u64 s[10:11], 0
	s_subb_u32 s12, s5, s12
	s_sub_u32 s13, s4, s75
	s_cselect_b64 s[10:11], -1, 0
	s_cmp_lg_u64 s[10:11], 0
	s_subb_u32 s53, s12, 0
	;; [unrolled: 4-line block ×3, first 2 shown]
	s_cmp_ge_u32 s13, s75
	s_cselect_b32 s11, -1, 0
	s_cmp_eq_u32 s53, 0
	s_cselect_b32 s11, s11, -1
	s_cmp_lg_u32 s11, 0
	s_cselect_b32 s10, s10, s53
	s_cselect_b32 s13, s54, s13
	s_cmp_ge_u32 s4, s75
	s_cselect_b32 s11, -1, 0
	s_cmp_eq_u32 s12, 0
	s_cselect_b32 s11, s11, -1
	s_cmp_lg_u32 s11, 0
	s_cselect_b32 s11, s10, s12
	s_cselect_b32 s10, s13, s4
	s_mov_b64 s[12:13], 0
	s_branch .LBB198_437
.LBB198_434:                            ;   in Loop: Header=BB198_18 Depth=1
                                        ; implicit-def: $sgpr10_sgpr11
	s_branch .LBB198_387
.LBB198_435:                            ;   in Loop: Header=BB198_18 Depth=1
                                        ; implicit-def: $sgpr8_sgpr9
	s_branch .LBB198_404
.LBB198_436:                            ;   in Loop: Header=BB198_18 Depth=1
	s_mov_b64 s[12:13], -1
                                        ; implicit-def: $sgpr10_sgpr11
.LBB198_437:                            ;   in Loop: Header=BB198_18 Depth=1
	s_andn2_b64 vcc, exec, s[12:13]
	s_cbranch_vccnz .LBB198_439
; %bb.438:                              ;   in Loop: Header=BB198_18 Depth=1
	v_cvt_f32_u32_e32 v4, s75
	s_sub_i32 s4, 0, s75
	s_mov_b32 s12, s90
	v_rcp_iflag_f32_e32 v4, v4
	v_mul_f32_e32 v4, 0x4f7ffffe, v4
	v_cvt_u32_f32_e32 v4, v4
	v_readfirstlane_b32 s10, v4
	s_mul_i32 s4, s4, s10
	s_mul_hi_u32 s4, s10, s4
	s_add_i32 s10, s10, s4
	s_mul_hi_u32 s4, s52, s10
	s_mul_i32 s4, s4, s75
	s_sub_i32 s4, s52, s4
	s_sub_i32 s10, s4, s75
	s_cmp_ge_u32 s4, s75
	s_cselect_b32 s4, s10, s4
	s_sub_i32 s10, s4, s75
	s_cmp_ge_u32 s4, s75
	s_cselect_b32 s90, s10, s4
	s_mov_b64 s[10:11], s[90:91]
	s_mov_b32 s90, s12
.LBB198_439:                            ;   in Loop: Header=BB198_18 Depth=1
	s_sub_u32 s52, s52, s10
	s_subb_u32 s53, s5, s11
	v_cmp_gt_u64_e32 vcc, s[52:53], v[0:1]
	s_mov_b64 s[10:11], 0
	s_mov_b64 s[4:5], 0
                                        ; implicit-def: $vgpr18
	s_and_saveexec_b64 s[12:13], vcc
	s_cbranch_execz .LBB198_449
; %bb.440:                              ;   in Loop: Header=BB198_18 Depth=1
	v_mov_b32_e32 v5, v1
	v_mov_b32_e32 v6, v14
	;; [unrolled: 1-line block ×3, first 2 shown]
                                        ; implicit-def: $sgpr54_sgpr55
	s_branch .LBB198_444
.LBB198_441:                            ;   in Loop: Header=BB198_444 Depth=2
	s_or_b64 exec, exec, s[80:81]
	s_waitcnt lgkmcnt(0)
	s_barrier
	ds_read_b64 v[17:18], v13 offset:3072
	s_waitcnt lgkmcnt(0)
	s_barrier
	v_cmp_neq_f32_e32 vcc, 0, v17
	s_cbranch_vccnz .LBB198_447
; %bb.442:                              ;   in Loop: Header=BB198_444 Depth=2
	v_add_co_u32_e32 v4, vcc, s75, v4
	v_addc_co_u32_e32 v5, vcc, 0, v5, vcc
	v_cmp_le_u64_e32 vcc, s[52:53], v[4:5]
	v_add_u32_e32 v6, s1, v6
	s_mov_b64 s[80:81], 0
	s_orn2_b64 s[88:89], vcc, exec
.LBB198_443:                            ;   in Loop: Header=BB198_444 Depth=2
	s_and_b64 s[88:89], exec, s[88:89]
	s_or_b64 s[4:5], s[88:89], s[4:5]
	s_andn2_b64 s[54:55], s[54:55], exec
	s_and_b64 s[80:81], s[80:81], exec
	s_or_b64 s[54:55], s[54:55], s[80:81]
	s_andn2_b64 exec, exec, s[4:5]
	s_cbranch_execz .LBB198_448
.LBB198_444:                            ;   Parent Loop BB198_18 Depth=1
                                        ; =>  This Inner Loop Header: Depth=2
	v_cmp_gt_u64_e32 vcc, s[8:9], v[4:5]
	s_and_saveexec_b64 s[80:81], vcc
	s_cbranch_execz .LBB198_441
; %bb.445:                              ;   in Loop: Header=BB198_444 Depth=2
	ds_read_b32 v17, v6
	s_waitcnt lgkmcnt(0)
	v_cmp_lt_i32_e32 vcc, -1, v17
	v_cndmask_b32_e32 v7, -1, v33, vcc
	v_xor_b32_e32 v7, v7, v17
	v_cmp_o_f32_e32 vcc, v17, v17
	v_cndmask_b32_e32 v7, -1, v7, vcc
	v_and_b32_e32 v7, v7, v35
	v_cmp_eq_u32_e32 vcc, v7, v30
	s_and_b64 exec, exec, vcc
	s_cbranch_execz .LBB198_441
; %bb.446:                              ;   in Loop: Header=BB198_444 Depth=2
	ds_write_b64 v13, v[16:17] offset:3072
	s_branch .LBB198_441
.LBB198_447:                            ;   in Loop: Header=BB198_444 Depth=2
	s_mov_b64 s[88:89], -1
                                        ; implicit-def: $vgpr4_vgpr5
                                        ; implicit-def: $vgpr6
	s_mov_b64 s[80:81], -1
	s_branch .LBB198_443
.LBB198_448:                            ;   in Loop: Header=BB198_18 Depth=1
	s_or_b64 exec, exec, s[4:5]
	s_and_b64 s[4:5], s[54:55], exec
.LBB198_449:                            ;   in Loop: Header=BB198_18 Depth=1
	s_or_b64 exec, exec, s[12:13]
.LBB198_450:                            ;   in Loop: Header=BB198_18 Depth=1
	s_and_b64 vcc, exec, s[10:11]
	s_cbranch_vccz .LBB198_467
; %bb.451:                              ;   in Loop: Header=BB198_18 Depth=1
	v_readlane_b32 s52, v49, 53
	v_readlane_b32 s53, v49, 54
	s_mov_b32 s52, s91
	s_cmp_lg_u64 s[52:53], 0
	v_writelane_b32 v49, s52, 53
	v_writelane_b32 v49, s53, 54
	s_cbranch_scc0 .LBB198_453
; %bb.452:                              ;   in Loop: Header=BB198_18 Depth=1
	v_cvt_f32_u32_e32 v4, s75
	s_sub_u32 s10, 0, s75
	s_subb_u32 s11, 0, 0
	v_mac_f32_e32 v4, 0, v34
	v_rcp_f32_e32 v4, v4
	v_mul_f32_e32 v4, 0x5f7ffffc, v4
	v_mul_f32_e32 v5, 0x2f800000, v4
	v_trunc_f32_e32 v5, v5
	v_mac_f32_e32 v4, 0xcf800000, v5
	v_cvt_u32_f32_e32 v5, v5
	v_cvt_u32_f32_e32 v4, v4
	v_readfirstlane_b32 s12, v5
	v_readfirstlane_b32 s8, v4
	s_mul_i32 s9, s10, s12
	s_mul_hi_u32 s48, s10, s8
	s_mul_i32 s13, s11, s8
	s_add_i32 s9, s48, s9
	s_mul_i32 s49, s10, s8
	s_add_i32 s9, s9, s13
	s_mul_hi_u32 s48, s8, s49
	s_mul_i32 s50, s8, s9
	s_mul_hi_u32 s13, s8, s9
	s_add_u32 s48, s48, s50
	s_addc_u32 s13, 0, s13
	s_mul_hi_u32 s51, s12, s49
	s_mul_i32 s49, s12, s49
	s_add_u32 s48, s48, s49
	s_mul_hi_u32 s50, s12, s9
	s_addc_u32 s13, s13, s51
	s_addc_u32 s48, s50, 0
	s_mul_i32 s9, s12, s9
	s_add_u32 s9, s13, s9
	s_addc_u32 s13, 0, s48
	s_add_u32 s48, s8, s9
	s_cselect_b64 s[8:9], -1, 0
	s_cmp_lg_u64 s[8:9], 0
	s_addc_u32 s12, s12, s13
	s_mul_i32 s8, s10, s12
	s_mul_hi_u32 s9, s10, s48
	s_add_i32 s8, s9, s8
	s_mul_i32 s11, s11, s48
	s_add_i32 s8, s8, s11
	s_mul_i32 s10, s10, s48
	s_mul_hi_u32 s11, s12, s10
	s_mul_i32 s13, s12, s10
	s_mul_i32 s50, s48, s8
	s_mul_hi_u32 s10, s48, s10
	s_mul_hi_u32 s49, s48, s8
	s_add_u32 s10, s10, s50
	s_addc_u32 s49, 0, s49
	s_add_u32 s10, s10, s13
	s_mul_hi_u32 s9, s12, s8
	s_addc_u32 s10, s49, s11
	s_addc_u32 s9, s9, 0
	s_mul_i32 s8, s12, s8
	s_add_u32 s8, s10, s8
	s_addc_u32 s10, 0, s9
	s_add_u32 s11, s48, s8
	s_cselect_b64 s[8:9], -1, 0
	s_cmp_lg_u64 s[8:9], 0
	s_addc_u32 s8, s12, s10
	v_readlane_b32 s48, v49, 51
	s_mul_i32 s10, s48, s8
	s_mul_hi_u32 s12, s48, s11
	s_mul_hi_u32 s9, s48, s8
	s_add_u32 s10, s12, s10
	s_addc_u32 s9, 0, s9
	s_mul_hi_u32 s13, s53, s11
	s_mul_i32 s11, s53, s11
	s_add_u32 s10, s10, s11
	s_mul_hi_u32 s12, s53, s8
	s_addc_u32 s9, s9, s13
	s_addc_u32 s10, s12, 0
	s_mul_i32 s8, s53, s8
	s_add_u32 s8, s9, s8
	s_addc_u32 s9, 0, s10
	s_mul_i32 s9, s75, s9
	s_mul_hi_u32 s10, s75, s8
	s_add_i32 s10, s10, s9
	s_mul_i32 s8, s75, s8
	s_sub_u32 s11, s48, s8
	s_cselect_b64 s[8:9], -1, 0
	s_cmp_lg_u64 s[8:9], 0
	s_subb_u32 s10, s53, s10
	s_sub_u32 s12, s11, s75
	s_cselect_b64 s[8:9], -1, 0
	s_cmp_lg_u64 s[8:9], 0
	s_subb_u32 s13, s10, 0
	;; [unrolled: 4-line block ×3, first 2 shown]
	s_cmp_ge_u32 s12, s75
	s_cselect_b32 s9, -1, 0
	s_cmp_eq_u32 s13, 0
	s_cselect_b32 s9, s9, -1
	s_cmp_lg_u32 s9, 0
	s_cselect_b32 s8, s8, s13
	s_cselect_b32 s12, s48, s12
	s_cmp_ge_u32 s11, s75
	s_cselect_b32 s9, -1, 0
	s_cmp_eq_u32 s10, 0
	s_cselect_b32 s9, s9, -1
	s_cmp_lg_u32 s9, 0
	s_cselect_b32 s9, s8, s10
	s_cselect_b32 s8, s12, s11
	s_mov_b64 s[10:11], 0
	s_branch .LBB198_454
.LBB198_453:                            ;   in Loop: Header=BB198_18 Depth=1
	s_mov_b64 s[10:11], -1
                                        ; implicit-def: $sgpr8_sgpr9
.LBB198_454:                            ;   in Loop: Header=BB198_18 Depth=1
	s_andn2_b64 vcc, exec, s[10:11]
	s_cbranch_vccnz .LBB198_456
; %bb.455:                              ;   in Loop: Header=BB198_18 Depth=1
	v_cvt_f32_u32_e32 v4, s75
	s_sub_i32 s8, 0, s75
	v_readlane_b32 s10, v49, 51
	v_rcp_iflag_f32_e32 v4, v4
	v_mul_f32_e32 v4, 0x4f7ffffe, v4
	v_cvt_u32_f32_e32 v4, v4
	v_readfirstlane_b32 s9, v4
	s_mul_i32 s8, s8, s9
	s_mul_hi_u32 s8, s9, s8
	s_add_i32 s9, s9, s8
	s_mul_hi_u32 s8, s10, s9
	s_mul_i32 s8, s8, s75
	s_sub_i32 s8, s10, s8
	s_sub_i32 s9, s8, s75
	s_cmp_ge_u32 s8, s75
	s_cselect_b32 s8, s9, s8
	s_sub_i32 s9, s8, s75
	s_cmp_ge_u32 s8, s75
	s_mov_b32 s10, s90
	s_cselect_b32 s90, s9, s8
	s_mov_b64 s[8:9], s[90:91]
	s_mov_b32 s90, s10
.LBB198_456:                            ;   in Loop: Header=BB198_18 Depth=1
	v_readlane_b32 s10, v49, 51
	v_readlane_b32 s12, v49, 53
	s_sub_u32 s10, s10, s8
	v_readlane_b32 s13, v49, 54
	s_subb_u32 s11, s13, s9
	v_cmp_gt_u64_e32 vcc, s[10:11], v[0:1]
                                        ; implicit-def: $vgpr18
	s_and_saveexec_b64 s[8:9], vcc
	s_cbranch_execz .LBB198_466
; %bb.457:                              ;   in Loop: Header=BB198_18 Depth=1
	v_mov_b32_e32 v5, v1
	s_mov_b64 s[12:13], 0
	v_mov_b32_e32 v4, v0
                                        ; implicit-def: $sgpr48_sgpr49
	s_branch .LBB198_461
.LBB198_458:                            ;   in Loop: Header=BB198_461 Depth=2
	s_or_b64 exec, exec, s[50:51]
	s_waitcnt lgkmcnt(0)
	s_barrier
	ds_read_b64 v[17:18], v13 offset:3072
	s_waitcnt lgkmcnt(0)
	s_barrier
	v_cmp_eq_f32_e32 vcc, 0, v17
	s_cbranch_vccz .LBB198_464
; %bb.459:                              ;   in Loop: Header=BB198_461 Depth=2
	v_add_co_u32_e32 v4, vcc, s75, v4
	v_addc_co_u32_e32 v5, vcc, 0, v5, vcc
	v_cmp_le_u64_e32 vcc, s[10:11], v[4:5]
	s_mov_b64 s[50:51], 0
	s_orn2_b64 s[52:53], vcc, exec
.LBB198_460:                            ;   in Loop: Header=BB198_461 Depth=2
	s_and_b64 s[52:53], exec, s[52:53]
	s_or_b64 s[12:13], s[52:53], s[12:13]
	s_andn2_b64 s[48:49], s[48:49], exec
	s_and_b64 s[50:51], s[50:51], exec
	s_or_b64 s[48:49], s[48:49], s[50:51]
	s_andn2_b64 exec, exec, s[12:13]
	s_cbranch_execz .LBB198_465
.LBB198_461:                            ;   Parent Loop BB198_18 Depth=1
                                        ; =>  This Inner Loop Header: Depth=2
	v_cmp_gt_u64_e32 vcc, s[60:61], v[4:5]
	s_and_saveexec_b64 s[50:51], vcc
	s_cbranch_execz .LBB198_458
; %bb.462:                              ;   in Loop: Header=BB198_461 Depth=2
	v_mul_lo_u32 v9, v5, s58
	v_mul_lo_u32 v12, v4, s59
	v_mad_u64_u32 v[6:7], s[52:53], v4, s58, 0
	v_add3_u32 v7, v7, v12, v9
	v_lshlrev_b64 v[6:7], 2, v[6:7]
	v_mov_b32_e32 v9, s74
	v_add_co_u32_e32 v6, vcc, s33, v6
	v_addc_co_u32_e32 v7, vcc, v9, v7, vcc
	global_load_dword v17, v[6:7], off
	s_waitcnt vmcnt(0)
	v_cmp_lt_i32_e32 vcc, -1, v17
	v_cndmask_b32_e32 v6, -1, v33, vcc
	v_xor_b32_e32 v6, v6, v17
	v_cmp_o_f32_e32 vcc, v17, v17
	v_cndmask_b32_e32 v6, -1, v6, vcc
	v_and_b32_e32 v6, v6, v35
	v_cmp_eq_u32_e32 vcc, v6, v30
	s_and_b64 exec, exec, vcc
	s_cbranch_execz .LBB198_458
; %bb.463:                              ;   in Loop: Header=BB198_461 Depth=2
	ds_write_b64 v13, v[16:17] offset:3072
	s_branch .LBB198_458
.LBB198_464:                            ;   in Loop: Header=BB198_461 Depth=2
	s_mov_b64 s[52:53], -1
                                        ; implicit-def: $vgpr4_vgpr5
	s_mov_b64 s[50:51], -1
	s_branch .LBB198_460
.LBB198_465:                            ;   in Loop: Header=BB198_18 Depth=1
	s_or_b64 exec, exec, s[12:13]
	s_andn2_b64 s[4:5], s[4:5], exec
	s_and_b64 s[10:11], s[48:49], exec
	s_or_b64 s[4:5], s[4:5], s[10:11]
.LBB198_466:                            ;   in Loop: Header=BB198_18 Depth=1
	s_or_b64 exec, exec, s[8:9]
	s_mov_b64 s[48:49], 0
	s_mov_b64 s[50:51], -1
.LBB198_467:                            ;   in Loop: Header=BB198_18 Depth=1
	s_orn2_b64 s[8:9], s[4:5], exec
.LBB198_468:                            ;   in Loop: Header=BB198_18 Depth=1
	s_or_b64 exec, exec, s[46:47]
	s_mov_b64 s[10:11], 0
	s_and_saveexec_b64 s[4:5], s[8:9]
	s_cbranch_execz .LBB198_479
; %bb.469:                              ;   in Loop: Header=BB198_18 Depth=1
	v_mov_b32_e32 v4, 1
	s_xor_b64 s[10:11], s[44:45], -1
	v_mov_b32_e32 v5, 0
	v_mov_b32_e32 v8, 1
	s_and_saveexec_b64 s[8:9], s[10:11]
	s_cbranch_execz .LBB198_478
; %bb.470:                              ;   in Loop: Header=BB198_18 Depth=1
	v_cmp_ge_u64_e32 vcc, s[16:17], v[2:3]
	s_and_saveexec_b64 s[10:11], vcc
	s_xor_b64 s[10:11], exec, s[10:11]
	s_cbranch_execz .LBB198_475
; %bb.471:                              ;   in Loop: Header=BB198_18 Depth=1
	ds_read_b64 v[4:5], v13 offset:5120
	v_and_b32_e32 v30, s90, v30
	v_or_b32_e32 v35, s73, v35
	s_waitcnt lgkmcnt(0)
	v_cmp_ne_u64_e32 vcc, 0, v[4:5]
	s_cbranch_vccnz .LBB198_475
; %bb.472:                              ;   in Loop: Header=BB198_18 Depth=1
	s_mov_b64 s[12:13], exec
	v_readlane_b32 s44, v49, 32
	v_readlane_b32 s45, v49, 33
	s_and_b64 s[44:45], s[12:13], s[44:45]
	s_mov_b64 exec, s[44:45]
; %bb.473:                              ;   in Loop: Header=BB198_18 Depth=1
	v_mov_b32_e32 v4, s16
	v_mov_b32_e32 v5, s17
	ds_write_b64 v13, v[4:5] offset:5128
; %bb.474:                              ;   in Loop: Header=BB198_18 Depth=1
	s_or_b64 exec, exec, s[12:13]
	s_waitcnt lgkmcnt(0)
	s_barrier
.LBB198_475:                            ;   in Loop: Header=BB198_18 Depth=1
	s_andn2_saveexec_b64 s[10:11], s[10:11]
; %bb.476:                              ;   in Loop: Header=BB198_18 Depth=1
	v_mov_b32_e32 v4, s17
	v_subrev_co_u32_e32 v2, vcc, s16, v2
	v_subb_co_u32_e32 v3, vcc, v3, v4, vcc
; %bb.477:                              ;   in Loop: Header=BB198_18 Depth=1
	s_or_b64 exec, exec, s[10:11]
	v_mov_b32_e32 v5, v3
	v_mov_b32_e32 v8, 5
	;; [unrolled: 1-line block ×3, first 2 shown]
.LBB198_478:                            ;   in Loop: Header=BB198_18 Depth=1
	s_or_b64 exec, exec, s[8:9]
	v_mov_b32_e32 v2, v4
	s_mov_b64 s[10:11], exec
	v_mov_b32_e32 v3, v5
.LBB198_479:                            ;   in Loop: Header=BB198_18 Depth=1
	s_or_b64 exec, exec, s[4:5]
	s_orn2_b64 s[4:5], s[10:11], exec
.LBB198_480:                            ;   in Loop: Header=BB198_18 Depth=1
	s_or_b64 exec, exec, s[20:21]
	s_andn2_b64 s[8:9], s[42:43], exec
	s_and_b64 s[10:11], s[50:51], exec
	s_or_b64 s[42:43], s[8:9], s[10:11]
	s_andn2_b64 s[8:9], s[40:41], exec
	s_and_b64 s[10:11], s[48:49], exec
	v_mov_b32_e32 v5, v3
	s_or_b64 s[40:41], s[8:9], s[10:11]
	s_and_b64 s[8:9], s[4:5], exec
	v_mov_b32_e32 v4, v2
.LBB198_481:                            ;   in Loop: Header=BB198_18 Depth=1
	s_or_b64 exec, exec, s[30:31]
	s_orn2_b64 s[4:5], s[8:9], exec
.LBB198_482:                            ;   in Loop: Header=BB198_18 Depth=1
	s_or_b64 exec, exec, s[22:23]
	s_andn2_b64 s[8:9], s[36:37], exec
	s_and_b64 s[10:11], s[42:43], exec
	s_or_b64 s[36:37], s[8:9], s[10:11]
	s_andn2_b64 s[8:9], s[24:25], exec
	s_and_b64 s[10:11], s[40:41], exec
	v_mov_b32_e32 v2, v4
	s_or_b64 s[24:25], s[8:9], s[10:11]
	s_and_b64 s[8:9], s[4:5], exec
	v_mov_b32_e32 v3, v5
.LBB198_483:                            ;   in Loop: Header=BB198_18 Depth=1
	s_or_b64 exec, exec, s[38:39]
	s_orn2_b64 s[4:5], s[8:9], exec
.LBB198_484:                            ;   in Loop: Header=BB198_18 Depth=1
	s_or_b64 exec, exec, s[6:7]
	s_mov_b64 s[6:7], s[28:29]
	s_mov_b64 s[8:9], s[26:27]
	s_and_saveexec_b64 s[10:11], s[4:5]
; %bb.485:                              ;   in Loop: Header=BB198_18 Depth=1
	v_cmp_ne_u32_e64 s[6:7], 5, v8
	v_cmp_eq_u32_e32 vcc, 5, v8
	s_andn2_b64 s[4:5], s[26:27], exec
	s_and_b64 s[6:7], s[6:7], exec
	s_or_b64 s[8:9], s[4:5], s[6:7]
	s_andn2_b64 s[4:5], s[28:29], exec
	s_and_b64 s[6:7], vcc, exec
	s_or_b64 s[6:7], s[4:5], s[6:7]
; %bb.486:                              ;   in Loop: Header=BB198_18 Depth=1
	s_or_b64 exec, exec, s[10:11]
	s_andn2_b64 s[4:5], s[14:15], exec
	s_and_b64 s[10:11], s[36:37], exec
	s_or_b64 s[14:15], s[4:5], s[10:11]
	s_andn2_b64 s[4:5], s[18:19], exec
	s_and_b64 s[10:11], s[24:25], exec
	s_or_b64 s[18:19], s[4:5], s[10:11]
	;; [unrolled: 3-line block ×4, first 2 shown]
.LBB198_487:                            ;   in Loop: Header=BB198_18 Depth=1
	s_or_b64 exec, exec, s[34:35]
	s_mov_b64 s[34:35], 0
	s_mov_b64 s[36:37], 0
	s_and_saveexec_b64 s[4:5], s[28:29]
.LBB198_488:                            ;   in Loop: Header=BB198_18 Depth=1
	v_mov_b32_e32 v8, 0
	s_or_b64 s[26:27], s[26:27], exec
.LBB198_489:                            ;   in Loop: Header=BB198_18 Depth=1
	s_or_b64 exec, exec, s[4:5]
	s_andn2_b64 s[4:5], s[76:77], exec
	s_and_b64 s[8:9], s[14:15], exec
	s_or_b64 s[76:77], s[4:5], s[8:9]
	s_andn2_b64 s[4:5], s[86:87], exec
	s_and_b64 s[8:9], s[18:19], exec
	s_or_b64 s[86:87], s[4:5], s[8:9]
	;; [unrolled: 3-line block ×3, first 2 shown]
	s_andn2_b64 s[4:5], s[70:71], exec
	s_and_b64 s[8:9], s[34:35], exec
	v_mov_b32_e32 v20, v3
	s_mov_b64 s[6:7], -1
	s_andn2_b64 s[78:79], s[78:79], exec
	s_or_b64 s[70:71], s[4:5], s[8:9]
	v_mov_b32_e32 v19, v2
	s_and_saveexec_b64 s[4:5], s[26:27]
	s_xor_b64 s[4:5], exec, s[4:5]
	s_cbranch_execz .LBB198_17
; %bb.490:                              ;   in Loop: Header=BB198_18 Depth=1
	v_cmp_eq_u32_e32 vcc, 0, v8
	s_mov_b64 s[8:9], -1
	s_and_saveexec_b64 s[10:11], vcc
	s_cbranch_execz .LBB198_16
; %bb.491:                              ;   in Loop: Header=BB198_18 Depth=1
	v_readlane_b32 s6, v49, 62
	s_xor_b32 s6, s6, 1
	s_add_i32 s12, s72, -2
	s_cmp_eq_u32 s72, 0
	v_writelane_b32 v49, s6, 62
	s_cselect_b64 s[6:7], -1, 0
	s_xor_b64 s[8:9], exec, -1
	s_orn2_b64 s[6:7], s[6:7], exec
	s_mov_b32 s72, s12
	s_branch .LBB198_16
.LBB198_492:
	s_or_b64 exec, exec, s[82:83]
	s_xor_b64 s[4:5], s[68:69], -1
	s_xor_b64 s[8:9], s[66:67], -1
	;; [unrolled: 1-line block ×5, first 2 shown]
	s_mov_b64 s[6:7], 0
	s_and_saveexec_b64 s[10:11], s[0:1]
	s_xor_b64 s[10:11], exec, s[10:11]
	s_cbranch_execnz .LBB198_497
; %bb.493:
	s_andn2_saveexec_b64 s[0:1], s[10:11]
	s_cbranch_execnz .LBB198_516
.LBB198_494:
	s_or_b64 exec, exec, s[0:1]
	s_and_saveexec_b64 s[0:1], s[6:7]
.LBB198_495:
	; divergent unreachable
.LBB198_496:
	s_endpgm
.LBB198_497:
	s_and_saveexec_b64 s[0:1], s[12:13]
	s_xor_b64 s[12:13], exec, s[0:1]
	s_cbranch_execz .LBB198_514
; %bb.498:
	s_and_saveexec_b64 s[0:1], s[8:9]
	s_xor_b64 s[14:15], exec, s[0:1]
	s_cbranch_execz .LBB198_512
; %bb.499:
	;; [unrolled: 4-line block ×3, first 2 shown]
	s_and_saveexec_b64 s[0:1], s[2:3]
	s_xor_b64 s[2:3], exec, s[0:1]
; %bb.501:
	v_bfrev_b32_e32 v2, 1
	v_cmp_lt_i32_e32 vcc, -1, v30
	v_cndmask_b32_e64 v2, v2, -1, vcc
	v_xor_b32_e32 v18, v2, v30
; %bb.502:
	s_or_b64 exec, exec, s[2:3]
	s_mov_b64 s[2:3], exec
	v_readlane_b32 s0, v49, 32
	v_readlane_b32 s1, v49, 33
	;; [unrolled: 1-line block ×4, first 2 shown]
	s_and_b64 s[0:1], s[2:3], s[0:1]
	v_readlane_b32 s23, v49, 37
	v_readlane_b32 s18, v49, 34
	;; [unrolled: 1-line block ×4, first 2 shown]
	s_mov_b64 exec, s[0:1]
; %bb.503:
	v_mov_b32_e32 v2, 0
	v_mov_b32_e32 v3, v2
	ds_write_b64 v2, v[2:3] offset:5136
; %bb.504:
	s_or_b64 exec, exec, s[2:3]
	v_mov_b32_e32 v16, 0
	s_waitcnt lgkmcnt(0)
	s_barrier
	s_mov_b64 s[2:3], exec
	v_readlane_b32 s0, v49, 44
	v_readlane_b32 s1, v49, 45
	;; [unrolled: 1-line block ×3, first 2 shown]
	s_and_b64 s[0:1], s[2:3], s[0:1]
	v_readlane_b32 s5, v49, 23
	s_mov_b64 exec, s[0:1]
	s_cbranch_execz .LBB198_506
; %bb.505:
	global_load_dword v16, v[10:11], off
.LBB198_506:
	s_or_b64 exec, exec, s[2:3]
	v_readlane_b32 s28, v49, 24
	s_add_u32 s0, s60, 63
	v_readlane_b32 s30, v49, 26
	v_readlane_b32 s31, v49, 27
	s_addc_u32 s9, s61, 0
	s_and_b32 s8, s0, 0xffffffc0
	s_mul_i32 s0, s4, s31
	s_mul_hi_u32 s1, s4, s30
	s_add_i32 s1, s1, s0
	s_mul_i32 s0, s4, s30
	v_readlane_b32 s6, v49, 10
	s_sub_u32 s0, s18, s0
	v_readlane_b32 s7, v49, 11
	s_subb_u32 s1, 0, s1
	s_mul_i32 s2, s0, s7
	s_mul_hi_u32 s3, s0, s6
	s_add_i32 s2, s3, s2
	s_mul_i32 s1, s1, s6
	s_add_i32 s3, s2, s1
	s_mul_i32 s2, s0, s6
	v_readlane_b32 s24, v49, 4
	v_readlane_b32 s0, v49, 0
	;; [unrolled: 1-line block ×4, first 2 shown]
	s_mov_b32 s6, s0
	s_mul_i32 s0, s0, s25
	s_mul_hi_u32 s1, s6, s24
	s_add_i32 s1, s1, s0
	s_mul_i32 s0, s6, s24
	v_readlane_b32 s20, v49, 2
	v_readlane_b32 s36, v49, 18
	;; [unrolled: 1-line block ×3, first 2 shown]
	s_sub_u32 s0, s20, s0
	v_readlane_b32 s38, v49, 20
	v_readlane_b32 s39, v49, 21
	s_subb_u32 s1, s21, s1
	s_mov_b64 s[30:31], s[4:5]
	s_mul_i32 s4, s0, s39
	s_mul_hi_u32 s5, s0, s38
	v_readlane_b32 s37, v49, 19
	s_add_i32 s4, s5, s4
	s_mul_i32 s1, s1, s38
	v_readlane_b32 s26, v49, 6
	v_readlane_b32 s27, v49, 7
	s_add_i32 s1, s4, s1
	s_mul_i32 s4, s6, s37
	s_mul_hi_u32 s5, s6, s36
	s_add_i32 s5, s5, s4
	s_mul_i32 s4, s6, s36
	s_mul_i32 s6, s20, s27
	s_mul_hi_u32 s7, s20, s26
	s_add_i32 s7, s7, s6
	s_mul_i32 s6, s20, s26
	v_readlane_b32 s20, v49, 16
	s_sub_u32 s6, s18, s6
	v_readlane_b32 s21, v49, 17
	s_subb_u32 s7, 0, s7
	s_mul_i32 s18, s6, s21
	s_mul_hi_u32 s19, s6, s20
	s_add_i32 s18, s19, s18
	s_mul_i32 s7, s7, s20
	s_add_i32 s7, s18, s7
	v_readlane_b32 s18, v49, 8
	v_readlane_b32 s29, v49, 25
	v_readlane_b32 s19, v49, 9
	s_mov_b32 s24, s18
	s_mul_i32 s18, s18, s29
	s_mul_hi_u32 s19, s24, s28
	s_add_i32 s19, s19, s18
	s_mul_i32 s18, s24, s28
	s_sub_u32 s18, s30, s18
	s_subb_u32 s19, s31, s19
	v_readlane_b32 s28, v49, 12
	v_readlane_b32 s30, v49, 14
	;; [unrolled: 1-line block ×3, first 2 shown]
	s_mul_i32 s6, s6, s20
	s_mul_i32 s20, s18, s31
	s_mul_hi_u32 s21, s18, s30
	v_readlane_b32 s29, v49, 13
	s_add_i32 s20, s21, s20
	s_mul_i32 s19, s19, s30
	s_add_i32 s19, s20, s19
	s_mul_i32 s20, s24, s29
	s_mul_hi_u32 s21, s24, s28
	s_add_i32 s21, s21, s20
	s_mul_i32 s20, s24, s28
	s_lshl_b64 s[4:5], s[4:5], 2
	v_readlane_b32 s24, v49, 30
	s_mul_i32 s0, s0, s38
	v_readlane_b32 s25, v49, 31
	s_add_u32 s4, s24, s4
	s_addc_u32 s5, s25, s5
	s_lshl_b64 s[0:1], s[0:1], 2
	s_add_u32 s4, s4, s0
	s_addc_u32 s5, s5, s1
	s_lshl_b64 s[0:1], s[6:7], 2
	;; [unrolled: 3-line block ×3, first 2 shown]
	v_readlane_b32 s6, v49, 28
	s_mul_i32 s18, s18, s30
	v_readlane_b32 s7, v49, 29
	s_add_u32 s6, s6, s4
	v_bfrev_b32_e32 v15, 1
	v_cmp_lt_i32_e32 vcc, -1, v18
	s_addc_u32 s7, s7, s5
	s_lshl_b64 s[4:5], s[18:19], 3
	s_load_dwordx2 s[18:19], s[22:23], 0x368
	s_load_dwordx2 s[20:21], s[22:23], 0x510
	v_cndmask_b32_e32 v2, -1, v15, vcc
	s_add_u32 s4, s6, s4
	v_xor_b32_e32 v2, v2, v18
	v_cmp_o_f32_e32 vcc, v18, v18
	s_addc_u32 s5, s7, s5
	s_lshl_b64 s[2:3], s[2:3], 3
	v_cndmask_b32_e32 v14, -1, v2, vcc
	s_add_u32 s38, s4, s2
	v_cmp_gt_u64_e32 vcc, s[8:9], v[0:1]
	s_addc_u32 s39, s5, s3
	s_mov_b64 s[24:25], -1
	s_mov_b64 s[2:3], 0
	s_mov_b64 s[4:5], 0
	s_and_saveexec_b64 s[22:23], vcc
	s_cbranch_execnz .LBB198_517
; %bb.507:
	s_or_b64 exec, exec, s[22:23]
	s_and_saveexec_b64 s[6:7], s[24:25]
	s_cbranch_execnz .LBB198_534
.LBB198_508:
	s_or_b64 exec, exec, s[6:7]
	s_and_saveexec_b64 s[0:1], s[4:5]
	s_xor_b64 s[0:1], exec, s[0:1]
	s_cbranch_execnz .LBB198_557
.LBB198_509:
	s_or_b64 exec, exec, s[0:1]
	s_and_b64 s[6:7], s[2:3], exec
.LBB198_510:
	s_andn2_saveexec_b64 s[0:1], s[16:17]
	s_cbranch_execnz .LBB198_559
.LBB198_511:
	s_or_b64 exec, exec, s[0:1]
	s_and_b64 s[6:7], s[6:7], exec
.LBB198_512:
	s_andn2_saveexec_b64 s[0:1], s[14:15]
	s_cbranch_execnz .LBB198_558
.LBB198_513:
	s_or_b64 exec, exec, s[0:1]
	s_and_b64 s[6:7], s[6:7], exec
.LBB198_514:
	s_andn2_saveexec_b64 s[0:1], s[12:13]
	s_cbranch_execnz .LBB198_553
.LBB198_515:
	s_or_b64 exec, exec, s[0:1]
	s_and_b64 s[6:7], s[6:7], exec
	s_andn2_saveexec_b64 s[0:1], s[10:11]
	s_cbranch_execz .LBB198_494
.LBB198_516:
	s_or_b64 s[6:7], s[6:7], exec
	s_trap 2
	s_or_b64 exec, exec, s[0:1]
	s_and_saveexec_b64 s[0:1], s[6:7]
	s_cbranch_execnz .LBB198_495
	s_branch .LBB198_496
.LBB198_517:
	v_mov_b32_e32 v9, v1
	s_mov_b64 s[24:25], 0
	v_mov_b32_e32 v3, 0
	v_mov_b32_e32 v8, v0
                                        ; implicit-def: $sgpr26_sgpr27
                                        ; implicit-def: $vgpr6_vgpr7
	s_branch .LBB198_519
.LBB198_518:                            ;   in Loop: Header=BB198_519 Depth=1
	s_or_b64 exec, exec, s[30:31]
	s_xor_b64 s[4:5], s[28:29], -1
	s_and_b64 s[6:7], exec, s[6:7]
	s_or_b64 s[24:25], s[6:7], s[24:25]
	s_andn2_b64 s[6:7], s[26:27], exec
	s_and_b64 s[4:5], s[4:5], exec
	v_mov_b32_e32 v9, v5
	s_or_b64 s[26:27], s[6:7], s[4:5]
	s_waitcnt vmcnt(0)
	v_mov_b32_e32 v16, v17
	v_mov_b32_e32 v8, v4
	s_andn2_b64 exec, exec, s[24:25]
	s_cbranch_execz .LBB198_533
.LBB198_519:                            ; =>This Inner Loop Header: Depth=1
	v_add_co_u32_e64 v4, s[4:5], s75, v8
	v_addc_co_u32_e64 v5, s[4:5], 0, v9, s[4:5]
	v_cmp_gt_u64_e64 s[4:5], s[60:61], v[4:5]
	v_mov_b32_e32 v17, 0
	s_and_saveexec_b64 s[6:7], s[4:5]
	s_cbranch_execz .LBB198_521
; %bb.520:                              ;   in Loop: Header=BB198_519 Depth=1
	v_mul_lo_u32 v2, v5, s58
	v_mul_lo_u32 v17, v4, s59
	v_mad_u64_u32 v[12:13], s[4:5], v4, s58, 0
	v_add3_u32 v13, v13, v17, v2
	v_lshlrev_b64 v[12:13], 2, v[12:13]
	v_mov_b32_e32 v2, s74
	v_add_co_u32_e64 v12, s[4:5], s33, v12
	v_addc_co_u32_e64 v13, s[4:5], v2, v13, s[4:5]
	global_load_dword v17, v[12:13], off
.LBB198_521:                            ;   in Loop: Header=BB198_519 Depth=1
	s_or_b64 exec, exec, s[6:7]
	v_cmp_gt_u64_e64 s[4:5], s[60:61], v[8:9]
	s_mov_b64 s[28:29], 0
	s_and_saveexec_b64 s[6:7], s[4:5]
	s_cbranch_execz .LBB198_523
; %bb.522:                              ;   in Loop: Header=BB198_519 Depth=1
	s_waitcnt vmcnt(0)
	v_cmp_lt_i32_e64 s[4:5], -1, v16
	v_cndmask_b32_e64 v2, -1, v15, s[4:5]
	v_xor_b32_e32 v2, v2, v16
	v_cmp_o_f32_e64 s[4:5], v16, v16
	v_cndmask_b32_e64 v2, -1, v2, s[4:5]
	v_cmp_gt_u32_e64 s[4:5], v2, v14
	v_cndmask_b32_e64 v12, 0, 1, s[4:5]
	v_cmp_lt_u32_e64 s[4:5], v2, v14
	v_cndmask_b32_e64 v2, 0, 1, s[4:5]
	v_cndmask_b32_e64 v2, v2, v12, s[42:43]
	v_and_b32_e32 v2, 1, v2
	v_cmp_eq_u32_e64 s[4:5], 1, v2
	s_and_b64 s[28:29], s[4:5], exec
.LBB198_523:                            ;   in Loop: Header=BB198_519 Depth=1
	s_or_b64 exec, exec, s[6:7]
	v_cndmask_b32_e64 v2, 0, 1, s[28:29]
	v_cmp_ne_u32_e64 s[4:5], 0, v2
	s_cmp_lg_u64 s[4:5], 0
	s_cselect_b64 s[6:7], -1, 0
	s_and_b64 s[6:7], s[94:95], s[6:7]
	s_and_saveexec_b64 s[30:31], s[6:7]
	s_cbranch_execz .LBB198_527
; %bb.524:                              ;   in Loop: Header=BB198_519 Depth=1
	s_mov_b64 s[36:37], exec
	v_mbcnt_lo_u32_b32 v2, s36, 0
	v_mbcnt_hi_u32_b32 v12, s37, v2
	s_bcnt1_i32_b64 s40, s[4:5]
	v_cmp_eq_u32_e64 s[6:7], 0, v12
                                        ; implicit-def: $vgpr6_vgpr7
	s_and_saveexec_b64 s[34:35], s[6:7]
	s_cbranch_execz .LBB198_526
; %bb.525:                              ;   in Loop: Header=BB198_519 Depth=1
	s_bcnt1_i32_b64 s6, s[36:37]
	s_mul_i32 s6, s40, s6
	v_mov_b32_e32 v2, s6
	s_waitcnt lgkmcnt(0)
	ds_add_rtn_u64 v[6:7], v3, v[2:3] offset:5136
.LBB198_526:                            ;   in Loop: Header=BB198_519 Depth=1
	s_or_b64 exec, exec, s[34:35]
	s_waitcnt lgkmcnt(0)
	v_readfirstlane_b32 s6, v7
	v_readfirstlane_b32 s7, v6
	v_mov_b32_e32 v6, s7
	v_mov_b32_e32 v7, s6
	v_mad_u64_u32 v[6:7], s[6:7], s40, v12, v[6:7]
.LBB198_527:                            ;   in Loop: Header=BB198_519 Depth=1
	s_or_b64 exec, exec, s[30:31]
	s_waitcnt lgkmcnt(0)
	ds_bpermute_b32 v6, v23, v6
	ds_bpermute_b32 v7, v23, v7
	s_mov_b64 s[6:7], -1
	s_mov_b64 s[34:35], -1
	s_and_saveexec_b64 s[30:31], s[28:29]
	s_cbranch_execz .LBB198_531
; %bb.528:                              ;   in Loop: Header=BB198_519 Depth=1
	v_and_b32_e32 v12, s4, v25
	v_and_b32_e32 v2, s5, v24
	v_bcnt_u32_b32 v12, v12, 0
	v_bcnt_u32_b32 v2, v2, v12
	s_waitcnt lgkmcnt(0)
	v_add_co_u32_e64 v12, s[4:5], v6, v2
	v_addc_co_u32_e64 v13, s[4:5], 0, v7, s[4:5]
	v_cmp_gt_u64_e64 s[4:5], s[62:63], v[12:13]
	s_mov_b64 s[28:29], 0
	s_and_saveexec_b64 s[34:35], s[4:5]
	s_cbranch_execz .LBB198_530
; %bb.529:                              ;   in Loop: Header=BB198_519 Depth=1
	v_mul_lo_u32 v2, v13, s18
	v_mul_lo_u32 v20, v12, s19
	v_mad_u64_u32 v[18:19], s[4:5], v12, s18, 0
	v_mul_lo_u32 v21, v13, s20
	v_mul_lo_u32 v22, v12, s21
	v_mad_u64_u32 v[12:13], s[4:5], v12, s20, 0
	v_add3_u32 v19, v19, v20, v2
	v_lshlrev_b64 v[18:19], 2, v[18:19]
	v_add3_u32 v13, v13, v22, v21
	v_mov_b32_e32 v2, s1
	v_add_co_u32_e64 v18, s[4:5], s0, v18
	v_lshlrev_b64 v[12:13], 3, v[12:13]
	v_addc_co_u32_e64 v19, s[4:5], v2, v19, s[4:5]
	v_mov_b32_e32 v2, s39
	v_add_co_u32_e64 v12, s[4:5], s38, v12
	s_mov_b64 s[28:29], exec
	v_addc_co_u32_e64 v13, s[4:5], v2, v13, s[4:5]
	s_waitcnt vmcnt(0)
	global_store_dword v[18:19], v16, off
	global_store_dwordx2 v[12:13], v[8:9], off
.LBB198_530:                            ;   in Loop: Header=BB198_519 Depth=1
	s_or_b64 exec, exec, s[34:35]
	s_orn2_b64 s[34:35], s[28:29], exec
.LBB198_531:                            ;   in Loop: Header=BB198_519 Depth=1
	s_or_b64 exec, exec, s[30:31]
	s_mov_b64 s[28:29], -1
	s_and_saveexec_b64 s[30:31], s[34:35]
	s_cbranch_execz .LBB198_518
; %bb.532:                              ;   in Loop: Header=BB198_519 Depth=1
	v_cmp_le_u64_e64 s[4:5], s[8:9], v[4:5]
	s_xor_b64 s[28:29], exec, -1
	s_orn2_b64 s[6:7], s[4:5], exec
	s_branch .LBB198_518
.LBB198_533:
	s_or_b64 exec, exec, s[24:25]
	s_mov_b64 s[4:5], exec
	s_orn2_b64 s[24:25], s[26:27], exec
	s_or_b64 exec, exec, s[22:23]
	s_and_saveexec_b64 s[6:7], s[24:25]
	s_cbranch_execz .LBB198_508
.LBB198_534:
	v_mov_b32_e32 v12, 0
	s_waitcnt vmcnt(0) lgkmcnt(0)
	s_barrier
	s_mov_b64 s[2:3], exec
	v_readlane_b32 s22, v49, 44
	v_readlane_b32 s23, v49, 45
	s_and_b64 s[22:23], s[2:3], s[22:23]
	s_mov_b64 exec, s[22:23]
	s_cbranch_execz .LBB198_536
; %bb.535:
	global_load_dword v12, v[10:11], off
.LBB198_536:
	s_or_b64 exec, exec, s[2:3]
	s_mov_b64 s[2:3], 0
	s_and_saveexec_b64 s[22:23], vcc
	s_cbranch_execz .LBB198_556
; %bb.537:
	s_mov_b64 s[24:25], 0
	v_bfrev_b32_e32 v10, 1
	v_mov_b32_e32 v3, 0
                                        ; implicit-def: $sgpr26_sgpr27
                                        ; implicit-def: $vgpr6_vgpr7
	s_branch .LBB198_540
.LBB198_538:                            ;   in Loop: Header=BB198_540 Depth=1
	s_or_b64 exec, exec, s[30:31]
	s_orn2_b64 s[34:35], s[36:37], exec
	s_orn2_b64 s[30:31], s[28:29], exec
.LBB198_539:                            ;   in Loop: Header=BB198_540 Depth=1
	s_or_b64 exec, exec, s[2:3]
	s_xor_b64 s[2:3], s[34:35], -1
	s_and_b64 s[28:29], exec, s[30:31]
	s_or_b64 s[24:25], s[28:29], s[24:25]
	s_andn2_b64 s[26:27], s[26:27], exec
	s_and_b64 s[2:3], s[2:3], exec
	v_mov_b32_e32 v0, v4
	s_or_b64 s[26:27], s[26:27], s[2:3]
	v_mov_b32_e32 v1, v5
	v_mov_b32_e32 v12, v11
	s_andn2_b64 exec, exec, s[24:25]
	s_cbranch_execz .LBB198_554
.LBB198_540:                            ; =>This Inner Loop Header: Depth=1
	v_add_co_u32_e32 v4, vcc, s75, v0
	v_addc_co_u32_e32 v5, vcc, 0, v1, vcc
	v_cmp_gt_u64_e32 vcc, s[60:61], v[4:5]
	v_mov_b32_e32 v11, 0
	s_and_saveexec_b64 s[2:3], vcc
	s_cbranch_execz .LBB198_542
; %bb.541:                              ;   in Loop: Header=BB198_540 Depth=1
	v_mul_lo_u32 v2, v5, s58
	v_mul_lo_u32 v11, v4, s59
	v_mad_u64_u32 v[8:9], s[28:29], v4, s58, 0
	v_add3_u32 v9, v9, v11, v2
	v_lshlrev_b64 v[8:9], 2, v[8:9]
	v_mov_b32_e32 v2, s74
	v_add_co_u32_e32 v8, vcc, s33, v8
	v_addc_co_u32_e32 v9, vcc, v2, v9, vcc
	global_load_dword v11, v[8:9], off
.LBB198_542:                            ;   in Loop: Header=BB198_540 Depth=1
	s_or_b64 exec, exec, s[2:3]
	s_waitcnt vmcnt(0)
	v_cmp_lt_i32_e64 s[2:3], -1, v12
	v_cndmask_b32_e64 v2, -1, v10, s[2:3]
	v_xor_b32_e32 v2, v2, v12
	v_cmp_o_f32_e64 s[2:3], v12, v12
	v_cmp_gt_u64_e32 vcc, s[60:61], v[0:1]
	v_cndmask_b32_e64 v2, -1, v2, s[2:3]
	v_cmp_eq_u32_e64 s[2:3], v2, v14
	s_and_b64 s[28:29], vcc, s[2:3]
	v_cndmask_b32_e64 v2, 0, 1, s[28:29]
	v_cmp_ne_u32_e32 vcc, 0, v2
	s_cmp_lg_u64 vcc, 0
	s_cselect_b64 s[2:3], -1, 0
	s_and_b64 s[2:3], s[94:95], s[2:3]
	s_and_saveexec_b64 s[30:31], s[2:3]
	s_cbranch_execz .LBB198_546
; %bb.543:                              ;   in Loop: Header=BB198_540 Depth=1
	s_mov_b64 s[36:37], exec
	v_mbcnt_lo_u32_b32 v2, s36, 0
	v_mbcnt_hi_u32_b32 v8, s37, v2
	s_bcnt1_i32_b64 s40, vcc
	v_cmp_eq_u32_e64 s[2:3], 0, v8
                                        ; implicit-def: $vgpr6_vgpr7
	s_and_saveexec_b64 s[34:35], s[2:3]
; %bb.544:                              ;   in Loop: Header=BB198_540 Depth=1
	s_bcnt1_i32_b64 s2, s[36:37]
	s_mul_i32 s2, s40, s2
	v_mov_b32_e32 v2, s2
	ds_add_rtn_u64 v[6:7], v3, v[2:3] offset:5136
; %bb.545:                              ;   in Loop: Header=BB198_540 Depth=1
	s_or_b64 exec, exec, s[34:35]
	s_waitcnt lgkmcnt(0)
	v_readfirstlane_b32 s2, v7
	v_readfirstlane_b32 s3, v6
	v_mov_b32_e32 v6, s3
	v_mov_b32_e32 v7, s2
	v_mad_u64_u32 v[6:7], s[2:3], s40, v8, v[6:7]
.LBB198_546:                            ;   in Loop: Header=BB198_540 Depth=1
	s_or_b64 exec, exec, s[30:31]
	ds_bpermute_b32 v6, v23, v6
	ds_bpermute_b32 v7, v23, v7
	s_cmp_eq_u64 vcc, 0
	s_cselect_b64 s[34:35], -1, 0
	s_mov_b64 s[30:31], -1
	s_waitcnt lgkmcnt(0)
	v_cmp_gt_u64_e64 s[2:3], s[62:63], v[6:7]
	s_or_b64 s[36:37], s[34:35], s[2:3]
	s_mov_b64 s[34:35], -1
	s_and_saveexec_b64 s[2:3], s[36:37]
	s_cbranch_execz .LBB198_539
; %bb.547:                              ;   in Loop: Header=BB198_540 Depth=1
	v_and_b32_e32 v8, vcc_lo, v25
	v_and_b32_e32 v2, vcc_hi, v24
	v_bcnt_u32_b32 v8, v8, 0
	v_bcnt_u32_b32 v2, v2, v8
	v_mov_b32_e32 v9, s63
	v_sub_co_u32_e32 v8, vcc, s62, v6
	v_subb_co_u32_e32 v9, vcc, v9, v7, vcc
	v_cmp_gt_u64_e32 vcc, v[8:9], v[2:3]
	s_mov_b64 s[36:37], -1
	s_and_b64 s[40:41], s[28:29], vcc
	s_mov_b64 s[28:29], -1
	s_and_saveexec_b64 s[30:31], s[40:41]
	s_cbranch_execz .LBB198_551
; %bb.548:                              ;   in Loop: Header=BB198_540 Depth=1
	v_add_co_u32_e32 v8, vcc, v6, v2
	v_addc_co_u32_e32 v9, vcc, 0, v7, vcc
	v_cmp_gt_u64_e32 vcc, s[62:63], v[8:9]
	s_mov_b64 s[34:35], 0
	s_and_saveexec_b64 s[36:37], vcc
; %bb.549:                              ;   in Loop: Header=BB198_540 Depth=1
	v_mul_lo_u32 v2, v9, s18
	v_mul_lo_u32 v13, v8, s19
	v_mad_u64_u32 v[15:16], s[40:41], v8, s18, 0
	v_mul_lo_u32 v17, v9, s20
	v_mul_lo_u32 v18, v8, s21
	v_mad_u64_u32 v[8:9], s[40:41], v8, s20, 0
	v_add3_u32 v16, v16, v13, v2
	v_lshlrev_b64 v[15:16], 2, v[15:16]
	v_add3_u32 v9, v9, v18, v17
	v_mov_b32_e32 v2, s1
	v_add_co_u32_e32 v15, vcc, s0, v15
	v_lshlrev_b64 v[8:9], 3, v[8:9]
	v_addc_co_u32_e32 v16, vcc, v2, v16, vcc
	v_mov_b32_e32 v2, s39
	v_add_co_u32_e32 v8, vcc, s38, v8
	s_mov_b64 s[34:35], exec
	v_addc_co_u32_e32 v9, vcc, v2, v9, vcc
	global_store_dword v[15:16], v12, off
	global_store_dwordx2 v[8:9], v[0:1], off
; %bb.550:                              ;   in Loop: Header=BB198_540 Depth=1
	s_or_b64 exec, exec, s[36:37]
	s_xor_b64 s[36:37], exec, -1
	s_orn2_b64 s[34:35], s[34:35], exec
.LBB198_551:                            ;   in Loop: Header=BB198_540 Depth=1
	s_or_b64 exec, exec, s[30:31]
	s_and_saveexec_b64 s[30:31], s[34:35]
	s_cbranch_execz .LBB198_538
; %bb.552:                              ;   in Loop: Header=BB198_540 Depth=1
	v_cmp_le_u64_e32 vcc, s[8:9], v[4:5]
	s_or_b64 s[36:37], s[36:37], exec
	s_orn2_b64 s[28:29], vcc, exec
	s_branch .LBB198_538
.LBB198_553:
	s_or_b64 s[6:7], s[6:7], exec
	s_trap 2
	s_branch .LBB198_515
.LBB198_554:
	s_or_b64 exec, exec, s[24:25]
	s_mov_b64 s[0:1], 0
	s_and_saveexec_b64 s[2:3], s[26:27]
	s_xor_b64 s[2:3], exec, s[2:3]
	s_cbranch_execnz .LBB198_560
.LBB198_555:
	s_or_b64 exec, exec, s[2:3]
	s_and_b64 s[2:3], s[0:1], exec
.LBB198_556:
	s_or_b64 exec, exec, s[22:23]
	s_and_b64 s[2:3], s[2:3], exec
	s_andn2_b64 s[4:5], s[4:5], exec
	s_or_b64 exec, exec, s[6:7]
	s_and_saveexec_b64 s[0:1], s[4:5]
	s_xor_b64 s[0:1], exec, s[0:1]
	s_cbranch_execz .LBB198_509
.LBB198_557:
	s_trap 2
	s_or_b64 s[2:3], s[2:3], exec
	s_branch .LBB198_509
.LBB198_558:
	s_or_b64 s[6:7], s[6:7], exec
	s_trap 2
	s_branch .LBB198_513
.LBB198_559:
	s_trap 2
	s_or_b64 s[6:7], s[6:7], exec
	s_branch .LBB198_511
.LBB198_560:
	s_mov_b64 s[0:1], exec
	s_trap 2
	s_branch .LBB198_555
	.section	.rodata,"a",@progbits
	.p2align	6, 0x0
	.amdhsa_kernel _ZN2at6native6sbtopk10gatherTopKIfmLi3ELb0EEEvNS_4cuda6detail10TensorInfoIKT_T0_EES8_S8_bS8_S8_NS5_IS6_S8_EES8_NS5_IlS8_EES8_PS6_
		.amdhsa_group_segment_fixed_size 5152
		.amdhsa_private_segment_fixed_size 0
		.amdhsa_kernarg_size 1568
		.amdhsa_user_sgpr_count 6
		.amdhsa_user_sgpr_private_segment_buffer 1
		.amdhsa_user_sgpr_dispatch_ptr 0
		.amdhsa_user_sgpr_queue_ptr 0
		.amdhsa_user_sgpr_kernarg_segment_ptr 1
		.amdhsa_user_sgpr_dispatch_id 0
		.amdhsa_user_sgpr_flat_scratch_init 0
		.amdhsa_user_sgpr_private_segment_size 0
		.amdhsa_uses_dynamic_stack 0
		.amdhsa_system_sgpr_private_segment_wavefront_offset 0
		.amdhsa_system_sgpr_workgroup_id_x 1
		.amdhsa_system_sgpr_workgroup_id_y 1
		.amdhsa_system_sgpr_workgroup_id_z 1
		.amdhsa_system_sgpr_workgroup_info 0
		.amdhsa_system_vgpr_workitem_id 0
		.amdhsa_next_free_vgpr 50
		.amdhsa_next_free_sgpr 96
		.amdhsa_reserve_vcc 1
		.amdhsa_reserve_flat_scratch 0
		.amdhsa_float_round_mode_32 0
		.amdhsa_float_round_mode_16_64 0
		.amdhsa_float_denorm_mode_32 3
		.amdhsa_float_denorm_mode_16_64 3
		.amdhsa_dx10_clamp 1
		.amdhsa_ieee_mode 1
		.amdhsa_fp16_overflow 0
		.amdhsa_exception_fp_ieee_invalid_op 0
		.amdhsa_exception_fp_denorm_src 0
		.amdhsa_exception_fp_ieee_div_zero 0
		.amdhsa_exception_fp_ieee_overflow 0
		.amdhsa_exception_fp_ieee_underflow 0
		.amdhsa_exception_fp_ieee_inexact 0
		.amdhsa_exception_int_div_zero 0
	.end_amdhsa_kernel
	.section	.text._ZN2at6native6sbtopk10gatherTopKIfmLi3ELb0EEEvNS_4cuda6detail10TensorInfoIKT_T0_EES8_S8_bS8_S8_NS5_IS6_S8_EES8_NS5_IlS8_EES8_PS6_,"axG",@progbits,_ZN2at6native6sbtopk10gatherTopKIfmLi3ELb0EEEvNS_4cuda6detail10TensorInfoIKT_T0_EES8_S8_bS8_S8_NS5_IS6_S8_EES8_NS5_IlS8_EES8_PS6_,comdat
.Lfunc_end198:
	.size	_ZN2at6native6sbtopk10gatherTopKIfmLi3ELb0EEEvNS_4cuda6detail10TensorInfoIKT_T0_EES8_S8_bS8_S8_NS5_IS6_S8_EES8_NS5_IlS8_EES8_PS6_, .Lfunc_end198-_ZN2at6native6sbtopk10gatherTopKIfmLi3ELb0EEEvNS_4cuda6detail10TensorInfoIKT_T0_EES8_S8_bS8_S8_NS5_IS6_S8_EES8_NS5_IlS8_EES8_PS6_
                                        ; -- End function
	.set _ZN2at6native6sbtopk10gatherTopKIfmLi3ELb0EEEvNS_4cuda6detail10TensorInfoIKT_T0_EES8_S8_bS8_S8_NS5_IS6_S8_EES8_NS5_IlS8_EES8_PS6_.num_vgpr, 50
	.set _ZN2at6native6sbtopk10gatherTopKIfmLi3ELb0EEEvNS_4cuda6detail10TensorInfoIKT_T0_EES8_S8_bS8_S8_NS5_IS6_S8_EES8_NS5_IlS8_EES8_PS6_.num_agpr, 0
	.set _ZN2at6native6sbtopk10gatherTopKIfmLi3ELb0EEEvNS_4cuda6detail10TensorInfoIKT_T0_EES8_S8_bS8_S8_NS5_IS6_S8_EES8_NS5_IlS8_EES8_PS6_.numbered_sgpr, 96
	.set _ZN2at6native6sbtopk10gatherTopKIfmLi3ELb0EEEvNS_4cuda6detail10TensorInfoIKT_T0_EES8_S8_bS8_S8_NS5_IS6_S8_EES8_NS5_IlS8_EES8_PS6_.num_named_barrier, 0
	.set _ZN2at6native6sbtopk10gatherTopKIfmLi3ELb0EEEvNS_4cuda6detail10TensorInfoIKT_T0_EES8_S8_bS8_S8_NS5_IS6_S8_EES8_NS5_IlS8_EES8_PS6_.private_seg_size, 0
	.set _ZN2at6native6sbtopk10gatherTopKIfmLi3ELb0EEEvNS_4cuda6detail10TensorInfoIKT_T0_EES8_S8_bS8_S8_NS5_IS6_S8_EES8_NS5_IlS8_EES8_PS6_.uses_vcc, 1
	.set _ZN2at6native6sbtopk10gatherTopKIfmLi3ELb0EEEvNS_4cuda6detail10TensorInfoIKT_T0_EES8_S8_bS8_S8_NS5_IS6_S8_EES8_NS5_IlS8_EES8_PS6_.uses_flat_scratch, 0
	.set _ZN2at6native6sbtopk10gatherTopKIfmLi3ELb0EEEvNS_4cuda6detail10TensorInfoIKT_T0_EES8_S8_bS8_S8_NS5_IS6_S8_EES8_NS5_IlS8_EES8_PS6_.has_dyn_sized_stack, 0
	.set _ZN2at6native6sbtopk10gatherTopKIfmLi3ELb0EEEvNS_4cuda6detail10TensorInfoIKT_T0_EES8_S8_bS8_S8_NS5_IS6_S8_EES8_NS5_IlS8_EES8_PS6_.has_recursion, 0
	.set _ZN2at6native6sbtopk10gatherTopKIfmLi3ELb0EEEvNS_4cuda6detail10TensorInfoIKT_T0_EES8_S8_bS8_S8_NS5_IS6_S8_EES8_NS5_IlS8_EES8_PS6_.has_indirect_call, 0
	.section	.AMDGPU.csdata,"",@progbits
; Kernel info:
; codeLenInByte = 27236
; TotalNumSgprs: 100
; NumVgprs: 50
; ScratchSize: 0
; MemoryBound: 0
; FloatMode: 240
; IeeeMode: 1
; LDSByteSize: 5152 bytes/workgroup (compile time only)
; SGPRBlocks: 12
; VGPRBlocks: 12
; NumSGPRsForWavesPerEU: 100
; NumVGPRsForWavesPerEU: 50
; Occupancy: 4
; WaveLimiterHint : 1
; COMPUTE_PGM_RSRC2:SCRATCH_EN: 0
; COMPUTE_PGM_RSRC2:USER_SGPR: 6
; COMPUTE_PGM_RSRC2:TRAP_HANDLER: 0
; COMPUTE_PGM_RSRC2:TGID_X_EN: 1
; COMPUTE_PGM_RSRC2:TGID_Y_EN: 1
; COMPUTE_PGM_RSRC2:TGID_Z_EN: 1
; COMPUTE_PGM_RSRC2:TIDIG_COMP_CNT: 0
	.section	.text._ZN2at6native6mbtopk23computeBlockDigitCountsIfmjLin1EEEvNS_4cuda6detail10TensorInfoIKT_T0_EEjPjjS8_iijT1_PSB_Ps,"axG",@progbits,_ZN2at6native6mbtopk23computeBlockDigitCountsIfmjLin1EEEvNS_4cuda6detail10TensorInfoIKT_T0_EEjPjjS8_iijT1_PSB_Ps,comdat
	.protected	_ZN2at6native6mbtopk23computeBlockDigitCountsIfmjLin1EEEvNS_4cuda6detail10TensorInfoIKT_T0_EEjPjjS8_iijT1_PSB_Ps ; -- Begin function _ZN2at6native6mbtopk23computeBlockDigitCountsIfmjLin1EEEvNS_4cuda6detail10TensorInfoIKT_T0_EEjPjjS8_iijT1_PSB_Ps
	.globl	_ZN2at6native6mbtopk23computeBlockDigitCountsIfmjLin1EEEvNS_4cuda6detail10TensorInfoIKT_T0_EEjPjjS8_iijT1_PSB_Ps
	.p2align	8
	.type	_ZN2at6native6mbtopk23computeBlockDigitCountsIfmjLin1EEEvNS_4cuda6detail10TensorInfoIKT_T0_EEjPjjS8_iijT1_PSB_Ps,@function
_ZN2at6native6mbtopk23computeBlockDigitCountsIfmjLin1EEEvNS_4cuda6detail10TensorInfoIKT_T0_EEjPjjS8_iijT1_PSB_Ps: ; @_ZN2at6native6mbtopk23computeBlockDigitCountsIfmjLin1EEEvNS_4cuda6detail10TensorInfoIKT_T0_EEjPjjS8_iijT1_PSB_Ps
; %bb.0:
	s_load_dwordx4 s[0:3], s[4:5], 0x1c0
	s_load_dword s9, s[4:5], 0x1b0
	s_load_dwordx2 s[10:11], s[4:5], 0x1e0
	s_mov_b32 s13, 0
	s_waitcnt lgkmcnt(0)
	v_cvt_f32_u32_e32 v1, s2
	s_mul_i32 s8, s11, s8
	s_add_i32 s7, s8, s7
	v_rcp_iflag_f32_e32 v1, v1
	s_mul_i32 s24, s7, s10
	s_sub_i32 s11, 0, s2
	s_add_i32 s24, s24, s6
	v_mul_f32_e32 v1, 0x4f7ffffe, v1
	v_cvt_u32_f32_e32 v1, v1
	v_readfirstlane_b32 s6, v1
	s_mul_i32 s11, s11, s6
	s_mul_hi_u32 s7, s6, s11
	s_add_i32 s6, s6, s7
	s_mul_hi_u32 s6, s24, s6
	s_mul_i32 s7, s6, s2
	s_sub_i32 s7, s24, s7
	s_add_i32 s8, s6, 1
	s_sub_i32 s10, s7, s2
	s_cmp_ge_u32 s7, s2
	s_cselect_b32 s6, s8, s6
	s_cselect_b32 s7, s10, s7
	s_add_i32 s8, s6, 1
	s_cmp_ge_u32 s7, s2
	s_cselect_b32 s12, s8, s6
	s_cmp_ge_u32 s12, s9
	s_cbranch_scc1 .LBB199_28
; %bb.1:
	s_load_dwordx4 s[8:11], s[4:5], 0x1d0
	s_load_dword s14, s[4:5], 0x198
	s_lshl_b64 s[6:7], s[12:13], 2
	s_mov_b64 s[20:21], s[12:13]
	s_waitcnt lgkmcnt(0)
	s_add_u32 s8, s8, s6
	s_addc_u32 s9, s9, s7
	s_cmp_lt_i32 s14, 2
	s_mov_b64 s[6:7], 0
	s_cbranch_scc1 .LBB199_7
; %bb.2:
	s_add_i32 s16, s14, -1
	s_mov_b32 s17, 0
	s_add_i32 s13, s14, 1
	s_lshl_b64 s[6:7], s[16:17], 3
	s_add_u32 s6, s4, s6
	s_addc_u32 s7, s5, s7
	s_add_u32 s18, s6, 8
	s_addc_u32 s19, s7, 0
	s_mov_b64 s[6:7], 0
.LBB199_3:                              ; =>This Inner Loop Header: Depth=1
	s_load_dwordx2 s[22:23], s[18:19], 0x0
	s_mov_b64 s[14:15], 0
	s_waitcnt lgkmcnt(0)
	v_mov_b32_e32 v1, s22
	v_mov_b32_e32 v2, s23
	v_cmp_lt_u64_e32 vcc, s[20:21], v[1:2]
	s_cbranch_vccnz .LBB199_5
; %bb.4:                                ;   in Loop: Header=BB199_3 Depth=1
	v_cvt_f32_u32_e32 v1, s22
	s_sub_i32 s14, 0, s22
	v_rcp_iflag_f32_e32 v1, v1
	v_mul_f32_e32 v1, 0x4f7ffffe, v1
	v_cvt_u32_f32_e32 v1, v1
	v_readfirstlane_b32 s15, v1
	s_mul_i32 s14, s14, s15
	s_mul_hi_u32 s14, s15, s14
	s_add_i32 s15, s15, s14
	s_mul_hi_u32 s14, s20, s15
	s_mul_i32 s16, s14, s22
	s_sub_i32 s16, s20, s16
	s_add_i32 s15, s14, 1
	s_sub_i32 s25, s16, s22
	s_cmp_ge_u32 s16, s22
	s_cselect_b32 s14, s15, s14
	s_cselect_b32 s16, s25, s16
	s_add_i32 s15, s14, 1
	s_cmp_ge_u32 s16, s22
	s_cselect_b32 s16, s15, s14
	s_mov_b64 s[14:15], s[16:17]
.LBB199_5:                              ;   in Loop: Header=BB199_3 Depth=1
	s_load_dwordx2 s[26:27], s[18:19], 0xc8
	s_mul_i32 s16, s14, s23
	s_mul_hi_u32 s23, s14, s22
	s_add_i32 s23, s23, s16
	s_mul_i32 s16, s14, s22
	s_sub_u32 s16, s20, s16
	s_subb_u32 s20, s21, s23
	s_waitcnt lgkmcnt(0)
	s_mul_i32 s20, s26, s20
	s_mul_hi_u32 s21, s26, s16
	s_add_i32 s20, s21, s20
	s_mul_i32 s21, s27, s16
	s_add_i32 s20, s20, s21
	s_mul_i32 s16, s26, s16
	s_add_u32 s6, s16, s6
	s_addc_u32 s7, s20, s7
	s_add_i32 s13, s13, -1
	s_add_u32 s18, s18, -8
	s_addc_u32 s19, s19, -1
	s_cmp_gt_u32 s13, 2
	s_cbranch_scc0 .LBB199_8
; %bb.6:                                ;   in Loop: Header=BB199_3 Depth=1
	s_mov_b64 s[20:21], s[14:15]
	s_branch .LBB199_3
.LBB199_7:
	s_mov_b64 s[14:15], s[20:21]
.LBB199_8:
	s_load_dword s13, s[8:9], 0x0
	s_movk_i32 s8, 0x100
	v_cmp_gt_u32_e32 vcc, s8, v0
	v_lshlrev_b32_e32 v1, 2, v0
	s_and_saveexec_b64 s[8:9], vcc
; %bb.9:
	v_mov_b32_e32 v2, 0
	ds_write_b32 v1, v2
; %bb.10:
	s_or_b64 exec, exec, s[8:9]
	s_load_dword s15, s[4:5], 0x1a0
	s_mul_i32 s8, s12, s2
	s_sub_i32 s8, s24, s8
	s_add_i32 s12, s8, 1
	s_mul_i32 s8, s1, s8
	s_lshl_b32 s16, s8, 8
	s_waitcnt lgkmcnt(0)
	s_sub_i32 s8, s15, s16
	s_add_u32 s8, s8, 0xff
	s_addc_u32 s9, 0, 0
	s_lshr_b64 s[8:9], s[8:9], 8
	s_cmp_lt_u32 s12, s2
	s_cselect_b32 s12, s1, s8
	s_cmp_lt_i32 s12, 1
	s_mov_b32 s1, 0
	s_barrier
	s_cbranch_scc1 .LBB199_26
; %bb.11:
	s_load_dwordx2 s[18:19], s[4:5], 0xd0
	s_load_dwordx2 s[8:9], s[4:5], 0x1b8
	;; [unrolled: 1-line block ×3, first 2 shown]
	v_add_u32_e32 v2, s16, v0
	s_waitcnt lgkmcnt(0)
	s_mul_i32 s2, s19, s14
	s_mul_hi_u32 s5, s18, s14
	s_mul_i32 s4, s18, s14
	s_add_i32 s5, s5, s2
	s_lshl_b64 s[4:5], s[4:5], 2
	s_add_u32 s2, s20, s4
	s_addc_u32 s14, s21, s5
	s_lshl_b64 s[4:5], s[6:7], 2
	s_add_u32 s6, s2, s4
	s_addc_u32 s7, s14, s5
	s_and_b32 s2, s0, 0xff
	s_cmp_eq_u32 s12, 1
	s_cbranch_scc1 .LBB199_21
; %bb.12:
	s_and_b32 s14, s12, 0x7ffffffe
	s_mov_b32 s16, 0
	v_mov_b32_e32 v3, 1
	v_bfrev_b32_e32 v4, 1
	v_mov_b32_e32 v5, v2
	s_branch .LBB199_14
.LBB199_13:                             ;   in Loop: Header=BB199_14 Depth=1
	s_or_b64 exec, exec, s[4:5]
	s_add_i32 s16, s16, 2
	s_cmp_eq_u32 s14, s16
	v_add_u32_e32 v5, 0x200, v5
	s_cbranch_scc1 .LBB199_20
.LBB199_14:                             ; =>This Inner Loop Header: Depth=1
	v_cmp_gt_u32_e64 s[0:1], s15, v5
	s_and_saveexec_b64 s[4:5], s[0:1]
	s_cbranch_execz .LBB199_17
; %bb.15:                               ;   in Loop: Header=BB199_14 Depth=1
	v_mad_u64_u32 v[6:7], s[0:1], s8, v5, 0
	v_mad_u64_u32 v[7:8], s[0:1], s9, v5, v[7:8]
	v_mov_b32_e32 v8, s7
	v_lshlrev_b64 v[6:7], 2, v[6:7]
	v_add_co_u32_e64 v6, s[0:1], s6, v6
	v_addc_co_u32_e64 v7, s[0:1], v8, v7, s[0:1]
	global_load_dword v6, v[6:7], off
	s_waitcnt vmcnt(0)
	v_cmp_lt_i32_e64 s[0:1], -1, v6
	v_cndmask_b32_e64 v7, -1, v4, s[0:1]
	v_xor_b32_e32 v7, v7, v6
	v_cmp_o_f32_e64 s[0:1], v6, v6
	v_cndmask_b32_e64 v6, -1, v7, s[0:1]
	v_xor_b32_e32 v7, s13, v6
	v_and_b32_e32 v7, s3, v7
	v_cmp_eq_u32_e64 s[0:1], 0, v7
	s_and_b64 exec, exec, s[0:1]
; %bb.16:                               ;   in Loop: Header=BB199_14 Depth=1
	v_bfe_u32 v6, v6, s2, 8
	v_lshlrev_b32_e32 v6, 2, v6
	ds_add_u32 v6, v3
.LBB199_17:                             ;   in Loop: Header=BB199_14 Depth=1
	s_or_b64 exec, exec, s[4:5]
	v_add_u32_e32 v6, 0x100, v5
	v_cmp_gt_u32_e64 s[0:1], s15, v6
	s_and_saveexec_b64 s[4:5], s[0:1]
	s_cbranch_execz .LBB199_13
; %bb.18:                               ;   in Loop: Header=BB199_14 Depth=1
	v_mad_u64_u32 v[7:8], s[0:1], s8, v6, 0
	v_mad_u64_u32 v[8:9], s[0:1], s9, v6, v[8:9]
	v_mov_b32_e32 v9, s7
	v_lshlrev_b64 v[6:7], 2, v[7:8]
	v_add_co_u32_e64 v6, s[0:1], s6, v6
	v_addc_co_u32_e64 v7, s[0:1], v9, v7, s[0:1]
	global_load_dword v6, v[6:7], off
	s_waitcnt vmcnt(0)
	v_cmp_lt_i32_e64 s[0:1], -1, v6
	v_cndmask_b32_e64 v7, -1, v4, s[0:1]
	v_xor_b32_e32 v7, v7, v6
	v_cmp_o_f32_e64 s[0:1], v6, v6
	v_cndmask_b32_e64 v6, -1, v7, s[0:1]
	v_xor_b32_e32 v7, s13, v6
	v_and_b32_e32 v7, s3, v7
	v_cmp_eq_u32_e64 s[0:1], 0, v7
	s_and_b64 exec, exec, s[0:1]
	s_cbranch_execz .LBB199_13
; %bb.19:                               ;   in Loop: Header=BB199_14 Depth=1
	v_bfe_u32 v6, v6, s2, 8
	v_lshlrev_b32_e32 v6, 2, v6
	ds_add_u32 v6, v3
	s_branch .LBB199_13
.LBB199_20:
	s_lshl_b32 s1, s14, 8
.LBB199_21:
	s_bitcmp0_b32 s12, 0
	s_cbranch_scc1 .LBB199_26
; %bb.22:
	v_add_u32_e32 v2, s1, v2
	v_cmp_gt_u32_e64 s[0:1], s15, v2
	s_and_saveexec_b64 s[4:5], s[0:1]
	s_cbranch_execz .LBB199_25
; %bb.23:
	v_mad_u64_u32 v[3:4], s[0:1], s8, v2, 0
	v_mad_u64_u32 v[4:5], s[0:1], s9, v2, v[4:5]
	v_mov_b32_e32 v5, s7
	v_lshlrev_b64 v[2:3], 2, v[3:4]
	v_add_co_u32_e64 v2, s[0:1], s6, v2
	v_addc_co_u32_e64 v3, s[0:1], v5, v3, s[0:1]
	global_load_dword v2, v[2:3], off
	v_bfrev_b32_e32 v3, 1
	s_waitcnt vmcnt(0)
	v_cmp_lt_i32_e64 s[0:1], -1, v2
	v_cndmask_b32_e64 v3, -1, v3, s[0:1]
	v_xor_b32_e32 v3, v3, v2
	v_cmp_o_f32_e64 s[0:1], v2, v2
	v_cndmask_b32_e64 v2, -1, v3, s[0:1]
	v_xor_b32_e32 v3, s13, v2
	v_and_b32_e32 v3, s3, v3
	v_cmp_eq_u32_e64 s[0:1], 0, v3
	s_and_b64 exec, exec, s[0:1]
; %bb.24:
	v_bfe_u32 v2, v2, s2, 8
	v_lshlrev_b32_e32 v2, 2, v2
	v_mov_b32_e32 v3, 1
	ds_add_u32 v2, v3
.LBB199_25:
	s_or_b64 exec, exec, s[4:5]
.LBB199_26:
	s_waitcnt lgkmcnt(0)
	s_barrier
	s_and_saveexec_b64 s[0:1], vcc
	s_cbranch_execz .LBB199_28
; %bb.27:
	v_lshl_or_b32 v2, s24, 8, v0
	v_mov_b32_e32 v3, 0
	ds_read_b32 v5, v1
	v_lshlrev_b64 v[2:3], 1, v[2:3]
	v_mov_b32_e32 v4, s11
	v_add_co_u32_e32 v0, vcc, s10, v2
	v_addc_co_u32_e32 v1, vcc, v4, v3, vcc
	s_waitcnt lgkmcnt(0)
	global_store_short v[0:1], v5, off
.LBB199_28:
	s_endpgm
	.section	.rodata,"a",@progbits
	.p2align	6, 0x0
	.amdhsa_kernel _ZN2at6native6mbtopk23computeBlockDigitCountsIfmjLin1EEEvNS_4cuda6detail10TensorInfoIKT_T0_EEjPjjS8_iijT1_PSB_Ps
		.amdhsa_group_segment_fixed_size 1024
		.amdhsa_private_segment_fixed_size 0
		.amdhsa_kernarg_size 736
		.amdhsa_user_sgpr_count 6
		.amdhsa_user_sgpr_private_segment_buffer 1
		.amdhsa_user_sgpr_dispatch_ptr 0
		.amdhsa_user_sgpr_queue_ptr 0
		.amdhsa_user_sgpr_kernarg_segment_ptr 1
		.amdhsa_user_sgpr_dispatch_id 0
		.amdhsa_user_sgpr_flat_scratch_init 0
		.amdhsa_user_sgpr_private_segment_size 0
		.amdhsa_uses_dynamic_stack 0
		.amdhsa_system_sgpr_private_segment_wavefront_offset 0
		.amdhsa_system_sgpr_workgroup_id_x 1
		.amdhsa_system_sgpr_workgroup_id_y 1
		.amdhsa_system_sgpr_workgroup_id_z 1
		.amdhsa_system_sgpr_workgroup_info 0
		.amdhsa_system_vgpr_workitem_id 0
		.amdhsa_next_free_vgpr 10
		.amdhsa_next_free_sgpr 28
		.amdhsa_reserve_vcc 1
		.amdhsa_reserve_flat_scratch 0
		.amdhsa_float_round_mode_32 0
		.amdhsa_float_round_mode_16_64 0
		.amdhsa_float_denorm_mode_32 3
		.amdhsa_float_denorm_mode_16_64 3
		.amdhsa_dx10_clamp 1
		.amdhsa_ieee_mode 1
		.amdhsa_fp16_overflow 0
		.amdhsa_exception_fp_ieee_invalid_op 0
		.amdhsa_exception_fp_denorm_src 0
		.amdhsa_exception_fp_ieee_div_zero 0
		.amdhsa_exception_fp_ieee_overflow 0
		.amdhsa_exception_fp_ieee_underflow 0
		.amdhsa_exception_fp_ieee_inexact 0
		.amdhsa_exception_int_div_zero 0
	.end_amdhsa_kernel
	.section	.text._ZN2at6native6mbtopk23computeBlockDigitCountsIfmjLin1EEEvNS_4cuda6detail10TensorInfoIKT_T0_EEjPjjS8_iijT1_PSB_Ps,"axG",@progbits,_ZN2at6native6mbtopk23computeBlockDigitCountsIfmjLin1EEEvNS_4cuda6detail10TensorInfoIKT_T0_EEjPjjS8_iijT1_PSB_Ps,comdat
.Lfunc_end199:
	.size	_ZN2at6native6mbtopk23computeBlockDigitCountsIfmjLin1EEEvNS_4cuda6detail10TensorInfoIKT_T0_EEjPjjS8_iijT1_PSB_Ps, .Lfunc_end199-_ZN2at6native6mbtopk23computeBlockDigitCountsIfmjLin1EEEvNS_4cuda6detail10TensorInfoIKT_T0_EEjPjjS8_iijT1_PSB_Ps
                                        ; -- End function
	.set _ZN2at6native6mbtopk23computeBlockDigitCountsIfmjLin1EEEvNS_4cuda6detail10TensorInfoIKT_T0_EEjPjjS8_iijT1_PSB_Ps.num_vgpr, 10
	.set _ZN2at6native6mbtopk23computeBlockDigitCountsIfmjLin1EEEvNS_4cuda6detail10TensorInfoIKT_T0_EEjPjjS8_iijT1_PSB_Ps.num_agpr, 0
	.set _ZN2at6native6mbtopk23computeBlockDigitCountsIfmjLin1EEEvNS_4cuda6detail10TensorInfoIKT_T0_EEjPjjS8_iijT1_PSB_Ps.numbered_sgpr, 28
	.set _ZN2at6native6mbtopk23computeBlockDigitCountsIfmjLin1EEEvNS_4cuda6detail10TensorInfoIKT_T0_EEjPjjS8_iijT1_PSB_Ps.num_named_barrier, 0
	.set _ZN2at6native6mbtopk23computeBlockDigitCountsIfmjLin1EEEvNS_4cuda6detail10TensorInfoIKT_T0_EEjPjjS8_iijT1_PSB_Ps.private_seg_size, 0
	.set _ZN2at6native6mbtopk23computeBlockDigitCountsIfmjLin1EEEvNS_4cuda6detail10TensorInfoIKT_T0_EEjPjjS8_iijT1_PSB_Ps.uses_vcc, 1
	.set _ZN2at6native6mbtopk23computeBlockDigitCountsIfmjLin1EEEvNS_4cuda6detail10TensorInfoIKT_T0_EEjPjjS8_iijT1_PSB_Ps.uses_flat_scratch, 0
	.set _ZN2at6native6mbtopk23computeBlockDigitCountsIfmjLin1EEEvNS_4cuda6detail10TensorInfoIKT_T0_EEjPjjS8_iijT1_PSB_Ps.has_dyn_sized_stack, 0
	.set _ZN2at6native6mbtopk23computeBlockDigitCountsIfmjLin1EEEvNS_4cuda6detail10TensorInfoIKT_T0_EEjPjjS8_iijT1_PSB_Ps.has_recursion, 0
	.set _ZN2at6native6mbtopk23computeBlockDigitCountsIfmjLin1EEEvNS_4cuda6detail10TensorInfoIKT_T0_EEjPjjS8_iijT1_PSB_Ps.has_indirect_call, 0
	.section	.AMDGPU.csdata,"",@progbits
; Kernel info:
; codeLenInByte = 1264
; TotalNumSgprs: 32
; NumVgprs: 10
; ScratchSize: 0
; MemoryBound: 0
; FloatMode: 240
; IeeeMode: 1
; LDSByteSize: 1024 bytes/workgroup (compile time only)
; SGPRBlocks: 3
; VGPRBlocks: 2
; NumSGPRsForWavesPerEU: 32
; NumVGPRsForWavesPerEU: 10
; Occupancy: 10
; WaveLimiterHint : 0
; COMPUTE_PGM_RSRC2:SCRATCH_EN: 0
; COMPUTE_PGM_RSRC2:USER_SGPR: 6
; COMPUTE_PGM_RSRC2:TRAP_HANDLER: 0
; COMPUTE_PGM_RSRC2:TGID_X_EN: 1
; COMPUTE_PGM_RSRC2:TGID_Y_EN: 1
; COMPUTE_PGM_RSRC2:TGID_Z_EN: 1
; COMPUTE_PGM_RSRC2:TIDIG_COMP_CNT: 0
	.section	.text._ZN2at6native6mbtopk10gatherTopKIfmLin1EEEvNS_4cuda6detail10TensorInfoIKT_T0_EES8_S8_bjS8_NS5_IS6_S8_EES8_NS5_IlS8_EES8_jjPS6_PjSD_j,"axG",@progbits,_ZN2at6native6mbtopk10gatherTopKIfmLin1EEEvNS_4cuda6detail10TensorInfoIKT_T0_EES8_S8_bjS8_NS5_IS6_S8_EES8_NS5_IlS8_EES8_jjPS6_PjSD_j,comdat
	.protected	_ZN2at6native6mbtopk10gatherTopKIfmLin1EEEvNS_4cuda6detail10TensorInfoIKT_T0_EES8_S8_bjS8_NS5_IS6_S8_EES8_NS5_IlS8_EES8_jjPS6_PjSD_j ; -- Begin function _ZN2at6native6mbtopk10gatherTopKIfmLin1EEEvNS_4cuda6detail10TensorInfoIKT_T0_EES8_S8_bjS8_NS5_IS6_S8_EES8_NS5_IlS8_EES8_jjPS6_PjSD_j
	.globl	_ZN2at6native6mbtopk10gatherTopKIfmLin1EEEvNS_4cuda6detail10TensorInfoIKT_T0_EES8_S8_bjS8_NS5_IS6_S8_EES8_NS5_IlS8_EES8_jjPS6_PjSD_j
	.p2align	8
	.type	_ZN2at6native6mbtopk10gatherTopKIfmLin1EEEvNS_4cuda6detail10TensorInfoIKT_T0_EES8_S8_bjS8_NS5_IS6_S8_EES8_NS5_IlS8_EES8_jjPS6_PjSD_j,@function
_ZN2at6native6mbtopk10gatherTopKIfmLin1EEEvNS_4cuda6detail10TensorInfoIKT_T0_EES8_S8_bjS8_NS5_IS6_S8_EES8_NS5_IlS8_EES8_jjPS6_PjSD_j: ; @_ZN2at6native6mbtopk10gatherTopKIfmLin1EEEvNS_4cuda6detail10TensorInfoIKT_T0_EES8_S8_bjS8_NS5_IS6_S8_EES8_NS5_IlS8_EES8_jjPS6_PjSD_j
; %bb.0:
	s_load_dwordx2 s[0:1], s[4:5], 0x538
	s_load_dword s3, s[4:5], 0x530
	s_waitcnt lgkmcnt(0)
	s_mul_i32 s1, s1, s8
	s_add_i32 s1, s1, s7
	s_mul_i32 s2, s1, s0
	s_add_i32 s2, s2, s6
	s_cmp_ge_u32 s2, s3
	s_cbranch_scc1 .LBB200_61
; %bb.1:
	s_load_dwordx2 s[20:21], s[4:5], 0x510
	s_load_dwordx4 s[8:11], s[4:5], 0x1a0
	s_mov_b32 s1, 0
	s_waitcnt lgkmcnt(0)
	v_cvt_f32_u32_e32 v1, s21
	s_sub_i32 s0, 0, s21
	s_lshl_b32 s3, s20, 8
	v_rcp_iflag_f32_e32 v1, v1
	v_mul_f32_e32 v1, 0x4f7ffffe, v1
	v_cvt_u32_f32_e32 v1, v1
	v_readfirstlane_b32 s6, v1
	s_mul_i32 s0, s0, s6
	s_mul_hi_u32 s0, s6, s0
	s_add_i32 s6, s6, s0
	s_mul_hi_u32 s0, s2, s6
	s_mul_i32 s6, s0, s21
	s_sub_i32 s6, s2, s6
	s_add_i32 s7, s0, 1
	s_sub_i32 s12, s6, s21
	s_cmp_ge_u32 s6, s21
	s_cselect_b32 s0, s7, s0
	s_cselect_b32 s6, s12, s6
	s_add_i32 s7, s0, 1
	s_cmp_ge_u32 s6, s21
	s_cselect_b32 s0, s7, s0
	s_mul_i32 s6, s0, s21
	s_sub_i32 s54, s2, s6
	s_add_i32 s2, s54, 1
	s_cmp_lt_u32 s2, s21
	s_mul_i32 s33, s54, s3
	s_cbranch_scc1 .LBB200_3
; %bb.2:
	s_sub_u32 s2, s8, s33
	s_subb_u32 s3, s9, 0
	s_add_u32 s2, s2, 0xff
	s_addc_u32 s3, s3, 0
	s_ashr_i32 s7, s3, 31
	s_lshr_b32 s7, s7, 24
	s_add_u32 s2, s2, s7
	s_addc_u32 s3, s3, 0
	s_lshr_b64 s[2:3], s[2:3], 8
	s_mov_b32 s20, s2
.LBB200_3:
	s_load_dword s2, s[4:5], 0x198
	s_mov_b64 s[22:23], 0
	s_mov_b64 s[24:25], s[0:1]
	s_waitcnt lgkmcnt(0)
	s_cmp_lt_i32 s2, 2
	s_cbranch_scc1 .LBB200_9
; %bb.4:
	s_add_i32 s7, s2, 1
	s_add_i32 s2, s2, -1
	s_mov_b32 s3, 0
	s_lshl_b64 s[12:13], s[2:3], 3
	s_add_u32 s2, s4, s12
	s_addc_u32 s13, s5, s13
	s_add_u32 s12, s2, 8
	s_addc_u32 s13, s13, 0
	s_mov_b64 s[14:15], s[0:1]
.LBB200_5:                              ; =>This Inner Loop Header: Depth=1
	s_load_dwordx2 s[16:17], s[12:13], 0x0
	s_mov_b64 s[24:25], 0
	s_waitcnt lgkmcnt(0)
	v_mov_b32_e32 v1, s16
	v_mov_b32_e32 v2, s17
	v_cmp_lt_u64_e32 vcc, s[14:15], v[1:2]
	s_cbranch_vccnz .LBB200_7
; %bb.6:                                ;   in Loop: Header=BB200_5 Depth=1
	v_cvt_f32_u32_e32 v1, s16
	s_sub_i32 s2, 0, s16
	v_rcp_iflag_f32_e32 v1, v1
	v_mul_f32_e32 v1, 0x4f7ffffe, v1
	v_cvt_u32_f32_e32 v1, v1
	v_readfirstlane_b32 s18, v1
	s_mul_i32 s2, s2, s18
	s_mul_hi_u32 s2, s18, s2
	s_add_i32 s18, s18, s2
	s_mul_hi_u32 s2, s14, s18
	s_mul_i32 s19, s2, s16
	s_sub_i32 s19, s14, s19
	s_add_i32 s18, s2, 1
	s_sub_i32 s24, s19, s16
	s_cmp_ge_u32 s19, s16
	s_cselect_b32 s2, s18, s2
	s_cselect_b32 s19, s24, s19
	s_add_i32 s18, s2, 1
	s_cmp_ge_u32 s19, s16
	s_cselect_b32 s2, s18, s2
	s_mov_b64 s[24:25], s[2:3]
.LBB200_7:                              ;   in Loop: Header=BB200_5 Depth=1
	s_load_dwordx2 s[18:19], s[12:13], 0xc8
	s_mul_i32 s2, s24, s17
	s_mul_hi_u32 s17, s24, s16
	s_add_i32 s17, s17, s2
	s_mul_i32 s2, s24, s16
	s_sub_u32 s2, s14, s2
	s_subb_u32 s14, s15, s17
	s_waitcnt lgkmcnt(0)
	s_mul_i32 s14, s18, s14
	s_mul_hi_u32 s15, s18, s2
	s_add_i32 s14, s15, s14
	s_mul_i32 s15, s19, s2
	s_add_i32 s14, s14, s15
	s_mul_i32 s2, s18, s2
	s_add_u32 s22, s2, s22
	s_addc_u32 s23, s14, s23
	s_add_i32 s7, s7, -1
	s_add_u32 s12, s12, -8
	s_addc_u32 s13, s13, -1
	s_cmp_gt_u32 s7, 2
	s_cbranch_scc0 .LBB200_9
; %bb.8:                                ;   in Loop: Header=BB200_5 Depth=1
	s_mov_b64 s[14:15], s[24:25]
	s_branch .LBB200_5
.LBB200_9:
	s_load_dword s12, s[4:5], 0x358
	s_load_dwordx2 s[28:29], s[4:5], 0xd0
	s_add_u32 s2, s4, 0x1c0
	s_addc_u32 s3, s5, 0
	s_mov_b64 s[26:27], 0
	s_waitcnt lgkmcnt(0)
	s_cmp_lt_i32 s12, 2
	s_mov_b64 s[30:31], s[0:1]
	s_cbranch_scc1 .LBB200_15
; %bb.10:
	s_add_i32 s7, s12, 1
	s_add_i32 s12, s12, -1
	s_mov_b32 s13, 0
	s_lshl_b64 s[14:15], s[12:13], 3
	s_add_u32 s12, s2, s14
	s_addc_u32 s15, s3, s15
	s_add_u32 s14, s12, 8
	s_addc_u32 s15, s15, 0
	s_mov_b64 s[16:17], s[0:1]
.LBB200_11:                             ; =>This Inner Loop Header: Depth=1
	s_load_dwordx2 s[18:19], s[14:15], 0x0
	s_mov_b64 s[30:31], 0
	s_waitcnt lgkmcnt(0)
	v_mov_b32_e32 v1, s18
	v_mov_b32_e32 v2, s19
	v_cmp_lt_u64_e32 vcc, s[16:17], v[1:2]
	s_cbranch_vccnz .LBB200_13
; %bb.12:                               ;   in Loop: Header=BB200_11 Depth=1
	v_cvt_f32_u32_e32 v1, s18
	s_sub_i32 s12, 0, s18
	v_rcp_iflag_f32_e32 v1, v1
	v_mul_f32_e32 v1, 0x4f7ffffe, v1
	v_cvt_u32_f32_e32 v1, v1
	v_readfirstlane_b32 s25, v1
	s_mul_i32 s12, s12, s25
	s_mul_hi_u32 s12, s25, s12
	s_add_i32 s25, s25, s12
	s_mul_hi_u32 s12, s16, s25
	s_mul_i32 s30, s12, s18
	s_sub_i32 s30, s16, s30
	s_add_i32 s25, s12, 1
	s_sub_i32 s31, s30, s18
	s_cmp_ge_u32 s30, s18
	s_cselect_b32 s12, s25, s12
	s_cselect_b32 s30, s31, s30
	s_add_i32 s25, s12, 1
	s_cmp_ge_u32 s30, s18
	s_cselect_b32 s12, s25, s12
	s_mov_b64 s[30:31], s[12:13]
.LBB200_13:                             ;   in Loop: Header=BB200_11 Depth=1
	s_load_dwordx2 s[34:35], s[14:15], 0xc8
	s_mul_i32 s12, s30, s19
	s_mul_hi_u32 s19, s30, s18
	s_add_i32 s19, s19, s12
	s_mul_i32 s12, s30, s18
	s_sub_u32 s12, s16, s12
	s_subb_u32 s16, s17, s19
	s_waitcnt lgkmcnt(0)
	s_mul_i32 s16, s34, s16
	s_mul_hi_u32 s17, s34, s12
	s_add_i32 s16, s17, s16
	s_mul_i32 s17, s35, s12
	s_add_i32 s16, s16, s17
	s_mul_i32 s12, s34, s12
	s_add_u32 s26, s12, s26
	s_addc_u32 s27, s16, s27
	s_add_i32 s7, s7, -1
	s_add_u32 s14, s14, -8
	s_addc_u32 s15, s15, -1
	s_cmp_gt_u32 s7, 2
	s_cbranch_scc0 .LBB200_15
; %bb.14:                               ;   in Loop: Header=BB200_11 Depth=1
	s_mov_b64 s[16:17], s[30:31]
	s_branch .LBB200_11
.LBB200_15:
	s_load_dword s14, s[4:5], 0x500
	s_load_dwordx2 s[36:37], s[2:3], 0xd0
	s_add_u32 s12, s4, 0x368
	s_addc_u32 s13, s5, 0
	s_mov_b64 s[34:35], 0
	s_waitcnt lgkmcnt(0)
	s_cmp_lt_i32 s14, 2
	s_cbranch_scc1 .LBB200_21
; %bb.16:
	s_add_i32 s2, s14, -1
	s_mov_b32 s3, 0
	s_add_i32 s7, s14, 1
	s_lshl_b64 s[14:15], s[2:3], 3
	s_add_u32 s2, s12, s14
	s_addc_u32 s13, s13, s15
	s_add_u32 s12, s2, 8
	s_addc_u32 s13, s13, 0
	s_mov_b64 s[14:15], s[0:1]
.LBB200_17:                             ; =>This Inner Loop Header: Depth=1
	s_load_dwordx2 s[16:17], s[12:13], 0x0
	s_mov_b64 s[38:39], 0
	s_waitcnt lgkmcnt(0)
	v_mov_b32_e32 v1, s16
	v_mov_b32_e32 v2, s17
	v_cmp_lt_u64_e32 vcc, s[14:15], v[1:2]
	s_cbranch_vccnz .LBB200_19
; %bb.18:                               ;   in Loop: Header=BB200_17 Depth=1
	v_cvt_f32_u32_e32 v1, s16
	s_sub_i32 s2, 0, s16
	v_rcp_iflag_f32_e32 v1, v1
	v_mul_f32_e32 v1, 0x4f7ffffe, v1
	v_cvt_u32_f32_e32 v1, v1
	v_readfirstlane_b32 s18, v1
	s_mul_i32 s2, s2, s18
	s_mul_hi_u32 s2, s18, s2
	s_add_i32 s18, s18, s2
	s_mul_hi_u32 s2, s14, s18
	s_mul_i32 s19, s2, s16
	s_sub_i32 s19, s14, s19
	s_add_i32 s18, s2, 1
	s_sub_i32 s25, s19, s16
	s_cmp_ge_u32 s19, s16
	s_cselect_b32 s2, s18, s2
	s_cselect_b32 s19, s25, s19
	s_add_i32 s18, s2, 1
	s_cmp_ge_u32 s19, s16
	s_cselect_b32 s2, s18, s2
	s_mov_b64 s[38:39], s[2:3]
.LBB200_19:                             ;   in Loop: Header=BB200_17 Depth=1
	s_load_dwordx2 s[18:19], s[12:13], 0xc8
	s_mul_i32 s2, s38, s17
	s_mul_hi_u32 s17, s38, s16
	s_add_i32 s17, s17, s2
	s_mul_i32 s2, s38, s16
	s_sub_u32 s2, s14, s2
	s_subb_u32 s14, s15, s17
	s_waitcnt lgkmcnt(0)
	s_mul_i32 s14, s18, s14
	s_mul_hi_u32 s15, s18, s2
	s_add_i32 s14, s15, s14
	s_mul_i32 s15, s19, s2
	s_add_i32 s14, s14, s15
	s_mul_i32 s2, s18, s2
	s_add_u32 s34, s2, s34
	s_addc_u32 s35, s14, s35
	s_add_i32 s7, s7, -1
	s_add_u32 s12, s12, -8
	s_addc_u32 s13, s13, -1
	s_cmp_gt_u32 s7, 2
	s_cbranch_scc0 .LBB200_22
; %bb.20:                               ;   in Loop: Header=BB200_17 Depth=1
	s_mov_b64 s[14:15], s[38:39]
	s_branch .LBB200_17
.LBB200_21:
	s_mov_b64 s[38:39], s[0:1]
.LBB200_22:
	s_load_dwordx4 s[12:15], s[4:5], 0x518
	s_load_dwordx2 s[46:47], s[4:5], 0x438
	s_load_dwordx2 s[44:45], s[4:5], 0x0
	;; [unrolled: 1-line block ×4, first 2 shown]
	s_lshl_b64 s[0:1], s[0:1], 2
	s_waitcnt lgkmcnt(0)
	s_add_u32 s0, s12, s0
	s_addc_u32 s1, s13, s1
	s_load_dword s31, s[0:1], 0x0
	s_mov_b32 s7, 0
	v_cmp_ne_u32_e64 s[0:1], 0, v0
	v_cmp_eq_u32_e64 s[2:3], 0, v0
	s_and_saveexec_b64 s[12:13], s[2:3]
	s_cbranch_execz .LBB200_38
; %bb.23:
	s_load_dwordx2 s[48:49], s[4:5], 0x528
	s_lshl_b64 s[50:51], s[6:7], 2
	s_add_u32 s16, s14, s50
	s_addc_u32 s17, s15, s51
	s_mov_b32 s6, 0
	s_waitcnt lgkmcnt(0)
	s_add_u32 s18, s48, s50
	s_addc_u32 s19, s49, s51
	s_mov_b32 s25, 0
	s_cmp_lt_u32 s21, 4
	s_cbranch_scc1 .LBB200_35
; %bb.24:
	s_mov_b32 s39, 0
.LBB200_25:                             ; =>This Inner Loop Header: Depth=1
	s_add_u32 s52, s14, s50
	s_addc_u32 s53, s15, s51
	s_load_dwordx4 s[16:19], s[52:53], 0x0
	s_add_u32 s52, s48, s50
	s_addc_u32 s53, s49, s51
	s_cmp_ge_u32 s39, s54
	s_cbranch_scc0 .LBB200_32
; %bb.26:                               ;   in Loop: Header=BB200_25 Depth=1
	s_add_i32 s55, s39, 1
	s_cmp_ge_u32 s55, s54
	s_cbranch_scc0 .LBB200_33
.LBB200_27:                             ;   in Loop: Header=BB200_25 Depth=1
	s_add_i32 s55, s55, 1
	s_cmp_ge_u32 s55, s54
	s_cbranch_scc0 .LBB200_34
.LBB200_28:                             ;   in Loop: Header=BB200_25 Depth=1
	s_add_i32 s55, s55, 1
	s_cmp_ge_u32 s55, s54
	s_cbranch_scc1 .LBB200_30
.LBB200_29:                             ;   in Loop: Header=BB200_25 Depth=1
	s_load_dword s52, s[52:53], 0xc
	s_waitcnt lgkmcnt(0)
	s_add_i32 s7, s7, s19
	s_add_i32 s6, s52, s6
.LBB200_30:                             ;   in Loop: Header=BB200_25 Depth=1
	s_waitcnt lgkmcnt(0)
	s_add_i32 s16, s16, s25
	s_add_i32 s16, s16, s17
	s_add_i32 s16, s16, s18
	s_add_i32 s25, s16, s19
	s_add_u32 s14, s14, 16
	s_addc_u32 s15, s15, 0
	s_add_u32 s48, s48, 16
	s_addc_u32 s49, s49, 0
	s_add_i32 s53, s55, 4
	s_add_u32 s18, s48, s50
	s_addc_u32 s19, s49, s51
	s_add_u32 s16, s14, s50
	s_addc_u32 s17, s15, s51
	s_add_i32 s52, s55, 1
	s_cmp_ge_u32 s53, s21
	s_cbranch_scc1 .LBB200_36
; %bb.31:                               ;   in Loop: Header=BB200_25 Depth=1
	s_mov_b32 s39, s52
	s_branch .LBB200_25
.LBB200_32:                             ;   in Loop: Header=BB200_25 Depth=1
	s_load_dword s55, s[52:53], 0x0
	s_waitcnt lgkmcnt(0)
	s_add_i32 s7, s16, s7
	s_add_i32 s6, s55, s6
	;; [unrolled: 1-line block ×3, first 2 shown]
	s_cmp_ge_u32 s55, s54
	s_cbranch_scc1 .LBB200_27
.LBB200_33:                             ;   in Loop: Header=BB200_25 Depth=1
	s_load_dword s56, s[52:53], 0x4
	s_waitcnt lgkmcnt(0)
	s_add_i32 s7, s7, s17
	s_add_i32 s6, s56, s6
	;; [unrolled: 1-line block ×3, first 2 shown]
	s_cmp_ge_u32 s55, s54
	s_cbranch_scc1 .LBB200_28
.LBB200_34:                             ;   in Loop: Header=BB200_25 Depth=1
	s_load_dword s56, s[52:53], 0x8
	s_waitcnt lgkmcnt(0)
	s_add_i32 s7, s7, s18
	s_add_i32 s6, s56, s6
	;; [unrolled: 1-line block ×3, first 2 shown]
	s_cmp_ge_u32 s55, s54
	s_cbranch_scc0 .LBB200_29
	s_branch .LBB200_30
.LBB200_35:
	s_mov_b32 s14, 0
	s_cmp_ge_u32 s14, s21
	s_cbranch_scc0 .LBB200_59
	s_branch .LBB200_37
.LBB200_36:
	s_add_i32 s14, s39, 4
	s_cmp_ge_u32 s14, s21
	s_cbranch_scc0 .LBB200_59
.LBB200_37:
	v_mov_b32_e32 v1, s6
	v_mov_b32_e32 v2, s25
	;; [unrolled: 1-line block ×4, first 2 shown]
	ds_write_b96 v4, v[1:3] offset:1056
.LBB200_38:
	s_or_b64 exec, exec, s[12:13]
	s_cmp_eq_u32 s20, 0
	s_waitcnt lgkmcnt(0)
	s_barrier
	s_cbranch_scc1 .LBB200_61
; %bb.39:
	s_mul_i32 s12, s29, s24
	s_mul_hi_u32 s13, s28, s24
	s_mul_i32 s6, s37, s30
	s_mul_hi_u32 s7, s36, s30
	s_add_i32 s13, s13, s12
	s_mul_i32 s12, s28, s24
	s_mul_i32 s14, s47, s38
	s_mul_hi_u32 s15, s46, s38
	s_add_i32 s7, s7, s6
	s_add_i32 s15, s15, s14
	s_lshl_b64 s[12:13], s[12:13], 2
	s_add_u32 s16, s44, s12
	s_addc_u32 s17, s45, s13
	s_lshl_b64 s[12:13], s[22:23], 2
	s_mul_i32 s6, s36, s30
	s_add_u32 s21, s16, s12
	s_addc_u32 s22, s17, s13
	s_lshl_b64 s[6:7], s[6:7], 2
	s_add_u32 s12, s42, s6
	s_addc_u32 s13, s43, s7
	s_lshl_b64 s[6:7], s[26:27], 2
	s_mul_i32 s14, s46, s38
	s_add_u32 s23, s12, s6
	s_addc_u32 s24, s13, s7
	s_lshl_b64 s[6:7], s[14:15], 3
	s_add_u32 s12, s40, s6
	s_addc_u32 s13, s41, s7
	s_lshl_b64 s[6:7], s[34:35], 3
	v_mov_b32_e32 v5, 0
	s_add_u32 s25, s12, s6
	ds_read_b96 v[1:3], v5 offset:1056
	s_addc_u32 s26, s13, s7
	s_cmp_gt_i32 s31, -1
	s_cselect_b32 s12, 0x80000000, -1
	v_cmp_o_f32_e64 s[6:7], s31, s31
	s_xor_b32 s12, s12, s31
	s_and_b64 s[6:7], s[6:7], exec
	s_waitcnt lgkmcnt(0)
	v_add_u32_e32 v1, v1, v2
	v_lshrrev_b32_e32 v2, 3, v0
	s_load_dword s6, s[4:5], 0x1b0
	v_and_b32_e32 v2, 28, v2
	s_cselect_b32 s27, s12, -1
	s_load_dwordx2 s[12:13], s[4:5], 0x1b8
	s_load_dwordx2 s[14:15], s[4:5], 0x360
	;; [unrolled: 1-line block ×3, first 2 shown]
	v_lshl_add_u32 v8, v0, 2, v2
	v_lshrrev_b32_e32 v2, 1, v0
	v_and_b32_e32 v9, 0x7c, v2
	v_add_u32_e32 v2, -1, v0
	v_lshrrev_b32_e32 v4, 3, v2
	v_and_b32_e32 v4, 0x1ffffffc, v4
	s_waitcnt lgkmcnt(0)
	s_bitcmp1_b32 s6, 0
	v_lshl_add_u32 v11, v2, 2, v4
	v_mbcnt_lo_u32_b32 v2, -1, 0
	s_cselect_b64 s[4:5], -1, 0
	v_cmp_gt_u32_e64 s[6:7], 64, v0
	v_lshlrev_b32_e32 v10, 4, v0
	v_add_u32_e32 v4, s33, v0
	v_bfrev_b32_e32 v0, 1
	v_mbcnt_hi_u32_b32 v12, -1, v2
                                        ; implicit-def: $vgpr13
	s_branch .LBB200_42
.LBB200_40:                             ;   in Loop: Header=BB200_42 Depth=1
	s_or_b64 exec, exec, s[18:19]
	v_add_u32_e32 v1, v2, v1
.LBB200_41:                             ;   in Loop: Header=BB200_42 Depth=1
	s_add_i32 s20, s20, -1
	v_add_u32_e32 v3, v14, v3
	s_cmp_lg_u32 s20, 0
	v_add_u32_e32 v4, 0x100, v4
	s_cbranch_scc0 .LBB200_61
.LBB200_42:                             ; =>This Inner Loop Header: Depth=1
	v_cmp_gt_u64_e32 vcc, s[8:9], v[4:5]
	v_mov_b32_e32 v2, v5
	v_mov_b32_e32 v6, v5
	s_and_saveexec_b64 s[18:19], vcc
	s_cbranch_execz .LBB200_44
; %bb.43:                               ;   in Loop: Header=BB200_42 Depth=1
	v_mad_u64_u32 v[6:7], s[28:29], s12, v4, 0
	v_mov_b32_e32 v2, v7
	v_mad_u64_u32 v[13:14], s[28:29], s13, v4, v[2:3]
	v_mov_b32_e32 v2, s22
	v_mov_b32_e32 v7, v13
	v_lshlrev_b64 v[6:7], 2, v[6:7]
	v_add_co_u32_e32 v6, vcc, s21, v6
	v_addc_co_u32_e32 v7, vcc, v2, v7, vcc
	global_load_dword v13, v[6:7], off
	s_waitcnt vmcnt(0)
	v_cmp_lt_i32_e32 vcc, -1, v13
	v_cndmask_b32_e32 v2, -1, v0, vcc
	v_xor_b32_e32 v2, v2, v13
	v_cmp_o_f32_e32 vcc, v13, v13
	v_cndmask_b32_e32 v6, -1, v2, vcc
	v_cmp_lt_u32_e32 vcc, s27, v6
	v_cndmask_b32_e64 v2, 0, 1, vcc
	v_cmp_gt_u32_e32 vcc, s27, v6
	v_cndmask_b32_e64 v7, 0, 1, vcc
	v_cndmask_b32_e64 v2, v7, v2, s[4:5]
	v_cmp_eq_u32_e32 vcc, s27, v6
	v_and_b32_e32 v2, 1, v2
	v_cndmask_b32_e64 v6, 0, 1, vcc
.LBB200_44:                             ;   in Loop: Header=BB200_42 Depth=1
	s_or_b64 exec, exec, s[18:19]
	ds_write_b32 v8, v2
	s_waitcnt vmcnt(0) lgkmcnt(0)
	s_barrier
	s_and_saveexec_b64 s[18:19], s[6:7]
	s_cbranch_execz .LBB200_46
; %bb.45:                               ;   in Loop: Header=BB200_42 Depth=1
	v_add_u32_e32 v7, v9, v10
	ds_read2_b32 v[14:15], v7 offset1:1
	ds_read2_b32 v[16:17], v7 offset0:2 offset1:3
	v_and_b32_e32 v18, 15, v12
	v_cmp_ne_u32_e32 vcc, 0, v18
	s_waitcnt lgkmcnt(1)
	v_add_u32_e32 v15, v15, v14
	s_waitcnt lgkmcnt(0)
	v_add3_u32 v15, v15, v16, v17
	v_bfe_i32 v17, v12, 4, 1
	; wave barrier
	s_nop 0
	v_mov_b32_dpp v16, v15 row_shr:1 row_mask:0xf bank_mask:0xf
	v_cndmask_b32_e32 v16, 0, v16, vcc
	v_add_u32_e32 v15, v16, v15
	v_cmp_lt_u32_e32 vcc, 1, v18
	s_nop 0
	v_mov_b32_dpp v16, v15 row_shr:2 row_mask:0xf bank_mask:0xf
	v_cndmask_b32_e32 v16, 0, v16, vcc
	v_add_u32_e32 v15, v15, v16
	v_cmp_lt_u32_e32 vcc, 3, v18
	;; [unrolled: 5-line block ×4, first 2 shown]
	s_nop 0
	v_mov_b32_dpp v16, v15 row_bcast:15 row_mask:0xf bank_mask:0xf
	v_and_b32_e32 v16, v17, v16
	v_add_u32_e32 v15, v15, v16
	v_and_b32_e32 v17, 64, v12
	s_nop 0
	v_mov_b32_dpp v16, v15 row_bcast:31 row_mask:0xf bank_mask:0xf
	v_cndmask_b32_e32 v16, 0, v16, vcc
	v_add_u32_e32 v15, v15, v16
	v_add_u32_e32 v16, -1, v12
	v_cmp_lt_i32_e32 vcc, v16, v17
	v_cndmask_b32_e32 v16, v16, v12, vcc
	v_lshlrev_b32_e32 v16, 2, v16
	ds_bpermute_b32 v15, v16, v15
	s_waitcnt lgkmcnt(0)
	v_add_u32_e32 v14, v15, v14
	v_cndmask_b32_e64 v16, v14, v2, s[2:3]
	ds_write_b32 v7, v16
	; wave barrier
	ds_read2_b32 v[14:15], v7 offset0:1 offset1:2
	ds_read_b32 v17, v7 offset:12
	s_waitcnt lgkmcnt(1)
	v_add_u32_e32 v14, v14, v16
	v_add_u32_e32 v15, v15, v14
	ds_write2_b32 v7, v14, v15 offset0:1 offset1:2
	s_waitcnt lgkmcnt(1)
	v_add_u32_e32 v14, v17, v15
	ds_write_b32 v7, v14 offset:12
.LBB200_46:                             ;   in Loop: Header=BB200_42 Depth=1
	s_or_b64 exec, exec, s[18:19]
	v_mov_b32_e32 v7, 0
	s_waitcnt lgkmcnt(0)
	s_barrier
	s_and_saveexec_b64 s[18:19], s[0:1]
; %bb.47:                               ;   in Loop: Header=BB200_42 Depth=1
	ds_read_b32 v7, v11
; %bb.48:                               ;   in Loop: Header=BB200_42 Depth=1
	s_or_b64 exec, exec, s[18:19]
	ds_read_b32 v14, v5 offset:1048
	v_cmp_ne_u32_e32 vcc, 0, v2
	s_waitcnt lgkmcnt(0)
	s_barrier
	s_and_saveexec_b64 s[18:19], vcc
	s_cbranch_execz .LBB200_50
; %bb.49:                               ;   in Loop: Header=BB200_42 Depth=1
	v_add_u32_e32 v7, v7, v3
	v_mad_u64_u32 v[15:16], s[28:29], s14, v7, 0
	v_mad_u64_u32 v[17:18], s[28:29], s16, v7, 0
	v_mov_b32_e32 v2, v16
	v_mad_u64_u32 v[19:20], s[28:29], s15, v7, v[2:3]
	v_mov_b32_e32 v2, v18
	v_mov_b32_e32 v20, s24
	v_mov_b32_e32 v16, v19
	v_lshlrev_b64 v[15:16], 2, v[15:16]
	v_mad_u64_u32 v[18:19], s[28:29], s17, v7, v[2:3]
	v_add_co_u32_e32 v15, vcc, s23, v15
	v_addc_co_u32_e32 v16, vcc, v20, v16, vcc
	global_store_dword v[15:16], v13, off
	v_lshlrev_b64 v[15:16], 3, v[17:18]
	v_mov_b32_e32 v2, s26
	v_add_co_u32_e32 v15, vcc, s25, v15
	v_addc_co_u32_e32 v16, vcc, v2, v16, vcc
	global_store_dwordx2 v[15:16], v[4:5], off
.LBB200_50:                             ;   in Loop: Header=BB200_42 Depth=1
	s_or_b64 exec, exec, s[18:19]
	v_mov_b32_e32 v2, v5
	v_cmp_le_u64_e32 vcc, s[10:11], v[1:2]
	s_cbranch_vccnz .LBB200_41
; %bb.51:                               ;   in Loop: Header=BB200_42 Depth=1
	ds_write_b32 v8, v6
	s_waitcnt vmcnt(0) lgkmcnt(0)
	s_barrier
	s_and_saveexec_b64 s[18:19], s[6:7]
	s_cbranch_execz .LBB200_53
; %bb.52:                               ;   in Loop: Header=BB200_42 Depth=1
	v_add_u32_e32 v2, v9, v10
	ds_read2_b32 v[15:16], v2 offset1:1
	ds_read2_b32 v[17:18], v2 offset0:2 offset1:3
	v_and_b32_e32 v7, 15, v12
	v_cmp_ne_u32_e32 vcc, 0, v7
	s_waitcnt lgkmcnt(1)
	v_add_u32_e32 v16, v16, v15
	s_waitcnt lgkmcnt(0)
	v_add3_u32 v16, v16, v17, v18
	; wave barrier
	s_nop 1
	v_mov_b32_dpp v17, v16 row_shr:1 row_mask:0xf bank_mask:0xf
	v_cndmask_b32_e32 v17, 0, v17, vcc
	v_add_u32_e32 v16, v17, v16
	v_cmp_lt_u32_e32 vcc, 1, v7
	s_nop 0
	v_mov_b32_dpp v17, v16 row_shr:2 row_mask:0xf bank_mask:0xf
	v_cndmask_b32_e32 v17, 0, v17, vcc
	v_add_u32_e32 v16, v16, v17
	v_cmp_lt_u32_e32 vcc, 3, v7
	;; [unrolled: 5-line block ×3, first 2 shown]
	s_nop 0
	v_mov_b32_dpp v17, v16 row_shr:8 row_mask:0xf bank_mask:0xf
	v_cndmask_b32_e32 v7, 0, v17, vcc
	v_add_u32_e32 v7, v16, v7
	v_bfe_i32 v17, v12, 4, 1
	v_cmp_lt_u32_e32 vcc, 31, v12
	v_mov_b32_dpp v16, v7 row_bcast:15 row_mask:0xf bank_mask:0xf
	v_and_b32_e32 v16, v17, v16
	v_add_u32_e32 v7, v7, v16
	v_and_b32_e32 v17, 64, v12
	s_nop 0
	v_mov_b32_dpp v16, v7 row_bcast:31 row_mask:0xf bank_mask:0xf
	v_cndmask_b32_e32 v16, 0, v16, vcc
	v_add_u32_e32 v7, v7, v16
	v_add_u32_e32 v16, -1, v12
	v_cmp_lt_i32_e32 vcc, v16, v17
	v_cndmask_b32_e32 v16, v16, v12, vcc
	v_lshlrev_b32_e32 v16, 2, v16
	ds_bpermute_b32 v7, v16, v7
	s_waitcnt lgkmcnt(0)
	v_add_u32_e32 v7, v7, v15
	v_cndmask_b32_e64 v7, v7, v6, s[2:3]
	ds_write_b32 v2, v7
	; wave barrier
	ds_read2_b32 v[15:16], v2 offset0:1 offset1:2
	ds_read_b32 v17, v2 offset:12
	s_waitcnt lgkmcnt(1)
	v_add_u32_e32 v7, v15, v7
	v_add_u32_e32 v15, v16, v7
	ds_write2_b32 v2, v7, v15 offset0:1 offset1:2
	s_waitcnt lgkmcnt(1)
	v_add_u32_e32 v7, v17, v15
	ds_write_b32 v2, v7 offset:12
.LBB200_53:                             ;   in Loop: Header=BB200_42 Depth=1
	s_or_b64 exec, exec, s[18:19]
	v_mov_b32_e32 v7, 0
	s_waitcnt lgkmcnt(0)
	s_barrier
	s_and_saveexec_b64 s[18:19], s[0:1]
; %bb.54:                               ;   in Loop: Header=BB200_42 Depth=1
	ds_read_b32 v7, v11
; %bb.55:                               ;   in Loop: Header=BB200_42 Depth=1
	s_or_b64 exec, exec, s[18:19]
	ds_read_b32 v2, v5 offset:1048
	v_cmp_ne_u32_e32 vcc, 0, v6
	s_waitcnt lgkmcnt(0)
	s_barrier
	s_and_saveexec_b64 s[18:19], vcc
	s_cbranch_execz .LBB200_40
; %bb.56:                               ;   in Loop: Header=BB200_42 Depth=1
	v_add_u32_e32 v6, v7, v1
	v_mov_b32_e32 v7, v5
	v_cmp_gt_u64_e32 vcc, s[10:11], v[6:7]
	s_and_b64 exec, exec, vcc
	s_cbranch_execz .LBB200_40
; %bb.57:                               ;   in Loop: Header=BB200_42 Depth=1
	v_mad_u64_u32 v[15:16], s[28:29], s14, v6, 0
	v_mad_u64_u32 v[17:18], s[28:29], s16, v6, 0
	v_mov_b32_e32 v7, v16
	v_mad_u64_u32 v[19:20], s[28:29], s15, v6, v[7:8]
	v_mov_b32_e32 v7, v18
	;; [unrolled: 2-line block ×3, first 2 shown]
	v_lshlrev_b64 v[15:16], 2, v[15:16]
	v_mov_b32_e32 v18, v6
	v_mov_b32_e32 v20, s24
	v_add_co_u32_e32 v15, vcc, s23, v15
	v_lshlrev_b64 v[6:7], 3, v[17:18]
	v_addc_co_u32_e32 v16, vcc, v20, v16, vcc
	global_store_dword v[15:16], v13, off
	v_mov_b32_e32 v15, s26
	v_add_co_u32_e32 v6, vcc, s25, v6
	v_addc_co_u32_e32 v7, vcc, v15, v7, vcc
	global_store_dwordx2 v[6:7], v[4:5], off
	s_branch .LBB200_40
.LBB200_58:                             ;   in Loop: Header=BB200_59 Depth=1
	s_add_u32 s16, s16, 4
	s_addc_u32 s17, s17, 0
	s_waitcnt lgkmcnt(0)
	s_add_i32 s25, s15, s25
	s_add_u32 s18, s18, 4
	s_addc_u32 s19, s19, 0
	s_add_i32 s14, s14, 1
	s_cmp_lt_u32 s14, s21
	s_cbranch_scc0 .LBB200_37
.LBB200_59:                             ; =>This Inner Loop Header: Depth=1
	s_load_dword s15, s[16:17], 0x0
	s_cmp_ge_u32 s14, s54
	s_cbranch_scc1 .LBB200_58
; %bb.60:                               ;   in Loop: Header=BB200_59 Depth=1
	s_load_dword s39, s[18:19], 0x0
	s_waitcnt lgkmcnt(0)
	s_add_i32 s7, s15, s7
	s_add_i32 s6, s39, s6
	s_branch .LBB200_58
.LBB200_61:
	s_endpgm
	.section	.rodata,"a",@progbits
	.p2align	6, 0x0
	.amdhsa_kernel _ZN2at6native6mbtopk10gatherTopKIfmLin1EEEvNS_4cuda6detail10TensorInfoIKT_T0_EES8_S8_bjS8_NS5_IS6_S8_EES8_NS5_IlS8_EES8_jjPS6_PjSD_j
		.amdhsa_group_segment_fixed_size 1068
		.amdhsa_private_segment_fixed_size 0
		.amdhsa_kernarg_size 1592
		.amdhsa_user_sgpr_count 6
		.amdhsa_user_sgpr_private_segment_buffer 1
		.amdhsa_user_sgpr_dispatch_ptr 0
		.amdhsa_user_sgpr_queue_ptr 0
		.amdhsa_user_sgpr_kernarg_segment_ptr 1
		.amdhsa_user_sgpr_dispatch_id 0
		.amdhsa_user_sgpr_flat_scratch_init 0
		.amdhsa_user_sgpr_private_segment_size 0
		.amdhsa_uses_dynamic_stack 0
		.amdhsa_system_sgpr_private_segment_wavefront_offset 0
		.amdhsa_system_sgpr_workgroup_id_x 1
		.amdhsa_system_sgpr_workgroup_id_y 1
		.amdhsa_system_sgpr_workgroup_id_z 1
		.amdhsa_system_sgpr_workgroup_info 0
		.amdhsa_system_vgpr_workitem_id 0
		.amdhsa_next_free_vgpr 21
		.amdhsa_next_free_sgpr 57
		.amdhsa_reserve_vcc 1
		.amdhsa_reserve_flat_scratch 0
		.amdhsa_float_round_mode_32 0
		.amdhsa_float_round_mode_16_64 0
		.amdhsa_float_denorm_mode_32 3
		.amdhsa_float_denorm_mode_16_64 3
		.amdhsa_dx10_clamp 1
		.amdhsa_ieee_mode 1
		.amdhsa_fp16_overflow 0
		.amdhsa_exception_fp_ieee_invalid_op 0
		.amdhsa_exception_fp_denorm_src 0
		.amdhsa_exception_fp_ieee_div_zero 0
		.amdhsa_exception_fp_ieee_overflow 0
		.amdhsa_exception_fp_ieee_underflow 0
		.amdhsa_exception_fp_ieee_inexact 0
		.amdhsa_exception_int_div_zero 0
	.end_amdhsa_kernel
	.section	.text._ZN2at6native6mbtopk10gatherTopKIfmLin1EEEvNS_4cuda6detail10TensorInfoIKT_T0_EES8_S8_bjS8_NS5_IS6_S8_EES8_NS5_IlS8_EES8_jjPS6_PjSD_j,"axG",@progbits,_ZN2at6native6mbtopk10gatherTopKIfmLin1EEEvNS_4cuda6detail10TensorInfoIKT_T0_EES8_S8_bjS8_NS5_IS6_S8_EES8_NS5_IlS8_EES8_jjPS6_PjSD_j,comdat
.Lfunc_end200:
	.size	_ZN2at6native6mbtopk10gatherTopKIfmLin1EEEvNS_4cuda6detail10TensorInfoIKT_T0_EES8_S8_bjS8_NS5_IS6_S8_EES8_NS5_IlS8_EES8_jjPS6_PjSD_j, .Lfunc_end200-_ZN2at6native6mbtopk10gatherTopKIfmLin1EEEvNS_4cuda6detail10TensorInfoIKT_T0_EES8_S8_bjS8_NS5_IS6_S8_EES8_NS5_IlS8_EES8_jjPS6_PjSD_j
                                        ; -- End function
	.set _ZN2at6native6mbtopk10gatherTopKIfmLin1EEEvNS_4cuda6detail10TensorInfoIKT_T0_EES8_S8_bjS8_NS5_IS6_S8_EES8_NS5_IlS8_EES8_jjPS6_PjSD_j.num_vgpr, 21
	.set _ZN2at6native6mbtopk10gatherTopKIfmLin1EEEvNS_4cuda6detail10TensorInfoIKT_T0_EES8_S8_bjS8_NS5_IS6_S8_EES8_NS5_IlS8_EES8_jjPS6_PjSD_j.num_agpr, 0
	.set _ZN2at6native6mbtopk10gatherTopKIfmLin1EEEvNS_4cuda6detail10TensorInfoIKT_T0_EES8_S8_bjS8_NS5_IS6_S8_EES8_NS5_IlS8_EES8_jjPS6_PjSD_j.numbered_sgpr, 57
	.set _ZN2at6native6mbtopk10gatherTopKIfmLin1EEEvNS_4cuda6detail10TensorInfoIKT_T0_EES8_S8_bjS8_NS5_IS6_S8_EES8_NS5_IlS8_EES8_jjPS6_PjSD_j.num_named_barrier, 0
	.set _ZN2at6native6mbtopk10gatherTopKIfmLin1EEEvNS_4cuda6detail10TensorInfoIKT_T0_EES8_S8_bjS8_NS5_IS6_S8_EES8_NS5_IlS8_EES8_jjPS6_PjSD_j.private_seg_size, 0
	.set _ZN2at6native6mbtopk10gatherTopKIfmLin1EEEvNS_4cuda6detail10TensorInfoIKT_T0_EES8_S8_bjS8_NS5_IS6_S8_EES8_NS5_IlS8_EES8_jjPS6_PjSD_j.uses_vcc, 1
	.set _ZN2at6native6mbtopk10gatherTopKIfmLin1EEEvNS_4cuda6detail10TensorInfoIKT_T0_EES8_S8_bjS8_NS5_IS6_S8_EES8_NS5_IlS8_EES8_jjPS6_PjSD_j.uses_flat_scratch, 0
	.set _ZN2at6native6mbtopk10gatherTopKIfmLin1EEEvNS_4cuda6detail10TensorInfoIKT_T0_EES8_S8_bjS8_NS5_IS6_S8_EES8_NS5_IlS8_EES8_jjPS6_PjSD_j.has_dyn_sized_stack, 0
	.set _ZN2at6native6mbtopk10gatherTopKIfmLin1EEEvNS_4cuda6detail10TensorInfoIKT_T0_EES8_S8_bjS8_NS5_IS6_S8_EES8_NS5_IlS8_EES8_jjPS6_PjSD_j.has_recursion, 0
	.set _ZN2at6native6mbtopk10gatherTopKIfmLin1EEEvNS_4cuda6detail10TensorInfoIKT_T0_EES8_S8_bjS8_NS5_IS6_S8_EES8_NS5_IlS8_EES8_jjPS6_PjSD_j.has_indirect_call, 0
	.section	.AMDGPU.csdata,"",@progbits
; Kernel info:
; codeLenInByte = 3156
; TotalNumSgprs: 61
; NumVgprs: 21
; ScratchSize: 0
; MemoryBound: 0
; FloatMode: 240
; IeeeMode: 1
; LDSByteSize: 1068 bytes/workgroup (compile time only)
; SGPRBlocks: 7
; VGPRBlocks: 5
; NumSGPRsForWavesPerEU: 61
; NumVGPRsForWavesPerEU: 21
; Occupancy: 10
; WaveLimiterHint : 1
; COMPUTE_PGM_RSRC2:SCRATCH_EN: 0
; COMPUTE_PGM_RSRC2:USER_SGPR: 6
; COMPUTE_PGM_RSRC2:TRAP_HANDLER: 0
; COMPUTE_PGM_RSRC2:TGID_X_EN: 1
; COMPUTE_PGM_RSRC2:TGID_Y_EN: 1
; COMPUTE_PGM_RSRC2:TGID_Z_EN: 1
; COMPUTE_PGM_RSRC2:TIDIG_COMP_CNT: 0
	.section	.text._ZN2at6native6sbtopk10gatherTopKIfmLin1ELb0EEEvNS_4cuda6detail10TensorInfoIKT_T0_EES8_S8_bS8_S8_NS5_IS6_S8_EES8_NS5_IlS8_EES8_PS6_,"axG",@progbits,_ZN2at6native6sbtopk10gatherTopKIfmLin1ELb0EEEvNS_4cuda6detail10TensorInfoIKT_T0_EES8_S8_bS8_S8_NS5_IS6_S8_EES8_NS5_IlS8_EES8_PS6_,comdat
	.protected	_ZN2at6native6sbtopk10gatherTopKIfmLin1ELb0EEEvNS_4cuda6detail10TensorInfoIKT_T0_EES8_S8_bS8_S8_NS5_IS6_S8_EES8_NS5_IlS8_EES8_PS6_ ; -- Begin function _ZN2at6native6sbtopk10gatherTopKIfmLin1ELb0EEEvNS_4cuda6detail10TensorInfoIKT_T0_EES8_S8_bS8_S8_NS5_IS6_S8_EES8_NS5_IlS8_EES8_PS6_
	.globl	_ZN2at6native6sbtopk10gatherTopKIfmLin1ELb0EEEvNS_4cuda6detail10TensorInfoIKT_T0_EES8_S8_bS8_S8_NS5_IS6_S8_EES8_NS5_IlS8_EES8_PS6_
	.p2align	8
	.type	_ZN2at6native6sbtopk10gatherTopKIfmLin1ELb0EEEvNS_4cuda6detail10TensorInfoIKT_T0_EES8_S8_bS8_S8_NS5_IS6_S8_EES8_NS5_IlS8_EES8_PS6_,@function
_ZN2at6native6sbtopk10gatherTopKIfmLin1ELb0EEEvNS_4cuda6detail10TensorInfoIKT_T0_EES8_S8_bS8_S8_NS5_IS6_S8_EES8_NS5_IlS8_EES8_PS6_: ; @_ZN2at6native6sbtopk10gatherTopKIfmLin1ELb0EEEvNS_4cuda6detail10TensorInfoIKT_T0_EES8_S8_bS8_S8_NS5_IS6_S8_EES8_NS5_IlS8_EES8_PS6_
; %bb.0:
	s_load_dwordx2 s[34:35], s[4:5], 0x520
	s_load_dwordx4 s[56:59], s[4:5], 0x1b8
	s_add_u32 s2, s4, 0x520
	s_addc_u32 s3, s5, 0
	s_mov_b32 s9, 0
	s_waitcnt lgkmcnt(0)
	s_mul_i32 s0, s35, s8
	s_add_i32 s0, s0, s7
	s_mul_i32 s0, s0, s34
	s_add_i32 s8, s0, s6
	v_mov_b32_e32 v1, s8
	v_mov_b32_e32 v2, s9
	v_cmp_le_u64_e32 vcc, s[56:57], v[1:2]
	s_cbranch_vccnz .LBB201_509
; %bb.1:
	s_load_dword s7, s[4:5], 0x198
	s_mov_b64 s[0:1], 0
	s_mov_b64 s[10:11], s[8:9]
	s_waitcnt lgkmcnt(0)
	s_cmp_lt_i32 s7, 2
	s_cbranch_scc1 .LBB201_9
; %bb.2:
	s_mov_b32 s12, 0
	s_add_i32 s0, s7, -1
	s_mov_b32 s1, s12
	s_add_i32 s27, s7, 1
	s_lshl_b64 s[0:1], s[0:1], 3
	s_add_u32 s0, s4, s0
	s_addc_u32 s1, s5, s1
	s_add_u32 s14, s0, 8
	s_addc_u32 s15, s1, 0
	s_mov_b64 s[0:1], 0
	s_mov_b64 s[16:17], s[8:9]
.LBB201_3:                              ; =>This Inner Loop Header: Depth=1
	s_load_dwordx2 s[18:19], s[14:15], 0x0
	s_waitcnt lgkmcnt(0)
	s_or_b64 s[10:11], s[16:17], s[18:19]
	s_mov_b32 s13, s11
	s_cmp_lg_u64 s[12:13], 0
	s_cbranch_scc0 .LBB201_8
; %bb.4:                                ;   in Loop: Header=BB201_3 Depth=1
	v_cvt_f32_u32_e32 v1, s18
	v_cvt_f32_u32_e32 v2, s19
	s_sub_u32 s7, 0, s18
	s_subb_u32 s13, 0, s19
	v_mac_f32_e32 v1, 0x4f800000, v2
	v_rcp_f32_e32 v1, v1
	v_mul_f32_e32 v1, 0x5f7ffffc, v1
	v_mul_f32_e32 v2, 0x2f800000, v1
	v_trunc_f32_e32 v2, v2
	v_mac_f32_e32 v1, 0xcf800000, v2
	v_cvt_u32_f32_e32 v2, v2
	v_cvt_u32_f32_e32 v1, v1
	v_readfirstlane_b32 s20, v2
	v_readfirstlane_b32 s10, v1
	s_mul_i32 s11, s7, s20
	s_mul_hi_u32 s22, s7, s10
	s_mul_i32 s21, s13, s10
	s_add_i32 s11, s22, s11
	s_mul_i32 s23, s7, s10
	s_add_i32 s11, s11, s21
	s_mul_i32 s22, s10, s11
	s_mul_hi_u32 s24, s10, s23
	s_mul_hi_u32 s21, s10, s11
	s_add_u32 s22, s24, s22
	s_addc_u32 s21, 0, s21
	s_mul_hi_u32 s25, s20, s23
	s_mul_i32 s23, s20, s23
	s_add_u32 s22, s22, s23
	s_mul_hi_u32 s24, s20, s11
	s_addc_u32 s21, s21, s25
	s_addc_u32 s22, s24, 0
	s_mul_i32 s11, s20, s11
	s_add_u32 s11, s21, s11
	s_addc_u32 s21, 0, s22
	s_add_u32 s22, s10, s11
	s_cselect_b64 s[10:11], -1, 0
	s_cmp_lg_u64 s[10:11], 0
	s_addc_u32 s20, s20, s21
	s_mul_i32 s10, s7, s20
	s_mul_hi_u32 s11, s7, s22
	s_add_i32 s10, s11, s10
	s_mul_i32 s13, s13, s22
	s_add_i32 s10, s10, s13
	s_mul_i32 s7, s7, s22
	s_mul_hi_u32 s13, s20, s7
	s_mul_i32 s21, s20, s7
	s_mul_i32 s24, s22, s10
	s_mul_hi_u32 s7, s22, s7
	s_mul_hi_u32 s23, s22, s10
	s_add_u32 s7, s7, s24
	s_addc_u32 s23, 0, s23
	s_add_u32 s7, s7, s21
	s_mul_hi_u32 s11, s20, s10
	s_addc_u32 s7, s23, s13
	s_addc_u32 s11, s11, 0
	s_mul_i32 s10, s20, s10
	s_add_u32 s7, s7, s10
	s_addc_u32 s13, 0, s11
	s_add_u32 s7, s22, s7
	s_cselect_b64 s[10:11], -1, 0
	s_cmp_lg_u64 s[10:11], 0
	s_addc_u32 s10, s20, s13
	s_mul_i32 s13, s16, s10
	s_mul_hi_u32 s20, s16, s7
	s_mul_hi_u32 s11, s16, s10
	s_add_u32 s13, s20, s13
	s_addc_u32 s11, 0, s11
	s_mul_hi_u32 s21, s17, s7
	s_mul_i32 s7, s17, s7
	s_add_u32 s7, s13, s7
	s_mul_hi_u32 s20, s17, s10
	s_addc_u32 s7, s11, s21
	s_addc_u32 s11, s20, 0
	s_mul_i32 s10, s17, s10
	s_add_u32 s7, s7, s10
	s_addc_u32 s13, 0, s11
	s_mul_i32 s10, s18, s13
	s_mul_hi_u32 s11, s18, s7
	s_add_i32 s10, s11, s10
	s_mul_i32 s11, s19, s7
	s_add_i32 s22, s10, s11
	s_sub_i32 s20, s17, s22
	s_mul_i32 s10, s18, s7
	s_sub_u32 s23, s16, s10
	s_cselect_b64 s[10:11], -1, 0
	s_cmp_lg_u64 s[10:11], 0
	s_subb_u32 s24, s20, s19
	s_sub_u32 s25, s23, s18
	s_cselect_b64 s[20:21], -1, 0
	s_cmp_lg_u64 s[20:21], 0
	s_subb_u32 s20, s24, 0
	s_cmp_ge_u32 s20, s19
	s_cselect_b32 s21, -1, 0
	s_cmp_ge_u32 s25, s18
	s_cselect_b32 s24, -1, 0
	s_cmp_eq_u32 s20, s19
	s_cselect_b32 s20, s24, s21
	s_add_u32 s21, s7, 1
	s_addc_u32 s24, s13, 0
	s_add_u32 s25, s7, 2
	s_addc_u32 s26, s13, 0
	s_cmp_lg_u32 s20, 0
	s_cselect_b32 s20, s25, s21
	s_cselect_b32 s21, s26, s24
	s_cmp_lg_u64 s[10:11], 0
	s_subb_u32 s10, s17, s22
	s_cmp_ge_u32 s10, s19
	s_cselect_b32 s11, -1, 0
	s_cmp_ge_u32 s23, s18
	s_cselect_b32 s22, -1, 0
	s_cmp_eq_u32 s10, s19
	s_cselect_b32 s10, s22, s11
	s_cmp_lg_u32 s10, 0
	s_cselect_b32 s11, s21, s13
	s_cselect_b32 s10, s20, s7
	s_cbranch_execnz .LBB201_6
.LBB201_5:                              ;   in Loop: Header=BB201_3 Depth=1
	v_cvt_f32_u32_e32 v1, s18
	s_sub_i32 s7, 0, s18
	v_rcp_iflag_f32_e32 v1, v1
	v_mul_f32_e32 v1, 0x4f7ffffe, v1
	v_cvt_u32_f32_e32 v1, v1
	v_readfirstlane_b32 s10, v1
	s_mul_i32 s7, s7, s10
	s_mul_hi_u32 s7, s10, s7
	s_add_i32 s10, s10, s7
	s_mul_hi_u32 s7, s16, s10
	s_mul_i32 s11, s7, s18
	s_sub_i32 s11, s16, s11
	s_add_i32 s10, s7, 1
	s_sub_i32 s13, s11, s18
	s_cmp_ge_u32 s11, s18
	s_cselect_b32 s7, s10, s7
	s_cselect_b32 s11, s13, s11
	s_add_i32 s10, s7, 1
	s_cmp_ge_u32 s11, s18
	s_cselect_b32 s10, s10, s7
	s_mov_b32 s11, s12
.LBB201_6:                              ;   in Loop: Header=BB201_3 Depth=1
	s_mul_i32 s7, s10, s19
	s_mul_hi_u32 s13, s10, s18
	s_load_dwordx2 s[20:21], s[14:15], 0xc8
	s_add_i32 s7, s13, s7
	s_mul_i32 s13, s11, s18
	s_add_i32 s7, s7, s13
	s_mul_i32 s13, s10, s18
	s_sub_u32 s13, s16, s13
	s_subb_u32 s7, s17, s7
	s_waitcnt lgkmcnt(0)
	s_mul_i32 s7, s20, s7
	s_mul_hi_u32 s16, s20, s13
	s_add_i32 s7, s16, s7
	s_mul_i32 s16, s21, s13
	s_add_i32 s7, s7, s16
	s_mul_i32 s13, s20, s13
	s_add_u32 s0, s13, s0
	s_addc_u32 s1, s7, s1
	s_add_i32 s27, s27, -1
	s_add_u32 s14, s14, -8
	s_addc_u32 s15, s15, -1
	s_cmp_gt_u32 s27, 2
	s_cbranch_scc0 .LBB201_9
; %bb.7:                                ;   in Loop: Header=BB201_3 Depth=1
	s_mov_b64 s[16:17], s[10:11]
	s_branch .LBB201_3
.LBB201_8:                              ;   in Loop: Header=BB201_3 Depth=1
                                        ; implicit-def: $sgpr10_sgpr11
	s_branch .LBB201_5
.LBB201_9:
	s_load_dword s7, s[4:5], 0x360
	s_load_dwordx2 s[12:13], s[4:5], 0xd0
	s_add_u32 s14, s4, 0x1c8
	s_addc_u32 s15, s5, 0
	s_mov_b64 s[56:57], 0
	s_waitcnt lgkmcnt(0)
	s_cmp_lt_i32 s7, 2
	s_mov_b64 s[30:31], s[8:9]
	s_cbranch_scc1 .LBB201_17
; %bb.10:
	s_mov_b32 s16, 0
	s_add_i32 s18, s7, -1
	s_mov_b32 s19, s16
	s_add_i32 s35, s7, 1
	s_lshl_b64 s[18:19], s[18:19], 3
	s_add_u32 s7, s14, s18
	s_addc_u32 s17, s15, s19
	s_add_u32 s18, s7, 8
	s_addc_u32 s19, s17, 0
	s_mov_b64 s[20:21], s[8:9]
.LBB201_11:                             ; =>This Inner Loop Header: Depth=1
	s_load_dwordx2 s[22:23], s[18:19], 0x0
	s_waitcnt lgkmcnt(0)
	s_or_b64 s[24:25], s[20:21], s[22:23]
	s_mov_b32 s17, s25
	s_cmp_lg_u64 s[16:17], 0
	s_cbranch_scc0 .LBB201_16
; %bb.12:                               ;   in Loop: Header=BB201_11 Depth=1
	v_cvt_f32_u32_e32 v1, s22
	v_cvt_f32_u32_e32 v2, s23
	s_sub_u32 s7, 0, s22
	s_subb_u32 s17, 0, s23
	v_mac_f32_e32 v1, 0x4f800000, v2
	v_rcp_f32_e32 v1, v1
	v_mul_f32_e32 v1, 0x5f7ffffc, v1
	v_mul_f32_e32 v2, 0x2f800000, v1
	v_trunc_f32_e32 v2, v2
	v_mac_f32_e32 v1, 0xcf800000, v2
	v_cvt_u32_f32_e32 v2, v2
	v_cvt_u32_f32_e32 v1, v1
	v_readfirstlane_b32 s26, v2
	v_readfirstlane_b32 s24, v1
	s_mul_i32 s25, s7, s26
	s_mul_hi_u32 s28, s7, s24
	s_mul_i32 s27, s17, s24
	s_add_i32 s25, s28, s25
	s_mul_i32 s29, s7, s24
	s_add_i32 s25, s25, s27
	s_mul_i32 s28, s24, s25
	s_mul_hi_u32 s30, s24, s29
	s_mul_hi_u32 s27, s24, s25
	s_add_u32 s28, s30, s28
	s_addc_u32 s27, 0, s27
	s_mul_hi_u32 s31, s26, s29
	s_mul_i32 s29, s26, s29
	s_add_u32 s28, s28, s29
	s_mul_hi_u32 s30, s26, s25
	s_addc_u32 s27, s27, s31
	s_addc_u32 s28, s30, 0
	s_mul_i32 s25, s26, s25
	s_add_u32 s25, s27, s25
	s_addc_u32 s27, 0, s28
	s_add_u32 s28, s24, s25
	s_cselect_b64 s[24:25], -1, 0
	s_cmp_lg_u64 s[24:25], 0
	s_addc_u32 s26, s26, s27
	s_mul_i32 s24, s7, s26
	s_mul_hi_u32 s25, s7, s28
	s_add_i32 s24, s25, s24
	s_mul_i32 s17, s17, s28
	s_add_i32 s24, s24, s17
	s_mul_i32 s7, s7, s28
	s_mul_hi_u32 s25, s26, s7
	s_mul_i32 s27, s26, s7
	s_mul_i32 s30, s28, s24
	s_mul_hi_u32 s7, s28, s7
	s_mul_hi_u32 s29, s28, s24
	s_add_u32 s7, s7, s30
	s_addc_u32 s29, 0, s29
	s_add_u32 s7, s7, s27
	s_mul_hi_u32 s17, s26, s24
	s_addc_u32 s7, s29, s25
	s_addc_u32 s17, s17, 0
	s_mul_i32 s24, s26, s24
	s_add_u32 s7, s7, s24
	s_addc_u32 s17, 0, s17
	s_add_u32 s7, s28, s7
	s_cselect_b64 s[24:25], -1, 0
	s_cmp_lg_u64 s[24:25], 0
	s_addc_u32 s17, s26, s17
	s_mul_i32 s25, s20, s17
	s_mul_hi_u32 s26, s20, s7
	s_mul_hi_u32 s24, s20, s17
	s_add_u32 s25, s26, s25
	s_addc_u32 s24, 0, s24
	s_mul_hi_u32 s27, s21, s7
	s_mul_i32 s7, s21, s7
	s_add_u32 s7, s25, s7
	s_mul_hi_u32 s26, s21, s17
	s_addc_u32 s7, s24, s27
	s_addc_u32 s24, s26, 0
	s_mul_i32 s17, s21, s17
	s_add_u32 s7, s7, s17
	s_addc_u32 s17, 0, s24
	s_mul_i32 s24, s22, s17
	s_mul_hi_u32 s25, s22, s7
	s_add_i32 s24, s25, s24
	s_mul_i32 s25, s23, s7
	s_add_i32 s28, s24, s25
	s_sub_i32 s26, s21, s28
	s_mul_i32 s24, s22, s7
	s_sub_u32 s29, s20, s24
	s_cselect_b64 s[24:25], -1, 0
	s_cmp_lg_u64 s[24:25], 0
	s_subb_u32 s30, s26, s23
	s_sub_u32 s31, s29, s22
	s_cselect_b64 s[26:27], -1, 0
	s_cmp_lg_u64 s[26:27], 0
	s_subb_u32 s26, s30, 0
	s_cmp_ge_u32 s26, s23
	s_cselect_b32 s27, -1, 0
	s_cmp_ge_u32 s31, s22
	s_cselect_b32 s30, -1, 0
	s_cmp_eq_u32 s26, s23
	s_cselect_b32 s26, s30, s27
	s_add_u32 s27, s7, 1
	s_addc_u32 s30, s17, 0
	s_add_u32 s31, s7, 2
	s_addc_u32 s33, s17, 0
	s_cmp_lg_u32 s26, 0
	s_cselect_b32 s26, s31, s27
	s_cselect_b32 s27, s33, s30
	s_cmp_lg_u64 s[24:25], 0
	s_subb_u32 s24, s21, s28
	s_cmp_ge_u32 s24, s23
	s_cselect_b32 s25, -1, 0
	s_cmp_ge_u32 s29, s22
	s_cselect_b32 s28, -1, 0
	s_cmp_eq_u32 s24, s23
	s_cselect_b32 s24, s28, s25
	s_cmp_lg_u32 s24, 0
	s_cselect_b32 s31, s27, s17
	s_cselect_b32 s30, s26, s7
	s_cbranch_execnz .LBB201_14
.LBB201_13:                             ;   in Loop: Header=BB201_11 Depth=1
	v_cvt_f32_u32_e32 v1, s22
	s_sub_i32 s7, 0, s22
	s_mov_b32 s31, s16
	v_rcp_iflag_f32_e32 v1, v1
	v_mul_f32_e32 v1, 0x4f7ffffe, v1
	v_cvt_u32_f32_e32 v1, v1
	v_readfirstlane_b32 s17, v1
	s_mul_i32 s7, s7, s17
	s_mul_hi_u32 s7, s17, s7
	s_add_i32 s17, s17, s7
	s_mul_hi_u32 s7, s20, s17
	s_mul_i32 s24, s7, s22
	s_sub_i32 s24, s20, s24
	s_add_i32 s17, s7, 1
	s_sub_i32 s25, s24, s22
	s_cmp_ge_u32 s24, s22
	s_cselect_b32 s7, s17, s7
	s_cselect_b32 s24, s25, s24
	s_add_i32 s17, s7, 1
	s_cmp_ge_u32 s24, s22
	s_cselect_b32 s30, s17, s7
.LBB201_14:                             ;   in Loop: Header=BB201_11 Depth=1
	s_mul_i32 s7, s30, s23
	s_mul_hi_u32 s17, s30, s22
	s_load_dwordx2 s[24:25], s[18:19], 0xc8
	s_add_i32 s7, s17, s7
	s_mul_i32 s17, s31, s22
	s_add_i32 s7, s7, s17
	s_mul_i32 s17, s30, s22
	s_sub_u32 s17, s20, s17
	s_subb_u32 s7, s21, s7
	s_waitcnt lgkmcnt(0)
	s_mul_i32 s7, s24, s7
	s_mul_hi_u32 s20, s24, s17
	s_add_i32 s7, s20, s7
	s_mul_i32 s20, s25, s17
	s_add_i32 s7, s7, s20
	s_mul_i32 s17, s24, s17
	s_add_u32 s56, s17, s56
	s_addc_u32 s57, s7, s57
	s_add_i32 s35, s35, -1
	s_add_u32 s18, s18, -8
	s_addc_u32 s19, s19, -1
	s_cmp_gt_u32 s35, 2
	s_cbranch_scc0 .LBB201_17
; %bb.15:                               ;   in Loop: Header=BB201_11 Depth=1
	s_mov_b64 s[20:21], s[30:31]
	s_branch .LBB201_11
.LBB201_16:                             ;   in Loop: Header=BB201_11 Depth=1
                                        ; implicit-def: $sgpr30_sgpr31
	s_branch .LBB201_13
.LBB201_17:
	s_load_dword s16, s[4:5], 0x508
	s_load_dwordx2 s[18:19], s[14:15], 0xd0
	s_add_u32 s7, s4, 0x370
                                        ; implicit-def: $vgpr54 : SGPR spill to VGPR lane
                                        ; kill: killed $sgpr14 killed $sgpr15
	s_addc_u32 s15, s5, 0
	s_mov_b64 s[74:75], 0
	s_waitcnt lgkmcnt(0)
	s_cmp_lt_i32 s16, 2
	v_writelane_b32 v54, s18, 0
	v_writelane_b32 v54, s19, 1
	s_cbranch_scc1 .LBB201_25
; %bb.18:
	s_mov_b32 s14, 0
	s_add_i32 s29, s16, 1
	s_add_i32 s16, s16, -1
	s_mov_b32 s17, s14
	s_lshl_b64 s[16:17], s[16:17], 3
	s_add_u32 s7, s7, s16
	s_addc_u32 s15, s15, s17
	s_add_u32 s16, s7, 8
	s_addc_u32 s17, s15, 0
.LBB201_19:                             ; =>This Inner Loop Header: Depth=1
	s_load_dwordx2 s[18:19], s[16:17], 0x0
	s_waitcnt lgkmcnt(0)
	s_or_b64 s[20:21], s[8:9], s[18:19]
	s_mov_b32 s15, s21
	s_cmp_lg_u64 s[14:15], 0
	s_cbranch_scc0 .LBB201_24
; %bb.20:                               ;   in Loop: Header=BB201_19 Depth=1
	v_cvt_f32_u32_e32 v1, s18
	v_cvt_f32_u32_e32 v2, s19
	s_sub_u32 s7, 0, s18
	s_subb_u32 s15, 0, s19
	v_mac_f32_e32 v1, 0x4f800000, v2
	v_rcp_f32_e32 v1, v1
	v_mul_f32_e32 v1, 0x5f7ffffc, v1
	v_mul_f32_e32 v2, 0x2f800000, v1
	v_trunc_f32_e32 v2, v2
	v_mac_f32_e32 v1, 0xcf800000, v2
	v_cvt_u32_f32_e32 v2, v2
	v_cvt_u32_f32_e32 v1, v1
	v_readfirstlane_b32 s22, v2
	v_readfirstlane_b32 s20, v1
	s_mul_i32 s21, s7, s22
	s_mul_hi_u32 s24, s7, s20
	s_mul_i32 s23, s15, s20
	s_add_i32 s21, s24, s21
	s_mul_i32 s25, s7, s20
	s_add_i32 s21, s21, s23
	s_mul_i32 s24, s20, s21
	s_mul_hi_u32 s26, s20, s25
	s_mul_hi_u32 s23, s20, s21
	s_add_u32 s24, s26, s24
	s_addc_u32 s23, 0, s23
	s_mul_hi_u32 s27, s22, s25
	s_mul_i32 s25, s22, s25
	s_add_u32 s24, s24, s25
	s_mul_hi_u32 s26, s22, s21
	s_addc_u32 s23, s23, s27
	s_addc_u32 s24, s26, 0
	s_mul_i32 s21, s22, s21
	s_add_u32 s21, s23, s21
	s_addc_u32 s23, 0, s24
	s_add_u32 s24, s20, s21
	s_cselect_b64 s[20:21], -1, 0
	s_cmp_lg_u64 s[20:21], 0
	s_addc_u32 s22, s22, s23
	s_mul_i32 s20, s7, s22
	s_mul_hi_u32 s21, s7, s24
	s_add_i32 s20, s21, s20
	s_mul_i32 s15, s15, s24
	s_add_i32 s20, s20, s15
	s_mul_i32 s7, s7, s24
	s_mul_hi_u32 s21, s22, s7
	s_mul_i32 s23, s22, s7
	s_mul_i32 s26, s24, s20
	s_mul_hi_u32 s7, s24, s7
	s_mul_hi_u32 s25, s24, s20
	s_add_u32 s7, s7, s26
	s_addc_u32 s25, 0, s25
	s_add_u32 s7, s7, s23
	s_mul_hi_u32 s15, s22, s20
	s_addc_u32 s7, s25, s21
	s_addc_u32 s15, s15, 0
	s_mul_i32 s20, s22, s20
	s_add_u32 s7, s7, s20
	s_addc_u32 s15, 0, s15
	s_add_u32 s7, s24, s7
	s_cselect_b64 s[20:21], -1, 0
	s_cmp_lg_u64 s[20:21], 0
	s_addc_u32 s15, s22, s15
	s_mul_i32 s21, s8, s15
	s_mul_hi_u32 s22, s8, s7
	s_mul_hi_u32 s20, s8, s15
	s_add_u32 s21, s22, s21
	s_addc_u32 s20, 0, s20
	s_mul_hi_u32 s23, s9, s7
	s_mul_i32 s7, s9, s7
	s_add_u32 s7, s21, s7
	s_mul_hi_u32 s22, s9, s15
	s_addc_u32 s7, s20, s23
	s_addc_u32 s20, s22, 0
	s_mul_i32 s15, s9, s15
	s_add_u32 s7, s7, s15
	s_addc_u32 s15, 0, s20
	s_mul_i32 s20, s18, s15
	s_mul_hi_u32 s21, s18, s7
	s_add_i32 s20, s21, s20
	s_mul_i32 s21, s19, s7
	s_add_i32 s24, s20, s21
	s_sub_i32 s22, s9, s24
	s_mul_i32 s20, s18, s7
	s_sub_u32 s25, s8, s20
	s_cselect_b64 s[20:21], -1, 0
	s_cmp_lg_u64 s[20:21], 0
	s_subb_u32 s26, s22, s19
	s_sub_u32 s27, s25, s18
	s_cselect_b64 s[22:23], -1, 0
	s_cmp_lg_u64 s[22:23], 0
	s_subb_u32 s22, s26, 0
	s_cmp_ge_u32 s22, s19
	s_cselect_b32 s23, -1, 0
	s_cmp_ge_u32 s27, s18
	s_cselect_b32 s26, -1, 0
	s_cmp_eq_u32 s22, s19
	s_cselect_b32 s22, s26, s23
	s_add_u32 s23, s7, 1
	s_addc_u32 s26, s15, 0
	s_add_u32 s27, s7, 2
	s_addc_u32 s28, s15, 0
	s_cmp_lg_u32 s22, 0
	s_cselect_b32 s22, s27, s23
	s_cselect_b32 s23, s28, s26
	s_cmp_lg_u64 s[20:21], 0
	s_subb_u32 s20, s9, s24
	s_cmp_ge_u32 s20, s19
	s_cselect_b32 s21, -1, 0
	s_cmp_ge_u32 s25, s18
	s_cselect_b32 s24, -1, 0
	s_cmp_eq_u32 s20, s19
	s_cselect_b32 s20, s24, s21
	s_cmp_lg_u32 s20, 0
	s_cselect_b32 s79, s23, s15
	s_cselect_b32 s78, s22, s7
	s_cbranch_execnz .LBB201_22
.LBB201_21:                             ;   in Loop: Header=BB201_19 Depth=1
	v_cvt_f32_u32_e32 v1, s18
	s_sub_i32 s7, 0, s18
	s_mov_b32 s79, s14
	v_rcp_iflag_f32_e32 v1, v1
	v_mul_f32_e32 v1, 0x4f7ffffe, v1
	v_cvt_u32_f32_e32 v1, v1
	v_readfirstlane_b32 s15, v1
	s_mul_i32 s7, s7, s15
	s_mul_hi_u32 s7, s15, s7
	s_add_i32 s15, s15, s7
	s_mul_hi_u32 s7, s8, s15
	s_mul_i32 s20, s7, s18
	s_sub_i32 s20, s8, s20
	s_add_i32 s15, s7, 1
	s_sub_i32 s21, s20, s18
	s_cmp_ge_u32 s20, s18
	s_cselect_b32 s7, s15, s7
	s_cselect_b32 s20, s21, s20
	s_add_i32 s15, s7, 1
	s_cmp_ge_u32 s20, s18
	s_cselect_b32 s78, s15, s7
.LBB201_22:                             ;   in Loop: Header=BB201_19 Depth=1
	s_mul_i32 s7, s78, s19
	s_mul_hi_u32 s15, s78, s18
	s_load_dwordx2 s[20:21], s[16:17], 0xc8
	s_add_i32 s7, s15, s7
	s_mul_i32 s15, s79, s18
	s_add_i32 s7, s7, s15
	s_mul_i32 s15, s78, s18
	s_sub_u32 s8, s8, s15
	s_subb_u32 s7, s9, s7
	s_waitcnt lgkmcnt(0)
	s_mul_i32 s7, s20, s7
	s_mul_hi_u32 s9, s20, s8
	s_add_i32 s7, s9, s7
	s_mul_i32 s9, s21, s8
	s_add_i32 s7, s7, s9
	s_mul_i32 s8, s20, s8
	s_add_u32 s74, s8, s74
	s_addc_u32 s75, s7, s75
	s_add_i32 s29, s29, -1
	s_add_u32 s16, s16, -8
	s_addc_u32 s17, s17, -1
	s_cmp_gt_u32 s29, 2
	s_cbranch_scc0 .LBB201_26
; %bb.23:                               ;   in Loop: Header=BB201_19 Depth=1
	s_mov_b64 s[8:9], s[78:79]
	s_branch .LBB201_19
.LBB201_24:                             ;   in Loop: Header=BB201_19 Depth=1
                                        ; implicit-def: $sgpr78_sgpr79
	s_branch .LBB201_21
.LBB201_25:
	s_mov_b64 s[78:79], s[8:9]
.LBB201_26:
	s_load_dwordx4 s[60:63], s[4:5], 0x1a0
	s_load_dwordx2 s[16:17], s[4:5], 0x0
	s_load_dwordx2 s[8:9], s[4:5], 0x440
	v_writelane_b32 v54, s30, 2
	v_writelane_b32 v54, s31, 3
	s_mov_b32 s87, 0
	v_cmp_eq_u32_e64 s[14:15], 0, v0
	s_waitcnt lgkmcnt(0)
	v_writelane_b32 v54, s8, 4
	v_writelane_b32 v54, s9, 5
	s_load_dwordx2 s[8:9], s[4:5], 0x1c8
	s_waitcnt lgkmcnt(0)
	v_writelane_b32 v54, s8, 6
	v_writelane_b32 v54, s9, 7
	s_load_dwordx2 s[8:9], s[4:5], 0x370
	s_waitcnt lgkmcnt(0)
	v_writelane_b32 v54, s8, 8
	v_writelane_b32 v54, s9, 9
	s_mov_b64 s[8:9], exec
	v_writelane_b32 v54, s14, 10
	v_writelane_b32 v54, s15, 11
	s_and_b64 s[14:15], s[8:9], s[14:15]
	s_mov_b64 exec, s[14:15]
	s_cbranch_execz .LBB201_28
; %bb.27:
	v_mov_b32_e32 v1, 0
	v_mov_b32_e32 v3, s60
	;; [unrolled: 1-line block ×4, first 2 shown]
	ds_write_b32 v1, v1 offset:5144
	ds_write_b128 v1, v[1:4] offset:5120
.LBB201_28:
	s_or_b64 exec, exec, s[8:9]
	s_mul_i32 s8, s12, s11
	s_mul_hi_u32 s7, s12, s10
	s_add_i32 s8, s7, s8
	s_mul_i32 s7, s13, s10
	s_add_i32 s9, s8, s7
	s_mul_i32 s8, s12, s10
	v_writelane_b32 v54, s4, 12
	s_lshl_b64 s[12:13], s[8:9], 2
	v_writelane_b32 v54, s5, 13
	s_load_dword s5, s[4:5], 0x1b0
	s_add_u32 s8, s16, s12
	s_addc_u32 s9, s17, s13
	s_lshl_b64 s[72:73], s[0:1], 2
	s_add_u32 s76, s8, s72
	s_addc_u32 s77, s9, s73
	s_waitcnt lgkmcnt(0)
	s_bitcmp1_b32 s5, 0
	s_cselect_b64 s[0:1], -1, 0
	v_writelane_b32 v54, s0, 14
	v_writelane_b32 v54, s1, 15
	s_xor_b64 s[0:1], s[0:1], -1
	v_mbcnt_lo_u32_b32 v1, -1, 0
	v_writelane_b32 v54, s0, 16
	v_mbcnt_hi_u32_b32 v44, -1, v1
	v_writelane_b32 v54, s1, 17
	v_cmp_gt_u32_e32 vcc, 64, v0
	v_cmp_gt_i32_e64 s[10:11], 4, v44
	v_mad_u64_u32 v[4:5], s[0:1], s58, v0, 0
	v_mov_b32_e32 v1, 0x300
	s_and_b64 s[0:1], vcc, s[10:11]
	v_mov_b32_e32 v2, 0
	v_writelane_b32 v54, s0, 18
	v_writelane_b32 v54, s1, 19
	v_cmp_gt_u64_e64 s[0:1], s[60:61], v[1:2]
	v_mov_b32_e32 v1, v5
	v_writelane_b32 v54, s0, 20
	v_mov_b32_e32 v13, 0
	v_writelane_b32 v54, s1, 21
	v_mad_u64_u32 v[2:3], s[0:1], s59, v0, v[1:2]
	v_mov_b32_e32 v1, v13
	v_cmp_gt_u64_e64 s[0:1], s[60:61], v[0:1]
	v_writelane_b32 v54, s0, 22
	v_writelane_b32 v54, s1, 23
	v_cmp_gt_u32_e64 s[0:1], 2, v0
	v_writelane_b32 v54, s0, 24
	s_barrier
	v_writelane_b32 v54, s1, 25
	s_load_dword s0, s[2:3], 0xc
	v_mov_b32_e32 v5, v2
	v_lshlrev_b64 v[2:3], 2, v[4:5]
	v_mov_b32_e32 v6, s77
	v_add_co_u32_e32 v10, vcc, s76, v2
	s_waitcnt lgkmcnt(0)
	s_and_b32 s33, s0, 0xffff
	s_bfe_u32 s5, s0, 0xa0006
	s_cmp_gt_u32 s33, 63
	s_cselect_b64 s[0:1], -1, 0
	v_writelane_b32 v54, s0, 26
	v_writelane_b32 v54, s1, 27
	s_add_u32 s0, s33, -1
	s_addc_u32 s1, 0, -1
	v_writelane_b32 v54, s0, 28
	s_add_u32 s0, s0, s60
	v_writelane_b32 v54, s0, 29
	v_writelane_b32 v54, s1, 30
	s_addc_u32 s1, s1, s61
	v_writelane_b32 v54, s0, 31
	s_cmp_lt_u32 s6, s34
	v_addc_co_u32_e32 v11, vcc, v6, v3, vcc
	v_lshlrev_b64 v[6:7], v44, -1
	v_writelane_b32 v54, s1, 32
	s_cselect_b32 s0, 12, 18
	s_add_u32 s0, s2, s0
	v_not_b32_e32 v43, v6
	v_lshrrev_b32_e32 v6, 1, v0
	s_addc_u32 s1, s3, 0
	v_and_b32_e32 v6, 0x1e0, v6
	v_writelane_b32 v54, s0, 33
	v_not_b32_e32 v42, v7
	v_or_b32_e32 v46, 0xc00, v6
	v_writelane_b32 v54, s1, 34
	s_add_i32 s0, s5, -1
	v_lshlrev_b32_e32 v47, 4, v0
	v_mov_b32_e32 v6, s8
	s_bfe_u32 s2, s33, 0x30006
	s_and_b32 s0, s0, 0xffff
	v_or_b32_e32 v9, 12, v47
	v_mov_b32_e32 v7, s9
	s_cmp_gt_u32 s0, 6
	v_mad_u64_u32 v[16:17], s[0:1], s58, v9, v[6:7]
	v_lshlrev_b32_e32 v8, 2, v44
	s_cselect_b64 s[0:1], -1, 0
	v_and_b32_e32 v41, 0x100, v8
	v_writelane_b32 v54, s0, 35
	v_mov_b32_e32 v8, v17
	v_writelane_b32 v54, s1, 36
	v_mad_u64_u32 v[8:9], s[0:1], s59, v9, v[8:9]
	v_or_b32_e32 v9, 8, v47
	v_mad_u64_u32 v[18:19], s[0:1], s58, v9, v[6:7]
	s_and_b32 s4, s5, 0x3f8
	s_cmp_lg_u32 s2, 0
	v_writelane_b32 v54, s2, 37
	s_cselect_b64 s[0:1], -1, 0
	v_writelane_b32 v54, s0, 38
	v_mov_b32_e32 v17, v8
	v_mov_b32_e32 v8, v19
	v_writelane_b32 v54, s1, 39
	v_mad_u64_u32 v[8:9], s[0:1], s59, v9, v[8:9]
	v_or_b32_e32 v9, 4, v47
	v_mad_u64_u32 v[20:21], s[0:1], s58, v9, v[6:7]
	s_add_u32 s2, s12, s72
	s_addc_u32 s3, s13, s73
	s_add_u32 s2, s16, s2
	v_mov_b32_e32 v6, v21
	s_addc_u32 s3, s17, s3
	v_mad_u64_u32 v[6:7], s[0:1], s59, v9, v[6:7]
	v_writelane_b32 v54, s2, 40
	v_writelane_b32 v54, s3, 41
	s_lshl_b64 s[0:1], s[58:59], 4
	s_lshl_b64 s[24:25], s[58:59], 2
	v_writelane_b32 v54, s0, 42
	s_lshl_b32 s5, s33, 2
	v_writelane_b32 v54, s1, 43
	v_lshlrev_b64 v[4:5], 4, v[4:5]
	s_add_u32 s0, s16, s72
	v_writelane_b32 v54, s16, 44
	s_addc_u32 s1, s17, s73
	v_mov_b32_e32 v21, v6
	v_mov_b32_e32 v6, s9
	v_add_co_u32_e32 v22, vcc, s8, v4
	v_writelane_b32 v54, s17, 45
	s_add_u32 s0, s0, s12
	v_addc_co_u32_e32 v23, vcc, v6, v5, vcc
	v_writelane_b32 v54, s12, 46
	s_addc_u32 s1, s1, s13
	v_mov_b32_e32 v4, s1
	v_add_co_u32_e32 v24, vcc, s0, v2
	s_mul_i32 s0, s59, s33
	s_mul_hi_u32 s1, s58, s33
	s_add_i32 s1, s1, s0
	s_mul_i32 s0, s58, s33
	s_lshl_b64 s[64:65], s[0:1], 2
                                        ; implicit-def: $sgpr0_sgpr1
                                        ; kill: killed $sgpr0_sgpr1
                                        ; implicit-def: $sgpr0_sgpr1
                                        ; kill: killed $sgpr0_sgpr1
                                        ; implicit-def: $sgpr0_sgpr1
	v_writelane_b32 v54, s13, 47
                                        ; kill: killed $sgpr0_sgpr1
	s_mov_b32 s0, 0
	v_lshlrev_b32_e32 v14, 2, v0
	v_mov_b32_e32 v2, 0xc00
	v_mov_b32_e32 v29, s62
	v_writelane_b32 v54, s0, 48
	v_cmp_eq_u32_e64 s[92:93], 0, v44
	v_mov_b32_e32 v15, v13
	v_add_u32_e32 v45, 0xc00, v14
	v_mov_b32_e32 v19, v8
	v_addc_co_u32_e32 v25, vcc, v4, v3, vcc
	v_lshl_or_b32 v49, v44, 3, v2
	s_mov_b32 s66, 30
	s_mov_b64 s[68:69], 0
	v_bfrev_b32_e32 v50, 1
	v_mov_b32_e32 v51, 0x4f800000
	v_mov_b32_e32 v30, s63
	v_mov_b32_e32 v26, 1.0
	v_mov_b32_e32 v28, 0
	v_mov_b32_e32 v48, 0
	v_mov_b32_e32 v52, 0
	v_writelane_b32 v54, s24, 49
                                        ; implicit-def: $sgpr30_sgpr31
                                        ; implicit-def: $sgpr8_sgpr9
                                        ; implicit-def: $sgpr14_sgpr15
                                        ; implicit-def: $sgpr16_sgpr17
                                        ; implicit-def: $sgpr18_sgpr19
                                        ; implicit-def: $sgpr82_sgpr83
                                        ; implicit-def: $sgpr84_sgpr85
	v_writelane_b32 v54, s25, 50
	s_branch .LBB201_31
.LBB201_29:                             ;   in Loop: Header=BB201_31 Depth=1
	s_or_b64 exec, exec, s[10:11]
	s_andn2_b64 s[10:11], s[22:23], exec
	s_and_b64 s[6:7], s[6:7], exec
	v_mov_b32_e32 v30, v3
	s_or_b64 s[22:23], s[10:11], s[6:7]
	s_andn2_b64 s[10:11], s[20:21], exec
	s_andn2_b64 s[18:19], s[18:19], exec
	s_andn2_b64 s[16:17], s[16:17], exec
	s_andn2_b64 s[14:15], s[14:15], exec
	s_orn2_b64 s[2:3], s[2:3], exec
	v_mov_b32_e32 v29, v2
.LBB201_30:                             ;   in Loop: Header=BB201_31 Depth=1
	s_or_b64 exec, exec, s[0:1]
	s_and_b64 s[0:1], exec, s[2:3]
	s_or_b64 s[68:69], s[0:1], s[68:69]
	v_readlane_b32 s0, v54, 51
	v_readlane_b32 s1, v54, 52
	s_andn2_b64 s[0:1], s[0:1], exec
	s_and_b64 s[2:3], s[22:23], exec
	s_or_b64 s[0:1], s[0:1], s[2:3]
	v_writelane_b32 v54, s0, 51
	v_writelane_b32 v54, s1, 52
	s_andn2_b64 s[0:1], s[8:9], exec
	s_and_b64 s[2:3], s[10:11], exec
	s_or_b64 s[8:9], s[0:1], s[2:3]
	s_andn2_b64 s[0:1], s[30:31], exec
	s_and_b64 s[2:3], s[18:19], exec
	s_or_b64 s[30:31], s[0:1], s[2:3]
	v_readlane_b32 s0, v54, 53
	v_readlane_b32 s1, v54, 54
	s_andn2_b64 s[0:1], s[0:1], exec
	s_and_b64 s[2:3], s[16:17], exec
	s_or_b64 s[0:1], s[0:1], s[2:3]
	v_writelane_b32 v54, s0, 53
	v_writelane_b32 v54, s1, 54
	v_readlane_b32 s0, v54, 55
	v_readlane_b32 s1, v54, 56
	s_andn2_b64 s[0:1], s[0:1], exec
	s_and_b64 s[2:3], s[14:15], exec
	s_or_b64 s[0:1], s[0:1], s[2:3]
	s_mov_b64 s[84:85], s[22:23]
	s_mov_b64 s[82:83], s[10:11]
	v_writelane_b32 v54, s0, 55
	v_writelane_b32 v54, s1, 56
	s_andn2_b64 exec, exec, s[68:69]
	s_cbranch_execz .LBB201_505
.LBB201_31:                             ; =>This Loop Header: Depth=1
                                        ;     Child Loop BB201_37 Depth 2
                                        ;     Child Loop BB201_50 Depth 2
	;; [unrolled: 1-line block ×24, first 2 shown]
	ds_read_b128 v[2:5], v13 offset:5120
	v_writelane_b32 v54, s18, 57
	v_writelane_b32 v54, s19, 58
	;; [unrolled: 1-line block ×4, first 2 shown]
	s_waitcnt lgkmcnt(0)
	v_readfirstlane_b32 s89, v3
	v_readfirstlane_b32 s88, v2
	v_writelane_b32 v54, s14, 61
	s_cmp_lg_u64 s[88:89], 0
	v_writelane_b32 v54, s15, 62
	s_cbranch_scc1 .LBB201_58
; %bb.32:                               ;   in Loop: Header=BB201_31 Depth=1
	v_readlane_b32 s0, v54, 20
	v_readlane_b32 s1, v54, 21
	s_and_b64 vcc, exec, s[0:1]
	s_cbranch_vccz .LBB201_45
; %bb.33:                               ;   in Loop: Header=BB201_31 Depth=1
	s_mov_b64 s[0:1], 0x301
	v_cmp_gt_u64_e32 vcc, s[0:1], v[4:5]
	s_mov_b64 s[0:1], 0
	s_mov_b64 s[2:3], 0
	s_cbranch_vccz .LBB201_46
; %bb.34:                               ;   in Loop: Header=BB201_31 Depth=1
	s_mov_b64 s[2:3], exec
	v_readlane_b32 s6, v54, 22
	v_readlane_b32 s7, v54, 23
	s_and_b64 s[6:7], s[2:3], s[6:7]
	s_mov_b64 exec, s[6:7]
	s_cbranch_execz .LBB201_114
; %bb.35:                               ;   in Loop: Header=BB201_31 Depth=1
	v_readlane_b32 s6, v54, 33
	v_readlane_b32 s7, v54, 34
	s_nop 4
	global_load_ushort v6, v13, s[6:7]
	global_load_dword v7, v[10:11], off
	v_readlane_b32 s6, v54, 40
	v_readlane_b32 s7, v54, 41
	v_mov_b32_e32 v2, s6
	v_mov_b32_e32 v3, s7
	s_mov_b64 s[10:11], 0
	s_waitcnt vmcnt(1)
	v_readfirstlane_b32 s6, v6
	s_and_b32 s12, 0xffff, s6
	v_add_u32_e32 v4, s12, v0
	v_mad_u64_u32 v[2:3], s[6:7], s24, v4, v[2:3]
	s_mul_i32 s13, s25, s12
	s_mul_i32 s20, s24, s12
	v_mad_u64_u32 v[3:4], s[6:7], s25, v4, v[3:4]
	s_mul_hi_u32 s6, s24, s12
	v_mov_b32_e32 v5, v1
	s_add_i32 s21, s6, s13
	v_mov_b32_e32 v4, v0
	s_branch .LBB201_37
.LBB201_36:                             ;   in Loop: Header=BB201_37 Depth=2
	s_or_b64 exec, exec, s[6:7]
	v_mov_b32_e32 v7, s21
	v_add_co_u32_e32 v2, vcc, s20, v2
	v_addc_co_u32_e32 v3, vcc, v3, v7, vcc
	v_mov_b32_e32 v7, v8
	s_andn2_b64 exec, exec, s[10:11]
	s_cbranch_execz .LBB201_114
.LBB201_37:                             ;   Parent Loop BB201_31 Depth=1
                                        ; =>  This Inner Loop Header: Depth=2
	v_add_co_u32_sdwa v4, vcc, v4, v6 dst_sel:DWORD dst_unused:UNUSED_PAD src0_sel:DWORD src1_sel:WORD_0
	v_addc_co_u32_e32 v5, vcc, 0, v5, vcc
	v_cmp_gt_u64_e64 s[6:7], s[60:61], v[4:5]
	v_cmp_le_u64_e32 vcc, s[60:61], v[4:5]
	s_waitcnt lgkmcnt(0)
	v_mov_b32_e32 v9, 0
	v_mov_b32_e32 v8, 0
	s_and_saveexec_b64 s[12:13], s[6:7]
	s_cbranch_execz .LBB201_39
; %bb.38:                               ;   in Loop: Header=BB201_37 Depth=2
	global_load_dword v8, v[2:3], off
.LBB201_39:                             ;   in Loop: Header=BB201_37 Depth=2
	s_or_b64 exec, exec, s[12:13]
	s_waitcnt vmcnt(0)
	v_cmp_lt_i32_e64 s[6:7], -1, v7
	v_cndmask_b32_e64 v12, -1, v50, s[6:7]
	v_xor_b32_e32 v12, v12, v7
	v_cmp_o_f32_e64 s[6:7], v7, v7
	v_cndmask_b32_e64 v12, -1, v12, s[6:7]
	v_and_b32_e32 v12, v12, v52
	v_cmp_eq_u32_e64 s[14:15], v12, v48
	s_cmp_lg_u64 s[14:15], 0
	s_cselect_b64 s[6:7], -1, 0
	s_and_b64 s[6:7], s[92:93], s[6:7]
	s_and_saveexec_b64 s[12:13], s[6:7]
	s_cbranch_execz .LBB201_43
; %bb.40:                               ;   in Loop: Header=BB201_37 Depth=2
	s_mov_b64 s[18:19], exec
	v_mbcnt_lo_u32_b32 v9, s18, 0
	v_mbcnt_hi_u32_b32 v9, s19, v9
	s_bcnt1_i32_b64 s22, s[14:15]
	v_cmp_eq_u32_e64 s[6:7], 0, v9
                                        ; implicit-def: $vgpr12
	s_and_saveexec_b64 s[16:17], s[6:7]
; %bb.41:                               ;   in Loop: Header=BB201_37 Depth=2
	s_bcnt1_i32_b64 s6, s[18:19]
	s_mul_i32 s6, s22, s6
	v_mov_b32_e32 v12, s6
	ds_add_rtn_u32 v12, v13, v12 offset:5144
; %bb.42:                               ;   in Loop: Header=BB201_37 Depth=2
	s_or_b64 exec, exec, s[16:17]
	s_waitcnt lgkmcnt(0)
	v_readfirstlane_b32 s6, v12
	v_mov_b32_e32 v12, s6
	v_mad_u32_u24 v9, s22, v9, v12
.LBB201_43:                             ;   in Loop: Header=BB201_37 Depth=2
	s_or_b64 exec, exec, s[12:13]
	ds_bpermute_b32 v9, v41, v9
	s_and_b64 s[6:7], exec, vcc
	s_or_b64 s[10:11], s[6:7], s[10:11]
	s_and_saveexec_b64 s[6:7], s[14:15]
	s_cbranch_execz .LBB201_36
; %bb.44:                               ;   in Loop: Header=BB201_37 Depth=2
	v_and_b32_e32 v27, s14, v43
	v_and_b32_e32 v12, s15, v42
	v_bcnt_u32_b32 v27, v27, 0
	v_bcnt_u32_b32 v12, v12, v27
	v_lshlrev_b32_e32 v12, 2, v12
	s_waitcnt lgkmcnt(0)
	v_lshl_add_u32 v9, v9, 2, v12
	ds_write_b32 v9, v7
	s_branch .LBB201_36
.LBB201_45:                             ;   in Loop: Header=BB201_31 Depth=1
	s_mov_b64 s[0:1], -1
	s_mov_b64 s[2:3], 0
.LBB201_46:                             ;   in Loop: Header=BB201_31 Depth=1
	s_and_b64 vcc, exec, s[0:1]
	s_cbranch_vccz .LBB201_56
.LBB201_47:                             ;   in Loop: Header=BB201_31 Depth=1
	s_mov_b64 s[0:1], exec
	v_readlane_b32 s2, v54, 22
	v_readlane_b32 s3, v54, 23
	s_and_b64 s[2:3], s[0:1], s[2:3]
	s_mov_b64 exec, s[2:3]
	s_cbranch_execz .LBB201_53
; %bb.48:                               ;   in Loop: Header=BB201_31 Depth=1
	v_readlane_b32 s2, v54, 33
	v_readlane_b32 s3, v54, 34
	s_nop 4
	global_load_ushort v2, v13, s[2:3]
	global_load_dword v8, v[10:11], off
	s_waitcnt vmcnt(1)
	v_add_u32_sdwa v12, v2, v0 dst_sel:DWORD dst_unused:UNUSED_PAD src0_sel:WORD_0 src1_sel:DWORD
	v_cmp_gt_u64_e32 vcc, s[60:61], v[12:13]
	v_readfirstlane_b32 s6, v2
	v_mov_b32_e32 v2, v0
	s_and_saveexec_b64 s[2:3], vcc
	s_cbranch_execz .LBB201_52
; %bb.49:                               ;   in Loop: Header=BB201_31 Depth=1
	v_readlane_b32 s10, v54, 40
	v_readlane_b32 s11, v54, 41
	v_mov_b32_e32 v2, s10
	v_mov_b32_e32 v3, s11
	v_mad_u64_u32 v[2:3], s[10:11], s24, v12, v[2:3]
	s_and_b32 s10, s6, 0xffff
	v_mov_b32_e32 v7, v1
	v_mad_u64_u32 v[3:4], s[6:7], s25, v12, v[3:4]
	s_mul_i32 s6, s25, s10
	s_mul_hi_u32 s7, s24, s10
	v_mov_b32_e32 v4, v12
	s_add_i32 s11, s7, s6
	s_mov_b64 s[6:7], 0
	v_mov_b32_e32 v5, v13
	v_mov_b32_e32 v6, v0
.LBB201_50:                             ;   Parent Loop BB201_31 Depth=1
                                        ; =>  This Inner Loop Header: Depth=2
	global_load_dword v9, v[2:3], off
	v_mov_b32_e32 v32, v5
	s_mul_i32 s12, s24, s10
	v_mov_b32_e32 v31, v4
	v_mov_b32_e32 v5, s11
	v_add_co_u32_e32 v2, vcc, s12, v2
	v_lshlrev_b32_e32 v4, 2, v6
	v_addc_co_u32_e32 v3, vcc, v3, v5, vcc
	s_waitcnt vmcnt(1)
	ds_write_b32 v4, v8
	v_add_co_u32_e32 v4, vcc, s10, v31
	v_addc_co_u32_e32 v5, vcc, 0, v32, vcc
	v_cmp_le_u64_e32 vcc, s[60:61], v[4:5]
	v_mov_b32_e32 v6, v31
	s_or_b64 s[6:7], vcc, s[6:7]
	v_mov_b32_e32 v7, v32
	s_waitcnt vmcnt(0)
	v_mov_b32_e32 v8, v9
	s_andn2_b64 exec, exec, s[6:7]
	s_cbranch_execnz .LBB201_50
; %bb.51:                               ;   in Loop: Header=BB201_31 Depth=1
	s_or_b64 exec, exec, s[6:7]
	v_subrev_u32_e32 v2, s10, v4
	v_mov_b32_e32 v8, v9
.LBB201_52:                             ;   in Loop: Header=BB201_31 Depth=1
	s_or_b64 exec, exec, s[2:3]
	v_lshlrev_b32_e32 v2, 2, v2
	s_waitcnt vmcnt(0)
	ds_write_b32 v2, v8
.LBB201_53:                             ;   in Loop: Header=BB201_31 Depth=1
	s_or_b64 exec, exec, s[0:1]
	s_waitcnt lgkmcnt(0)
	s_barrier
	s_mov_b64 s[0:1], exec
	v_readlane_b32 s2, v54, 10
	v_readlane_b32 s3, v54, 11
	s_and_b64 s[2:3], s[0:1], s[2:3]
	s_mov_b64 exec, s[2:3]
; %bb.54:                               ;   in Loop: Header=BB201_31 Depth=1
	v_mov_b32_e32 v2, s60
	v_mov_b32_e32 v3, s61
	ds_write_b64 v13, v[2:3] offset:5120
; %bb.55:                               ;   in Loop: Header=BB201_31 Depth=1
	s_or_b64 exec, exec, s[0:1]
	s_waitcnt lgkmcnt(0)
	s_barrier
	s_mov_b64 s[2:3], -1
.LBB201_56:                             ;   in Loop: Header=BB201_31 Depth=1
	s_mov_b64 s[88:89], 0
	s_and_b64 vcc, exec, s[2:3]
	s_cbranch_vccz .LBB201_58
; %bb.57:                               ;   in Loop: Header=BB201_31 Depth=1
	ds_read_b64 v[2:3], v13 offset:5120
	s_waitcnt lgkmcnt(0)
	v_readfirstlane_b32 s88, v2
.LBB201_58:                             ;   in Loop: Header=BB201_31 Depth=1
	s_cmp_lt_i32 s88, 1
	s_mov_b64 s[0:1], -1
                                        ; implicit-def: $vgpr2_vgpr3
                                        ; implicit-def: $vgpr6_vgpr7
	s_cbranch_scc0 .LBB201_73
; %bb.59:                               ;   in Loop: Header=BB201_31 Depth=1
	v_readlane_b32 s0, v54, 33
	v_readlane_b32 s1, v54, 34
	s_nop 4
	global_load_ushort v2, v13, s[0:1]
	s_mov_b32 s0, s87
	s_waitcnt vmcnt(0)
	v_readfirstlane_b32 s1, v2
	s_and_b32 s12, s1, 0xffff
	s_lshl_b32 s10, s12, 2
	s_mov_b32 s1, s61
	s_cmp_lg_u64 s[0:1], 0
	s_cbranch_scc0 .LBB201_91
; %bb.60:                               ;   in Loop: Header=BB201_31 Depth=1
	v_cvt_f32_u32_e32 v2, s10
	s_sub_u32 s2, 0, s10
	s_subb_u32 s3, 0, 0
	v_mac_f32_e32 v2, 0, v51
	v_rcp_f32_e32 v2, v2
	v_mul_f32_e32 v2, 0x5f7ffffc, v2
	v_mul_f32_e32 v3, 0x2f800000, v2
	v_trunc_f32_e32 v3, v3
	v_mac_f32_e32 v2, 0xcf800000, v3
	v_cvt_u32_f32_e32 v3, v3
	v_cvt_u32_f32_e32 v2, v2
	v_readfirstlane_b32 s6, v3
	v_readfirstlane_b32 s0, v2
	s_mul_i32 s1, s2, s6
	s_mul_hi_u32 s11, s2, s0
	s_mul_i32 s7, s3, s0
	s_add_i32 s1, s11, s1
	s_mul_i32 s13, s2, s0
	s_add_i32 s1, s1, s7
	s_mul_hi_u32 s11, s0, s13
	s_mul_i32 s14, s0, s1
	s_mul_hi_u32 s7, s0, s1
	s_add_u32 s11, s11, s14
	s_addc_u32 s7, 0, s7
	s_mul_hi_u32 s15, s6, s13
	s_mul_i32 s13, s6, s13
	s_add_u32 s11, s11, s13
	s_mul_hi_u32 s14, s6, s1
	s_addc_u32 s7, s7, s15
	s_addc_u32 s11, s14, 0
	s_mul_i32 s1, s6, s1
	s_add_u32 s1, s7, s1
	s_addc_u32 s7, 0, s11
	s_add_u32 s11, s0, s1
	s_cselect_b64 s[0:1], -1, 0
	s_cmp_lg_u64 s[0:1], 0
	s_addc_u32 s6, s6, s7
	s_mul_i32 s0, s2, s6
	s_mul_hi_u32 s1, s2, s11
	s_add_i32 s0, s1, s0
	s_mul_i32 s3, s3, s11
	s_add_i32 s0, s0, s3
	s_mul_i32 s2, s2, s11
	s_mul_hi_u32 s3, s6, s2
	s_mul_i32 s7, s6, s2
	s_mul_i32 s14, s11, s0
	s_mul_hi_u32 s2, s11, s2
	s_mul_hi_u32 s13, s11, s0
	s_add_u32 s2, s2, s14
	s_addc_u32 s13, 0, s13
	s_add_u32 s2, s2, s7
	s_mul_hi_u32 s1, s6, s0
	s_addc_u32 s2, s13, s3
	s_addc_u32 s1, s1, 0
	s_mul_i32 s0, s6, s0
	s_add_u32 s0, s2, s0
	s_addc_u32 s2, 0, s1
	s_add_u32 s3, s11, s0
	s_cselect_b64 s[0:1], -1, 0
	s_cmp_lg_u64 s[0:1], 0
	s_addc_u32 s0, s6, s2
	s_mul_i32 s2, s60, s0
	s_mul_hi_u32 s6, s60, s3
	s_mul_hi_u32 s1, s60, s0
	s_add_u32 s2, s6, s2
	s_addc_u32 s1, 0, s1
	s_mul_hi_u32 s7, s61, s3
	s_mul_i32 s3, s61, s3
	s_add_u32 s2, s2, s3
	s_mul_hi_u32 s6, s61, s0
	s_addc_u32 s1, s1, s7
	s_addc_u32 s2, s6, 0
	s_mul_i32 s0, s61, s0
	s_add_u32 s0, s1, s0
	s_addc_u32 s1, 0, s2
	s_mul_i32 s1, s10, s1
	s_mul_hi_u32 s2, s10, s0
	s_add_i32 s2, s2, s1
	s_mul_i32 s0, s10, s0
	s_sub_u32 s3, s60, s0
	s_cselect_b64 s[0:1], -1, 0
	s_cmp_lg_u64 s[0:1], 0
	s_subb_u32 s2, s61, s2
	s_sub_u32 s6, s3, s10
	s_cselect_b64 s[0:1], -1, 0
	s_cmp_lg_u64 s[0:1], 0
	s_subb_u32 s7, s2, 0
	;; [unrolled: 4-line block ×3, first 2 shown]
	s_cmp_ge_u32 s6, s10
	s_cselect_b32 s1, -1, 0
	s_cmp_eq_u32 s7, 0
	s_cselect_b32 s1, s1, -1
	s_cmp_lg_u32 s1, 0
	s_cselect_b32 s0, s0, s7
	s_cselect_b32 s6, s11, s6
	s_cmp_ge_u32 s3, s10
	s_cselect_b32 s1, -1, 0
	s_cmp_eq_u32 s2, 0
	s_cselect_b32 s1, s1, -1
	s_cmp_lg_u32 s1, 0
	s_cselect_b32 s1, s0, s2
	s_cselect_b32 s0, s6, s3
	s_cbranch_execnz .LBB201_62
.LBB201_61:                             ;   in Loop: Header=BB201_31 Depth=1
	v_cvt_f32_u32_e32 v2, s10
	s_sub_i32 s0, 0, s10
	v_rcp_iflag_f32_e32 v2, v2
	v_mul_f32_e32 v2, 0x4f7ffffe, v2
	v_cvt_u32_f32_e32 v2, v2
	v_readfirstlane_b32 s1, v2
	s_mul_i32 s0, s0, s1
	s_mul_hi_u32 s0, s1, s0
	s_add_i32 s1, s1, s0
	s_mul_hi_u32 s0, s60, s1
	s_mul_i32 s0, s0, s10
	s_sub_i32 s0, s60, s0
	s_sub_i32 s1, s0, s10
	s_cmp_ge_u32 s0, s10
	s_cselect_b32 s0, s1, s0
	s_sub_i32 s1, s0, s10
	s_cmp_ge_u32 s0, s10
	s_cselect_b32 s86, s1, s0
	s_mov_b64 s[0:1], s[86:87]
.LBB201_62:                             ;   in Loop: Header=BB201_31 Depth=1
	s_sub_u32 s20, s60, s0
	s_subb_u32 s21, s61, s1
	v_cmp_gt_u64_e32 vcc, s[20:21], v[14:15]
	v_mov_b32_e32 v2, 0
	v_mov_b32_e32 v4, 0
	;; [unrolled: 1-line block ×8, first 2 shown]
	s_and_saveexec_b64 s[22:23], vcc
	s_cbranch_execz .LBB201_66
; %bb.63:                               ;   in Loop: Header=BB201_31 Depth=1
	v_readlane_b32 s2, v54, 42
	v_readlane_b32 s3, v54, 43
	s_mul_i32 s0, s3, s12
	s_mul_hi_u32 s1, s2, s12
	v_mov_b32_e32 v32, v23
	v_mov_b32_e32 v34, v21
	;; [unrolled: 1-line block ×5, first 2 shown]
	s_add_i32 s0, s1, s0
	s_mul_i32 s1, s2, s12
	s_mov_b64 s[24:25], 0
	v_mov_b32_e32 v31, v22
	v_mov_b32_e32 v33, v20
	;; [unrolled: 1-line block ×4, first 2 shown]
	s_mov_b64 s[26:27], 0
	s_mov_b64 s[28:29], 0
	;; [unrolled: 1-line block ×4, first 2 shown]
	v_mov_b32_e32 v39, v14
.LBB201_64:                             ;   Parent Loop BB201_31 Depth=1
                                        ; =>  This Inner Loop Header: Depth=2
	v_add_co_u32_e32 v2, vcc, s72, v31
	v_mov_b32_e32 v4, s73
	v_addc_co_u32_e32 v3, vcc, v32, v4, vcc
	global_load_dword v5, v[2:3], off
	v_add_co_u32_e32 v2, vcc, s72, v33
	v_addc_co_u32_e32 v3, vcc, v34, v4, vcc
	global_load_dword v6, v[2:3], off
	v_add_co_u32_e32 v2, vcc, s72, v35
	;; [unrolled: 3-line block ×3, first 2 shown]
	v_addc_co_u32_e32 v3, vcc, v38, v4, vcc
	global_load_dword v2, v[2:3], off
	s_waitcnt vmcnt(3)
	v_cmp_lt_i32_e32 vcc, -1, v5
	v_cndmask_b32_e32 v3, -1, v50, vcc
	v_cmp_o_f32_e32 vcc, v5, v5
	v_xor_b32_e32 v3, v3, v5
	v_cndmask_b32_e32 v3, -1, v3, vcc
	s_waitcnt vmcnt(2)
	v_cmp_lt_i32_e32 vcc, -1, v6
	v_cndmask_b32_e32 v4, -1, v50, vcc
	v_cmp_o_f32_e32 vcc, v6, v6
	v_xor_b32_e32 v4, v4, v6
	v_cndmask_b32_e32 v4, -1, v4, vcc
	;; [unrolled: 6-line block ×3, first 2 shown]
	s_waitcnt vmcnt(0)
	v_cmp_lt_i32_e32 vcc, -1, v2
	v_cndmask_b32_e32 v6, -1, v50, vcc
	v_cmp_o_f32_e32 vcc, v2, v2
	v_xor_b32_e32 v2, v6, v2
	v_and_b32_e32 v6, v3, v52
	v_bfe_u32 v3, v3, s66, 2
	v_cndmask_b32_e32 v2, -1, v2, vcc
	v_cmp_eq_u32_e32 vcc, v6, v48
	v_and_b32_e32 v6, v4, v52
	v_bfe_u32 v4, v4, s66, 2
	v_cmp_eq_u32_e64 s[18:19], 0, v3
	v_cmp_eq_u32_e64 s[6:7], v6, v48
	v_and_b32_e32 v6, v5, v52
	v_bfe_u32 v5, v5, s66, 2
	s_and_b64 s[2:3], vcc, s[18:19]
	v_cmp_eq_u32_e64 s[18:19], 0, v4
	v_cmp_eq_u32_e64 s[14:15], v6, v48
	v_and_b32_e32 v6, v2, v52
	v_bfe_u32 v2, v2, s66, 2
	s_and_b64 s[38:39], s[6:7], s[18:19]
	v_cmp_eq_u32_e64 s[18:19], 0, v5
	v_cmp_eq_u32_e64 s[16:17], v6, v48
	s_and_b64 s[40:41], s[14:15], s[18:19]
	v_cmp_eq_u32_e64 s[18:19], 0, v2
	v_cndmask_b32_e64 v6, 0, 1, s[2:3]
	s_and_b64 s[42:43], s[16:17], s[18:19]
	v_cmp_ne_u32_e64 s[18:19], 0, v6
	v_cndmask_b32_e64 v6, 0, 1, s[38:39]
	s_bcnt1_i32_b64 s2, s[18:19]
	v_cmp_ne_u32_e64 s[18:19], 0, v6
	v_cndmask_b32_e64 v6, 0, 1, s[40:41]
	s_bcnt1_i32_b64 s3, s[18:19]
	;; [unrolled: 3-line block ×3, first 2 shown]
	v_cmp_ne_u32_e64 s[18:19], 0, v6
	s_bcnt1_i32_b64 s13, s[18:19]
	s_add_u32 s2, s2, s36
	s_addc_u32 s18, 0, s37
	s_add_u32 s2, s2, s3
	s_addc_u32 s3, s18, 0
	;; [unrolled: 2-line block ×3, first 2 shown]
	s_add_u32 s36, s2, s13
	v_cmp_eq_u32_e64 s[18:19], 1, v3
	s_addc_u32 s37, s3, 0
	s_and_b64 s[2:3], vcc, s[18:19]
	v_cmp_eq_u32_e64 s[18:19], 1, v4
	s_and_b64 s[38:39], s[6:7], s[18:19]
	v_cmp_eq_u32_e64 s[18:19], 1, v5
	s_and_b64 s[40:41], s[14:15], s[18:19]
	v_cmp_eq_u32_e64 s[18:19], 1, v2
	v_cndmask_b32_e64 v6, 0, 1, s[2:3]
	s_and_b64 s[42:43], s[16:17], s[18:19]
	v_cmp_ne_u32_e64 s[18:19], 0, v6
	v_cndmask_b32_e64 v6, 0, 1, s[38:39]
	s_bcnt1_i32_b64 s2, s[18:19]
	v_cmp_ne_u32_e64 s[18:19], 0, v6
	v_cndmask_b32_e64 v6, 0, 1, s[40:41]
	s_bcnt1_i32_b64 s3, s[18:19]
	;; [unrolled: 3-line block ×3, first 2 shown]
	v_cmp_ne_u32_e64 s[18:19], 0, v6
	s_bcnt1_i32_b64 s13, s[18:19]
	s_add_u32 s2, s2, s34
	s_addc_u32 s18, 0, s35
	s_add_u32 s2, s2, s3
	s_addc_u32 s3, s18, 0
	;; [unrolled: 2-line block ×3, first 2 shown]
	s_add_u32 s34, s2, s13
	v_cmp_eq_u32_e64 s[18:19], 2, v3
	s_addc_u32 s35, s3, 0
	s_and_b64 s[2:3], vcc, s[18:19]
	v_cmp_eq_u32_e64 s[18:19], 2, v4
	s_and_b64 s[38:39], s[6:7], s[18:19]
	v_cmp_eq_u32_e64 s[18:19], 2, v5
	s_and_b64 s[40:41], s[14:15], s[18:19]
	v_cmp_eq_u32_e64 s[18:19], 2, v2
	v_cndmask_b32_e64 v6, 0, 1, s[2:3]
	s_and_b64 s[42:43], s[16:17], s[18:19]
	v_cmp_ne_u32_e64 s[18:19], 0, v6
	v_cndmask_b32_e64 v6, 0, 1, s[38:39]
	s_bcnt1_i32_b64 s2, s[18:19]
	v_cmp_ne_u32_e64 s[18:19], 0, v6
	v_cndmask_b32_e64 v6, 0, 1, s[40:41]
	s_bcnt1_i32_b64 s3, s[18:19]
	;; [unrolled: 3-line block ×3, first 2 shown]
	v_cmp_ne_u32_e64 s[18:19], 0, v6
	s_bcnt1_i32_b64 s13, s[18:19]
	s_add_u32 s2, s2, s28
	s_addc_u32 s18, 0, s29
	s_add_u32 s2, s2, s3
	s_addc_u32 s3, s18, 0
	;; [unrolled: 2-line block ×3, first 2 shown]
	s_add_u32 s28, s2, s13
	v_cmp_eq_u32_e64 s[18:19], 3, v3
	s_addc_u32 s29, s3, 0
	s_and_b64 s[2:3], vcc, s[18:19]
	v_cmp_eq_u32_e32 vcc, 3, v4
	s_and_b64 s[6:7], s[6:7], vcc
	v_cmp_eq_u32_e32 vcc, 3, v5
	s_and_b64 s[14:15], s[14:15], vcc
	v_cmp_eq_u32_e32 vcc, 3, v2
	v_cndmask_b32_e64 v2, 0, 1, s[2:3]
	s_and_b64 s[16:17], s[16:17], vcc
	v_cmp_ne_u32_e32 vcc, 0, v2
	v_cndmask_b32_e64 v2, 0, 1, s[6:7]
	s_bcnt1_i32_b64 s2, vcc
	v_cmp_ne_u32_e32 vcc, 0, v2
	v_cndmask_b32_e64 v2, 0, 1, s[14:15]
	s_bcnt1_i32_b64 s3, vcc
	;; [unrolled: 3-line block ×3, first 2 shown]
	v_cmp_ne_u32_e32 vcc, 0, v2
	s_bcnt1_i32_b64 s7, vcc
	v_add_co_u32_e32 v39, vcc, s10, v39
	v_addc_co_u32_e32 v40, vcc, 0, v40, vcc
	v_add_co_u32_e32 v37, vcc, s1, v37
	v_mov_b32_e32 v2, s0
	v_addc_co_u32_e32 v38, vcc, v38, v2, vcc
	s_add_u32 s2, s2, s26
	v_add_co_u32_e32 v35, vcc, s1, v35
	s_addc_u32 s11, 0, s27
	v_addc_co_u32_e32 v36, vcc, v36, v2, vcc
	s_add_u32 s2, s2, s3
	v_add_co_u32_e32 v33, vcc, s1, v33
	s_addc_u32 s3, s11, 0
	;; [unrolled: 4-line block ×3, first 2 shown]
	v_addc_co_u32_e32 v32, vcc, v32, v2, vcc
	s_add_u32 s26, s2, s7
	v_cmp_le_u64_e32 vcc, s[20:21], v[39:40]
	s_addc_u32 s27, s3, 0
	v_mov_b32_e32 v2, s36
	v_mov_b32_e32 v4, s34
	v_mov_b32_e32 v6, s28
	v_mov_b32_e32 v8, s26
	s_or_b64 s[24:25], vcc, s[24:25]
	v_mov_b32_e32 v3, s37
	v_mov_b32_e32 v5, s35
	;; [unrolled: 1-line block ×4, first 2 shown]
	s_andn2_b64 exec, exec, s[24:25]
	s_cbranch_execnz .LBB201_64
; %bb.65:                               ;   in Loop: Header=BB201_31 Depth=1
	s_or_b64 exec, exec, s[24:25]
.LBB201_66:                             ;   in Loop: Header=BB201_31 Depth=1
	s_or_b64 exec, exec, s[22:23]
	v_mov_b32_e32 v12, s21
	v_add_co_u32_e32 v31, vcc, s20, v0
	v_addc_co_u32_e32 v32, vcc, 0, v12, vcc
	v_cmp_gt_u64_e32 vcc, s[60:61], v[31:32]
	s_and_saveexec_b64 s[0:1], vcc
	s_cbranch_execz .LBB201_72
; %bb.67:                               ;   in Loop: Header=BB201_31 Depth=1
	v_mul_lo_u32 v12, v32, s58
	v_mul_lo_u32 v27, v31, s59
	v_mad_u64_u32 v[33:34], s[2:3], v31, s58, 0
	s_mov_b64 s[2:3], 0
	v_add3_u32 v34, v34, v27, v12
	v_lshlrev_b64 v[33:34], 2, v[33:34]
	v_mov_b32_e32 v12, s77
	v_add_co_u32_e32 v33, vcc, s76, v33
	v_addc_co_u32_e32 v34, vcc, v12, v34, vcc
	global_load_dword v27, v[33:34], off
	s_branch .LBB201_69
.LBB201_68:                             ;   in Loop: Header=BB201_69 Depth=2
	s_or_b64 exec, exec, s[10:11]
	s_and_b64 s[6:7], exec, vcc
	s_waitcnt vmcnt(0)
	v_cmp_lt_i32_e32 vcc, -1, v27
	v_cndmask_b32_e32 v33, -1, v50, vcc
	v_xor_b32_e32 v33, v33, v27
	v_cmp_o_f32_e32 vcc, v27, v27
	v_cndmask_b32_e32 v27, -1, v33, vcc
	v_and_b32_e32 v33, v27, v52
	v_bfe_u32 v27, v27, s66, 2
	s_or_b64 s[2:3], s[6:7], s[2:3]
	v_cmp_eq_u32_e32 vcc, v33, v48
	v_cmp_eq_u32_e64 s[6:7], 0, v27
	s_and_b64 s[6:7], vcc, s[6:7]
	v_cndmask_b32_e64 v33, 0, 1, s[6:7]
	v_cmp_ne_u32_e64 s[6:7], 0, v33
	s_bcnt1_i32_b64 s6, s[6:7]
	v_add_co_u32_e64 v2, s[6:7], s6, v2
	v_addc_co_u32_e64 v3, s[6:7], 0, v3, s[6:7]
	v_cmp_eq_u32_e64 s[6:7], 1, v27
	s_and_b64 s[6:7], vcc, s[6:7]
	v_cndmask_b32_e64 v33, 0, 1, s[6:7]
	v_cmp_ne_u32_e64 s[6:7], 0, v33
	s_bcnt1_i32_b64 s6, s[6:7]
	v_add_co_u32_e64 v4, s[6:7], s6, v4
	v_addc_co_u32_e64 v5, s[6:7], 0, v5, s[6:7]
	;; [unrolled: 7-line block ×3, first 2 shown]
	v_cmp_eq_u32_e64 s[6:7], 3, v27
	s_and_b64 s[6:7], vcc, s[6:7]
	v_cndmask_b32_e64 v27, 0, 1, s[6:7]
	v_cmp_ne_u32_e32 vcc, 0, v27
	s_bcnt1_i32_b64 s6, vcc
	v_add_co_u32_e32 v8, vcc, s6, v8
	v_addc_co_u32_e32 v9, vcc, 0, v9, vcc
	v_mov_b32_e32 v27, v12
	s_andn2_b64 exec, exec, s[2:3]
	s_cbranch_execz .LBB201_71
.LBB201_69:                             ;   Parent Loop BB201_31 Depth=1
                                        ; =>  This Inner Loop Header: Depth=2
	v_add_co_u32_e32 v31, vcc, s12, v31
	v_addc_co_u32_e32 v32, vcc, 0, v32, vcc
	v_cmp_gt_u64_e64 s[6:7], s[60:61], v[31:32]
	v_cmp_le_u64_e32 vcc, s[60:61], v[31:32]
	v_mov_b32_e32 v12, 0
	s_and_saveexec_b64 s[10:11], s[6:7]
	s_cbranch_execz .LBB201_68
; %bb.70:                               ;   in Loop: Header=BB201_69 Depth=2
	v_mul_lo_u32 v12, v32, s58
	v_mul_lo_u32 v35, v31, s59
	v_mad_u64_u32 v[33:34], s[6:7], v31, s58, 0
	v_add3_u32 v34, v34, v35, v12
	v_lshlrev_b64 v[33:34], 2, v[33:34]
	v_mov_b32_e32 v12, s77
	v_add_co_u32_e64 v33, s[6:7], s76, v33
	v_addc_co_u32_e64 v34, s[6:7], v12, v34, s[6:7]
	global_load_dword v12, v[33:34], off
	s_branch .LBB201_68
.LBB201_71:                             ;   in Loop: Header=BB201_31 Depth=1
	s_or_b64 exec, exec, s[2:3]
.LBB201_72:                             ;   in Loop: Header=BB201_31 Depth=1
	s_or_b64 exec, exec, s[0:1]
	s_mov_b64 s[0:1], 0
.LBB201_73:                             ;   in Loop: Header=BB201_31 Depth=1
	s_and_b64 vcc, exec, s[0:1]
	s_cbranch_vccz .LBB201_83
; %bb.74:                               ;   in Loop: Header=BB201_31 Depth=1
	v_readlane_b32 s0, v54, 33
	v_readlane_b32 s1, v54, 34
	v_mov_b32_e32 v6, 0
	v_mov_b32_e32 v7, 0
	s_nop 2
	global_load_ushort v12, v13, s[0:1]
	s_waitcnt vmcnt(0)
	v_readfirstlane_b32 s0, v12
	s_and_b32 s0, 0xffff, s0
	s_lshl_b32 s67, s0, 2
	v_cvt_f32_u32_e32 v2, s67
	s_sub_i32 s1, 0, s67
	v_rcp_iflag_f32_e32 v4, v2
	v_mov_b32_e32 v2, 0
	v_mov_b32_e32 v3, 0
	v_mul_f32_e32 v4, 0x4f7ffffe, v4
	v_cvt_u32_f32_e32 v8, v4
	v_mov_b32_e32 v4, 0
	v_mov_b32_e32 v5, 0
	v_readfirstlane_b32 s2, v8
	s_mul_i32 s1, s1, s2
	s_mul_hi_u32 s1, s2, s1
	s_add_i32 s2, s2, s1
	s_mul_hi_u32 s1, s88, s2
	s_mul_i32 s2, s1, s67
	s_sub_i32 s2, s88, s2
	s_add_i32 s3, s1, 1
	s_sub_i32 s6, s2, s67
	s_cmp_ge_u32 s2, s67
	s_cselect_b32 s1, s3, s1
	s_cselect_b32 s2, s6, s2
	s_add_i32 s3, s1, 1
	s_cmp_ge_u32 s2, s67
	s_cselect_b32 s1, s3, s1
	s_mul_hi_u32 s91, s0, s1
	s_mul_i32 s90, s0, s1
	s_lshl_b64 s[80:81], s[90:91], 2
	v_cmp_gt_u64_e32 vcc, s[80:81], v[14:15]
	v_mov_b32_e32 v8, 0
	v_mov_b32_e32 v9, 0
	s_and_saveexec_b64 s[2:3], vcc
	s_cbranch_execz .LBB201_78
; %bb.75:                               ;   in Loop: Header=BB201_31 Depth=1
	v_mov_b32_e32 v32, v15
	s_mov_b64 s[70:71], s[92:93]
	s_lshl_b32 s86, s0, 4
	s_mov_b64 s[94:95], 0
	v_mov_b32_e32 v27, v47
	s_mov_b64 s[0:1], 0
	s_mov_b64 s[10:11], 0
	;; [unrolled: 1-line block ×4, first 2 shown]
	v_mov_b32_e32 v31, v14
.LBB201_76:                             ;   Parent Loop BB201_31 Depth=1
                                        ; =>  This Inner Loop Header: Depth=2
	ds_read_b128 v[2:5], v27
	v_add_co_u32_e32 v31, vcc, s67, v31
	v_addc_co_u32_e32 v32, vcc, 0, v32, vcc
	s_waitcnt lgkmcnt(0)
	v_cmp_lt_i32_e64 s[6:7], -1, v2
	v_cndmask_b32_e64 v6, -1, v50, s[6:7]
	v_cmp_lt_i32_e64 s[6:7], -1, v3
	v_cndmask_b32_e64 v7, -1, v50, s[6:7]
	;; [unrolled: 2-line block ×4, first 2 shown]
	v_xor_b32_e32 v7, v7, v3
	v_cmp_o_f32_e64 s[6:7], v3, v3
	v_xor_b32_e32 v3, v8, v4
	v_cmp_o_f32_e64 s[14:15], v4, v4
	;; [unrolled: 2-line block ×4, first 2 shown]
	v_cndmask_b32_e64 v2, -1, v5, s[18:19]
	v_cndmask_b32_e64 v5, -1, v7, s[6:7]
	v_and_b32_e32 v6, v2, v52
	v_bfe_u32 v2, v2, s66, 2
	v_cndmask_b32_e64 v3, -1, v3, s[14:15]
	v_and_b32_e32 v7, v5, v52
	v_bfe_u32 v5, v5, s66, 2
	v_cmp_eq_u32_e64 s[20:21], v6, v48
	v_cmp_eq_u32_e64 s[6:7], 0, v2
	v_cndmask_b32_e64 v4, -1, v4, s[16:17]
	v_and_b32_e32 v8, v3, v52
	v_bfe_u32 v3, v3, s66, 2
	v_cmp_eq_u32_e64 s[18:19], v7, v48
	v_cmp_eq_u32_e64 s[34:35], 0, v5
	s_and_b64 s[6:7], s[20:21], s[6:7]
	v_and_b32_e32 v9, v4, v52
	v_bfe_u32 v4, v4, s66, 2
	v_cmp_eq_u32_e64 s[16:17], v8, v48
	v_cmp_eq_u32_e64 s[36:37], 0, v3
	;; [unrolled: 1-line block ×5, first 2 shown]
	v_cndmask_b32_e64 v2, 0, 1, s[6:7]
	s_and_b64 s[6:7], s[18:19], s[34:35]
	v_cmp_eq_u32_e64 s[14:15], v9, v48
	v_cmp_eq_u32_e64 s[38:39], 0, v4
	;; [unrolled: 1-line block ×5, first 2 shown]
	v_cndmask_b32_e64 v3, 0, 1, s[6:7]
	s_and_b64 s[6:7], s[16:17], s[36:37]
	v_cmp_eq_u32_e64 s[46:47], 1, v4
	v_cmp_eq_u32_e64 s[54:55], 2, v4
	;; [unrolled: 1-line block ×3, first 2 shown]
	v_cndmask_b32_e64 v4, 0, 1, s[6:7]
	s_and_b64 s[6:7], s[14:15], s[38:39]
	v_cmp_eq_u32_e64 s[42:43], 1, v5
	v_cmp_eq_u32_e64 s[50:51], 2, v5
	;; [unrolled: 1-line block ×3, first 2 shown]
	v_cndmask_b32_e64 v5, 0, 1, s[6:7]
	v_cmp_ne_u32_e64 s[6:7], 0, v2
	v_cmp_ne_u32_e64 s[34:35], 0, v3
	v_cmp_ne_u32_e64 s[36:37], 0, v4
	v_cmp_ne_u32_e64 s[38:39], 0, v5
	s_bcnt1_i32_b64 s6, s[6:7]
	s_bcnt1_i32_b64 s7, s[34:35]
	s_bcnt1_i32_b64 s34, s[36:37]
	s_bcnt1_i32_b64 s35, s[38:39]
	s_add_u32 s6, s6, s12
	s_addc_u32 s12, 0, s13
	s_add_u32 s6, s6, s7
	s_addc_u32 s7, s12, 0
	s_add_u32 s6, s6, s34
	s_addc_u32 s7, s7, 0
	s_add_u32 s12, s6, s35
	s_addc_u32 s13, s7, 0
	s_and_b64 s[6:7], s[20:21], s[40:41]
	v_cndmask_b32_e64 v4, 0, 1, s[6:7]
	s_and_b64 s[6:7], s[18:19], s[42:43]
	v_cndmask_b32_e64 v5, 0, 1, s[6:7]
	s_and_b64 s[6:7], s[16:17], s[44:45]
	v_cndmask_b32_e64 v6, 0, 1, s[6:7]
	s_and_b64 s[6:7], s[14:15], s[46:47]
	v_cndmask_b32_e64 v7, 0, 1, s[6:7]
	v_cmp_ne_u32_e64 s[6:7], 0, v4
	v_cmp_ne_u32_e64 s[34:35], 0, v5
	v_cmp_ne_u32_e64 s[36:37], 0, v6
	v_cmp_ne_u32_e64 s[38:39], 0, v7
	s_bcnt1_i32_b64 s6, s[6:7]
	s_bcnt1_i32_b64 s7, s[34:35]
	s_bcnt1_i32_b64 s34, s[36:37]
	s_bcnt1_i32_b64 s35, s[38:39]
	s_add_u32 s6, s6, s92
	s_addc_u32 s36, 0, s93
	s_add_u32 s6, s6, s7
	s_addc_u32 s7, s36, 0
	s_add_u32 s6, s6, s34
	s_addc_u32 s7, s7, 0
	s_add_u32 s92, s6, s35
	s_addc_u32 s93, s7, 0
	s_and_b64 s[6:7], s[20:21], s[48:49]
	v_cndmask_b32_e64 v6, 0, 1, s[6:7]
	s_and_b64 s[6:7], s[18:19], s[50:51]
	v_cndmask_b32_e64 v7, 0, 1, s[6:7]
	s_and_b64 s[6:7], s[16:17], s[52:53]
	v_cndmask_b32_e64 v8, 0, 1, s[6:7]
	s_and_b64 s[6:7], s[14:15], s[54:55]
	;; [unrolled: 24-line block ×3, first 2 shown]
	v_cndmask_b32_e64 v34, 0, 1, s[6:7]
	v_cmp_ne_u32_e64 s[6:7], 0, v8
	v_cmp_ne_u32_e64 s[14:15], 0, v9
	;; [unrolled: 1-line block ×4, first 2 shown]
	s_bcnt1_i32_b64 s6, s[6:7]
	s_bcnt1_i32_b64 s7, s[14:15]
	;; [unrolled: 1-line block ×4, first 2 shown]
	s_add_u32 s0, s6, s0
	s_addc_u32 s1, 0, s1
	s_add_u32 s0, s0, s7
	s_addc_u32 s1, s1, 0
	;; [unrolled: 2-line block ×3, first 2 shown]
	s_add_u32 s0, s0, s15
	v_cmp_le_u64_e32 vcc, s[80:81], v[31:32]
	s_addc_u32 s1, s1, 0
	v_mov_b32_e32 v2, s12
	v_mov_b32_e32 v4, s92
	;; [unrolled: 1-line block ×4, first 2 shown]
	v_add_u32_e32 v27, s86, v27
	v_mov_b32_e32 v3, s13
	v_mov_b32_e32 v5, s93
	;; [unrolled: 1-line block ×3, first 2 shown]
	s_or_b64 s[94:95], vcc, s[94:95]
	v_mov_b32_e32 v8, s0
	s_andn2_b64 exec, exec, s[94:95]
	s_cbranch_execnz .LBB201_76
; %bb.77:                               ;   in Loop: Header=BB201_31 Depth=1
	s_or_b64 exec, exec, s[94:95]
	s_mov_b64 s[92:93], s[70:71]
.LBB201_78:                             ;   in Loop: Header=BB201_31 Depth=1
	s_or_b64 exec, exec, s[2:3]
	v_mov_b32_e32 v27, s81
	v_add_co_u32_e32 v31, vcc, s80, v0
	s_and_b32 s86, s88, 0x7fffffff
	v_addc_co_u32_e32 v32, vcc, 0, v27, vcc
	v_cmp_gt_u64_e32 vcc, s[86:87], v[31:32]
	s_and_saveexec_b64 s[2:3], vcc
	s_cbranch_execz .LBB201_82
; %bb.79:                               ;   in Loop: Header=BB201_31 Depth=1
	v_lshl_add_u32 v27, s90, 4, v14
	s_mov_b64 s[0:1], 0
.LBB201_80:                             ;   Parent Loop BB201_31 Depth=1
                                        ; =>  This Inner Loop Header: Depth=2
	ds_read_b32 v33, v27
	v_add_u32_e32 v27, s67, v27
	s_waitcnt lgkmcnt(0)
	v_cmp_lt_i32_e32 vcc, -1, v33
	v_cndmask_b32_e32 v34, -1, v50, vcc
	v_cmp_o_f32_e32 vcc, v33, v33
	v_xor_b32_e32 v33, v34, v33
	v_cndmask_b32_e32 v33, -1, v33, vcc
	v_and_b32_e32 v34, v33, v52
	v_bfe_u32 v33, v33, s66, 2
	v_cmp_eq_u32_e32 vcc, v34, v48
	v_cmp_eq_u32_e64 s[6:7], 0, v33
	s_and_b64 s[6:7], vcc, s[6:7]
	v_cndmask_b32_e64 v34, 0, 1, s[6:7]
	v_cmp_ne_u32_e64 s[6:7], 0, v34
	s_bcnt1_i32_b64 s6, s[6:7]
	v_add_co_u32_e64 v2, s[6:7], s6, v2
	v_addc_co_u32_e64 v3, s[6:7], 0, v3, s[6:7]
	v_cmp_eq_u32_e64 s[6:7], 1, v33
	s_and_b64 s[6:7], vcc, s[6:7]
	v_cndmask_b32_e64 v34, 0, 1, s[6:7]
	v_cmp_ne_u32_e64 s[6:7], 0, v34
	s_bcnt1_i32_b64 s6, s[6:7]
	v_add_co_u32_e64 v4, s[6:7], s6, v4
	v_addc_co_u32_e64 v5, s[6:7], 0, v5, s[6:7]
	;; [unrolled: 7-line block ×3, first 2 shown]
	v_cmp_eq_u32_e64 s[6:7], 3, v33
	s_and_b64 s[6:7], vcc, s[6:7]
	v_cndmask_b32_e64 v33, 0, 1, s[6:7]
	v_cmp_ne_u32_e32 vcc, 0, v33
	s_bcnt1_i32_b64 s6, vcc
	v_add_co_u32_e32 v8, vcc, s6, v8
	v_addc_co_u32_e32 v9, vcc, 0, v9, vcc
	v_add_co_u32_sdwa v31, vcc, v31, v12 dst_sel:DWORD dst_unused:UNUSED_PAD src0_sel:DWORD src1_sel:WORD_0
	v_addc_co_u32_e32 v32, vcc, 0, v32, vcc
	v_cmp_le_u64_e32 vcc, s[86:87], v[31:32]
	s_or_b64 s[0:1], vcc, s[0:1]
	s_andn2_b64 exec, exec, s[0:1]
	s_cbranch_execnz .LBB201_80
; %bb.81:                               ;   in Loop: Header=BB201_31 Depth=1
	s_or_b64 exec, exec, s[0:1]
.LBB201_82:                             ;   in Loop: Header=BB201_31 Depth=1
	s_or_b64 exec, exec, s[2:3]
.LBB201_83:                             ;   in Loop: Header=BB201_31 Depth=1
	v_readlane_b32 s0, v54, 48
	s_lshl_b32 s2, s0, 6
	s_and_saveexec_b64 s[0:1], s[92:93]
	s_cbranch_execz .LBB201_85
; %bb.84:                               ;   in Loop: Header=BB201_31 Depth=1
	v_lshl_add_u32 v12, s2, 3, v46
	ds_write_b128 v12, v[2:5]
	ds_write_b128 v12, v[6:9] offset:16
.LBB201_85:                             ;   in Loop: Header=BB201_31 Depth=1
	s_or_b64 exec, exec, s[0:1]
	s_waitcnt lgkmcnt(0)
	s_barrier
	s_mov_b64 s[0:1], exec
	v_readlane_b32 s6, v54, 18
	v_readlane_b32 s7, v54, 19
	s_and_b64 s[6:7], s[0:1], s[6:7]
	s_mov_b64 exec, s[6:7]
	s_cbranch_execz .LBB201_97
; %bb.86:                               ;   in Loop: Header=BB201_31 Depth=1
	v_readlane_b32 s6, v54, 26
	v_mov_b32_e32 v2, 0
	v_readlane_b32 s7, v54, 27
	v_mov_b32_e32 v3, 0
	s_andn2_b64 vcc, exec, s[6:7]
	s_cbranch_vccnz .LBB201_96
; %bb.87:                               ;   in Loop: Header=BB201_31 Depth=1
	v_readlane_b32 s6, v54, 35
	v_readlane_b32 s7, v54, 36
	s_andn2_b64 vcc, exec, s[6:7]
	s_cbranch_vccnz .LBB201_92
; %bb.88:                               ;   in Loop: Header=BB201_31 Depth=1
	v_readlane_b32 s3, v54, 48
	v_mov_b32_e32 v2, 0
	v_lshl_add_u32 v4, s3, 9, v49
	v_mov_b32_e32 v3, 0
	s_mov_b32 s3, 0
.LBB201_89:                             ;   Parent Loop BB201_31 Depth=1
                                        ; =>  This Inner Loop Header: Depth=2
	ds_read2_b64 v[5:8], v4 offset1:4
	s_add_i32 s3, s3, 8
	s_cmp_eq_u32 s4, s3
	s_waitcnt lgkmcnt(0)
	v_add_co_u32_e32 v2, vcc, v5, v2
	v_addc_co_u32_e32 v3, vcc, v6, v3, vcc
	v_add_co_u32_e32 v2, vcc, v7, v2
	v_addc_co_u32_e32 v3, vcc, v8, v3, vcc
	ds_read2_b64 v[5:8], v4 offset0:8 offset1:12
	s_waitcnt lgkmcnt(0)
	v_add_co_u32_e32 v2, vcc, v5, v2
	v_addc_co_u32_e32 v3, vcc, v6, v3, vcc
	v_add_co_u32_e32 v2, vcc, v7, v2
	v_addc_co_u32_e32 v3, vcc, v8, v3, vcc
	ds_read2_b64 v[5:8], v4 offset0:16 offset1:20
	;; [unrolled: 6-line block ×3, first 2 shown]
	v_add_u32_e32 v4, 0x100, v4
	s_waitcnt lgkmcnt(0)
	v_add_co_u32_e32 v2, vcc, v5, v2
	v_addc_co_u32_e32 v3, vcc, v6, v3, vcc
	v_add_co_u32_e32 v2, vcc, v7, v2
	v_addc_co_u32_e32 v3, vcc, v8, v3, vcc
	s_cbranch_scc0 .LBB201_89
; %bb.90:                               ;   in Loop: Header=BB201_31 Depth=1
	s_mov_b32 s3, s4
	s_branch .LBB201_93
.LBB201_91:                             ;   in Loop: Header=BB201_31 Depth=1
                                        ; implicit-def: $sgpr0_sgpr1
	s_branch .LBB201_61
.LBB201_92:                             ;   in Loop: Header=BB201_31 Depth=1
	v_mov_b32_e32 v2, 0
	v_mov_b32_e32 v3, 0
	s_mov_b32 s3, 0
.LBB201_93:                             ;   in Loop: Header=BB201_31 Depth=1
	v_readlane_b32 s6, v54, 38
	v_readlane_b32 s7, v54, 39
	s_andn2_b64 vcc, exec, s[6:7]
	s_cbranch_vccnz .LBB201_96
; %bb.94:                               ;   in Loop: Header=BB201_31 Depth=1
	v_readlane_b32 s6, v54, 48
	s_lshl_b32 s6, s6, 9
	s_lshl_b32 s3, s3, 5
	s_add_i32 s6, s6, s3
	v_add_u32_e32 v4, s6, v49
	v_readlane_b32 s3, v54, 37
.LBB201_95:                             ;   Parent Loop BB201_31 Depth=1
                                        ; =>  This Inner Loop Header: Depth=2
	ds_read_b64 v[5:6], v4
	s_add_i32 s3, s3, -1
	v_add_u32_e32 v4, 32, v4
	s_cmp_lg_u32 s3, 0
	s_waitcnt lgkmcnt(0)
	v_add_co_u32_e32 v2, vcc, v5, v2
	v_addc_co_u32_e32 v3, vcc, v6, v3, vcc
	s_cbranch_scc1 .LBB201_95
.LBB201_96:                             ;   in Loop: Header=BB201_31 Depth=1
	v_add_lshl_u32 v4, s2, v44, 3
	ds_write_b64 v4, v[2:3] offset:3072
.LBB201_97:                             ;   in Loop: Header=BB201_31 Depth=1
	s_or_b64 exec, exec, s[0:1]
	s_lshl_b32 s0, s2, 3
	v_mov_b32_e32 v6, s0
	s_waitcnt lgkmcnt(0)
	s_barrier
	ds_read_b128 v[2:5], v6 offset:3072
	ds_read_b128 v[6:9], v6 offset:3088
	v_readlane_b32 s0, v54, 16
	s_lshl_b32 s67, 3, s66
	v_cmp_eq_u64_e64 s[14:15], 1, v[29:30]
	v_readlane_b32 s1, v54, 17
	s_waitcnt lgkmcnt(1)
	v_readfirstlane_b32 s17, v3
	v_readfirstlane_b32 s16, v2
	v_readfirstlane_b32 s21, v5
	v_readfirstlane_b32 s20, v4
	s_waitcnt lgkmcnt(0)
	v_readfirstlane_b32 s23, v7
	v_readfirstlane_b32 s22, v6
	;; [unrolled: 1-line block ×4, first 2 shown]
	s_not_b32 s94, s67
	s_mov_b64 s[38:39], -1
	s_mov_b64 s[18:19], 0
	s_andn2_b64 vcc, exec, s[0:1]
	s_mov_b64 s[28:29], 0
	s_mov_b64 s[26:27], 0
                                        ; implicit-def: $sgpr34_sgpr35
                                        ; implicit-def: $sgpr36_sgpr37
                                        ; implicit-def: $vgpr2_vgpr3
                                        ; implicit-def: $vgpr12
                                        ; implicit-def: $vgpr32
                                        ; implicit-def: $vgpr31
                                        ; implicit-def: $vgpr5
	s_cbranch_vccnz .LBB201_300
; %bb.98:                               ;   in Loop: Header=BB201_31 Depth=1
	s_cmp_eq_u64 s[16:17], 1
	s_cselect_b64 s[0:1], -1, 0
	s_and_b64 s[6:7], s[0:1], s[14:15]
	s_mov_b64 s[0:1], -1
	v_mov_b32_e32 v32, v48
	v_mov_b32_e32 v31, v52
	;; [unrolled: 1-line block ×3, first 2 shown]
                                        ; implicit-def: $sgpr36_sgpr37
                                        ; implicit-def: $sgpr34_sgpr35
	s_and_saveexec_b64 s[26:27], s[6:7]
	s_cbranch_execz .LBB201_135
; %bb.99:                               ;   in Loop: Header=BB201_31 Depth=1
	ds_read_b64 v[2:3], v13 offset:5120
	s_waitcnt lgkmcnt(0)
	s_barrier
	v_readfirstlane_b32 s2, v2
	v_readfirstlane_b32 s3, v3
	s_mov_b64 s[0:1], exec
	v_readlane_b32 s10, v54, 24
	v_readlane_b32 s11, v54, 25
	s_and_b64 s[10:11], s[0:1], s[10:11]
	s_mov_b64 exec, s[10:11]
; %bb.100:                              ;   in Loop: Header=BB201_31 Depth=1
	ds_write_b32 v45, v13
; %bb.101:                              ;   in Loop: Header=BB201_31 Depth=1
	s_or_b64 exec, exec, s[0:1]
	v_and_b32_e32 v32, s94, v48
	v_or_b32_e32 v31, s67, v52
	s_mov_b64 s[34:35], -1
	s_mov_b64 s[36:37], 0
	s_cmp_eq_u64 s[2:3], 0
	s_mov_b64 s[0:1], 0
	s_mov_b64 s[10:11], -1
	s_waitcnt lgkmcnt(0)
	s_barrier
                                        ; implicit-def: $vgpr5
	s_cbranch_scc1 .LBB201_119
; %bb.102:                              ;   in Loop: Header=BB201_31 Depth=1
	v_readlane_b32 s0, v54, 28
	s_add_u32 s28, s2, s0
	v_readlane_b32 s0, v54, 30
	s_addc_u32 s1, s3, s0
	s_mov_b32 s0, s87
	s_cmp_lg_u64 s[0:1], 0
	s_cbranch_scc0 .LBB201_162
; %bb.103:                              ;   in Loop: Header=BB201_31 Depth=1
	v_cvt_f32_u32_e32 v2, s33
	s_sub_u32 s0, 0, s33
	s_subb_u32 s12, 0, 0
	v_mac_f32_e32 v2, 0, v51
	v_rcp_f32_e32 v2, v2
	v_mul_f32_e32 v2, 0x5f7ffffc, v2
	v_mul_f32_e32 v3, 0x2f800000, v2
	v_trunc_f32_e32 v3, v3
	v_mac_f32_e32 v2, 0xcf800000, v3
	v_cvt_u32_f32_e32 v3, v3
	v_cvt_u32_f32_e32 v2, v2
	v_readfirstlane_b32 s13, v3
	v_readfirstlane_b32 s10, v2
	s_mul_i32 s11, s0, s13
	s_mul_hi_u32 s38, s0, s10
	s_mul_i32 s29, s12, s10
	s_add_i32 s11, s38, s11
	s_mul_i32 s39, s0, s10
	s_add_i32 s11, s11, s29
	s_mul_hi_u32 s38, s10, s39
	s_mul_i32 s40, s10, s11
	s_mul_hi_u32 s29, s10, s11
	s_add_u32 s38, s38, s40
	s_addc_u32 s29, 0, s29
	s_mul_hi_u32 s41, s13, s39
	s_mul_i32 s39, s13, s39
	s_add_u32 s38, s38, s39
	s_mul_hi_u32 s40, s13, s11
	s_addc_u32 s29, s29, s41
	s_addc_u32 s38, s40, 0
	s_mul_i32 s11, s13, s11
	s_add_u32 s11, s29, s11
	s_addc_u32 s29, 0, s38
	s_add_u32 s38, s10, s11
	s_cselect_b64 s[10:11], -1, 0
	s_cmp_lg_u64 s[10:11], 0
	s_addc_u32 s13, s13, s29
	s_mul_i32 s10, s0, s13
	s_mul_hi_u32 s11, s0, s38
	s_add_i32 s10, s11, s10
	s_mul_i32 s12, s12, s38
	s_add_i32 s10, s10, s12
	s_mul_i32 s0, s0, s38
	s_mul_hi_u32 s12, s13, s0
	s_mul_i32 s29, s13, s0
	s_mul_i32 s40, s38, s10
	s_mul_hi_u32 s0, s38, s0
	s_mul_hi_u32 s39, s38, s10
	s_add_u32 s0, s0, s40
	s_addc_u32 s39, 0, s39
	s_add_u32 s0, s0, s29
	s_mul_hi_u32 s11, s13, s10
	s_addc_u32 s0, s39, s12
	s_addc_u32 s11, s11, 0
	s_mul_i32 s10, s13, s10
	s_add_u32 s0, s0, s10
	s_addc_u32 s12, 0, s11
	s_add_u32 s0, s38, s0
	s_cselect_b64 s[10:11], -1, 0
	s_cmp_lg_u64 s[10:11], 0
	s_addc_u32 s10, s13, s12
	s_mul_i32 s12, s28, s10
	s_mul_hi_u32 s13, s28, s0
	s_mul_hi_u32 s11, s28, s10
	s_add_u32 s12, s13, s12
	s_addc_u32 s11, 0, s11
	s_mul_hi_u32 s29, s1, s0
	s_mul_i32 s0, s1, s0
	s_add_u32 s0, s12, s0
	s_mul_hi_u32 s13, s1, s10
	s_addc_u32 s0, s11, s29
	s_addc_u32 s11, s13, 0
	s_mul_i32 s10, s1, s10
	s_add_u32 s0, s0, s10
	s_addc_u32 s10, 0, s11
	s_mul_i32 s10, s33, s10
	s_mul_hi_u32 s11, s33, s0
	s_add_i32 s12, s11, s10
	s_mul_i32 s0, s33, s0
	s_sub_u32 s0, s28, s0
	s_cselect_b64 s[10:11], -1, 0
	s_cmp_lg_u64 s[10:11], 0
	s_subb_u32 s12, s1, s12
	s_sub_u32 s13, s0, s33
	s_cselect_b64 s[10:11], -1, 0
	s_cmp_lg_u64 s[10:11], 0
	s_subb_u32 s29, s12, 0
	;; [unrolled: 4-line block ×3, first 2 shown]
	s_cmp_ge_u32 s13, s33
	s_cselect_b32 s11, -1, 0
	s_cmp_eq_u32 s29, 0
	s_cselect_b32 s11, s11, -1
	s_cmp_lg_u32 s11, 0
	s_cselect_b32 s10, s10, s29
	s_cselect_b32 s13, s38, s13
	s_cmp_ge_u32 s0, s33
	s_cselect_b32 s11, -1, 0
	s_cmp_eq_u32 s12, 0
	s_cselect_b32 s11, s11, -1
	s_cmp_lg_u32 s11, 0
	s_cselect_b32 s11, s10, s12
	s_cselect_b32 s10, s13, s0
	s_cbranch_execnz .LBB201_105
.LBB201_104:                            ;   in Loop: Header=BB201_31 Depth=1
	v_cvt_f32_u32_e32 v2, s33
	s_sub_i32 s0, 0, s33
	v_rcp_iflag_f32_e32 v2, v2
	v_mul_f32_e32 v2, 0x4f7ffffe, v2
	v_cvt_u32_f32_e32 v2, v2
	v_readfirstlane_b32 s10, v2
	s_mul_i32 s0, s0, s10
	s_mul_hi_u32 s0, s10, s0
	s_add_i32 s10, s10, s0
	s_mul_hi_u32 s0, s28, s10
	s_mul_i32 s0, s0, s33
	s_sub_i32 s0, s28, s0
	s_sub_i32 s10, s0, s33
	s_cmp_ge_u32 s0, s33
	s_cselect_b32 s0, s10, s0
	s_sub_i32 s10, s0, s33
	s_cmp_ge_u32 s0, s33
	s_cselect_b32 s86, s10, s0
	s_mov_b64 s[10:11], s[86:87]
.LBB201_105:                            ;   in Loop: Header=BB201_31 Depth=1
	s_sub_u32 s28, s28, s10
	s_subb_u32 s29, s1, s11
	v_cmp_gt_u64_e32 vcc, s[28:29], v[0:1]
	s_mov_b64 s[10:11], 0
	s_mov_b64 s[0:1], 0
                                        ; implicit-def: $vgpr5
	s_and_saveexec_b64 s[12:13], vcc
	s_cbranch_execz .LBB201_118
; %bb.106:                              ;   in Loop: Header=BB201_31 Depth=1
	v_mov_b32_e32 v3, v1
	v_mov_b32_e32 v6, v14
	;; [unrolled: 1-line block ×3, first 2 shown]
                                        ; implicit-def: $sgpr38_sgpr39
	s_branch .LBB201_110
.LBB201_107:                            ;   in Loop: Header=BB201_110 Depth=2
	s_or_b64 exec, exec, s[40:41]
	s_waitcnt lgkmcnt(0)
	s_barrier
	ds_read_b64 v[4:5], v13 offset:3072
	s_waitcnt lgkmcnt(0)
	s_barrier
	v_cmp_neq_f32_e32 vcc, 0, v4
	s_cbranch_vccnz .LBB201_113
; %bb.108:                              ;   in Loop: Header=BB201_110 Depth=2
	v_add_co_u32_e32 v2, vcc, s33, v2
	v_addc_co_u32_e32 v3, vcc, 0, v3, vcc
	v_cmp_le_u64_e32 vcc, s[28:29], v[2:3]
	v_add_u32_e32 v6, s5, v6
	s_mov_b64 s[40:41], 0
	s_orn2_b64 s[42:43], vcc, exec
.LBB201_109:                            ;   in Loop: Header=BB201_110 Depth=2
	s_and_b64 s[42:43], exec, s[42:43]
	s_or_b64 s[0:1], s[42:43], s[0:1]
	s_andn2_b64 s[38:39], s[38:39], exec
	s_and_b64 s[40:41], s[40:41], exec
	s_or_b64 s[38:39], s[38:39], s[40:41]
	s_andn2_b64 exec, exec, s[0:1]
	s_cbranch_execz .LBB201_117
.LBB201_110:                            ;   Parent Loop BB201_31 Depth=1
                                        ; =>  This Inner Loop Header: Depth=2
	v_cmp_gt_u64_e32 vcc, s[2:3], v[2:3]
	s_and_saveexec_b64 s[40:41], vcc
	s_cbranch_execz .LBB201_107
; %bb.111:                              ;   in Loop: Header=BB201_110 Depth=2
	ds_read_b32 v27, v6
	s_waitcnt lgkmcnt(0)
	v_cmp_lt_i32_e32 vcc, -1, v27
	v_cndmask_b32_e32 v4, -1, v50, vcc
	v_xor_b32_e32 v4, v4, v27
	v_cmp_o_f32_e32 vcc, v27, v27
	v_cndmask_b32_e32 v4, -1, v4, vcc
	v_and_b32_e32 v4, v4, v31
	v_cmp_eq_u32_e32 vcc, v4, v32
	s_and_b64 exec, exec, vcc
	s_cbranch_execz .LBB201_107
; %bb.112:                              ;   in Loop: Header=BB201_110 Depth=2
	ds_write_b64 v13, v[26:27] offset:3072
	s_branch .LBB201_107
.LBB201_113:                            ;   in Loop: Header=BB201_110 Depth=2
	s_mov_b64 s[42:43], -1
                                        ; implicit-def: $vgpr2_vgpr3
                                        ; implicit-def: $vgpr6
	s_mov_b64 s[40:41], -1
	s_branch .LBB201_109
.LBB201_114:                            ;   in Loop: Header=BB201_31 Depth=1
	s_or_b64 exec, exec, s[2:3]
	s_waitcnt lgkmcnt(0)
	s_barrier
	s_mov_b64 s[2:3], exec
	v_readlane_b32 s6, v54, 10
	v_readlane_b32 s7, v54, 11
	s_and_b64 s[6:7], s[2:3], s[6:7]
	s_mov_b64 exec, s[6:7]
	s_cbranch_execz .LBB201_116
; %bb.115:                              ;   in Loop: Header=BB201_31 Depth=1
	ds_read_b32 v2, v13 offset:5144
	s_waitcnt lgkmcnt(0)
	v_ashrrev_i32_e32 v3, 31, v2
	ds_write_b64 v13, v[2:3] offset:5120
.LBB201_116:                            ;   in Loop: Header=BB201_31 Depth=1
	s_or_b64 exec, exec, s[2:3]
	s_waitcnt lgkmcnt(0)
	s_barrier
	s_mov_b64 s[2:3], -1
	s_and_b64 vcc, exec, s[0:1]
	s_cbranch_vccnz .LBB201_47
	s_branch .LBB201_56
.LBB201_117:                            ;   in Loop: Header=BB201_31 Depth=1
	s_or_b64 exec, exec, s[0:1]
	s_and_b64 s[0:1], s[38:39], exec
.LBB201_118:                            ;   in Loop: Header=BB201_31 Depth=1
	s_or_b64 exec, exec, s[12:13]
.LBB201_119:                            ;   in Loop: Header=BB201_31 Depth=1
	s_and_b64 vcc, exec, s[10:11]
	s_cbranch_vccz .LBB201_134
; %bb.120:                              ;   in Loop: Header=BB201_31 Depth=1
	v_readlane_b32 s36, v54, 31
	v_readlane_b32 s37, v54, 32
	s_mov_b32 s36, s87
	s_cmp_lg_u64 s[36:37], 0
	v_writelane_b32 v54, s36, 31
	v_writelane_b32 v54, s37, 32
	s_cbranch_scc0 .LBB201_163
; %bb.121:                              ;   in Loop: Header=BB201_31 Depth=1
	v_cvt_f32_u32_e32 v2, s33
	s_sub_u32 s10, 0, s33
	s_subb_u32 s11, 0, 0
	v_mac_f32_e32 v2, 0, v51
	v_rcp_f32_e32 v2, v2
	v_mul_f32_e32 v2, 0x5f7ffffc, v2
	v_mul_f32_e32 v3, 0x2f800000, v2
	v_trunc_f32_e32 v3, v3
	v_mac_f32_e32 v2, 0xcf800000, v3
	v_cvt_u32_f32_e32 v3, v3
	v_cvt_u32_f32_e32 v2, v2
	v_readfirstlane_b32 s12, v3
	v_readfirstlane_b32 s2, v2
	s_mul_i32 s3, s10, s12
	s_mul_hi_u32 s28, s10, s2
	s_mul_i32 s13, s11, s2
	s_add_i32 s3, s28, s3
	s_mul_i32 s29, s10, s2
	s_add_i32 s3, s3, s13
	s_mul_hi_u32 s28, s2, s29
	s_mul_i32 s34, s2, s3
	s_mul_hi_u32 s13, s2, s3
	s_add_u32 s28, s28, s34
	s_addc_u32 s13, 0, s13
	s_mul_hi_u32 s35, s12, s29
	s_mul_i32 s29, s12, s29
	s_add_u32 s28, s28, s29
	s_mul_hi_u32 s34, s12, s3
	s_addc_u32 s13, s13, s35
	s_addc_u32 s28, s34, 0
	s_mul_i32 s3, s12, s3
	s_add_u32 s3, s13, s3
	s_addc_u32 s13, 0, s28
	s_add_u32 s28, s2, s3
	s_cselect_b64 s[2:3], -1, 0
	s_cmp_lg_u64 s[2:3], 0
	s_addc_u32 s12, s12, s13
	s_mul_i32 s2, s10, s12
	s_mul_hi_u32 s3, s10, s28
	s_add_i32 s2, s3, s2
	s_mul_i32 s11, s11, s28
	s_add_i32 s2, s2, s11
	s_mul_i32 s10, s10, s28
	s_mul_hi_u32 s11, s12, s10
	s_mul_i32 s13, s12, s10
	s_mul_i32 s34, s28, s2
	s_mul_hi_u32 s10, s28, s10
	s_mul_hi_u32 s29, s28, s2
	s_add_u32 s10, s10, s34
	s_addc_u32 s29, 0, s29
	s_add_u32 s10, s10, s13
	s_mul_hi_u32 s3, s12, s2
	s_addc_u32 s10, s29, s11
	s_addc_u32 s3, s3, 0
	s_mul_i32 s2, s12, s2
	s_add_u32 s2, s10, s2
	s_addc_u32 s10, 0, s3
	s_add_u32 s11, s28, s2
	s_cselect_b64 s[2:3], -1, 0
	s_cmp_lg_u64 s[2:3], 0
	s_addc_u32 s2, s12, s10
	v_readlane_b32 s28, v54, 29
	s_mul_i32 s10, s28, s2
	s_mul_hi_u32 s12, s28, s11
	s_mul_hi_u32 s3, s28, s2
	s_add_u32 s10, s12, s10
	s_addc_u32 s3, 0, s3
	s_mul_hi_u32 s13, s37, s11
	s_mul_i32 s11, s37, s11
	s_add_u32 s10, s10, s11
	s_mul_hi_u32 s12, s37, s2
	s_addc_u32 s3, s3, s13
	s_addc_u32 s10, s12, 0
	s_mul_i32 s2, s37, s2
	s_add_u32 s2, s3, s2
	s_addc_u32 s3, 0, s10
	s_mul_i32 s3, s33, s3
	s_mul_hi_u32 s10, s33, s2
	s_add_i32 s10, s10, s3
	s_mul_i32 s2, s33, s2
	s_sub_u32 s11, s28, s2
	s_cselect_b64 s[2:3], -1, 0
	s_cmp_lg_u64 s[2:3], 0
	s_subb_u32 s10, s37, s10
	s_sub_u32 s12, s11, s33
	s_cselect_b64 s[2:3], -1, 0
	s_cmp_lg_u64 s[2:3], 0
	s_subb_u32 s13, s10, 0
	;; [unrolled: 4-line block ×3, first 2 shown]
	s_cmp_ge_u32 s12, s33
	s_cselect_b32 s3, -1, 0
	s_cmp_eq_u32 s13, 0
	s_cselect_b32 s3, s3, -1
	s_cmp_lg_u32 s3, 0
	s_cselect_b32 s2, s2, s13
	s_cselect_b32 s12, s28, s12
	s_cmp_ge_u32 s11, s33
	s_cselect_b32 s3, -1, 0
	s_cmp_eq_u32 s10, 0
	s_cselect_b32 s3, s3, -1
	s_cmp_lg_u32 s3, 0
	s_cselect_b32 s3, s2, s10
	s_cselect_b32 s2, s12, s11
	s_cbranch_execnz .LBB201_123
.LBB201_122:                            ;   in Loop: Header=BB201_31 Depth=1
	v_cvt_f32_u32_e32 v2, s33
	s_sub_i32 s2, 0, s33
	v_readlane_b32 s10, v54, 29
	v_rcp_iflag_f32_e32 v2, v2
	v_mul_f32_e32 v2, 0x4f7ffffe, v2
	v_cvt_u32_f32_e32 v2, v2
	v_readfirstlane_b32 s3, v2
	s_mul_i32 s2, s2, s3
	s_mul_hi_u32 s2, s3, s2
	s_add_i32 s3, s3, s2
	s_mul_hi_u32 s2, s10, s3
	s_mul_i32 s2, s2, s33
	s_sub_i32 s2, s10, s2
	s_sub_i32 s3, s2, s33
	s_cmp_ge_u32 s2, s33
	s_cselect_b32 s2, s3, s2
	s_sub_i32 s3, s2, s33
	s_cmp_ge_u32 s2, s33
	s_cselect_b32 s86, s3, s2
	s_mov_b64 s[2:3], s[86:87]
.LBB201_123:                            ;   in Loop: Header=BB201_31 Depth=1
	v_readlane_b32 s10, v54, 29
	v_readlane_b32 s12, v54, 31
	s_sub_u32 s10, s10, s2
	v_readlane_b32 s13, v54, 32
	s_subb_u32 s11, s13, s3
	v_cmp_gt_u64_e32 vcc, s[10:11], v[0:1]
                                        ; implicit-def: $vgpr5
	s_and_saveexec_b64 s[2:3], vcc
	s_cbranch_execz .LBB201_133
; %bb.124:                              ;   in Loop: Header=BB201_31 Depth=1
	v_mov_b32_e32 v2, v24
	v_mov_b32_e32 v7, v1
	s_mov_b64 s[12:13], 0
	v_mov_b32_e32 v3, v25
	v_mov_b32_e32 v6, v0
                                        ; implicit-def: $sgpr28_sgpr29
	s_branch .LBB201_128
.LBB201_125:                            ;   in Loop: Header=BB201_128 Depth=2
	s_or_b64 exec, exec, s[34:35]
	s_waitcnt lgkmcnt(0)
	s_barrier
	ds_read_b64 v[4:5], v13 offset:3072
	s_waitcnt lgkmcnt(0)
	s_barrier
	v_cmp_neq_f32_e32 vcc, 0, v4
	s_cbranch_vccnz .LBB201_131
; %bb.126:                              ;   in Loop: Header=BB201_128 Depth=2
	v_add_co_u32_e32 v6, vcc, s33, v6
	v_addc_co_u32_e32 v7, vcc, 0, v7, vcc
	v_mov_b32_e32 v4, s65
	v_add_co_u32_e32 v2, vcc, s64, v2
	v_addc_co_u32_e32 v3, vcc, v3, v4, vcc
	v_cmp_le_u64_e32 vcc, s[10:11], v[6:7]
	s_mov_b64 s[34:35], 0
	s_orn2_b64 s[36:37], vcc, exec
.LBB201_127:                            ;   in Loop: Header=BB201_128 Depth=2
	s_and_b64 s[36:37], exec, s[36:37]
	s_or_b64 s[12:13], s[36:37], s[12:13]
	s_andn2_b64 s[28:29], s[28:29], exec
	s_and_b64 s[34:35], s[34:35], exec
	s_or_b64 s[28:29], s[28:29], s[34:35]
	s_andn2_b64 exec, exec, s[12:13]
	s_cbranch_execz .LBB201_132
.LBB201_128:                            ;   Parent Loop BB201_31 Depth=1
                                        ; =>  This Inner Loop Header: Depth=2
	v_cmp_gt_u64_e32 vcc, s[60:61], v[6:7]
	s_and_saveexec_b64 s[34:35], vcc
	s_cbranch_execz .LBB201_125
; %bb.129:                              ;   in Loop: Header=BB201_128 Depth=2
	global_load_dword v27, v[2:3], off
	s_waitcnt vmcnt(0)
	v_cmp_lt_i32_e32 vcc, -1, v27
	v_cndmask_b32_e32 v4, -1, v50, vcc
	v_xor_b32_e32 v4, v4, v27
	v_cmp_o_f32_e32 vcc, v27, v27
	v_cndmask_b32_e32 v4, -1, v4, vcc
	v_and_b32_e32 v4, v4, v31
	v_cmp_eq_u32_e32 vcc, v4, v32
	s_and_b64 exec, exec, vcc
	s_cbranch_execz .LBB201_125
; %bb.130:                              ;   in Loop: Header=BB201_128 Depth=2
	ds_write_b64 v13, v[26:27] offset:3072
	s_branch .LBB201_125
.LBB201_131:                            ;   in Loop: Header=BB201_128 Depth=2
	s_mov_b64 s[36:37], -1
                                        ; implicit-def: $vgpr6_vgpr7
                                        ; implicit-def: $vgpr2_vgpr3
	s_mov_b64 s[34:35], -1
	s_branch .LBB201_127
.LBB201_132:                            ;   in Loop: Header=BB201_31 Depth=1
	s_or_b64 exec, exec, s[12:13]
	s_andn2_b64 s[0:1], s[0:1], exec
	s_and_b64 s[10:11], s[28:29], exec
	s_or_b64 s[0:1], s[0:1], s[10:11]
.LBB201_133:                            ;   in Loop: Header=BB201_31 Depth=1
	s_or_b64 exec, exec, s[2:3]
	s_mov_b64 s[34:35], 0
	s_mov_b64 s[36:37], -1
.LBB201_134:                            ;   in Loop: Header=BB201_31 Depth=1
	s_orn2_b64 s[0:1], s[0:1], exec
.LBB201_135:                            ;   in Loop: Header=BB201_31 Depth=1
	s_or_b64 exec, exec, s[26:27]
	s_mov_b64 s[38:39], 0
	s_mov_b64 s[28:29], 0
	s_mov_b64 s[26:27], 0
                                        ; implicit-def: $vgpr2_vgpr3
                                        ; implicit-def: $vgpr12
	s_and_saveexec_b64 s[40:41], s[0:1]
	s_cbranch_execz .LBB201_299
; %bb.136:                              ;   in Loop: Header=BB201_31 Depth=1
	v_mov_b32_e32 v2, 1
	s_xor_b64 s[6:7], s[6:7], -1
	v_mov_b32_e32 v12, 1
	v_mov_b32_e32 v3, 0
	s_mov_b64 s[2:3], 0
	s_and_saveexec_b64 s[0:1], s[6:7]
	s_cbranch_execz .LBB201_145
; %bb.137:                              ;   in Loop: Header=BB201_31 Depth=1
	v_cmp_ge_u64_e32 vcc, s[16:17], v[29:30]
	s_and_saveexec_b64 s[2:3], vcc
	s_xor_b64 s[2:3], exec, s[2:3]
	s_cbranch_execz .LBB201_142
; %bb.138:                              ;   in Loop: Header=BB201_31 Depth=1
	ds_read_b64 v[2:3], v13 offset:5120
	v_and_b32_e32 v32, s94, v32
	v_or_b32_e32 v31, s67, v31
	s_waitcnt lgkmcnt(0)
	v_cmp_ne_u64_e32 vcc, 0, v[2:3]
	s_cbranch_vccnz .LBB201_142
; %bb.139:                              ;   in Loop: Header=BB201_31 Depth=1
	s_mov_b64 s[6:7], exec
	v_readlane_b32 s10, v54, 10
	v_readlane_b32 s11, v54, 11
	s_and_b64 s[10:11], s[6:7], s[10:11]
	s_mov_b64 exec, s[10:11]
; %bb.140:                              ;   in Loop: Header=BB201_31 Depth=1
	v_mov_b32_e32 v2, s16
	v_mov_b32_e32 v3, s17
	ds_write_b64 v13, v[2:3] offset:5128
; %bb.141:                              ;   in Loop: Header=BB201_31 Depth=1
	s_or_b64 exec, exec, s[6:7]
	s_waitcnt lgkmcnt(0)
	s_barrier
.LBB201_142:                            ;   in Loop: Header=BB201_31 Depth=1
	s_or_saveexec_b64 s[2:3], s[2:3]
	v_mov_b32_e32 v2, v29
	s_mov_b64 s[6:7], 0
	v_mov_b32_e32 v12, 8
	v_mov_b32_e32 v3, v30
	s_xor_b64 exec, exec, s[2:3]
; %bb.143:                              ;   in Loop: Header=BB201_31 Depth=1
	v_subrev_co_u32_e32 v2, vcc, s16, v29
	v_mov_b32_e32 v3, s17
	v_subb_co_u32_e32 v3, vcc, v30, v3, vcc
	v_mov_b32_e32 v12, 0
	s_mov_b64 s[6:7], exec
; %bb.144:                              ;   in Loop: Header=BB201_31 Depth=1
	s_or_b64 exec, exec, s[2:3]
	s_and_b64 s[2:3], s[6:7], exec
.LBB201_145:                            ;   in Loop: Header=BB201_31 Depth=1
	s_or_b64 exec, exec, s[0:1]
	s_mov_b64 s[0:1], -1
                                        ; implicit-def: $sgpr26_sgpr27
                                        ; implicit-def: $sgpr28_sgpr29
	s_and_saveexec_b64 s[6:7], s[2:3]
	s_xor_b64 s[6:7], exec, s[6:7]
	s_cbranch_execz .LBB201_296
; %bb.146:                              ;   in Loop: Header=BB201_31 Depth=1
	s_cmp_eq_u64 s[20:21], 1
	v_cmp_eq_u64_e32 vcc, 1, v[2:3]
	s_cselect_b64 s[0:1], -1, 0
	s_and_b64 s[44:45], s[0:1], vcc
	s_mov_b64 s[0:1], -1
                                        ; implicit-def: $sgpr28_sgpr29
                                        ; implicit-def: $sgpr26_sgpr27
	s_and_saveexec_b64 s[42:43], s[44:45]
	s_cbranch_execz .LBB201_182
; %bb.147:                              ;   in Loop: Header=BB201_31 Depth=1
	ds_read_b64 v[4:5], v13 offset:5120
	s_waitcnt lgkmcnt(0)
	s_barrier
	v_readfirstlane_b32 s2, v4
	v_readfirstlane_b32 s3, v5
	s_mov_b64 s[0:1], exec
	v_readlane_b32 s10, v54, 24
	v_readlane_b32 s11, v54, 25
	s_and_b64 s[10:11], s[0:1], s[10:11]
	s_mov_b64 exec, s[10:11]
; %bb.148:                              ;   in Loop: Header=BB201_31 Depth=1
	ds_write_b32 v45, v13
; %bb.149:                              ;   in Loop: Header=BB201_31 Depth=1
	s_or_b64 exec, exec, s[0:1]
	v_and_b32_e32 v4, s94, v32
	v_lshl_or_b32 v32, 1, s66, v4
	v_or_b32_e32 v31, s67, v31
	s_mov_b64 s[26:27], -1
	s_mov_b64 s[28:29], 0
	s_cmp_eq_u64 s[2:3], 0
	s_mov_b64 s[0:1], 0
	s_mov_b64 s[10:11], -1
	s_waitcnt lgkmcnt(0)
	s_barrier
                                        ; implicit-def: $vgpr5
	s_cbranch_scc1 .LBB201_166
; %bb.150:                              ;   in Loop: Header=BB201_31 Depth=1
	v_readlane_b32 s0, v54, 28
	s_add_u32 s46, s2, s0
	v_readlane_b32 s0, v54, 30
	s_addc_u32 s1, s3, s0
	s_mov_b32 s0, s87
	s_cmp_lg_u64 s[0:1], 0
	s_cbranch_scc0 .LBB201_209
; %bb.151:                              ;   in Loop: Header=BB201_31 Depth=1
	v_cvt_f32_u32_e32 v4, s33
	s_sub_u32 s0, 0, s33
	s_subb_u32 s12, 0, 0
	v_mac_f32_e32 v4, 0, v51
	v_rcp_f32_e32 v4, v4
	v_mul_f32_e32 v4, 0x5f7ffffc, v4
	v_mul_f32_e32 v5, 0x2f800000, v4
	v_trunc_f32_e32 v5, v5
	v_mac_f32_e32 v4, 0xcf800000, v5
	v_cvt_u32_f32_e32 v5, v5
	v_cvt_u32_f32_e32 v4, v4
	v_readfirstlane_b32 s13, v5
	v_readfirstlane_b32 s10, v4
	s_mul_i32 s11, s0, s13
	s_mul_hi_u32 s48, s0, s10
	s_mul_i32 s47, s12, s10
	s_add_i32 s11, s48, s11
	s_mul_i32 s49, s0, s10
	s_add_i32 s11, s11, s47
	s_mul_hi_u32 s48, s10, s49
	s_mul_i32 s50, s10, s11
	s_mul_hi_u32 s47, s10, s11
	s_add_u32 s48, s48, s50
	s_addc_u32 s47, 0, s47
	s_mul_hi_u32 s51, s13, s49
	s_mul_i32 s49, s13, s49
	s_add_u32 s48, s48, s49
	s_mul_hi_u32 s50, s13, s11
	s_addc_u32 s47, s47, s51
	s_addc_u32 s48, s50, 0
	s_mul_i32 s11, s13, s11
	s_add_u32 s11, s47, s11
	s_addc_u32 s47, 0, s48
	s_add_u32 s48, s10, s11
	s_cselect_b64 s[10:11], -1, 0
	s_cmp_lg_u64 s[10:11], 0
	s_addc_u32 s13, s13, s47
	s_mul_i32 s10, s0, s13
	s_mul_hi_u32 s11, s0, s48
	s_add_i32 s10, s11, s10
	s_mul_i32 s12, s12, s48
	s_add_i32 s10, s10, s12
	s_mul_i32 s0, s0, s48
	s_mul_hi_u32 s12, s13, s0
	s_mul_i32 s47, s13, s0
	s_mul_i32 s50, s48, s10
	s_mul_hi_u32 s0, s48, s0
	s_mul_hi_u32 s49, s48, s10
	s_add_u32 s0, s0, s50
	s_addc_u32 s49, 0, s49
	s_add_u32 s0, s0, s47
	s_mul_hi_u32 s11, s13, s10
	s_addc_u32 s0, s49, s12
	s_addc_u32 s11, s11, 0
	s_mul_i32 s10, s13, s10
	s_add_u32 s0, s0, s10
	s_addc_u32 s12, 0, s11
	s_add_u32 s0, s48, s0
	s_cselect_b64 s[10:11], -1, 0
	s_cmp_lg_u64 s[10:11], 0
	s_addc_u32 s10, s13, s12
	s_mul_i32 s12, s46, s10
	s_mul_hi_u32 s13, s46, s0
	s_mul_hi_u32 s11, s46, s10
	s_add_u32 s12, s13, s12
	s_addc_u32 s11, 0, s11
	s_mul_hi_u32 s47, s1, s0
	s_mul_i32 s0, s1, s0
	s_add_u32 s0, s12, s0
	s_mul_hi_u32 s13, s1, s10
	s_addc_u32 s0, s11, s47
	s_addc_u32 s11, s13, 0
	s_mul_i32 s10, s1, s10
	s_add_u32 s0, s0, s10
	s_addc_u32 s10, 0, s11
	s_mul_i32 s10, s33, s10
	s_mul_hi_u32 s11, s33, s0
	s_add_i32 s12, s11, s10
	s_mul_i32 s0, s33, s0
	s_sub_u32 s0, s46, s0
	s_cselect_b64 s[10:11], -1, 0
	s_cmp_lg_u64 s[10:11], 0
	s_subb_u32 s12, s1, s12
	s_sub_u32 s13, s0, s33
	s_cselect_b64 s[10:11], -1, 0
	s_cmp_lg_u64 s[10:11], 0
	s_subb_u32 s47, s12, 0
	;; [unrolled: 4-line block ×3, first 2 shown]
	s_cmp_ge_u32 s13, s33
	s_cselect_b32 s11, -1, 0
	s_cmp_eq_u32 s47, 0
	s_cselect_b32 s11, s11, -1
	s_cmp_lg_u32 s11, 0
	s_cselect_b32 s10, s10, s47
	s_cselect_b32 s13, s48, s13
	s_cmp_ge_u32 s0, s33
	s_cselect_b32 s11, -1, 0
	s_cmp_eq_u32 s12, 0
	s_cselect_b32 s11, s11, -1
	s_cmp_lg_u32 s11, 0
	s_cselect_b32 s11, s10, s12
	s_cselect_b32 s10, s13, s0
	s_cbranch_execnz .LBB201_153
.LBB201_152:                            ;   in Loop: Header=BB201_31 Depth=1
	v_cvt_f32_u32_e32 v4, s33
	s_sub_i32 s0, 0, s33
	v_rcp_iflag_f32_e32 v4, v4
	v_mul_f32_e32 v4, 0x4f7ffffe, v4
	v_cvt_u32_f32_e32 v4, v4
	v_readfirstlane_b32 s10, v4
	s_mul_i32 s0, s0, s10
	s_mul_hi_u32 s0, s10, s0
	s_add_i32 s10, s10, s0
	s_mul_hi_u32 s0, s46, s10
	s_mul_i32 s0, s0, s33
	s_sub_i32 s0, s46, s0
	s_sub_i32 s10, s0, s33
	s_cmp_ge_u32 s0, s33
	s_cselect_b32 s0, s10, s0
	s_sub_i32 s10, s0, s33
	s_cmp_ge_u32 s0, s33
	s_cselect_b32 s86, s10, s0
	s_mov_b64 s[10:11], s[86:87]
.LBB201_153:                            ;   in Loop: Header=BB201_31 Depth=1
	s_sub_u32 s46, s46, s10
	s_subb_u32 s47, s1, s11
	v_cmp_gt_u64_e32 vcc, s[46:47], v[0:1]
	s_mov_b64 s[10:11], 0
	s_mov_b64 s[0:1], 0
                                        ; implicit-def: $vgpr5
	s_and_saveexec_b64 s[12:13], vcc
	s_cbranch_execz .LBB201_165
; %bb.154:                              ;   in Loop: Header=BB201_31 Depth=1
	v_mov_b32_e32 v7, v1
	v_mov_b32_e32 v8, v14
	;; [unrolled: 1-line block ×3, first 2 shown]
                                        ; implicit-def: $sgpr48_sgpr49
	s_branch .LBB201_158
.LBB201_155:                            ;   in Loop: Header=BB201_158 Depth=2
	s_or_b64 exec, exec, s[50:51]
	s_waitcnt lgkmcnt(0)
	s_barrier
	ds_read_b64 v[4:5], v13 offset:3072
	s_waitcnt lgkmcnt(0)
	s_barrier
	v_cmp_neq_f32_e32 vcc, 0, v4
	s_cbranch_vccnz .LBB201_161
; %bb.156:                              ;   in Loop: Header=BB201_158 Depth=2
	v_add_co_u32_e32 v6, vcc, s33, v6
	v_addc_co_u32_e32 v7, vcc, 0, v7, vcc
	v_cmp_le_u64_e32 vcc, s[46:47], v[6:7]
	v_add_u32_e32 v8, s5, v8
	s_mov_b64 s[50:51], 0
	s_orn2_b64 s[52:53], vcc, exec
.LBB201_157:                            ;   in Loop: Header=BB201_158 Depth=2
	s_and_b64 s[52:53], exec, s[52:53]
	s_or_b64 s[0:1], s[52:53], s[0:1]
	s_andn2_b64 s[48:49], s[48:49], exec
	s_and_b64 s[50:51], s[50:51], exec
	s_or_b64 s[48:49], s[48:49], s[50:51]
	s_andn2_b64 exec, exec, s[0:1]
	s_cbranch_execz .LBB201_164
.LBB201_158:                            ;   Parent Loop BB201_31 Depth=1
                                        ; =>  This Inner Loop Header: Depth=2
	v_cmp_gt_u64_e32 vcc, s[2:3], v[6:7]
	s_and_saveexec_b64 s[50:51], vcc
	s_cbranch_execz .LBB201_155
; %bb.159:                              ;   in Loop: Header=BB201_158 Depth=2
	ds_read_b32 v27, v8
	s_waitcnt lgkmcnt(0)
	v_cmp_lt_i32_e32 vcc, -1, v27
	v_cndmask_b32_e32 v4, -1, v50, vcc
	v_xor_b32_e32 v4, v4, v27
	v_cmp_o_f32_e32 vcc, v27, v27
	v_cndmask_b32_e32 v4, -1, v4, vcc
	v_and_b32_e32 v4, v4, v31
	v_cmp_eq_u32_e32 vcc, v4, v32
	s_and_b64 exec, exec, vcc
	s_cbranch_execz .LBB201_155
; %bb.160:                              ;   in Loop: Header=BB201_158 Depth=2
	ds_write_b64 v13, v[26:27] offset:3072
	s_branch .LBB201_155
.LBB201_161:                            ;   in Loop: Header=BB201_158 Depth=2
	s_mov_b64 s[52:53], -1
                                        ; implicit-def: $vgpr6_vgpr7
                                        ; implicit-def: $vgpr8
	s_mov_b64 s[50:51], -1
	s_branch .LBB201_157
.LBB201_162:                            ;   in Loop: Header=BB201_31 Depth=1
                                        ; implicit-def: $sgpr10_sgpr11
	s_branch .LBB201_104
.LBB201_163:                            ;   in Loop: Header=BB201_31 Depth=1
                                        ; implicit-def: $sgpr2_sgpr3
	s_branch .LBB201_122
.LBB201_164:                            ;   in Loop: Header=BB201_31 Depth=1
	s_or_b64 exec, exec, s[0:1]
	s_and_b64 s[0:1], s[48:49], exec
.LBB201_165:                            ;   in Loop: Header=BB201_31 Depth=1
	s_or_b64 exec, exec, s[12:13]
.LBB201_166:                            ;   in Loop: Header=BB201_31 Depth=1
	s_and_b64 vcc, exec, s[10:11]
	s_cbranch_vccz .LBB201_181
; %bb.167:                              ;   in Loop: Header=BB201_31 Depth=1
	v_readlane_b32 s46, v54, 31
	v_readlane_b32 s47, v54, 32
	s_mov_b32 s46, s87
	s_cmp_lg_u64 s[46:47], 0
	v_writelane_b32 v54, s46, 31
	v_writelane_b32 v54, s47, 32
	s_cbranch_scc0 .LBB201_210
; %bb.168:                              ;   in Loop: Header=BB201_31 Depth=1
	v_cvt_f32_u32_e32 v4, s33
	s_sub_u32 s10, 0, s33
	s_subb_u32 s11, 0, 0
	v_mac_f32_e32 v4, 0, v51
	v_rcp_f32_e32 v4, v4
	v_mul_f32_e32 v4, 0x5f7ffffc, v4
	v_mul_f32_e32 v5, 0x2f800000, v4
	v_trunc_f32_e32 v5, v5
	v_mac_f32_e32 v4, 0xcf800000, v5
	v_cvt_u32_f32_e32 v5, v5
	v_cvt_u32_f32_e32 v4, v4
	v_readfirstlane_b32 s12, v5
	v_readfirstlane_b32 s2, v4
	s_mul_i32 s3, s10, s12
	s_mul_hi_u32 s26, s10, s2
	s_mul_i32 s13, s11, s2
	s_add_i32 s3, s26, s3
	s_mul_i32 s27, s10, s2
	s_add_i32 s3, s3, s13
	s_mul_hi_u32 s26, s2, s27
	s_mul_i32 s28, s2, s3
	s_mul_hi_u32 s13, s2, s3
	s_add_u32 s26, s26, s28
	s_addc_u32 s13, 0, s13
	s_mul_hi_u32 s29, s12, s27
	s_mul_i32 s27, s12, s27
	s_add_u32 s26, s26, s27
	s_mul_hi_u32 s28, s12, s3
	s_addc_u32 s13, s13, s29
	s_addc_u32 s26, s28, 0
	s_mul_i32 s3, s12, s3
	s_add_u32 s3, s13, s3
	s_addc_u32 s13, 0, s26
	s_add_u32 s26, s2, s3
	s_cselect_b64 s[2:3], -1, 0
	s_cmp_lg_u64 s[2:3], 0
	s_addc_u32 s12, s12, s13
	s_mul_i32 s2, s10, s12
	s_mul_hi_u32 s3, s10, s26
	s_add_i32 s2, s3, s2
	s_mul_i32 s11, s11, s26
	s_add_i32 s2, s2, s11
	s_mul_i32 s10, s10, s26
	s_mul_hi_u32 s11, s12, s10
	s_mul_i32 s13, s12, s10
	s_mul_i32 s28, s26, s2
	s_mul_hi_u32 s10, s26, s10
	s_mul_hi_u32 s27, s26, s2
	s_add_u32 s10, s10, s28
	s_addc_u32 s27, 0, s27
	s_add_u32 s10, s10, s13
	s_mul_hi_u32 s3, s12, s2
	s_addc_u32 s10, s27, s11
	s_addc_u32 s3, s3, 0
	s_mul_i32 s2, s12, s2
	s_add_u32 s2, s10, s2
	s_addc_u32 s10, 0, s3
	s_add_u32 s11, s26, s2
	s_cselect_b64 s[2:3], -1, 0
	s_cmp_lg_u64 s[2:3], 0
	s_addc_u32 s2, s12, s10
	v_readlane_b32 s26, v54, 29
	s_mul_i32 s10, s26, s2
	s_mul_hi_u32 s12, s26, s11
	s_mul_hi_u32 s3, s26, s2
	s_add_u32 s10, s12, s10
	s_addc_u32 s3, 0, s3
	s_mul_hi_u32 s13, s47, s11
	s_mul_i32 s11, s47, s11
	s_add_u32 s10, s10, s11
	s_mul_hi_u32 s12, s47, s2
	s_addc_u32 s3, s3, s13
	s_addc_u32 s10, s12, 0
	s_mul_i32 s2, s47, s2
	s_add_u32 s2, s3, s2
	s_addc_u32 s3, 0, s10
	s_mul_i32 s3, s33, s3
	s_mul_hi_u32 s10, s33, s2
	s_add_i32 s10, s10, s3
	s_mul_i32 s2, s33, s2
	s_sub_u32 s11, s26, s2
	s_cselect_b64 s[2:3], -1, 0
	s_cmp_lg_u64 s[2:3], 0
	s_subb_u32 s10, s47, s10
	s_sub_u32 s12, s11, s33
	s_cselect_b64 s[2:3], -1, 0
	s_cmp_lg_u64 s[2:3], 0
	s_subb_u32 s13, s10, 0
	;; [unrolled: 4-line block ×3, first 2 shown]
	s_cmp_ge_u32 s12, s33
	s_cselect_b32 s3, -1, 0
	s_cmp_eq_u32 s13, 0
	s_cselect_b32 s3, s3, -1
	s_cmp_lg_u32 s3, 0
	s_cselect_b32 s2, s2, s13
	s_cselect_b32 s12, s26, s12
	s_cmp_ge_u32 s11, s33
	s_cselect_b32 s3, -1, 0
	s_cmp_eq_u32 s10, 0
	s_cselect_b32 s3, s3, -1
	s_cmp_lg_u32 s3, 0
	s_cselect_b32 s3, s2, s10
	s_cselect_b32 s2, s12, s11
	s_cbranch_execnz .LBB201_170
.LBB201_169:                            ;   in Loop: Header=BB201_31 Depth=1
	v_cvt_f32_u32_e32 v4, s33
	s_sub_i32 s2, 0, s33
	v_readlane_b32 s10, v54, 29
	v_rcp_iflag_f32_e32 v4, v4
	v_mul_f32_e32 v4, 0x4f7ffffe, v4
	v_cvt_u32_f32_e32 v4, v4
	v_readfirstlane_b32 s3, v4
	s_mul_i32 s2, s2, s3
	s_mul_hi_u32 s2, s3, s2
	s_add_i32 s3, s3, s2
	s_mul_hi_u32 s2, s10, s3
	s_mul_i32 s2, s2, s33
	s_sub_i32 s2, s10, s2
	s_sub_i32 s3, s2, s33
	s_cmp_ge_u32 s2, s33
	s_cselect_b32 s2, s3, s2
	s_sub_i32 s3, s2, s33
	s_cmp_ge_u32 s2, s33
	s_cselect_b32 s86, s3, s2
	s_mov_b64 s[2:3], s[86:87]
.LBB201_170:                            ;   in Loop: Header=BB201_31 Depth=1
	v_readlane_b32 s10, v54, 29
	v_readlane_b32 s12, v54, 31
	s_sub_u32 s10, s10, s2
	v_readlane_b32 s13, v54, 32
	s_subb_u32 s11, s13, s3
	v_cmp_gt_u64_e32 vcc, s[10:11], v[0:1]
                                        ; implicit-def: $vgpr5
	s_and_saveexec_b64 s[2:3], vcc
	s_cbranch_execz .LBB201_180
; %bb.171:                              ;   in Loop: Header=BB201_31 Depth=1
	v_mov_b32_e32 v6, v24
	v_mov_b32_e32 v9, v1
	s_mov_b64 s[12:13], 0
	v_mov_b32_e32 v7, v25
	v_mov_b32_e32 v8, v0
                                        ; implicit-def: $sgpr26_sgpr27
	s_branch .LBB201_175
.LBB201_172:                            ;   in Loop: Header=BB201_175 Depth=2
	s_or_b64 exec, exec, s[28:29]
	s_waitcnt lgkmcnt(0)
	s_barrier
	ds_read_b64 v[4:5], v13 offset:3072
	s_waitcnt lgkmcnt(0)
	s_barrier
	v_cmp_eq_f32_e32 vcc, 0, v4
	s_cbranch_vccz .LBB201_178
; %bb.173:                              ;   in Loop: Header=BB201_175 Depth=2
	v_add_co_u32_e32 v8, vcc, s33, v8
	v_addc_co_u32_e32 v9, vcc, 0, v9, vcc
	v_mov_b32_e32 v4, s65
	v_add_co_u32_e32 v6, vcc, s64, v6
	v_addc_co_u32_e32 v7, vcc, v7, v4, vcc
	v_cmp_le_u64_e32 vcc, s[10:11], v[8:9]
	s_mov_b64 s[28:29], 0
	s_orn2_b64 s[46:47], vcc, exec
.LBB201_174:                            ;   in Loop: Header=BB201_175 Depth=2
	s_and_b64 s[46:47], exec, s[46:47]
	s_or_b64 s[12:13], s[46:47], s[12:13]
	s_andn2_b64 s[26:27], s[26:27], exec
	s_and_b64 s[28:29], s[28:29], exec
	s_or_b64 s[26:27], s[26:27], s[28:29]
	s_andn2_b64 exec, exec, s[12:13]
	s_cbranch_execz .LBB201_179
.LBB201_175:                            ;   Parent Loop BB201_31 Depth=1
                                        ; =>  This Inner Loop Header: Depth=2
	v_cmp_gt_u64_e32 vcc, s[60:61], v[8:9]
	s_and_saveexec_b64 s[28:29], vcc
	s_cbranch_execz .LBB201_172
; %bb.176:                              ;   in Loop: Header=BB201_175 Depth=2
	global_load_dword v27, v[6:7], off
	s_waitcnt vmcnt(0)
	v_cmp_lt_i32_e32 vcc, -1, v27
	v_cndmask_b32_e32 v4, -1, v50, vcc
	v_xor_b32_e32 v4, v4, v27
	v_cmp_o_f32_e32 vcc, v27, v27
	v_cndmask_b32_e32 v4, -1, v4, vcc
	v_and_b32_e32 v4, v4, v31
	v_cmp_eq_u32_e32 vcc, v4, v32
	s_and_b64 exec, exec, vcc
	s_cbranch_execz .LBB201_172
; %bb.177:                              ;   in Loop: Header=BB201_175 Depth=2
	ds_write_b64 v13, v[26:27] offset:3072
	s_branch .LBB201_172
.LBB201_178:                            ;   in Loop: Header=BB201_175 Depth=2
	s_mov_b64 s[46:47], -1
                                        ; implicit-def: $vgpr8_vgpr9
                                        ; implicit-def: $vgpr6_vgpr7
	s_mov_b64 s[28:29], -1
	s_branch .LBB201_174
.LBB201_179:                            ;   in Loop: Header=BB201_31 Depth=1
	s_or_b64 exec, exec, s[12:13]
	s_andn2_b64 s[0:1], s[0:1], exec
	s_and_b64 s[10:11], s[26:27], exec
	s_or_b64 s[0:1], s[0:1], s[10:11]
.LBB201_180:                            ;   in Loop: Header=BB201_31 Depth=1
	s_or_b64 exec, exec, s[2:3]
	s_mov_b64 s[26:27], 0
	s_mov_b64 s[28:29], -1
.LBB201_181:                            ;   in Loop: Header=BB201_31 Depth=1
	s_orn2_b64 s[0:1], s[0:1], exec
.LBB201_182:                            ;   in Loop: Header=BB201_31 Depth=1
	s_or_b64 exec, exec, s[42:43]
	s_mov_b64 s[2:3], 0
	s_and_saveexec_b64 s[42:43], s[0:1]
	s_cbranch_execz .LBB201_295
; %bb.183:                              ;   in Loop: Header=BB201_31 Depth=1
	v_mov_b32_e32 v6, 1
	s_xor_b64 s[10:11], s[44:45], -1
	v_mov_b32_e32 v12, 1
	v_mov_b32_e32 v7, 0
	s_and_saveexec_b64 s[0:1], s[10:11]
	s_cbranch_execz .LBB201_192
; %bb.184:                              ;   in Loop: Header=BB201_31 Depth=1
	v_cmp_ge_u64_e32 vcc, s[20:21], v[2:3]
	s_and_saveexec_b64 s[2:3], vcc
	s_xor_b64 s[2:3], exec, s[2:3]
	s_cbranch_execz .LBB201_189
; %bb.185:                              ;   in Loop: Header=BB201_31 Depth=1
	ds_read_b64 v[6:7], v13 offset:5120
	v_and_b32_e32 v4, s94, v32
	v_lshl_or_b32 v32, 1, s66, v4
	v_or_b32_e32 v31, s67, v31
	s_waitcnt lgkmcnt(0)
	v_cmp_ne_u64_e32 vcc, 0, v[6:7]
	s_cbranch_vccnz .LBB201_189
; %bb.186:                              ;   in Loop: Header=BB201_31 Depth=1
	s_mov_b64 s[10:11], exec
	v_readlane_b32 s12, v54, 10
	v_readlane_b32 s13, v54, 11
	s_and_b64 s[12:13], s[10:11], s[12:13]
	s_mov_b64 exec, s[12:13]
; %bb.187:                              ;   in Loop: Header=BB201_31 Depth=1
	v_mov_b32_e32 v6, s20
	v_mov_b32_e32 v7, s21
	ds_write_b64 v13, v[6:7] offset:5128
; %bb.188:                              ;   in Loop: Header=BB201_31 Depth=1
	s_or_b64 exec, exec, s[10:11]
	s_waitcnt lgkmcnt(0)
	s_barrier
.LBB201_189:                            ;   in Loop: Header=BB201_31 Depth=1
	s_or_saveexec_b64 s[2:3], s[2:3]
	s_mov_b64 s[10:11], 0
	v_mov_b32_e32 v12, 8
	s_xor_b64 exec, exec, s[2:3]
; %bb.190:                              ;   in Loop: Header=BB201_31 Depth=1
	v_subrev_co_u32_e32 v2, vcc, s20, v2
	v_mov_b32_e32 v4, s21
	v_subb_co_u32_e32 v3, vcc, v3, v4, vcc
	v_mov_b32_e32 v12, 0
	s_mov_b64 s[10:11], exec
; %bb.191:                              ;   in Loop: Header=BB201_31 Depth=1
	s_or_b64 exec, exec, s[2:3]
	v_mov_b32_e32 v7, v3
	s_and_b64 s[2:3], s[10:11], exec
	v_mov_b32_e32 v6, v2
.LBB201_192:                            ;   in Loop: Header=BB201_31 Depth=1
	s_or_b64 exec, exec, s[0:1]
	s_mov_b64 s[0:1], -1
                                        ; implicit-def: $sgpr46_sgpr47
                                        ; implicit-def: $sgpr48_sgpr49
	s_and_saveexec_b64 s[44:45], s[2:3]
	s_cbranch_execz .LBB201_294
; %bb.193:                              ;   in Loop: Header=BB201_31 Depth=1
	s_cmp_eq_u64 s[22:23], 1
	v_cmp_eq_u64_e32 vcc, 1, v[6:7]
	s_cselect_b64 s[0:1], -1, 0
	s_and_b64 s[52:53], s[0:1], vcc
	s_mov_b64 s[0:1], -1
                                        ; implicit-def: $sgpr48_sgpr49
                                        ; implicit-def: $sgpr46_sgpr47
	s_and_saveexec_b64 s[50:51], s[52:53]
	s_cbranch_execz .LBB201_229
; %bb.194:                              ;   in Loop: Header=BB201_31 Depth=1
	ds_read_b64 v[2:3], v13 offset:5120
	s_waitcnt lgkmcnt(0)
	s_barrier
	v_readfirstlane_b32 s2, v2
	v_readfirstlane_b32 s3, v3
	s_mov_b64 s[0:1], exec
	v_readlane_b32 s10, v54, 24
	v_readlane_b32 s11, v54, 25
	s_and_b64 s[10:11], s[0:1], s[10:11]
	s_mov_b64 exec, s[10:11]
; %bb.195:                              ;   in Loop: Header=BB201_31 Depth=1
	ds_write_b32 v45, v13
; %bb.196:                              ;   in Loop: Header=BB201_31 Depth=1
	s_or_b64 exec, exec, s[0:1]
	v_and_b32_e32 v2, s94, v32
	v_lshl_or_b32 v32, 2, s66, v2
	v_or_b32_e32 v31, s67, v31
	s_mov_b64 s[46:47], -1
	s_mov_b64 s[48:49], 0
	s_cmp_eq_u64 s[2:3], 0
	s_mov_b64 s[0:1], 0
	s_mov_b64 s[10:11], -1
	s_waitcnt lgkmcnt(0)
	s_barrier
                                        ; implicit-def: $vgpr5
	s_cbranch_scc1 .LBB201_213
; %bb.197:                              ;   in Loop: Header=BB201_31 Depth=1
	v_readlane_b32 s0, v54, 28
	s_add_u32 s54, s2, s0
	v_readlane_b32 s0, v54, 30
	s_addc_u32 s1, s3, s0
	s_mov_b32 s0, s87
	s_cmp_lg_u64 s[0:1], 0
	s_cbranch_scc0 .LBB201_246
; %bb.198:                              ;   in Loop: Header=BB201_31 Depth=1
	v_cvt_f32_u32_e32 v2, s33
	s_sub_u32 s0, 0, s33
	s_subb_u32 s12, 0, 0
	v_mac_f32_e32 v2, 0, v51
	v_rcp_f32_e32 v2, v2
	v_mul_f32_e32 v2, 0x5f7ffffc, v2
	v_mul_f32_e32 v3, 0x2f800000, v2
	v_trunc_f32_e32 v3, v3
	v_mac_f32_e32 v2, 0xcf800000, v3
	v_cvt_u32_f32_e32 v3, v3
	v_cvt_u32_f32_e32 v2, v2
	v_readfirstlane_b32 s13, v3
	v_readfirstlane_b32 s10, v2
	s_mul_i32 s11, s0, s13
	s_mul_hi_u32 s80, s0, s10
	s_mul_i32 s55, s12, s10
	s_add_i32 s11, s80, s11
	s_mul_i32 s81, s0, s10
	s_add_i32 s11, s11, s55
	s_mul_hi_u32 s80, s10, s81
	s_mul_i32 s86, s10, s11
	s_mul_hi_u32 s55, s10, s11
	s_add_u32 s80, s80, s86
	s_addc_u32 s55, 0, s55
	s_mul_hi_u32 s88, s13, s81
	s_mul_i32 s81, s13, s81
	s_add_u32 s80, s80, s81
	s_mul_hi_u32 s86, s13, s11
	s_addc_u32 s55, s55, s88
	s_addc_u32 s80, s86, 0
	s_mul_i32 s11, s13, s11
	s_add_u32 s11, s55, s11
	s_addc_u32 s55, 0, s80
	s_add_u32 s80, s10, s11
	s_cselect_b64 s[10:11], -1, 0
	s_cmp_lg_u64 s[10:11], 0
	s_addc_u32 s13, s13, s55
	s_mul_i32 s10, s0, s13
	s_mul_hi_u32 s11, s0, s80
	s_add_i32 s10, s11, s10
	s_mul_i32 s12, s12, s80
	s_add_i32 s10, s10, s12
	s_mul_i32 s0, s0, s80
	s_mul_hi_u32 s12, s13, s0
	s_mul_i32 s55, s13, s0
	s_mul_i32 s86, s80, s10
	s_mul_hi_u32 s0, s80, s0
	s_mul_hi_u32 s81, s80, s10
	s_add_u32 s0, s0, s86
	s_addc_u32 s81, 0, s81
	s_add_u32 s0, s0, s55
	s_mul_hi_u32 s11, s13, s10
	s_addc_u32 s0, s81, s12
	s_addc_u32 s11, s11, 0
	s_mul_i32 s10, s13, s10
	s_add_u32 s0, s0, s10
	s_addc_u32 s12, 0, s11
	s_add_u32 s0, s80, s0
	s_cselect_b64 s[10:11], -1, 0
	s_cmp_lg_u64 s[10:11], 0
	s_addc_u32 s10, s13, s12
	s_mul_i32 s12, s54, s10
	s_mul_hi_u32 s13, s54, s0
	s_mul_hi_u32 s11, s54, s10
	s_add_u32 s12, s13, s12
	s_addc_u32 s11, 0, s11
	s_mul_hi_u32 s55, s1, s0
	s_mul_i32 s0, s1, s0
	s_add_u32 s0, s12, s0
	s_mul_hi_u32 s13, s1, s10
	s_addc_u32 s0, s11, s55
	s_addc_u32 s11, s13, 0
	s_mul_i32 s10, s1, s10
	s_add_u32 s0, s0, s10
	s_addc_u32 s10, 0, s11
	s_mul_i32 s10, s33, s10
	s_mul_hi_u32 s11, s33, s0
	s_add_i32 s12, s11, s10
	s_mul_i32 s0, s33, s0
	s_sub_u32 s0, s54, s0
	s_cselect_b64 s[10:11], -1, 0
	s_cmp_lg_u64 s[10:11], 0
	s_subb_u32 s12, s1, s12
	s_sub_u32 s13, s0, s33
	s_cselect_b64 s[10:11], -1, 0
	s_cmp_lg_u64 s[10:11], 0
	s_subb_u32 s55, s12, 0
	;; [unrolled: 4-line block ×3, first 2 shown]
	s_cmp_ge_u32 s13, s33
	s_cselect_b32 s11, -1, 0
	s_cmp_eq_u32 s55, 0
	s_cselect_b32 s11, s11, -1
	s_cmp_lg_u32 s11, 0
	s_cselect_b32 s10, s10, s55
	s_cselect_b32 s13, s80, s13
	s_cmp_ge_u32 s0, s33
	s_cselect_b32 s11, -1, 0
	s_cmp_eq_u32 s12, 0
	s_cselect_b32 s11, s11, -1
	s_cmp_lg_u32 s11, 0
	s_cselect_b32 s11, s10, s12
	s_cselect_b32 s10, s13, s0
	s_cbranch_execnz .LBB201_200
.LBB201_199:                            ;   in Loop: Header=BB201_31 Depth=1
	v_cvt_f32_u32_e32 v2, s33
	s_sub_i32 s0, 0, s33
	v_rcp_iflag_f32_e32 v2, v2
	v_mul_f32_e32 v2, 0x4f7ffffe, v2
	v_cvt_u32_f32_e32 v2, v2
	v_readfirstlane_b32 s10, v2
	s_mul_i32 s0, s0, s10
	s_mul_hi_u32 s0, s10, s0
	s_add_i32 s10, s10, s0
	s_mul_hi_u32 s0, s54, s10
	s_mul_i32 s0, s0, s33
	s_sub_i32 s0, s54, s0
	s_sub_i32 s10, s0, s33
	s_cmp_ge_u32 s0, s33
	s_cselect_b32 s0, s10, s0
	s_sub_i32 s10, s0, s33
	s_cmp_ge_u32 s0, s33
	s_cselect_b32 s86, s10, s0
	s_mov_b64 s[10:11], s[86:87]
.LBB201_200:                            ;   in Loop: Header=BB201_31 Depth=1
	s_sub_u32 s54, s54, s10
	s_subb_u32 s55, s1, s11
	v_cmp_gt_u64_e32 vcc, s[54:55], v[0:1]
	s_mov_b64 s[10:11], 0
	s_mov_b64 s[0:1], 0
                                        ; implicit-def: $vgpr5
	s_and_saveexec_b64 s[12:13], vcc
	s_cbranch_execz .LBB201_212
; %bb.201:                              ;   in Loop: Header=BB201_31 Depth=1
	v_mov_b32_e32 v3, v1
	v_mov_b32_e32 v8, v14
	;; [unrolled: 1-line block ×3, first 2 shown]
                                        ; implicit-def: $sgpr80_sgpr81
	s_branch .LBB201_205
.LBB201_202:                            ;   in Loop: Header=BB201_205 Depth=2
	s_or_b64 exec, exec, s[88:89]
	s_waitcnt lgkmcnt(0)
	s_barrier
	ds_read_b64 v[4:5], v13 offset:3072
	s_waitcnt lgkmcnt(0)
	s_barrier
	v_cmp_neq_f32_e32 vcc, 0, v4
	s_cbranch_vccnz .LBB201_208
; %bb.203:                              ;   in Loop: Header=BB201_205 Depth=2
	v_add_co_u32_e32 v2, vcc, s33, v2
	v_addc_co_u32_e32 v3, vcc, 0, v3, vcc
	v_cmp_le_u64_e32 vcc, s[54:55], v[2:3]
	v_add_u32_e32 v8, s5, v8
	s_mov_b64 s[88:89], 0
	s_orn2_b64 s[90:91], vcc, exec
.LBB201_204:                            ;   in Loop: Header=BB201_205 Depth=2
	s_and_b64 s[90:91], exec, s[90:91]
	s_or_b64 s[0:1], s[90:91], s[0:1]
	s_andn2_b64 s[80:81], s[80:81], exec
	s_and_b64 s[88:89], s[88:89], exec
	s_or_b64 s[80:81], s[80:81], s[88:89]
	s_andn2_b64 exec, exec, s[0:1]
	s_cbranch_execz .LBB201_211
.LBB201_205:                            ;   Parent Loop BB201_31 Depth=1
                                        ; =>  This Inner Loop Header: Depth=2
	v_cmp_gt_u64_e32 vcc, s[2:3], v[2:3]
	s_and_saveexec_b64 s[88:89], vcc
	s_cbranch_execz .LBB201_202
; %bb.206:                              ;   in Loop: Header=BB201_205 Depth=2
	ds_read_b32 v27, v8
	s_waitcnt lgkmcnt(0)
	v_cmp_lt_i32_e32 vcc, -1, v27
	v_cndmask_b32_e32 v4, -1, v50, vcc
	v_xor_b32_e32 v4, v4, v27
	v_cmp_o_f32_e32 vcc, v27, v27
	v_cndmask_b32_e32 v4, -1, v4, vcc
	v_and_b32_e32 v4, v4, v31
	v_cmp_eq_u32_e32 vcc, v4, v32
	s_and_b64 exec, exec, vcc
	s_cbranch_execz .LBB201_202
; %bb.207:                              ;   in Loop: Header=BB201_205 Depth=2
	ds_write_b64 v13, v[26:27] offset:3072
	s_branch .LBB201_202
.LBB201_208:                            ;   in Loop: Header=BB201_205 Depth=2
	s_mov_b64 s[90:91], -1
                                        ; implicit-def: $vgpr2_vgpr3
                                        ; implicit-def: $vgpr8
	s_mov_b64 s[88:89], -1
	s_branch .LBB201_204
.LBB201_209:                            ;   in Loop: Header=BB201_31 Depth=1
                                        ; implicit-def: $sgpr10_sgpr11
	s_branch .LBB201_152
.LBB201_210:                            ;   in Loop: Header=BB201_31 Depth=1
                                        ; implicit-def: $sgpr2_sgpr3
	s_branch .LBB201_169
.LBB201_211:                            ;   in Loop: Header=BB201_31 Depth=1
	s_or_b64 exec, exec, s[0:1]
	s_and_b64 s[0:1], s[80:81], exec
.LBB201_212:                            ;   in Loop: Header=BB201_31 Depth=1
	s_or_b64 exec, exec, s[12:13]
.LBB201_213:                            ;   in Loop: Header=BB201_31 Depth=1
	s_and_b64 vcc, exec, s[10:11]
	s_cbranch_vccz .LBB201_228
; %bb.214:                              ;   in Loop: Header=BB201_31 Depth=1
	v_readlane_b32 s54, v54, 31
	v_readlane_b32 s55, v54, 32
	s_mov_b32 s54, s87
	s_cmp_lg_u64 s[54:55], 0
	v_writelane_b32 v54, s54, 31
	v_writelane_b32 v54, s55, 32
	s_cbranch_scc0 .LBB201_247
; %bb.215:                              ;   in Loop: Header=BB201_31 Depth=1
	v_cvt_f32_u32_e32 v2, s33
	s_sub_u32 s10, 0, s33
	s_subb_u32 s11, 0, 0
	v_mac_f32_e32 v2, 0, v51
	v_rcp_f32_e32 v2, v2
	v_mul_f32_e32 v2, 0x5f7ffffc, v2
	v_mul_f32_e32 v3, 0x2f800000, v2
	v_trunc_f32_e32 v3, v3
	v_mac_f32_e32 v2, 0xcf800000, v3
	v_cvt_u32_f32_e32 v3, v3
	v_cvt_u32_f32_e32 v2, v2
	v_readfirstlane_b32 s12, v3
	v_readfirstlane_b32 s2, v2
	s_mul_i32 s3, s10, s12
	s_mul_hi_u32 s46, s10, s2
	s_mul_i32 s13, s11, s2
	s_add_i32 s3, s46, s3
	s_mul_i32 s47, s10, s2
	s_add_i32 s3, s3, s13
	s_mul_hi_u32 s46, s2, s47
	s_mul_i32 s48, s2, s3
	s_mul_hi_u32 s13, s2, s3
	s_add_u32 s46, s46, s48
	s_addc_u32 s13, 0, s13
	s_mul_hi_u32 s49, s12, s47
	s_mul_i32 s47, s12, s47
	s_add_u32 s46, s46, s47
	s_mul_hi_u32 s48, s12, s3
	s_addc_u32 s13, s13, s49
	s_addc_u32 s46, s48, 0
	s_mul_i32 s3, s12, s3
	s_add_u32 s3, s13, s3
	s_addc_u32 s13, 0, s46
	s_add_u32 s46, s2, s3
	s_cselect_b64 s[2:3], -1, 0
	s_cmp_lg_u64 s[2:3], 0
	s_addc_u32 s12, s12, s13
	s_mul_i32 s2, s10, s12
	s_mul_hi_u32 s3, s10, s46
	s_add_i32 s2, s3, s2
	s_mul_i32 s11, s11, s46
	s_add_i32 s2, s2, s11
	s_mul_i32 s10, s10, s46
	s_mul_hi_u32 s11, s12, s10
	s_mul_i32 s13, s12, s10
	s_mul_i32 s48, s46, s2
	s_mul_hi_u32 s10, s46, s10
	s_mul_hi_u32 s47, s46, s2
	s_add_u32 s10, s10, s48
	s_addc_u32 s47, 0, s47
	s_add_u32 s10, s10, s13
	s_mul_hi_u32 s3, s12, s2
	s_addc_u32 s10, s47, s11
	s_addc_u32 s3, s3, 0
	s_mul_i32 s2, s12, s2
	s_add_u32 s2, s10, s2
	s_addc_u32 s10, 0, s3
	s_add_u32 s11, s46, s2
	s_cselect_b64 s[2:3], -1, 0
	s_cmp_lg_u64 s[2:3], 0
	s_addc_u32 s2, s12, s10
	v_readlane_b32 s46, v54, 29
	s_mul_i32 s10, s46, s2
	s_mul_hi_u32 s12, s46, s11
	s_mul_hi_u32 s3, s46, s2
	s_add_u32 s10, s12, s10
	s_addc_u32 s3, 0, s3
	s_mul_hi_u32 s13, s55, s11
	s_mul_i32 s11, s55, s11
	s_add_u32 s10, s10, s11
	s_mul_hi_u32 s12, s55, s2
	s_addc_u32 s3, s3, s13
	s_addc_u32 s10, s12, 0
	s_mul_i32 s2, s55, s2
	s_add_u32 s2, s3, s2
	s_addc_u32 s3, 0, s10
	s_mul_i32 s3, s33, s3
	s_mul_hi_u32 s10, s33, s2
	s_add_i32 s10, s10, s3
	s_mul_i32 s2, s33, s2
	s_sub_u32 s11, s46, s2
	s_cselect_b64 s[2:3], -1, 0
	s_cmp_lg_u64 s[2:3], 0
	s_subb_u32 s10, s55, s10
	s_sub_u32 s12, s11, s33
	s_cselect_b64 s[2:3], -1, 0
	s_cmp_lg_u64 s[2:3], 0
	s_subb_u32 s13, s10, 0
	;; [unrolled: 4-line block ×3, first 2 shown]
	s_cmp_ge_u32 s12, s33
	s_cselect_b32 s3, -1, 0
	s_cmp_eq_u32 s13, 0
	s_cselect_b32 s3, s3, -1
	s_cmp_lg_u32 s3, 0
	s_cselect_b32 s2, s2, s13
	s_cselect_b32 s12, s46, s12
	s_cmp_ge_u32 s11, s33
	s_cselect_b32 s3, -1, 0
	s_cmp_eq_u32 s10, 0
	s_cselect_b32 s3, s3, -1
	s_cmp_lg_u32 s3, 0
	s_cselect_b32 s3, s2, s10
	s_cselect_b32 s2, s12, s11
	s_cbranch_execnz .LBB201_217
.LBB201_216:                            ;   in Loop: Header=BB201_31 Depth=1
	v_cvt_f32_u32_e32 v2, s33
	s_sub_i32 s2, 0, s33
	v_readlane_b32 s10, v54, 29
	v_rcp_iflag_f32_e32 v2, v2
	v_mul_f32_e32 v2, 0x4f7ffffe, v2
	v_cvt_u32_f32_e32 v2, v2
	v_readfirstlane_b32 s3, v2
	s_mul_i32 s2, s2, s3
	s_mul_hi_u32 s2, s3, s2
	s_add_i32 s3, s3, s2
	s_mul_hi_u32 s2, s10, s3
	s_mul_i32 s2, s2, s33
	s_sub_i32 s2, s10, s2
	s_sub_i32 s3, s2, s33
	s_cmp_ge_u32 s2, s33
	s_cselect_b32 s2, s3, s2
	s_sub_i32 s3, s2, s33
	s_cmp_ge_u32 s2, s33
	s_cselect_b32 s86, s3, s2
	s_mov_b64 s[2:3], s[86:87]
.LBB201_217:                            ;   in Loop: Header=BB201_31 Depth=1
	v_readlane_b32 s10, v54, 29
	v_readlane_b32 s12, v54, 31
	s_sub_u32 s10, s10, s2
	v_readlane_b32 s13, v54, 32
	s_subb_u32 s11, s13, s3
	v_cmp_gt_u64_e32 vcc, s[10:11], v[0:1]
                                        ; implicit-def: $vgpr5
	s_and_saveexec_b64 s[2:3], vcc
	s_cbranch_execz .LBB201_227
; %bb.218:                              ;   in Loop: Header=BB201_31 Depth=1
	v_mov_b32_e32 v2, v24
	v_mov_b32_e32 v9, v1
	s_mov_b64 s[12:13], 0
	v_mov_b32_e32 v3, v25
	v_mov_b32_e32 v8, v0
                                        ; implicit-def: $sgpr46_sgpr47
	s_branch .LBB201_222
.LBB201_219:                            ;   in Loop: Header=BB201_222 Depth=2
	s_or_b64 exec, exec, s[48:49]
	s_waitcnt lgkmcnt(0)
	s_barrier
	ds_read_b64 v[4:5], v13 offset:3072
	s_waitcnt lgkmcnt(0)
	s_barrier
	v_cmp_eq_f32_e32 vcc, 0, v4
	s_cbranch_vccz .LBB201_225
; %bb.220:                              ;   in Loop: Header=BB201_222 Depth=2
	v_add_co_u32_e32 v8, vcc, s33, v8
	v_addc_co_u32_e32 v9, vcc, 0, v9, vcc
	v_mov_b32_e32 v4, s65
	v_add_co_u32_e32 v2, vcc, s64, v2
	v_addc_co_u32_e32 v3, vcc, v3, v4, vcc
	v_cmp_le_u64_e32 vcc, s[10:11], v[8:9]
	s_mov_b64 s[48:49], 0
	s_orn2_b64 s[54:55], vcc, exec
.LBB201_221:                            ;   in Loop: Header=BB201_222 Depth=2
	s_and_b64 s[54:55], exec, s[54:55]
	s_or_b64 s[12:13], s[54:55], s[12:13]
	s_andn2_b64 s[46:47], s[46:47], exec
	s_and_b64 s[48:49], s[48:49], exec
	s_or_b64 s[46:47], s[46:47], s[48:49]
	s_andn2_b64 exec, exec, s[12:13]
	s_cbranch_execz .LBB201_226
.LBB201_222:                            ;   Parent Loop BB201_31 Depth=1
                                        ; =>  This Inner Loop Header: Depth=2
	v_cmp_gt_u64_e32 vcc, s[60:61], v[8:9]
	s_and_saveexec_b64 s[48:49], vcc
	s_cbranch_execz .LBB201_219
; %bb.223:                              ;   in Loop: Header=BB201_222 Depth=2
	global_load_dword v27, v[2:3], off
	s_waitcnt vmcnt(0)
	v_cmp_lt_i32_e32 vcc, -1, v27
	v_cndmask_b32_e32 v4, -1, v50, vcc
	v_xor_b32_e32 v4, v4, v27
	v_cmp_o_f32_e32 vcc, v27, v27
	v_cndmask_b32_e32 v4, -1, v4, vcc
	v_and_b32_e32 v4, v4, v31
	v_cmp_eq_u32_e32 vcc, v4, v32
	s_and_b64 exec, exec, vcc
	s_cbranch_execz .LBB201_219
; %bb.224:                              ;   in Loop: Header=BB201_222 Depth=2
	ds_write_b64 v13, v[26:27] offset:3072
	s_branch .LBB201_219
.LBB201_225:                            ;   in Loop: Header=BB201_222 Depth=2
	s_mov_b64 s[54:55], -1
                                        ; implicit-def: $vgpr8_vgpr9
                                        ; implicit-def: $vgpr2_vgpr3
	s_mov_b64 s[48:49], -1
	s_branch .LBB201_221
.LBB201_226:                            ;   in Loop: Header=BB201_31 Depth=1
	s_or_b64 exec, exec, s[12:13]
	s_andn2_b64 s[0:1], s[0:1], exec
	s_and_b64 s[10:11], s[46:47], exec
	s_or_b64 s[0:1], s[0:1], s[10:11]
.LBB201_227:                            ;   in Loop: Header=BB201_31 Depth=1
	s_or_b64 exec, exec, s[2:3]
	s_mov_b64 s[46:47], 0
	s_mov_b64 s[48:49], -1
.LBB201_228:                            ;   in Loop: Header=BB201_31 Depth=1
	s_orn2_b64 s[0:1], s[0:1], exec
.LBB201_229:                            ;   in Loop: Header=BB201_31 Depth=1
	s_or_b64 exec, exec, s[50:51]
	s_mov_b64 s[2:3], 0
	s_and_saveexec_b64 s[50:51], s[0:1]
	s_cbranch_execz .LBB201_293
; %bb.230:                              ;   in Loop: Header=BB201_31 Depth=1
	v_mov_b32_e32 v2, 1
	s_xor_b64 s[10:11], s[52:53], -1
	v_mov_b32_e32 v12, 1
	v_mov_b32_e32 v3, 0
	s_and_saveexec_b64 s[0:1], s[10:11]
	s_cbranch_execz .LBB201_239
; %bb.231:                              ;   in Loop: Header=BB201_31 Depth=1
	v_cmp_ge_u64_e32 vcc, s[22:23], v[6:7]
	s_and_saveexec_b64 s[2:3], vcc
	s_xor_b64 s[2:3], exec, s[2:3]
	s_cbranch_execz .LBB201_236
; %bb.232:                              ;   in Loop: Header=BB201_31 Depth=1
	v_and_b32_e32 v2, s94, v32
	v_lshl_or_b32 v32, 2, s66, v2
	ds_read_b64 v[2:3], v13 offset:5120
	v_or_b32_e32 v31, s67, v31
	s_waitcnt lgkmcnt(0)
	v_cmp_ne_u64_e32 vcc, 0, v[2:3]
	s_cbranch_vccnz .LBB201_236
; %bb.233:                              ;   in Loop: Header=BB201_31 Depth=1
	s_mov_b64 s[10:11], exec
	v_readlane_b32 s12, v54, 10
	v_readlane_b32 s13, v54, 11
	s_and_b64 s[12:13], s[10:11], s[12:13]
	s_mov_b64 exec, s[12:13]
; %bb.234:                              ;   in Loop: Header=BB201_31 Depth=1
	v_mov_b32_e32 v2, s22
	v_mov_b32_e32 v3, s23
	ds_write_b64 v13, v[2:3] offset:5128
; %bb.235:                              ;   in Loop: Header=BB201_31 Depth=1
	s_or_b64 exec, exec, s[10:11]
	s_waitcnt lgkmcnt(0)
	s_barrier
.LBB201_236:                            ;   in Loop: Header=BB201_31 Depth=1
	s_or_saveexec_b64 s[2:3], s[2:3]
	s_mov_b64 s[10:11], 0
	v_mov_b32_e32 v12, 8
	s_xor_b64 exec, exec, s[2:3]
; %bb.237:                              ;   in Loop: Header=BB201_31 Depth=1
	v_subrev_co_u32_e32 v6, vcc, s22, v6
	v_mov_b32_e32 v2, s23
	v_subb_co_u32_e32 v7, vcc, v7, v2, vcc
	v_mov_b32_e32 v12, 0
	s_mov_b64 s[10:11], exec
; %bb.238:                              ;   in Loop: Header=BB201_31 Depth=1
	s_or_b64 exec, exec, s[2:3]
	v_mov_b32_e32 v2, v6
	s_and_b64 s[2:3], s[10:11], exec
	v_mov_b32_e32 v3, v7
.LBB201_239:                            ;   in Loop: Header=BB201_31 Depth=1
	s_or_b64 exec, exec, s[0:1]
	s_mov_b64 s[0:1], -1
                                        ; implicit-def: $sgpr88_sgpr89
                                        ; implicit-def: $sgpr54_sgpr55
	s_and_saveexec_b64 s[52:53], s[2:3]
	s_cbranch_execz .LBB201_292
; %bb.240:                              ;   in Loop: Header=BB201_31 Depth=1
	s_cmp_eq_u64 s[24:25], 1
	v_cmp_eq_u64_e32 vcc, 1, v[2:3]
	s_cselect_b64 s[0:1], -1, 0
	s_and_b64 s[80:81], s[0:1], vcc
	s_mov_b64 s[2:3], -1
                                        ; implicit-def: $sgpr88_sgpr89
                                        ; implicit-def: $sgpr54_sgpr55
	s_mov_b64 s[0:1], exec
                                        ; implicit-def: $vgpr53 : SGPR spill to VGPR lane
	v_writelane_b32 v54, s0, 63
	v_writelane_b32 v53, s1, 0
	s_and_b64 s[0:1], s[0:1], s[80:81]
	s_mov_b64 exec, s[0:1]
	s_cbranch_execz .LBB201_280
; %bb.241:                              ;   in Loop: Header=BB201_31 Depth=1
	ds_read_b64 v[4:5], v13 offset:5120
	s_waitcnt lgkmcnt(0)
	s_barrier
	v_readfirstlane_b32 s2, v4
	v_readfirstlane_b32 s3, v5
	s_mov_b64 s[0:1], exec
	v_readlane_b32 s10, v54, 24
	v_readlane_b32 s11, v54, 25
	s_and_b64 s[10:11], s[0:1], s[10:11]
	s_mov_b64 exec, s[10:11]
; %bb.242:                              ;   in Loop: Header=BB201_31 Depth=1
	ds_write_b32 v45, v13
; %bb.243:                              ;   in Loop: Header=BB201_31 Depth=1
	s_or_b64 exec, exec, s[0:1]
	v_or_b32_e32 v32, s67, v32
	v_or_b32_e32 v31, s67, v31
	s_mov_b64 s[54:55], -1
	s_mov_b64 s[88:89], 0
	s_cmp_eq_u64 s[2:3], 0
	s_mov_b64 s[0:1], 0
	s_mov_b64 s[10:11], -1
	s_waitcnt lgkmcnt(0)
	s_barrier
                                        ; implicit-def: $vgpr5
	s_cbranch_scc1 .LBB201_262
; %bb.244:                              ;   in Loop: Header=BB201_31 Depth=1
	v_writelane_b32 v53, s80, 1
	v_readlane_b32 s0, v54, 28
	v_writelane_b32 v53, s81, 2
	s_add_u32 s80, s2, s0
	v_readlane_b32 s0, v54, 30
	s_addc_u32 s1, s3, s0
	s_mov_b32 s0, s87
	s_mov_b64 s[70:71], s[92:93]
	s_cmp_lg_u64 s[0:1], 0
	s_cbranch_scc0 .LBB201_248
; %bb.245:                              ;   in Loop: Header=BB201_31 Depth=1
	v_cvt_f32_u32_e32 v4, s33
	s_sub_u32 s0, 0, s33
	s_subb_u32 s12, 0, 0
	v_mac_f32_e32 v4, 0, v51
	v_rcp_f32_e32 v4, v4
	v_mul_f32_e32 v4, 0x5f7ffffc, v4
	v_mul_f32_e32 v5, 0x2f800000, v4
	v_trunc_f32_e32 v5, v5
	v_mac_f32_e32 v4, 0xcf800000, v5
	v_cvt_u32_f32_e32 v5, v5
	v_cvt_u32_f32_e32 v4, v4
	v_readfirstlane_b32 s13, v5
	v_readfirstlane_b32 s10, v4
	s_mul_i32 s11, s0, s13
	s_mul_hi_u32 s86, s0, s10
	s_mul_i32 s81, s12, s10
	s_add_i32 s11, s86, s11
	s_mul_i32 s90, s0, s10
	s_add_i32 s11, s11, s81
	s_mul_hi_u32 s86, s10, s90
	s_mul_i32 s91, s10, s11
	s_mul_hi_u32 s81, s10, s11
	s_add_u32 s86, s86, s91
	s_addc_u32 s81, 0, s81
	s_mul_hi_u32 s92, s13, s90
	s_mul_i32 s90, s13, s90
	s_add_u32 s86, s86, s90
	s_mul_hi_u32 s91, s13, s11
	s_addc_u32 s81, s81, s92
	s_addc_u32 s86, s91, 0
	s_mul_i32 s11, s13, s11
	s_add_u32 s11, s81, s11
	s_addc_u32 s81, 0, s86
	s_add_u32 s86, s10, s11
	s_cselect_b64 s[10:11], -1, 0
	s_cmp_lg_u64 s[10:11], 0
	s_addc_u32 s13, s13, s81
	s_mul_i32 s10, s0, s13
	s_mul_hi_u32 s11, s0, s86
	s_add_i32 s10, s11, s10
	s_mul_i32 s12, s12, s86
	s_add_i32 s10, s10, s12
	s_mul_i32 s0, s0, s86
	s_mul_hi_u32 s12, s13, s0
	s_mul_i32 s81, s13, s0
	s_mul_i32 s91, s86, s10
	s_mul_hi_u32 s0, s86, s0
	s_mul_hi_u32 s90, s86, s10
	s_add_u32 s0, s0, s91
	s_addc_u32 s90, 0, s90
	s_add_u32 s0, s0, s81
	s_mul_hi_u32 s11, s13, s10
	s_addc_u32 s0, s90, s12
	s_addc_u32 s11, s11, 0
	s_mul_i32 s10, s13, s10
	s_add_u32 s0, s0, s10
	s_addc_u32 s12, 0, s11
	s_add_u32 s0, s86, s0
	s_cselect_b64 s[10:11], -1, 0
	s_cmp_lg_u64 s[10:11], 0
	s_addc_u32 s10, s13, s12
	s_mul_i32 s12, s80, s10
	s_mul_hi_u32 s13, s80, s0
	s_mul_hi_u32 s11, s80, s10
	s_add_u32 s12, s13, s12
	s_addc_u32 s11, 0, s11
	s_mul_hi_u32 s81, s1, s0
	s_mul_i32 s0, s1, s0
	s_add_u32 s0, s12, s0
	s_mul_hi_u32 s13, s1, s10
	s_addc_u32 s0, s11, s81
	s_addc_u32 s11, s13, 0
	s_mul_i32 s10, s1, s10
	s_add_u32 s0, s0, s10
	s_addc_u32 s10, 0, s11
	s_mul_i32 s10, s33, s10
	s_mul_hi_u32 s11, s33, s0
	s_add_i32 s12, s11, s10
	s_mul_i32 s0, s33, s0
	s_sub_u32 s0, s80, s0
	s_cselect_b64 s[10:11], -1, 0
	s_cmp_lg_u64 s[10:11], 0
	s_subb_u32 s12, s1, s12
	s_sub_u32 s13, s0, s33
	s_cselect_b64 s[10:11], -1, 0
	s_cmp_lg_u64 s[10:11], 0
	s_subb_u32 s81, s12, 0
	;; [unrolled: 4-line block ×3, first 2 shown]
	s_cmp_ge_u32 s13, s33
	s_cselect_b32 s11, -1, 0
	s_cmp_eq_u32 s81, 0
	s_cselect_b32 s11, s11, -1
	s_cmp_lg_u32 s11, 0
	s_cselect_b32 s10, s10, s81
	s_cselect_b32 s13, s86, s13
	s_cmp_ge_u32 s0, s33
	s_cselect_b32 s11, -1, 0
	s_cmp_eq_u32 s12, 0
	s_cselect_b32 s11, s11, -1
	s_cmp_lg_u32 s11, 0
	s_cselect_b32 s11, s10, s12
	s_cselect_b32 s10, s13, s0
	s_mov_b64 s[12:13], 0
	s_branch .LBB201_249
.LBB201_246:                            ;   in Loop: Header=BB201_31 Depth=1
                                        ; implicit-def: $sgpr10_sgpr11
	s_branch .LBB201_199
.LBB201_247:                            ;   in Loop: Header=BB201_31 Depth=1
                                        ; implicit-def: $sgpr2_sgpr3
	s_branch .LBB201_216
.LBB201_248:                            ;   in Loop: Header=BB201_31 Depth=1
	s_mov_b64 s[12:13], -1
                                        ; implicit-def: $sgpr10_sgpr11
.LBB201_249:                            ;   in Loop: Header=BB201_31 Depth=1
	s_andn2_b64 vcc, exec, s[12:13]
	s_cbranch_vccnz .LBB201_251
; %bb.250:                              ;   in Loop: Header=BB201_31 Depth=1
	v_cvt_f32_u32_e32 v4, s33
	s_sub_i32 s0, 0, s33
	v_rcp_iflag_f32_e32 v4, v4
	v_mul_f32_e32 v4, 0x4f7ffffe, v4
	v_cvt_u32_f32_e32 v4, v4
	v_readfirstlane_b32 s10, v4
	s_mul_i32 s0, s0, s10
	s_mul_hi_u32 s0, s10, s0
	s_add_i32 s10, s10, s0
	s_mul_hi_u32 s0, s80, s10
	s_mul_i32 s0, s0, s33
	s_sub_i32 s0, s80, s0
	s_sub_i32 s10, s0, s33
	s_cmp_ge_u32 s0, s33
	s_cselect_b32 s0, s10, s0
	s_sub_i32 s10, s0, s33
	s_cmp_ge_u32 s0, s33
	s_cselect_b32 s86, s10, s0
	s_mov_b64 s[10:11], s[86:87]
.LBB201_251:                            ;   in Loop: Header=BB201_31 Depth=1
	s_sub_u32 s80, s80, s10
	s_subb_u32 s81, s1, s11
	v_cmp_gt_u64_e32 vcc, s[80:81], v[0:1]
	s_mov_b64 s[10:11], 0
	s_mov_b64 s[0:1], 0
                                        ; implicit-def: $vgpr5
	s_and_saveexec_b64 s[12:13], vcc
	s_cbranch_execz .LBB201_261
; %bb.252:                              ;   in Loop: Header=BB201_31 Depth=1
	v_mov_b32_e32 v7, v1
	s_mov_b32 s86, s94
	v_mov_b32_e32 v8, v14
	v_mov_b32_e32 v6, v0
                                        ; implicit-def: $sgpr90_sgpr91
	s_branch .LBB201_256
.LBB201_253:                            ;   in Loop: Header=BB201_256 Depth=2
	s_or_b64 exec, exec, s[92:93]
	s_waitcnt lgkmcnt(0)
	s_barrier
	ds_read_b64 v[4:5], v13 offset:3072
	s_waitcnt lgkmcnt(0)
	s_barrier
	v_cmp_neq_f32_e32 vcc, 0, v4
	s_cbranch_vccnz .LBB201_259
; %bb.254:                              ;   in Loop: Header=BB201_256 Depth=2
	v_add_co_u32_e32 v6, vcc, s33, v6
	v_addc_co_u32_e32 v7, vcc, 0, v7, vcc
	v_cmp_le_u64_e32 vcc, s[80:81], v[6:7]
	v_add_u32_e32 v8, s5, v8
	s_mov_b64 s[92:93], 0
	s_orn2_b64 s[94:95], vcc, exec
.LBB201_255:                            ;   in Loop: Header=BB201_256 Depth=2
	s_and_b64 s[94:95], exec, s[94:95]
	s_or_b64 s[0:1], s[94:95], s[0:1]
	s_andn2_b64 s[90:91], s[90:91], exec
	s_and_b64 s[92:93], s[92:93], exec
	s_or_b64 s[90:91], s[90:91], s[92:93]
	s_andn2_b64 exec, exec, s[0:1]
	s_cbranch_execz .LBB201_260
.LBB201_256:                            ;   Parent Loop BB201_31 Depth=1
                                        ; =>  This Inner Loop Header: Depth=2
	v_cmp_gt_u64_e32 vcc, s[2:3], v[6:7]
	s_and_saveexec_b64 s[92:93], vcc
	s_cbranch_execz .LBB201_253
; %bb.257:                              ;   in Loop: Header=BB201_256 Depth=2
	ds_read_b32 v27, v8
	s_waitcnt lgkmcnt(0)
	v_cmp_lt_i32_e32 vcc, -1, v27
	v_cndmask_b32_e32 v4, -1, v50, vcc
	v_xor_b32_e32 v4, v4, v27
	v_cmp_o_f32_e32 vcc, v27, v27
	v_cndmask_b32_e32 v4, -1, v4, vcc
	v_and_b32_e32 v4, v4, v31
	v_cmp_eq_u32_e32 vcc, v4, v32
	s_and_b64 exec, exec, vcc
	s_cbranch_execz .LBB201_253
; %bb.258:                              ;   in Loop: Header=BB201_256 Depth=2
	ds_write_b64 v13, v[26:27] offset:3072
	s_branch .LBB201_253
.LBB201_259:                            ;   in Loop: Header=BB201_256 Depth=2
	s_mov_b64 s[94:95], -1
                                        ; implicit-def: $vgpr6_vgpr7
                                        ; implicit-def: $vgpr8
	s_mov_b64 s[92:93], -1
	s_branch .LBB201_255
.LBB201_260:                            ;   in Loop: Header=BB201_31 Depth=1
	s_or_b64 exec, exec, s[0:1]
	s_and_b64 s[0:1], s[90:91], exec
	s_mov_b32 s94, s86
.LBB201_261:                            ;   in Loop: Header=BB201_31 Depth=1
	s_or_b64 exec, exec, s[12:13]
	v_readlane_b32 s80, v53, 1
	s_mov_b64 s[92:93], s[70:71]
	v_readlane_b32 s81, v53, 2
.LBB201_262:                            ;   in Loop: Header=BB201_31 Depth=1
	s_and_b64 vcc, exec, s[10:11]
	s_cbranch_vccz .LBB201_279
; %bb.263:                              ;   in Loop: Header=BB201_31 Depth=1
	v_readlane_b32 s70, v54, 31
	v_readlane_b32 s71, v54, 32
	s_mov_b32 s70, s87
	s_cmp_lg_u64 s[70:71], 0
	v_writelane_b32 v54, s70, 31
	v_writelane_b32 v54, s71, 32
	s_cbranch_scc0 .LBB201_265
; %bb.264:                              ;   in Loop: Header=BB201_31 Depth=1
	v_cvt_f32_u32_e32 v4, s33
	s_sub_u32 s10, 0, s33
	s_subb_u32 s11, 0, 0
	s_mov_b64 s[88:89], s[80:81]
	v_mac_f32_e32 v4, 0, v51
	v_rcp_f32_e32 v4, v4
	v_mul_f32_e32 v4, 0x5f7ffffc, v4
	v_mul_f32_e32 v5, 0x2f800000, v4
	v_trunc_f32_e32 v5, v5
	v_mac_f32_e32 v4, 0xcf800000, v5
	v_cvt_u32_f32_e32 v5, v5
	v_cvt_u32_f32_e32 v4, v4
	v_readfirstlane_b32 s12, v5
	v_readfirstlane_b32 s2, v4
	s_mul_i32 s3, s10, s12
	s_mul_hi_u32 s54, s10, s2
	s_mul_i32 s13, s11, s2
	s_add_i32 s3, s54, s3
	s_mul_i32 s55, s10, s2
	s_add_i32 s3, s3, s13
	s_mul_hi_u32 s54, s2, s55
	s_mul_i32 s80, s2, s3
	s_mul_hi_u32 s13, s2, s3
	s_add_u32 s54, s54, s80
	s_addc_u32 s13, 0, s13
	s_mul_hi_u32 s81, s12, s55
	s_mul_i32 s55, s12, s55
	s_add_u32 s54, s54, s55
	s_mul_hi_u32 s80, s12, s3
	s_addc_u32 s13, s13, s81
	s_addc_u32 s54, s80, 0
	s_mul_i32 s3, s12, s3
	s_add_u32 s3, s13, s3
	s_addc_u32 s13, 0, s54
	s_add_u32 s54, s2, s3
	s_cselect_b64 s[2:3], -1, 0
	s_cmp_lg_u64 s[2:3], 0
	s_addc_u32 s12, s12, s13
	s_mul_i32 s2, s10, s12
	s_mul_hi_u32 s3, s10, s54
	s_add_i32 s2, s3, s2
	s_mul_i32 s11, s11, s54
	s_add_i32 s2, s2, s11
	s_mul_i32 s10, s10, s54
	s_mul_hi_u32 s11, s12, s10
	s_mul_i32 s13, s12, s10
	s_mul_i32 s80, s54, s2
	s_mul_hi_u32 s10, s54, s10
	s_mul_hi_u32 s55, s54, s2
	s_add_u32 s10, s10, s80
	s_addc_u32 s55, 0, s55
	s_add_u32 s10, s10, s13
	s_mul_hi_u32 s3, s12, s2
	s_addc_u32 s10, s55, s11
	s_addc_u32 s3, s3, 0
	s_mul_i32 s2, s12, s2
	s_add_u32 s2, s10, s2
	s_addc_u32 s10, 0, s3
	s_add_u32 s11, s54, s2
	s_cselect_b64 s[2:3], -1, 0
	s_cmp_lg_u64 s[2:3], 0
	s_addc_u32 s2, s12, s10
	v_readlane_b32 s54, v54, 29
	s_mul_i32 s10, s54, s2
	s_mul_hi_u32 s12, s54, s11
	s_mul_hi_u32 s3, s54, s2
	s_add_u32 s10, s12, s10
	s_addc_u32 s3, 0, s3
	s_mul_hi_u32 s13, s71, s11
	s_mul_i32 s11, s71, s11
	s_add_u32 s10, s10, s11
	s_mul_hi_u32 s12, s71, s2
	s_addc_u32 s3, s3, s13
	s_addc_u32 s10, s12, 0
	s_mul_i32 s2, s71, s2
	s_add_u32 s2, s3, s2
	s_addc_u32 s3, 0, s10
	s_mul_i32 s3, s33, s3
	s_mul_hi_u32 s10, s33, s2
	s_add_i32 s10, s10, s3
	s_mul_i32 s2, s33, s2
	s_sub_u32 s11, s54, s2
	s_cselect_b64 s[2:3], -1, 0
	s_cmp_lg_u64 s[2:3], 0
	s_subb_u32 s10, s71, s10
	s_sub_u32 s12, s11, s33
	s_cselect_b64 s[2:3], -1, 0
	s_cmp_lg_u64 s[2:3], 0
	s_subb_u32 s13, s10, 0
	;; [unrolled: 4-line block ×3, first 2 shown]
	s_cmp_ge_u32 s12, s33
	s_cselect_b32 s3, -1, 0
	s_cmp_eq_u32 s13, 0
	s_cselect_b32 s3, s3, -1
	s_cmp_lg_u32 s3, 0
	s_cselect_b32 s2, s2, s13
	s_cselect_b32 s12, s54, s12
	s_cmp_ge_u32 s11, s33
	s_cselect_b32 s3, -1, 0
	s_cmp_eq_u32 s10, 0
	s_cselect_b32 s3, s3, -1
	s_cmp_lg_u32 s3, 0
	s_mov_b64 s[80:81], s[88:89]
	s_cselect_b32 s3, s2, s10
	s_cselect_b32 s2, s12, s11
	s_mov_b64 s[10:11], 0
	s_branch .LBB201_266
.LBB201_265:                            ;   in Loop: Header=BB201_31 Depth=1
	s_mov_b64 s[10:11], -1
                                        ; implicit-def: $sgpr2_sgpr3
.LBB201_266:                            ;   in Loop: Header=BB201_31 Depth=1
	s_andn2_b64 vcc, exec, s[10:11]
	s_cbranch_vccnz .LBB201_268
; %bb.267:                              ;   in Loop: Header=BB201_31 Depth=1
	v_cvt_f32_u32_e32 v4, s33
	s_sub_i32 s2, 0, s33
	v_readlane_b32 s10, v54, 29
	v_rcp_iflag_f32_e32 v4, v4
	v_mul_f32_e32 v4, 0x4f7ffffe, v4
	v_cvt_u32_f32_e32 v4, v4
	v_readfirstlane_b32 s3, v4
	s_mul_i32 s2, s2, s3
	s_mul_hi_u32 s2, s3, s2
	s_add_i32 s3, s3, s2
	s_mul_hi_u32 s2, s10, s3
	s_mul_i32 s2, s2, s33
	s_sub_i32 s2, s10, s2
	s_sub_i32 s3, s2, s33
	s_cmp_ge_u32 s2, s33
	s_cselect_b32 s2, s3, s2
	s_sub_i32 s3, s2, s33
	s_cmp_ge_u32 s2, s33
	s_cselect_b32 s86, s3, s2
	s_mov_b64 s[2:3], s[86:87]
.LBB201_268:                            ;   in Loop: Header=BB201_31 Depth=1
	v_readlane_b32 s10, v54, 29
	v_readlane_b32 s12, v54, 31
	s_sub_u32 s10, s10, s2
	v_readlane_b32 s13, v54, 32
	s_subb_u32 s11, s13, s3
	v_cmp_gt_u64_e32 vcc, s[10:11], v[0:1]
                                        ; implicit-def: $vgpr5
	s_and_saveexec_b64 s[2:3], vcc
	s_cbranch_execz .LBB201_278
; %bb.269:                              ;   in Loop: Header=BB201_31 Depth=1
	v_mov_b32_e32 v6, v24
	v_mov_b32_e32 v9, v1
	s_mov_b64 s[70:71], s[80:81]
	s_mov_b64 s[12:13], 0
	v_mov_b32_e32 v7, v25
	v_mov_b32_e32 v8, v0
                                        ; implicit-def: $sgpr54_sgpr55
	s_branch .LBB201_273
.LBB201_270:                            ;   in Loop: Header=BB201_273 Depth=2
	s_or_b64 exec, exec, s[80:81]
	s_waitcnt lgkmcnt(0)
	s_barrier
	ds_read_b64 v[4:5], v13 offset:3072
	s_waitcnt lgkmcnt(0)
	s_barrier
	v_cmp_eq_f32_e32 vcc, 0, v4
	s_cbranch_vccz .LBB201_276
; %bb.271:                              ;   in Loop: Header=BB201_273 Depth=2
	v_add_co_u32_e32 v8, vcc, s33, v8
	v_addc_co_u32_e32 v9, vcc, 0, v9, vcc
	v_mov_b32_e32 v4, s65
	v_add_co_u32_e32 v6, vcc, s64, v6
	v_addc_co_u32_e32 v7, vcc, v7, v4, vcc
	v_cmp_le_u64_e32 vcc, s[10:11], v[8:9]
	s_mov_b64 s[80:81], 0
	s_orn2_b64 s[88:89], vcc, exec
.LBB201_272:                            ;   in Loop: Header=BB201_273 Depth=2
	s_and_b64 s[88:89], exec, s[88:89]
	s_or_b64 s[12:13], s[88:89], s[12:13]
	s_andn2_b64 s[54:55], s[54:55], exec
	s_and_b64 s[80:81], s[80:81], exec
	s_or_b64 s[54:55], s[54:55], s[80:81]
	s_andn2_b64 exec, exec, s[12:13]
	s_cbranch_execz .LBB201_277
.LBB201_273:                            ;   Parent Loop BB201_31 Depth=1
                                        ; =>  This Inner Loop Header: Depth=2
	v_cmp_gt_u64_e32 vcc, s[60:61], v[8:9]
	s_and_saveexec_b64 s[80:81], vcc
	s_cbranch_execz .LBB201_270
; %bb.274:                              ;   in Loop: Header=BB201_273 Depth=2
	global_load_dword v27, v[6:7], off
	s_waitcnt vmcnt(0)
	v_cmp_lt_i32_e32 vcc, -1, v27
	v_cndmask_b32_e32 v4, -1, v50, vcc
	v_xor_b32_e32 v4, v4, v27
	v_cmp_o_f32_e32 vcc, v27, v27
	v_cndmask_b32_e32 v4, -1, v4, vcc
	v_and_b32_e32 v4, v4, v31
	v_cmp_eq_u32_e32 vcc, v4, v32
	s_and_b64 exec, exec, vcc
	s_cbranch_execz .LBB201_270
; %bb.275:                              ;   in Loop: Header=BB201_273 Depth=2
	ds_write_b64 v13, v[26:27] offset:3072
	s_branch .LBB201_270
.LBB201_276:                            ;   in Loop: Header=BB201_273 Depth=2
	s_mov_b64 s[88:89], -1
                                        ; implicit-def: $vgpr8_vgpr9
                                        ; implicit-def: $vgpr6_vgpr7
	s_mov_b64 s[80:81], -1
	s_branch .LBB201_272
.LBB201_277:                            ;   in Loop: Header=BB201_31 Depth=1
	s_or_b64 exec, exec, s[12:13]
	s_andn2_b64 s[0:1], s[0:1], exec
	s_and_b64 s[10:11], s[54:55], exec
	s_or_b64 s[0:1], s[0:1], s[10:11]
	s_mov_b64 s[80:81], s[70:71]
.LBB201_278:                            ;   in Loop: Header=BB201_31 Depth=1
	s_or_b64 exec, exec, s[2:3]
	s_mov_b64 s[54:55], 0
	s_mov_b64 s[88:89], -1
.LBB201_279:                            ;   in Loop: Header=BB201_31 Depth=1
	s_orn2_b64 s[2:3], s[0:1], exec
.LBB201_280:                            ;   in Loop: Header=BB201_31 Depth=1
	v_readlane_b32 s0, v54, 63
	v_readlane_b32 s1, v53, 0
	s_or_b64 exec, exec, s[0:1]
	s_mov_b64 s[10:11], 0
	s_and_saveexec_b64 s[0:1], s[2:3]
	s_cbranch_execz .LBB201_291
; %bb.281:                              ;   in Loop: Header=BB201_31 Depth=1
	v_mov_b32_e32 v6, 1
	s_xor_b64 s[10:11], s[80:81], -1
	v_mov_b32_e32 v7, 0
	v_mov_b32_e32 v12, 1
	s_and_saveexec_b64 s[2:3], s[10:11]
	s_cbranch_execz .LBB201_290
; %bb.282:                              ;   in Loop: Header=BB201_31 Depth=1
	v_cmp_ge_u64_e32 vcc, s[24:25], v[2:3]
	s_and_saveexec_b64 s[10:11], vcc
	s_xor_b64 s[10:11], exec, s[10:11]
	s_cbranch_execz .LBB201_287
; %bb.283:                              ;   in Loop: Header=BB201_31 Depth=1
	ds_read_b64 v[6:7], v13 offset:5120
	v_or_b32_e32 v32, s67, v32
	v_or_b32_e32 v31, s67, v31
	s_waitcnt lgkmcnt(0)
	v_cmp_ne_u64_e32 vcc, 0, v[6:7]
	s_cbranch_vccnz .LBB201_287
; %bb.284:                              ;   in Loop: Header=BB201_31 Depth=1
	v_readlane_b32 s70, v54, 10
	v_readlane_b32 s71, v54, 11
	s_and_saveexec_b64 s[12:13], s[70:71]
; %bb.285:                              ;   in Loop: Header=BB201_31 Depth=1
	v_mov_b32_e32 v6, s24
	v_mov_b32_e32 v7, s25
	ds_write_b64 v13, v[6:7] offset:5128
; %bb.286:                              ;   in Loop: Header=BB201_31 Depth=1
	s_or_b64 exec, exec, s[12:13]
	s_waitcnt lgkmcnt(0)
	s_barrier
.LBB201_287:                            ;   in Loop: Header=BB201_31 Depth=1
	s_andn2_saveexec_b64 s[10:11], s[10:11]
; %bb.288:                              ;   in Loop: Header=BB201_31 Depth=1
	v_mov_b32_e32 v4, s25
	v_subrev_co_u32_e32 v2, vcc, s24, v2
	v_subb_co_u32_e32 v3, vcc, v3, v4, vcc
; %bb.289:                              ;   in Loop: Header=BB201_31 Depth=1
	s_or_b64 exec, exec, s[10:11]
	v_mov_b32_e32 v7, v3
	v_mov_b32_e32 v12, 8
	;; [unrolled: 1-line block ×3, first 2 shown]
.LBB201_290:                            ;   in Loop: Header=BB201_31 Depth=1
	s_or_b64 exec, exec, s[2:3]
	v_mov_b32_e32 v2, v6
	s_mov_b64 s[10:11], exec
	v_mov_b32_e32 v3, v7
.LBB201_291:                            ;   in Loop: Header=BB201_31 Depth=1
	s_or_b64 exec, exec, s[0:1]
	s_orn2_b64 s[0:1], s[10:11], exec
.LBB201_292:                            ;   in Loop: Header=BB201_31 Depth=1
	s_or_b64 exec, exec, s[52:53]
	s_andn2_b64 s[2:3], s[48:49], exec
	s_and_b64 s[10:11], s[88:89], exec
	s_or_b64 s[48:49], s[2:3], s[10:11]
	s_andn2_b64 s[2:3], s[46:47], exec
	s_and_b64 s[10:11], s[54:55], exec
	v_mov_b32_e32 v7, v3
	s_or_b64 s[46:47], s[2:3], s[10:11]
	s_and_b64 s[2:3], s[0:1], exec
	v_mov_b32_e32 v6, v2
.LBB201_293:                            ;   in Loop: Header=BB201_31 Depth=1
	s_or_b64 exec, exec, s[50:51]
	s_orn2_b64 s[0:1], s[2:3], exec
.LBB201_294:                            ;   in Loop: Header=BB201_31 Depth=1
	s_or_b64 exec, exec, s[44:45]
	s_andn2_b64 s[2:3], s[28:29], exec
	s_and_b64 s[10:11], s[48:49], exec
	s_or_b64 s[28:29], s[2:3], s[10:11]
	s_andn2_b64 s[2:3], s[26:27], exec
	s_and_b64 s[10:11], s[46:47], exec
	v_mov_b32_e32 v2, v6
	s_or_b64 s[26:27], s[2:3], s[10:11]
	s_and_b64 s[2:3], s[0:1], exec
	v_mov_b32_e32 v3, v7
.LBB201_295:                            ;   in Loop: Header=BB201_31 Depth=1
	s_or_b64 exec, exec, s[42:43]
	s_orn2_b64 s[0:1], s[2:3], exec
.LBB201_296:                            ;   in Loop: Header=BB201_31 Depth=1
	s_or_b64 exec, exec, s[6:7]
	s_mov_b64 s[2:3], 0
	s_mov_b64 s[6:7], 0
	s_and_saveexec_b64 s[10:11], s[0:1]
	s_xor_b64 s[0:1], exec, s[10:11]
; %bb.297:                              ;   in Loop: Header=BB201_31 Depth=1
	v_cmp_eq_u32_e32 vcc, 8, v12
	v_cmp_ne_u32_e64 s[6:7], 8, v12
	s_and_b64 s[6:7], s[6:7], exec
	s_and_b64 s[2:3], vcc, exec
; %bb.298:                              ;   in Loop: Header=BB201_31 Depth=1
	s_or_b64 exec, exec, s[0:1]
	s_andn2_b64 s[0:1], s[36:37], exec
	s_and_b64 s[10:11], s[28:29], exec
	s_or_b64 s[36:37], s[0:1], s[10:11]
	s_andn2_b64 s[0:1], s[34:35], exec
	s_and_b64 s[10:11], s[26:27], exec
	s_or_b64 s[34:35], s[0:1], s[10:11]
	s_and_b64 s[26:27], s[6:7], exec
	s_and_b64 s[28:29], s[2:3], exec
.LBB201_299:                            ;   in Loop: Header=BB201_31 Depth=1
	s_or_b64 exec, exec, s[40:41]
.LBB201_300:                            ;   in Loop: Header=BB201_31 Depth=1
	s_and_b64 vcc, exec, s[38:39]
	s_cbranch_vccz .LBB201_317
; %bb.301:                              ;   in Loop: Header=BB201_31 Depth=1
	s_cmp_eq_u64 s[24:25], 1
	s_cselect_b64 s[0:1], -1, 0
	s_and_b64 s[6:7], s[0:1], s[14:15]
	s_mov_b64 s[0:1], -1
                                        ; implicit-def: $sgpr14_sgpr15
                                        ; implicit-def: $sgpr18_sgpr19
	s_and_saveexec_b64 s[34:35], s[6:7]
	s_cbranch_execz .LBB201_336
; %bb.302:                              ;   in Loop: Header=BB201_31 Depth=1
	ds_read_b64 v[2:3], v13 offset:5120
	s_waitcnt lgkmcnt(0)
	s_barrier
	v_readfirstlane_b32 s2, v2
	v_readfirstlane_b32 s3, v3
	s_mov_b64 s[0:1], exec
	v_readlane_b32 s10, v54, 24
	v_readlane_b32 s11, v54, 25
	s_and_b64 s[10:11], s[0:1], s[10:11]
	s_mov_b64 exec, s[10:11]
; %bb.303:                              ;   in Loop: Header=BB201_31 Depth=1
	ds_write_b32 v45, v13
; %bb.304:                              ;   in Loop: Header=BB201_31 Depth=1
	s_or_b64 exec, exec, s[0:1]
	v_or_b32_e32 v48, s67, v48
	v_or_b32_e32 v52, s67, v52
	s_mov_b64 s[18:19], -1
	s_mov_b64 s[14:15], 0
	s_cmp_eq_u64 s[2:3], 0
	s_mov_b64 s[0:1], 0
	s_mov_b64 s[10:11], -1
	s_waitcnt lgkmcnt(0)
	s_barrier
                                        ; implicit-def: $vgpr28
	s_cbranch_scc1 .LBB201_320
; %bb.305:                              ;   in Loop: Header=BB201_31 Depth=1
	v_readlane_b32 s0, v54, 28
	s_add_u32 s36, s2, s0
	v_readlane_b32 s0, v54, 30
	s_addc_u32 s1, s3, s0
	s_mov_b32 s0, s87
	s_cmp_lg_u64 s[0:1], 0
	s_cbranch_scc0 .LBB201_363
; %bb.306:                              ;   in Loop: Header=BB201_31 Depth=1
	v_cvt_f32_u32_e32 v2, s33
	s_sub_u32 s0, 0, s33
	s_subb_u32 s12, 0, 0
	v_mac_f32_e32 v2, 0, v51
	v_rcp_f32_e32 v2, v2
	v_mul_f32_e32 v2, 0x5f7ffffc, v2
	v_mul_f32_e32 v3, 0x2f800000, v2
	v_trunc_f32_e32 v3, v3
	v_mac_f32_e32 v2, 0xcf800000, v3
	v_cvt_u32_f32_e32 v3, v3
	v_cvt_u32_f32_e32 v2, v2
	v_readfirstlane_b32 s13, v3
	v_readfirstlane_b32 s10, v2
	s_mul_i32 s11, s0, s13
	s_mul_hi_u32 s38, s0, s10
	s_mul_i32 s37, s12, s10
	s_add_i32 s11, s38, s11
	s_mul_i32 s39, s0, s10
	s_add_i32 s11, s11, s37
	s_mul_hi_u32 s38, s10, s39
	s_mul_i32 s40, s10, s11
	s_mul_hi_u32 s37, s10, s11
	s_add_u32 s38, s38, s40
	s_addc_u32 s37, 0, s37
	s_mul_hi_u32 s41, s13, s39
	s_mul_i32 s39, s13, s39
	s_add_u32 s38, s38, s39
	s_mul_hi_u32 s40, s13, s11
	s_addc_u32 s37, s37, s41
	s_addc_u32 s38, s40, 0
	s_mul_i32 s11, s13, s11
	s_add_u32 s11, s37, s11
	s_addc_u32 s37, 0, s38
	s_add_u32 s38, s10, s11
	s_cselect_b64 s[10:11], -1, 0
	s_cmp_lg_u64 s[10:11], 0
	s_addc_u32 s13, s13, s37
	s_mul_i32 s10, s0, s13
	s_mul_hi_u32 s11, s0, s38
	s_add_i32 s10, s11, s10
	s_mul_i32 s12, s12, s38
	s_add_i32 s10, s10, s12
	s_mul_i32 s0, s0, s38
	s_mul_hi_u32 s12, s13, s0
	s_mul_i32 s37, s13, s0
	s_mul_i32 s40, s38, s10
	s_mul_hi_u32 s0, s38, s0
	s_mul_hi_u32 s39, s38, s10
	s_add_u32 s0, s0, s40
	s_addc_u32 s39, 0, s39
	s_add_u32 s0, s0, s37
	s_mul_hi_u32 s11, s13, s10
	s_addc_u32 s0, s39, s12
	s_addc_u32 s11, s11, 0
	s_mul_i32 s10, s13, s10
	s_add_u32 s0, s0, s10
	s_addc_u32 s12, 0, s11
	s_add_u32 s0, s38, s0
	s_cselect_b64 s[10:11], -1, 0
	s_cmp_lg_u64 s[10:11], 0
	s_addc_u32 s10, s13, s12
	s_mul_i32 s12, s36, s10
	s_mul_hi_u32 s13, s36, s0
	s_mul_hi_u32 s11, s36, s10
	s_add_u32 s12, s13, s12
	s_addc_u32 s11, 0, s11
	s_mul_hi_u32 s37, s1, s0
	s_mul_i32 s0, s1, s0
	s_add_u32 s0, s12, s0
	s_mul_hi_u32 s13, s1, s10
	s_addc_u32 s0, s11, s37
	s_addc_u32 s11, s13, 0
	s_mul_i32 s10, s1, s10
	s_add_u32 s0, s0, s10
	s_addc_u32 s10, 0, s11
	s_mul_i32 s10, s33, s10
	s_mul_hi_u32 s11, s33, s0
	s_add_i32 s12, s11, s10
	s_mul_i32 s0, s33, s0
	s_sub_u32 s0, s36, s0
	s_cselect_b64 s[10:11], -1, 0
	s_cmp_lg_u64 s[10:11], 0
	s_subb_u32 s12, s1, s12
	s_sub_u32 s13, s0, s33
	s_cselect_b64 s[10:11], -1, 0
	s_cmp_lg_u64 s[10:11], 0
	s_subb_u32 s37, s12, 0
	;; [unrolled: 4-line block ×3, first 2 shown]
	s_cmp_ge_u32 s13, s33
	s_cselect_b32 s11, -1, 0
	s_cmp_eq_u32 s37, 0
	s_cselect_b32 s11, s11, -1
	s_cmp_lg_u32 s11, 0
	s_cselect_b32 s10, s10, s37
	s_cselect_b32 s13, s38, s13
	s_cmp_ge_u32 s0, s33
	s_cselect_b32 s11, -1, 0
	s_cmp_eq_u32 s12, 0
	s_cselect_b32 s11, s11, -1
	s_cmp_lg_u32 s11, 0
	s_cselect_b32 s11, s10, s12
	s_cselect_b32 s10, s13, s0
	s_cbranch_execnz .LBB201_308
.LBB201_307:                            ;   in Loop: Header=BB201_31 Depth=1
	v_cvt_f32_u32_e32 v2, s33
	s_sub_i32 s0, 0, s33
	v_rcp_iflag_f32_e32 v2, v2
	v_mul_f32_e32 v2, 0x4f7ffffe, v2
	v_cvt_u32_f32_e32 v2, v2
	v_readfirstlane_b32 s10, v2
	s_mul_i32 s0, s0, s10
	s_mul_hi_u32 s0, s10, s0
	s_add_i32 s10, s10, s0
	s_mul_hi_u32 s0, s36, s10
	s_mul_i32 s0, s0, s33
	s_sub_i32 s0, s36, s0
	s_sub_i32 s10, s0, s33
	s_cmp_ge_u32 s0, s33
	s_cselect_b32 s0, s10, s0
	s_sub_i32 s10, s0, s33
	s_cmp_ge_u32 s0, s33
	s_cselect_b32 s86, s10, s0
	s_mov_b64 s[10:11], s[86:87]
.LBB201_308:                            ;   in Loop: Header=BB201_31 Depth=1
	s_sub_u32 s36, s36, s10
	s_subb_u32 s37, s1, s11
	v_cmp_gt_u64_e32 vcc, s[36:37], v[0:1]
	s_mov_b64 s[10:11], 0
	s_mov_b64 s[0:1], 0
                                        ; implicit-def: $vgpr28
	s_and_saveexec_b64 s[12:13], vcc
	s_cbranch_execz .LBB201_319
; %bb.309:                              ;   in Loop: Header=BB201_31 Depth=1
	v_mov_b32_e32 v3, v1
	v_mov_b32_e32 v4, v14
	;; [unrolled: 1-line block ×3, first 2 shown]
                                        ; implicit-def: $sgpr38_sgpr39
	s_branch .LBB201_313
.LBB201_310:                            ;   in Loop: Header=BB201_313 Depth=2
	s_or_b64 exec, exec, s[40:41]
	s_waitcnt lgkmcnt(0)
	s_barrier
	ds_read_b64 v[27:28], v13 offset:3072
	s_waitcnt lgkmcnt(0)
	s_barrier
	v_cmp_neq_f32_e32 vcc, 0, v27
	s_cbranch_vccnz .LBB201_316
; %bb.311:                              ;   in Loop: Header=BB201_313 Depth=2
	v_add_co_u32_e32 v2, vcc, s33, v2
	v_addc_co_u32_e32 v3, vcc, 0, v3, vcc
	v_cmp_le_u64_e32 vcc, s[36:37], v[2:3]
	v_add_u32_e32 v4, s5, v4
	s_mov_b64 s[40:41], 0
	s_orn2_b64 s[42:43], vcc, exec
.LBB201_312:                            ;   in Loop: Header=BB201_313 Depth=2
	s_and_b64 s[42:43], exec, s[42:43]
	s_or_b64 s[0:1], s[42:43], s[0:1]
	s_andn2_b64 s[38:39], s[38:39], exec
	s_and_b64 s[40:41], s[40:41], exec
	s_or_b64 s[38:39], s[38:39], s[40:41]
	s_andn2_b64 exec, exec, s[0:1]
	s_cbranch_execz .LBB201_318
.LBB201_313:                            ;   Parent Loop BB201_31 Depth=1
                                        ; =>  This Inner Loop Header: Depth=2
	v_cmp_gt_u64_e32 vcc, s[2:3], v[2:3]
	s_and_saveexec_b64 s[40:41], vcc
	s_cbranch_execz .LBB201_310
; %bb.314:                              ;   in Loop: Header=BB201_313 Depth=2
	ds_read_b32 v27, v4
	s_waitcnt lgkmcnt(0)
	v_cmp_lt_i32_e32 vcc, -1, v27
	v_cndmask_b32_e32 v5, -1, v50, vcc
	v_xor_b32_e32 v5, v5, v27
	v_cmp_o_f32_e32 vcc, v27, v27
	v_cndmask_b32_e32 v5, -1, v5, vcc
	v_and_b32_e32 v5, v5, v52
	v_cmp_eq_u32_e32 vcc, v5, v48
	s_and_b64 exec, exec, vcc
	s_cbranch_execz .LBB201_310
; %bb.315:                              ;   in Loop: Header=BB201_313 Depth=2
	ds_write_b64 v13, v[26:27] offset:3072
	s_branch .LBB201_310
.LBB201_316:                            ;   in Loop: Header=BB201_313 Depth=2
	s_mov_b64 s[42:43], -1
                                        ; implicit-def: $vgpr2_vgpr3
                                        ; implicit-def: $vgpr4
	s_mov_b64 s[40:41], -1
	s_branch .LBB201_312
.LBB201_317:                            ;   in Loop: Header=BB201_31 Depth=1
	s_mov_b64 s[14:15], 0
	v_mov_b32_e32 v48, v32
	v_mov_b32_e32 v52, v31
	v_mov_b32_e32 v28, v5
	s_and_saveexec_b64 s[0:1], s[28:29]
	s_cbranch_execnz .LBB201_501
	s_branch .LBB201_502
.LBB201_318:                            ;   in Loop: Header=BB201_31 Depth=1
	s_or_b64 exec, exec, s[0:1]
	s_and_b64 s[0:1], s[38:39], exec
.LBB201_319:                            ;   in Loop: Header=BB201_31 Depth=1
	s_or_b64 exec, exec, s[12:13]
.LBB201_320:                            ;   in Loop: Header=BB201_31 Depth=1
	s_and_b64 vcc, exec, s[10:11]
	s_cbranch_vccz .LBB201_335
; %bb.321:                              ;   in Loop: Header=BB201_31 Depth=1
	v_readlane_b32 s36, v54, 31
	v_readlane_b32 s37, v54, 32
	s_mov_b32 s36, s87
	s_cmp_lg_u64 s[36:37], 0
	v_writelane_b32 v54, s36, 31
	v_writelane_b32 v54, s37, 32
	s_cbranch_scc0 .LBB201_364
; %bb.322:                              ;   in Loop: Header=BB201_31 Depth=1
	v_cvt_f32_u32_e32 v2, s33
	s_sub_u32 s10, 0, s33
	s_subb_u32 s11, 0, 0
	v_mac_f32_e32 v2, 0, v51
	v_rcp_f32_e32 v2, v2
	v_mul_f32_e32 v2, 0x5f7ffffc, v2
	v_mul_f32_e32 v3, 0x2f800000, v2
	v_trunc_f32_e32 v3, v3
	v_mac_f32_e32 v2, 0xcf800000, v3
	v_cvt_u32_f32_e32 v3, v3
	v_cvt_u32_f32_e32 v2, v2
	v_readfirstlane_b32 s12, v3
	v_readfirstlane_b32 s2, v2
	s_mul_i32 s3, s10, s12
	s_mul_hi_u32 s14, s10, s2
	s_mul_i32 s13, s11, s2
	s_add_i32 s3, s14, s3
	s_mul_i32 s15, s10, s2
	s_add_i32 s3, s3, s13
	s_mul_hi_u32 s14, s2, s15
	s_mul_i32 s18, s2, s3
	s_mul_hi_u32 s13, s2, s3
	s_add_u32 s14, s14, s18
	s_addc_u32 s13, 0, s13
	s_mul_hi_u32 s19, s12, s15
	s_mul_i32 s15, s12, s15
	s_add_u32 s14, s14, s15
	s_mul_hi_u32 s18, s12, s3
	s_addc_u32 s13, s13, s19
	s_addc_u32 s14, s18, 0
	s_mul_i32 s3, s12, s3
	s_add_u32 s3, s13, s3
	s_addc_u32 s13, 0, s14
	s_add_u32 s14, s2, s3
	s_cselect_b64 s[2:3], -1, 0
	s_cmp_lg_u64 s[2:3], 0
	s_addc_u32 s12, s12, s13
	s_mul_i32 s2, s10, s12
	s_mul_hi_u32 s3, s10, s14
	s_add_i32 s2, s3, s2
	s_mul_i32 s11, s11, s14
	s_add_i32 s2, s2, s11
	s_mul_i32 s10, s10, s14
	s_mul_hi_u32 s11, s12, s10
	s_mul_i32 s13, s12, s10
	s_mul_i32 s18, s14, s2
	s_mul_hi_u32 s10, s14, s10
	s_mul_hi_u32 s15, s14, s2
	s_add_u32 s10, s10, s18
	s_addc_u32 s15, 0, s15
	s_add_u32 s10, s10, s13
	s_mul_hi_u32 s3, s12, s2
	s_addc_u32 s10, s15, s11
	s_addc_u32 s3, s3, 0
	s_mul_i32 s2, s12, s2
	s_add_u32 s2, s10, s2
	s_addc_u32 s10, 0, s3
	s_add_u32 s11, s14, s2
	s_cselect_b64 s[2:3], -1, 0
	s_cmp_lg_u64 s[2:3], 0
	s_addc_u32 s2, s12, s10
	v_readlane_b32 s14, v54, 29
	s_mul_i32 s10, s14, s2
	s_mul_hi_u32 s12, s14, s11
	s_mul_hi_u32 s3, s14, s2
	s_add_u32 s10, s12, s10
	s_addc_u32 s3, 0, s3
	s_mul_hi_u32 s13, s37, s11
	s_mul_i32 s11, s37, s11
	s_add_u32 s10, s10, s11
	s_mul_hi_u32 s12, s37, s2
	s_addc_u32 s3, s3, s13
	s_addc_u32 s10, s12, 0
	s_mul_i32 s2, s37, s2
	s_add_u32 s2, s3, s2
	s_addc_u32 s3, 0, s10
	s_mul_i32 s3, s33, s3
	s_mul_hi_u32 s10, s33, s2
	s_add_i32 s10, s10, s3
	s_mul_i32 s2, s33, s2
	s_sub_u32 s11, s14, s2
	s_cselect_b64 s[2:3], -1, 0
	s_cmp_lg_u64 s[2:3], 0
	s_subb_u32 s10, s37, s10
	s_sub_u32 s12, s11, s33
	s_cselect_b64 s[2:3], -1, 0
	s_cmp_lg_u64 s[2:3], 0
	s_subb_u32 s13, s10, 0
	;; [unrolled: 4-line block ×3, first 2 shown]
	s_cmp_ge_u32 s12, s33
	s_cselect_b32 s3, -1, 0
	s_cmp_eq_u32 s13, 0
	s_cselect_b32 s3, s3, -1
	s_cmp_lg_u32 s3, 0
	s_cselect_b32 s2, s2, s13
	s_cselect_b32 s12, s14, s12
	s_cmp_ge_u32 s11, s33
	s_cselect_b32 s3, -1, 0
	s_cmp_eq_u32 s10, 0
	s_cselect_b32 s3, s3, -1
	s_cmp_lg_u32 s3, 0
	s_cselect_b32 s3, s2, s10
	s_cselect_b32 s2, s12, s11
	s_cbranch_execnz .LBB201_324
.LBB201_323:                            ;   in Loop: Header=BB201_31 Depth=1
	v_cvt_f32_u32_e32 v2, s33
	s_sub_i32 s2, 0, s33
	v_readlane_b32 s10, v54, 29
	v_rcp_iflag_f32_e32 v2, v2
	v_mul_f32_e32 v2, 0x4f7ffffe, v2
	v_cvt_u32_f32_e32 v2, v2
	v_readfirstlane_b32 s3, v2
	s_mul_i32 s2, s2, s3
	s_mul_hi_u32 s2, s3, s2
	s_add_i32 s3, s3, s2
	s_mul_hi_u32 s2, s10, s3
	s_mul_i32 s2, s2, s33
	s_sub_i32 s2, s10, s2
	s_sub_i32 s3, s2, s33
	s_cmp_ge_u32 s2, s33
	s_cselect_b32 s2, s3, s2
	s_sub_i32 s3, s2, s33
	s_cmp_ge_u32 s2, s33
	s_cselect_b32 s86, s3, s2
	s_mov_b64 s[2:3], s[86:87]
.LBB201_324:                            ;   in Loop: Header=BB201_31 Depth=1
	v_readlane_b32 s10, v54, 29
	v_readlane_b32 s12, v54, 31
	s_sub_u32 s10, s10, s2
	v_readlane_b32 s13, v54, 32
	s_subb_u32 s11, s13, s3
	v_cmp_gt_u64_e32 vcc, s[10:11], v[0:1]
                                        ; implicit-def: $vgpr28
	s_and_saveexec_b64 s[2:3], vcc
	s_cbranch_execz .LBB201_334
; %bb.325:                              ;   in Loop: Header=BB201_31 Depth=1
	v_mov_b32_e32 v2, v24
	v_mov_b32_e32 v5, v1
	s_mov_b64 s[12:13], 0
	v_mov_b32_e32 v3, v25
	v_mov_b32_e32 v4, v0
                                        ; implicit-def: $sgpr14_sgpr15
	s_branch .LBB201_329
.LBB201_326:                            ;   in Loop: Header=BB201_329 Depth=2
	s_or_b64 exec, exec, s[18:19]
	s_waitcnt lgkmcnt(0)
	s_barrier
	ds_read_b64 v[27:28], v13 offset:3072
	s_waitcnt lgkmcnt(0)
	s_barrier
	v_cmp_neq_f32_e32 vcc, 0, v27
	s_cbranch_vccnz .LBB201_332
; %bb.327:                              ;   in Loop: Header=BB201_329 Depth=2
	v_add_co_u32_e32 v4, vcc, s33, v4
	v_addc_co_u32_e32 v5, vcc, 0, v5, vcc
	v_mov_b32_e32 v6, s65
	v_add_co_u32_e32 v2, vcc, s64, v2
	v_addc_co_u32_e32 v3, vcc, v3, v6, vcc
	v_cmp_le_u64_e32 vcc, s[10:11], v[4:5]
	s_mov_b64 s[18:19], 0
	s_orn2_b64 s[36:37], vcc, exec
.LBB201_328:                            ;   in Loop: Header=BB201_329 Depth=2
	s_and_b64 s[36:37], exec, s[36:37]
	s_or_b64 s[12:13], s[36:37], s[12:13]
	s_andn2_b64 s[14:15], s[14:15], exec
	s_and_b64 s[18:19], s[18:19], exec
	s_or_b64 s[14:15], s[14:15], s[18:19]
	s_andn2_b64 exec, exec, s[12:13]
	s_cbranch_execz .LBB201_333
.LBB201_329:                            ;   Parent Loop BB201_31 Depth=1
                                        ; =>  This Inner Loop Header: Depth=2
	v_cmp_gt_u64_e32 vcc, s[60:61], v[4:5]
	s_and_saveexec_b64 s[18:19], vcc
	s_cbranch_execz .LBB201_326
; %bb.330:                              ;   in Loop: Header=BB201_329 Depth=2
	global_load_dword v27, v[2:3], off
	s_waitcnt vmcnt(0)
	v_cmp_lt_i32_e32 vcc, -1, v27
	v_cndmask_b32_e32 v6, -1, v50, vcc
	v_xor_b32_e32 v6, v6, v27
	v_cmp_o_f32_e32 vcc, v27, v27
	v_cndmask_b32_e32 v6, -1, v6, vcc
	v_and_b32_e32 v6, v6, v52
	v_cmp_eq_u32_e32 vcc, v6, v48
	s_and_b64 exec, exec, vcc
	s_cbranch_execz .LBB201_326
; %bb.331:                              ;   in Loop: Header=BB201_329 Depth=2
	ds_write_b64 v13, v[26:27] offset:3072
	s_branch .LBB201_326
.LBB201_332:                            ;   in Loop: Header=BB201_329 Depth=2
	s_mov_b64 s[36:37], -1
                                        ; implicit-def: $vgpr4_vgpr5
                                        ; implicit-def: $vgpr2_vgpr3
	s_mov_b64 s[18:19], -1
	s_branch .LBB201_328
.LBB201_333:                            ;   in Loop: Header=BB201_31 Depth=1
	s_or_b64 exec, exec, s[12:13]
	s_andn2_b64 s[0:1], s[0:1], exec
	s_and_b64 s[10:11], s[14:15], exec
	s_or_b64 s[0:1], s[0:1], s[10:11]
.LBB201_334:                            ;   in Loop: Header=BB201_31 Depth=1
	s_or_b64 exec, exec, s[2:3]
	s_mov_b64 s[18:19], 0
	s_mov_b64 s[14:15], -1
.LBB201_335:                            ;   in Loop: Header=BB201_31 Depth=1
	s_orn2_b64 s[0:1], s[0:1], exec
.LBB201_336:                            ;   in Loop: Header=BB201_31 Depth=1
	s_or_b64 exec, exec, s[34:35]
                                        ; implicit-def: $vgpr2_vgpr3
                                        ; implicit-def: $vgpr12
	s_and_saveexec_b64 s[34:35], s[0:1]
	s_cbranch_execz .LBB201_500
; %bb.337:                              ;   in Loop: Header=BB201_31 Depth=1
	v_mov_b32_e32 v2, 1
	s_xor_b64 s[6:7], s[6:7], -1
	v_mov_b32_e32 v12, 1
	v_mov_b32_e32 v3, 0
	s_mov_b64 s[2:3], 0
	s_and_saveexec_b64 s[0:1], s[6:7]
	s_cbranch_execz .LBB201_346
; %bb.338:                              ;   in Loop: Header=BB201_31 Depth=1
	v_cmp_ge_u64_e32 vcc, s[24:25], v[29:30]
	s_and_saveexec_b64 s[2:3], vcc
	s_xor_b64 s[2:3], exec, s[2:3]
	s_cbranch_execz .LBB201_343
; %bb.339:                              ;   in Loop: Header=BB201_31 Depth=1
	ds_read_b64 v[2:3], v13 offset:5120
	v_or_b32_e32 v48, s67, v48
	v_or_b32_e32 v52, s67, v52
	s_waitcnt lgkmcnt(0)
	v_cmp_ne_u64_e32 vcc, 0, v[2:3]
	s_cbranch_vccnz .LBB201_343
; %bb.340:                              ;   in Loop: Header=BB201_31 Depth=1
	s_mov_b64 s[6:7], exec
	v_readlane_b32 s10, v54, 10
	v_readlane_b32 s11, v54, 11
	s_and_b64 s[10:11], s[6:7], s[10:11]
	s_mov_b64 exec, s[10:11]
; %bb.341:                              ;   in Loop: Header=BB201_31 Depth=1
	v_mov_b32_e32 v2, s24
	v_mov_b32_e32 v3, s25
	ds_write_b64 v13, v[2:3] offset:5128
; %bb.342:                              ;   in Loop: Header=BB201_31 Depth=1
	s_or_b64 exec, exec, s[6:7]
	s_waitcnt lgkmcnt(0)
	s_barrier
.LBB201_343:                            ;   in Loop: Header=BB201_31 Depth=1
	s_or_saveexec_b64 s[2:3], s[2:3]
	s_mov_b64 s[6:7], 0
	v_mov_b32_e32 v12, 5
	s_xor_b64 exec, exec, s[2:3]
; %bb.344:                              ;   in Loop: Header=BB201_31 Depth=1
	v_subrev_co_u32_e32 v29, vcc, s24, v29
	v_mov_b32_e32 v2, s25
	v_subb_co_u32_e32 v30, vcc, v30, v2, vcc
	v_mov_b32_e32 v12, 0
	s_mov_b64 s[6:7], exec
; %bb.345:                              ;   in Loop: Header=BB201_31 Depth=1
	s_or_b64 exec, exec, s[2:3]
	v_mov_b32_e32 v2, v29
	s_and_b64 s[2:3], s[6:7], exec
	v_mov_b32_e32 v3, v30
.LBB201_346:                            ;   in Loop: Header=BB201_31 Depth=1
	s_or_b64 exec, exec, s[0:1]
	s_mov_b64 s[0:1], -1
                                        ; implicit-def: $sgpr24_sgpr25
                                        ; implicit-def: $sgpr36_sgpr37
	s_and_saveexec_b64 s[6:7], s[2:3]
	s_xor_b64 s[6:7], exec, s[6:7]
	s_cbranch_execz .LBB201_497
; %bb.347:                              ;   in Loop: Header=BB201_31 Depth=1
	s_cmp_eq_u64 s[22:23], 1
	v_cmp_eq_u64_e32 vcc, 1, v[2:3]
	s_cselect_b64 s[0:1], -1, 0
	s_and_b64 s[40:41], s[0:1], vcc
	s_mov_b64 s[0:1], -1
                                        ; implicit-def: $sgpr36_sgpr37
                                        ; implicit-def: $sgpr24_sgpr25
	s_and_saveexec_b64 s[38:39], s[40:41]
	s_cbranch_execz .LBB201_383
; %bb.348:                              ;   in Loop: Header=BB201_31 Depth=1
	ds_read_b64 v[4:5], v13 offset:5120
	s_waitcnt lgkmcnt(0)
	s_barrier
	v_readfirstlane_b32 s2, v4
	v_readfirstlane_b32 s3, v5
	s_mov_b64 s[0:1], exec
	v_readlane_b32 s10, v54, 24
	v_readlane_b32 s11, v54, 25
	s_and_b64 s[10:11], s[0:1], s[10:11]
	s_mov_b64 exec, s[10:11]
; %bb.349:                              ;   in Loop: Header=BB201_31 Depth=1
	ds_write_b32 v45, v13
; %bb.350:                              ;   in Loop: Header=BB201_31 Depth=1
	s_or_b64 exec, exec, s[0:1]
	v_and_b32_e32 v4, s94, v48
	v_lshl_or_b32 v48, 2, s66, v4
	v_or_b32_e32 v52, s67, v52
	s_mov_b64 s[24:25], -1
	s_mov_b64 s[36:37], 0
	s_cmp_eq_u64 s[2:3], 0
	s_mov_b64 s[0:1], 0
	s_mov_b64 s[10:11], -1
	s_waitcnt lgkmcnt(0)
	s_barrier
                                        ; implicit-def: $vgpr28
	s_cbranch_scc1 .LBB201_367
; %bb.351:                              ;   in Loop: Header=BB201_31 Depth=1
	v_readlane_b32 s0, v54, 28
	s_add_u32 s42, s2, s0
	v_readlane_b32 s0, v54, 30
	s_addc_u32 s1, s3, s0
	s_mov_b32 s0, s87
	s_cmp_lg_u64 s[0:1], 0
	s_cbranch_scc0 .LBB201_410
; %bb.352:                              ;   in Loop: Header=BB201_31 Depth=1
	v_cvt_f32_u32_e32 v4, s33
	s_sub_u32 s0, 0, s33
	s_subb_u32 s12, 0, 0
	v_mac_f32_e32 v4, 0, v51
	v_rcp_f32_e32 v4, v4
	v_mul_f32_e32 v4, 0x5f7ffffc, v4
	v_mul_f32_e32 v5, 0x2f800000, v4
	v_trunc_f32_e32 v5, v5
	v_mac_f32_e32 v4, 0xcf800000, v5
	v_cvt_u32_f32_e32 v5, v5
	v_cvt_u32_f32_e32 v4, v4
	v_readfirstlane_b32 s13, v5
	v_readfirstlane_b32 s10, v4
	s_mul_i32 s11, s0, s13
	s_mul_hi_u32 s44, s0, s10
	s_mul_i32 s43, s12, s10
	s_add_i32 s11, s44, s11
	s_mul_i32 s45, s0, s10
	s_add_i32 s11, s11, s43
	s_mul_hi_u32 s44, s10, s45
	s_mul_i32 s46, s10, s11
	s_mul_hi_u32 s43, s10, s11
	s_add_u32 s44, s44, s46
	s_addc_u32 s43, 0, s43
	s_mul_hi_u32 s47, s13, s45
	s_mul_i32 s45, s13, s45
	s_add_u32 s44, s44, s45
	s_mul_hi_u32 s46, s13, s11
	s_addc_u32 s43, s43, s47
	s_addc_u32 s44, s46, 0
	s_mul_i32 s11, s13, s11
	s_add_u32 s11, s43, s11
	s_addc_u32 s43, 0, s44
	s_add_u32 s44, s10, s11
	s_cselect_b64 s[10:11], -1, 0
	s_cmp_lg_u64 s[10:11], 0
	s_addc_u32 s13, s13, s43
	s_mul_i32 s10, s0, s13
	s_mul_hi_u32 s11, s0, s44
	s_add_i32 s10, s11, s10
	s_mul_i32 s12, s12, s44
	s_add_i32 s10, s10, s12
	s_mul_i32 s0, s0, s44
	s_mul_hi_u32 s12, s13, s0
	s_mul_i32 s43, s13, s0
	s_mul_i32 s46, s44, s10
	s_mul_hi_u32 s0, s44, s0
	s_mul_hi_u32 s45, s44, s10
	s_add_u32 s0, s0, s46
	s_addc_u32 s45, 0, s45
	s_add_u32 s0, s0, s43
	s_mul_hi_u32 s11, s13, s10
	s_addc_u32 s0, s45, s12
	s_addc_u32 s11, s11, 0
	s_mul_i32 s10, s13, s10
	s_add_u32 s0, s0, s10
	s_addc_u32 s12, 0, s11
	s_add_u32 s0, s44, s0
	s_cselect_b64 s[10:11], -1, 0
	s_cmp_lg_u64 s[10:11], 0
	s_addc_u32 s10, s13, s12
	s_mul_i32 s12, s42, s10
	s_mul_hi_u32 s13, s42, s0
	s_mul_hi_u32 s11, s42, s10
	s_add_u32 s12, s13, s12
	s_addc_u32 s11, 0, s11
	s_mul_hi_u32 s43, s1, s0
	s_mul_i32 s0, s1, s0
	s_add_u32 s0, s12, s0
	s_mul_hi_u32 s13, s1, s10
	s_addc_u32 s0, s11, s43
	s_addc_u32 s11, s13, 0
	s_mul_i32 s10, s1, s10
	s_add_u32 s0, s0, s10
	s_addc_u32 s10, 0, s11
	s_mul_i32 s10, s33, s10
	s_mul_hi_u32 s11, s33, s0
	s_add_i32 s12, s11, s10
	s_mul_i32 s0, s33, s0
	s_sub_u32 s0, s42, s0
	s_cselect_b64 s[10:11], -1, 0
	s_cmp_lg_u64 s[10:11], 0
	s_subb_u32 s12, s1, s12
	s_sub_u32 s13, s0, s33
	s_cselect_b64 s[10:11], -1, 0
	s_cmp_lg_u64 s[10:11], 0
	s_subb_u32 s43, s12, 0
	;; [unrolled: 4-line block ×3, first 2 shown]
	s_cmp_ge_u32 s13, s33
	s_cselect_b32 s11, -1, 0
	s_cmp_eq_u32 s43, 0
	s_cselect_b32 s11, s11, -1
	s_cmp_lg_u32 s11, 0
	s_cselect_b32 s10, s10, s43
	s_cselect_b32 s13, s44, s13
	s_cmp_ge_u32 s0, s33
	s_cselect_b32 s11, -1, 0
	s_cmp_eq_u32 s12, 0
	s_cselect_b32 s11, s11, -1
	s_cmp_lg_u32 s11, 0
	s_cselect_b32 s11, s10, s12
	s_cselect_b32 s10, s13, s0
	s_cbranch_execnz .LBB201_354
.LBB201_353:                            ;   in Loop: Header=BB201_31 Depth=1
	v_cvt_f32_u32_e32 v4, s33
	s_sub_i32 s0, 0, s33
	v_rcp_iflag_f32_e32 v4, v4
	v_mul_f32_e32 v4, 0x4f7ffffe, v4
	v_cvt_u32_f32_e32 v4, v4
	v_readfirstlane_b32 s10, v4
	s_mul_i32 s0, s0, s10
	s_mul_hi_u32 s0, s10, s0
	s_add_i32 s10, s10, s0
	s_mul_hi_u32 s0, s42, s10
	s_mul_i32 s0, s0, s33
	s_sub_i32 s0, s42, s0
	s_sub_i32 s10, s0, s33
	s_cmp_ge_u32 s0, s33
	s_cselect_b32 s0, s10, s0
	s_sub_i32 s10, s0, s33
	s_cmp_ge_u32 s0, s33
	s_cselect_b32 s86, s10, s0
	s_mov_b64 s[10:11], s[86:87]
.LBB201_354:                            ;   in Loop: Header=BB201_31 Depth=1
	s_sub_u32 s42, s42, s10
	s_subb_u32 s43, s1, s11
	v_cmp_gt_u64_e32 vcc, s[42:43], v[0:1]
	s_mov_b64 s[10:11], 0
	s_mov_b64 s[0:1], 0
                                        ; implicit-def: $vgpr28
	s_and_saveexec_b64 s[12:13], vcc
	s_cbranch_execz .LBB201_366
; %bb.355:                              ;   in Loop: Header=BB201_31 Depth=1
	v_mov_b32_e32 v5, v1
	v_mov_b32_e32 v6, v14
	;; [unrolled: 1-line block ×3, first 2 shown]
                                        ; implicit-def: $sgpr44_sgpr45
	s_branch .LBB201_359
.LBB201_356:                            ;   in Loop: Header=BB201_359 Depth=2
	s_or_b64 exec, exec, s[46:47]
	s_waitcnt lgkmcnt(0)
	s_barrier
	ds_read_b64 v[27:28], v13 offset:3072
	s_waitcnt lgkmcnt(0)
	s_barrier
	v_cmp_neq_f32_e32 vcc, 0, v27
	s_cbranch_vccnz .LBB201_362
; %bb.357:                              ;   in Loop: Header=BB201_359 Depth=2
	v_add_co_u32_e32 v4, vcc, s33, v4
	v_addc_co_u32_e32 v5, vcc, 0, v5, vcc
	v_cmp_le_u64_e32 vcc, s[42:43], v[4:5]
	v_add_u32_e32 v6, s5, v6
	s_mov_b64 s[46:47], 0
	s_orn2_b64 s[48:49], vcc, exec
.LBB201_358:                            ;   in Loop: Header=BB201_359 Depth=2
	s_and_b64 s[48:49], exec, s[48:49]
	s_or_b64 s[0:1], s[48:49], s[0:1]
	s_andn2_b64 s[44:45], s[44:45], exec
	s_and_b64 s[46:47], s[46:47], exec
	s_or_b64 s[44:45], s[44:45], s[46:47]
	s_andn2_b64 exec, exec, s[0:1]
	s_cbranch_execz .LBB201_365
.LBB201_359:                            ;   Parent Loop BB201_31 Depth=1
                                        ; =>  This Inner Loop Header: Depth=2
	v_cmp_gt_u64_e32 vcc, s[2:3], v[4:5]
	s_and_saveexec_b64 s[46:47], vcc
	s_cbranch_execz .LBB201_356
; %bb.360:                              ;   in Loop: Header=BB201_359 Depth=2
	ds_read_b32 v27, v6
	s_waitcnt lgkmcnt(0)
	v_cmp_lt_i32_e32 vcc, -1, v27
	v_cndmask_b32_e32 v7, -1, v50, vcc
	v_xor_b32_e32 v7, v7, v27
	v_cmp_o_f32_e32 vcc, v27, v27
	v_cndmask_b32_e32 v7, -1, v7, vcc
	v_and_b32_e32 v7, v7, v52
	v_cmp_eq_u32_e32 vcc, v7, v48
	s_and_b64 exec, exec, vcc
	s_cbranch_execz .LBB201_356
; %bb.361:                              ;   in Loop: Header=BB201_359 Depth=2
	ds_write_b64 v13, v[26:27] offset:3072
	s_branch .LBB201_356
.LBB201_362:                            ;   in Loop: Header=BB201_359 Depth=2
	s_mov_b64 s[48:49], -1
                                        ; implicit-def: $vgpr4_vgpr5
                                        ; implicit-def: $vgpr6
	s_mov_b64 s[46:47], -1
	s_branch .LBB201_358
.LBB201_363:                            ;   in Loop: Header=BB201_31 Depth=1
                                        ; implicit-def: $sgpr10_sgpr11
	s_branch .LBB201_307
.LBB201_364:                            ;   in Loop: Header=BB201_31 Depth=1
                                        ; implicit-def: $sgpr2_sgpr3
	s_branch .LBB201_323
.LBB201_365:                            ;   in Loop: Header=BB201_31 Depth=1
	s_or_b64 exec, exec, s[0:1]
	s_and_b64 s[0:1], s[44:45], exec
.LBB201_366:                            ;   in Loop: Header=BB201_31 Depth=1
	s_or_b64 exec, exec, s[12:13]
.LBB201_367:                            ;   in Loop: Header=BB201_31 Depth=1
	s_and_b64 vcc, exec, s[10:11]
	s_cbranch_vccz .LBB201_382
; %bb.368:                              ;   in Loop: Header=BB201_31 Depth=1
	v_readlane_b32 s42, v54, 31
	v_readlane_b32 s43, v54, 32
	s_mov_b32 s42, s87
	s_cmp_lg_u64 s[42:43], 0
	v_writelane_b32 v54, s42, 31
	v_writelane_b32 v54, s43, 32
	s_cbranch_scc0 .LBB201_411
; %bb.369:                              ;   in Loop: Header=BB201_31 Depth=1
	v_cvt_f32_u32_e32 v4, s33
	s_sub_u32 s10, 0, s33
	s_subb_u32 s11, 0, 0
	v_mac_f32_e32 v4, 0, v51
	v_rcp_f32_e32 v4, v4
	v_mul_f32_e32 v4, 0x5f7ffffc, v4
	v_mul_f32_e32 v5, 0x2f800000, v4
	v_trunc_f32_e32 v5, v5
	v_mac_f32_e32 v4, 0xcf800000, v5
	v_cvt_u32_f32_e32 v5, v5
	v_cvt_u32_f32_e32 v4, v4
	v_readfirstlane_b32 s12, v5
	v_readfirstlane_b32 s2, v4
	s_mul_i32 s3, s10, s12
	s_mul_hi_u32 s24, s10, s2
	s_mul_i32 s13, s11, s2
	s_add_i32 s3, s24, s3
	s_mul_i32 s25, s10, s2
	s_add_i32 s3, s3, s13
	s_mul_hi_u32 s24, s2, s25
	s_mul_i32 s36, s2, s3
	s_mul_hi_u32 s13, s2, s3
	s_add_u32 s24, s24, s36
	s_addc_u32 s13, 0, s13
	s_mul_hi_u32 s37, s12, s25
	s_mul_i32 s25, s12, s25
	s_add_u32 s24, s24, s25
	s_mul_hi_u32 s36, s12, s3
	s_addc_u32 s13, s13, s37
	s_addc_u32 s24, s36, 0
	s_mul_i32 s3, s12, s3
	s_add_u32 s3, s13, s3
	s_addc_u32 s13, 0, s24
	s_add_u32 s24, s2, s3
	s_cselect_b64 s[2:3], -1, 0
	s_cmp_lg_u64 s[2:3], 0
	s_addc_u32 s12, s12, s13
	s_mul_i32 s2, s10, s12
	s_mul_hi_u32 s3, s10, s24
	s_add_i32 s2, s3, s2
	s_mul_i32 s11, s11, s24
	s_add_i32 s2, s2, s11
	s_mul_i32 s10, s10, s24
	s_mul_hi_u32 s11, s12, s10
	s_mul_i32 s13, s12, s10
	s_mul_i32 s36, s24, s2
	s_mul_hi_u32 s10, s24, s10
	s_mul_hi_u32 s25, s24, s2
	s_add_u32 s10, s10, s36
	s_addc_u32 s25, 0, s25
	s_add_u32 s10, s10, s13
	s_mul_hi_u32 s3, s12, s2
	s_addc_u32 s10, s25, s11
	s_addc_u32 s3, s3, 0
	s_mul_i32 s2, s12, s2
	s_add_u32 s2, s10, s2
	s_addc_u32 s10, 0, s3
	s_add_u32 s11, s24, s2
	s_cselect_b64 s[2:3], -1, 0
	s_cmp_lg_u64 s[2:3], 0
	s_addc_u32 s2, s12, s10
	v_readlane_b32 s24, v54, 29
	s_mul_i32 s10, s24, s2
	s_mul_hi_u32 s12, s24, s11
	s_mul_hi_u32 s3, s24, s2
	s_add_u32 s10, s12, s10
	s_addc_u32 s3, 0, s3
	s_mul_hi_u32 s13, s43, s11
	s_mul_i32 s11, s43, s11
	s_add_u32 s10, s10, s11
	s_mul_hi_u32 s12, s43, s2
	s_addc_u32 s3, s3, s13
	s_addc_u32 s10, s12, 0
	s_mul_i32 s2, s43, s2
	s_add_u32 s2, s3, s2
	s_addc_u32 s3, 0, s10
	s_mul_i32 s3, s33, s3
	s_mul_hi_u32 s10, s33, s2
	s_add_i32 s10, s10, s3
	s_mul_i32 s2, s33, s2
	s_sub_u32 s11, s24, s2
	s_cselect_b64 s[2:3], -1, 0
	s_cmp_lg_u64 s[2:3], 0
	s_subb_u32 s10, s43, s10
	s_sub_u32 s12, s11, s33
	s_cselect_b64 s[2:3], -1, 0
	s_cmp_lg_u64 s[2:3], 0
	s_subb_u32 s13, s10, 0
	;; [unrolled: 4-line block ×3, first 2 shown]
	s_cmp_ge_u32 s12, s33
	s_cselect_b32 s3, -1, 0
	s_cmp_eq_u32 s13, 0
	s_cselect_b32 s3, s3, -1
	s_cmp_lg_u32 s3, 0
	s_cselect_b32 s2, s2, s13
	s_cselect_b32 s12, s24, s12
	s_cmp_ge_u32 s11, s33
	s_cselect_b32 s3, -1, 0
	s_cmp_eq_u32 s10, 0
	s_cselect_b32 s3, s3, -1
	s_cmp_lg_u32 s3, 0
	s_cselect_b32 s3, s2, s10
	s_cselect_b32 s2, s12, s11
	s_cbranch_execnz .LBB201_371
.LBB201_370:                            ;   in Loop: Header=BB201_31 Depth=1
	v_cvt_f32_u32_e32 v4, s33
	s_sub_i32 s2, 0, s33
	v_readlane_b32 s10, v54, 29
	v_rcp_iflag_f32_e32 v4, v4
	v_mul_f32_e32 v4, 0x4f7ffffe, v4
	v_cvt_u32_f32_e32 v4, v4
	v_readfirstlane_b32 s3, v4
	s_mul_i32 s2, s2, s3
	s_mul_hi_u32 s2, s3, s2
	s_add_i32 s3, s3, s2
	s_mul_hi_u32 s2, s10, s3
	s_mul_i32 s2, s2, s33
	s_sub_i32 s2, s10, s2
	s_sub_i32 s3, s2, s33
	s_cmp_ge_u32 s2, s33
	s_cselect_b32 s2, s3, s2
	s_sub_i32 s3, s2, s33
	s_cmp_ge_u32 s2, s33
	s_cselect_b32 s86, s3, s2
	s_mov_b64 s[2:3], s[86:87]
.LBB201_371:                            ;   in Loop: Header=BB201_31 Depth=1
	v_readlane_b32 s10, v54, 29
	v_readlane_b32 s12, v54, 31
	s_sub_u32 s10, s10, s2
	v_readlane_b32 s13, v54, 32
	s_subb_u32 s11, s13, s3
	v_cmp_gt_u64_e32 vcc, s[10:11], v[0:1]
                                        ; implicit-def: $vgpr28
	s_and_saveexec_b64 s[2:3], vcc
	s_cbranch_execz .LBB201_381
; %bb.372:                              ;   in Loop: Header=BB201_31 Depth=1
	v_mov_b32_e32 v4, v24
	v_mov_b32_e32 v7, v1
	s_mov_b64 s[12:13], 0
	v_mov_b32_e32 v5, v25
	v_mov_b32_e32 v6, v0
                                        ; implicit-def: $sgpr24_sgpr25
	s_branch .LBB201_376
.LBB201_373:                            ;   in Loop: Header=BB201_376 Depth=2
	s_or_b64 exec, exec, s[36:37]
	s_waitcnt lgkmcnt(0)
	s_barrier
	ds_read_b64 v[27:28], v13 offset:3072
	s_waitcnt lgkmcnt(0)
	s_barrier
	v_cmp_eq_f32_e32 vcc, 0, v27
	s_cbranch_vccz .LBB201_379
; %bb.374:                              ;   in Loop: Header=BB201_376 Depth=2
	v_add_co_u32_e32 v6, vcc, s33, v6
	v_addc_co_u32_e32 v7, vcc, 0, v7, vcc
	v_mov_b32_e32 v8, s65
	v_add_co_u32_e32 v4, vcc, s64, v4
	v_addc_co_u32_e32 v5, vcc, v5, v8, vcc
	v_cmp_le_u64_e32 vcc, s[10:11], v[6:7]
	s_mov_b64 s[36:37], 0
	s_orn2_b64 s[42:43], vcc, exec
.LBB201_375:                            ;   in Loop: Header=BB201_376 Depth=2
	s_and_b64 s[42:43], exec, s[42:43]
	s_or_b64 s[12:13], s[42:43], s[12:13]
	s_andn2_b64 s[24:25], s[24:25], exec
	s_and_b64 s[36:37], s[36:37], exec
	s_or_b64 s[24:25], s[24:25], s[36:37]
	s_andn2_b64 exec, exec, s[12:13]
	s_cbranch_execz .LBB201_380
.LBB201_376:                            ;   Parent Loop BB201_31 Depth=1
                                        ; =>  This Inner Loop Header: Depth=2
	v_cmp_gt_u64_e32 vcc, s[60:61], v[6:7]
	s_and_saveexec_b64 s[36:37], vcc
	s_cbranch_execz .LBB201_373
; %bb.377:                              ;   in Loop: Header=BB201_376 Depth=2
	global_load_dword v27, v[4:5], off
	s_waitcnt vmcnt(0)
	v_cmp_lt_i32_e32 vcc, -1, v27
	v_cndmask_b32_e32 v8, -1, v50, vcc
	v_xor_b32_e32 v8, v8, v27
	v_cmp_o_f32_e32 vcc, v27, v27
	v_cndmask_b32_e32 v8, -1, v8, vcc
	v_and_b32_e32 v8, v8, v52
	v_cmp_eq_u32_e32 vcc, v8, v48
	s_and_b64 exec, exec, vcc
	s_cbranch_execz .LBB201_373
; %bb.378:                              ;   in Loop: Header=BB201_376 Depth=2
	ds_write_b64 v13, v[26:27] offset:3072
	s_branch .LBB201_373
.LBB201_379:                            ;   in Loop: Header=BB201_376 Depth=2
	s_mov_b64 s[42:43], -1
                                        ; implicit-def: $vgpr6_vgpr7
                                        ; implicit-def: $vgpr4_vgpr5
	s_mov_b64 s[36:37], -1
	s_branch .LBB201_375
.LBB201_380:                            ;   in Loop: Header=BB201_31 Depth=1
	s_or_b64 exec, exec, s[12:13]
	s_andn2_b64 s[0:1], s[0:1], exec
	s_and_b64 s[10:11], s[24:25], exec
	s_or_b64 s[0:1], s[0:1], s[10:11]
.LBB201_381:                            ;   in Loop: Header=BB201_31 Depth=1
	s_or_b64 exec, exec, s[2:3]
	s_mov_b64 s[24:25], 0
	s_mov_b64 s[36:37], -1
.LBB201_382:                            ;   in Loop: Header=BB201_31 Depth=1
	s_orn2_b64 s[0:1], s[0:1], exec
.LBB201_383:                            ;   in Loop: Header=BB201_31 Depth=1
	s_or_b64 exec, exec, s[38:39]
	s_mov_b64 s[2:3], 0
	s_and_saveexec_b64 s[38:39], s[0:1]
	s_cbranch_execz .LBB201_496
; %bb.384:                              ;   in Loop: Header=BB201_31 Depth=1
	v_mov_b32_e32 v4, 1
	s_xor_b64 s[10:11], s[40:41], -1
	v_mov_b32_e32 v12, 1
	v_mov_b32_e32 v5, 0
	s_and_saveexec_b64 s[0:1], s[10:11]
	s_cbranch_execz .LBB201_393
; %bb.385:                              ;   in Loop: Header=BB201_31 Depth=1
	v_cmp_ge_u64_e32 vcc, s[22:23], v[2:3]
	s_and_saveexec_b64 s[2:3], vcc
	s_xor_b64 s[2:3], exec, s[2:3]
	s_cbranch_execz .LBB201_390
; %bb.386:                              ;   in Loop: Header=BB201_31 Depth=1
	v_and_b32_e32 v4, s94, v48
	v_lshl_or_b32 v48, 2, s66, v4
	ds_read_b64 v[4:5], v13 offset:5120
	v_or_b32_e32 v52, s67, v52
	s_waitcnt lgkmcnt(0)
	v_cmp_ne_u64_e32 vcc, 0, v[4:5]
	s_cbranch_vccnz .LBB201_390
; %bb.387:                              ;   in Loop: Header=BB201_31 Depth=1
	s_mov_b64 s[10:11], exec
	v_readlane_b32 s12, v54, 10
	v_readlane_b32 s13, v54, 11
	s_and_b64 s[12:13], s[10:11], s[12:13]
	s_mov_b64 exec, s[12:13]
; %bb.388:                              ;   in Loop: Header=BB201_31 Depth=1
	v_mov_b32_e32 v4, s22
	v_mov_b32_e32 v5, s23
	ds_write_b64 v13, v[4:5] offset:5128
; %bb.389:                              ;   in Loop: Header=BB201_31 Depth=1
	s_or_b64 exec, exec, s[10:11]
	s_waitcnt lgkmcnt(0)
	s_barrier
.LBB201_390:                            ;   in Loop: Header=BB201_31 Depth=1
	s_or_saveexec_b64 s[2:3], s[2:3]
	s_mov_b64 s[10:11], 0
	v_mov_b32_e32 v12, 5
	s_xor_b64 exec, exec, s[2:3]
; %bb.391:                              ;   in Loop: Header=BB201_31 Depth=1
	v_subrev_co_u32_e32 v2, vcc, s22, v2
	v_mov_b32_e32 v4, s23
	v_subb_co_u32_e32 v3, vcc, v3, v4, vcc
	v_mov_b32_e32 v12, 0
	s_mov_b64 s[10:11], exec
; %bb.392:                              ;   in Loop: Header=BB201_31 Depth=1
	s_or_b64 exec, exec, s[2:3]
	v_mov_b32_e32 v5, v3
	s_and_b64 s[2:3], s[10:11], exec
	v_mov_b32_e32 v4, v2
.LBB201_393:                            ;   in Loop: Header=BB201_31 Depth=1
	s_or_b64 exec, exec, s[0:1]
	s_mov_b64 s[0:1], -1
                                        ; implicit-def: $sgpr40_sgpr41
                                        ; implicit-def: $sgpr42_sgpr43
	s_and_saveexec_b64 s[22:23], s[2:3]
	s_cbranch_execz .LBB201_495
; %bb.394:                              ;   in Loop: Header=BB201_31 Depth=1
	s_cmp_eq_u64 s[20:21], 1
	v_cmp_eq_u64_e32 vcc, 1, v[4:5]
	s_cselect_b64 s[0:1], -1, 0
	s_and_b64 s[46:47], s[0:1], vcc
	s_mov_b64 s[0:1], -1
                                        ; implicit-def: $sgpr42_sgpr43
                                        ; implicit-def: $sgpr40_sgpr41
	s_and_saveexec_b64 s[44:45], s[46:47]
	s_cbranch_execz .LBB201_430
; %bb.395:                              ;   in Loop: Header=BB201_31 Depth=1
	ds_read_b64 v[2:3], v13 offset:5120
	s_waitcnt lgkmcnt(0)
	s_barrier
	v_readfirstlane_b32 s2, v2
	v_readfirstlane_b32 s3, v3
	s_mov_b64 s[0:1], exec
	v_readlane_b32 s10, v54, 24
	v_readlane_b32 s11, v54, 25
	s_and_b64 s[10:11], s[0:1], s[10:11]
	s_mov_b64 exec, s[10:11]
; %bb.396:                              ;   in Loop: Header=BB201_31 Depth=1
	ds_write_b32 v45, v13
; %bb.397:                              ;   in Loop: Header=BB201_31 Depth=1
	s_or_b64 exec, exec, s[0:1]
	v_and_b32_e32 v2, s94, v48
	v_lshl_or_b32 v48, 1, s66, v2
	v_or_b32_e32 v52, s67, v52
	s_mov_b64 s[40:41], -1
	s_mov_b64 s[42:43], 0
	s_cmp_eq_u64 s[2:3], 0
	s_mov_b64 s[0:1], 0
	s_mov_b64 s[10:11], -1
	s_waitcnt lgkmcnt(0)
	s_barrier
                                        ; implicit-def: $vgpr28
	s_cbranch_scc1 .LBB201_414
; %bb.398:                              ;   in Loop: Header=BB201_31 Depth=1
	v_readlane_b32 s0, v54, 28
	s_add_u32 s48, s2, s0
	v_readlane_b32 s0, v54, 30
	s_addc_u32 s1, s3, s0
	s_mov_b32 s0, s87
	s_cmp_lg_u64 s[0:1], 0
	s_cbranch_scc0 .LBB201_447
; %bb.399:                              ;   in Loop: Header=BB201_31 Depth=1
	v_cvt_f32_u32_e32 v2, s33
	s_sub_u32 s0, 0, s33
	s_subb_u32 s12, 0, 0
	v_mac_f32_e32 v2, 0, v51
	v_rcp_f32_e32 v2, v2
	v_mul_f32_e32 v2, 0x5f7ffffc, v2
	v_mul_f32_e32 v3, 0x2f800000, v2
	v_trunc_f32_e32 v3, v3
	v_mac_f32_e32 v2, 0xcf800000, v3
	v_cvt_u32_f32_e32 v3, v3
	v_cvt_u32_f32_e32 v2, v2
	v_readfirstlane_b32 s13, v3
	v_readfirstlane_b32 s10, v2
	s_mul_i32 s11, s0, s13
	s_mul_hi_u32 s50, s0, s10
	s_mul_i32 s49, s12, s10
	s_add_i32 s11, s50, s11
	s_mul_i32 s51, s0, s10
	s_add_i32 s11, s11, s49
	s_mul_hi_u32 s50, s10, s51
	s_mul_i32 s52, s10, s11
	s_mul_hi_u32 s49, s10, s11
	s_add_u32 s50, s50, s52
	s_addc_u32 s49, 0, s49
	s_mul_hi_u32 s53, s13, s51
	s_mul_i32 s51, s13, s51
	s_add_u32 s50, s50, s51
	s_mul_hi_u32 s52, s13, s11
	s_addc_u32 s49, s49, s53
	s_addc_u32 s50, s52, 0
	s_mul_i32 s11, s13, s11
	s_add_u32 s11, s49, s11
	s_addc_u32 s49, 0, s50
	s_add_u32 s50, s10, s11
	s_cselect_b64 s[10:11], -1, 0
	s_cmp_lg_u64 s[10:11], 0
	s_addc_u32 s13, s13, s49
	s_mul_i32 s10, s0, s13
	s_mul_hi_u32 s11, s0, s50
	s_add_i32 s10, s11, s10
	s_mul_i32 s12, s12, s50
	s_add_i32 s10, s10, s12
	s_mul_i32 s0, s0, s50
	s_mul_hi_u32 s12, s13, s0
	s_mul_i32 s49, s13, s0
	s_mul_i32 s52, s50, s10
	s_mul_hi_u32 s0, s50, s0
	s_mul_hi_u32 s51, s50, s10
	s_add_u32 s0, s0, s52
	s_addc_u32 s51, 0, s51
	s_add_u32 s0, s0, s49
	s_mul_hi_u32 s11, s13, s10
	s_addc_u32 s0, s51, s12
	s_addc_u32 s11, s11, 0
	s_mul_i32 s10, s13, s10
	s_add_u32 s0, s0, s10
	s_addc_u32 s12, 0, s11
	s_add_u32 s0, s50, s0
	s_cselect_b64 s[10:11], -1, 0
	s_cmp_lg_u64 s[10:11], 0
	s_addc_u32 s10, s13, s12
	s_mul_i32 s12, s48, s10
	s_mul_hi_u32 s13, s48, s0
	s_mul_hi_u32 s11, s48, s10
	s_add_u32 s12, s13, s12
	s_addc_u32 s11, 0, s11
	s_mul_hi_u32 s49, s1, s0
	s_mul_i32 s0, s1, s0
	s_add_u32 s0, s12, s0
	s_mul_hi_u32 s13, s1, s10
	s_addc_u32 s0, s11, s49
	s_addc_u32 s11, s13, 0
	s_mul_i32 s10, s1, s10
	s_add_u32 s0, s0, s10
	s_addc_u32 s10, 0, s11
	s_mul_i32 s10, s33, s10
	s_mul_hi_u32 s11, s33, s0
	s_add_i32 s12, s11, s10
	s_mul_i32 s0, s33, s0
	s_sub_u32 s0, s48, s0
	s_cselect_b64 s[10:11], -1, 0
	s_cmp_lg_u64 s[10:11], 0
	s_subb_u32 s12, s1, s12
	s_sub_u32 s13, s0, s33
	s_cselect_b64 s[10:11], -1, 0
	s_cmp_lg_u64 s[10:11], 0
	s_subb_u32 s49, s12, 0
	s_sub_u32 s50, s13, s33
	s_cselect_b64 s[10:11], -1, 0
	s_cmp_lg_u64 s[10:11], 0
	s_subb_u32 s10, s49, 0
	s_cmp_ge_u32 s13, s33
	s_cselect_b32 s11, -1, 0
	s_cmp_eq_u32 s49, 0
	s_cselect_b32 s11, s11, -1
	s_cmp_lg_u32 s11, 0
	s_cselect_b32 s10, s10, s49
	s_cselect_b32 s13, s50, s13
	s_cmp_ge_u32 s0, s33
	s_cselect_b32 s11, -1, 0
	s_cmp_eq_u32 s12, 0
	s_cselect_b32 s11, s11, -1
	s_cmp_lg_u32 s11, 0
	s_cselect_b32 s11, s10, s12
	s_cselect_b32 s10, s13, s0
	s_cbranch_execnz .LBB201_401
.LBB201_400:                            ;   in Loop: Header=BB201_31 Depth=1
	v_cvt_f32_u32_e32 v2, s33
	s_sub_i32 s0, 0, s33
	v_rcp_iflag_f32_e32 v2, v2
	v_mul_f32_e32 v2, 0x4f7ffffe, v2
	v_cvt_u32_f32_e32 v2, v2
	v_readfirstlane_b32 s10, v2
	s_mul_i32 s0, s0, s10
	s_mul_hi_u32 s0, s10, s0
	s_add_i32 s10, s10, s0
	s_mul_hi_u32 s0, s48, s10
	s_mul_i32 s0, s0, s33
	s_sub_i32 s0, s48, s0
	s_sub_i32 s10, s0, s33
	s_cmp_ge_u32 s0, s33
	s_cselect_b32 s0, s10, s0
	s_sub_i32 s10, s0, s33
	s_cmp_ge_u32 s0, s33
	s_cselect_b32 s86, s10, s0
	s_mov_b64 s[10:11], s[86:87]
.LBB201_401:                            ;   in Loop: Header=BB201_31 Depth=1
	s_sub_u32 s48, s48, s10
	s_subb_u32 s49, s1, s11
	v_cmp_gt_u64_e32 vcc, s[48:49], v[0:1]
	s_mov_b64 s[10:11], 0
	s_mov_b64 s[0:1], 0
                                        ; implicit-def: $vgpr28
	s_and_saveexec_b64 s[12:13], vcc
	s_cbranch_execz .LBB201_413
; %bb.402:                              ;   in Loop: Header=BB201_31 Depth=1
	v_mov_b32_e32 v3, v1
	v_mov_b32_e32 v6, v14
	;; [unrolled: 1-line block ×3, first 2 shown]
                                        ; implicit-def: $sgpr50_sgpr51
	s_branch .LBB201_406
.LBB201_403:                            ;   in Loop: Header=BB201_406 Depth=2
	s_or_b64 exec, exec, s[52:53]
	s_waitcnt lgkmcnt(0)
	s_barrier
	ds_read_b64 v[27:28], v13 offset:3072
	s_waitcnt lgkmcnt(0)
	s_barrier
	v_cmp_neq_f32_e32 vcc, 0, v27
	s_cbranch_vccnz .LBB201_409
; %bb.404:                              ;   in Loop: Header=BB201_406 Depth=2
	v_add_co_u32_e32 v2, vcc, s33, v2
	v_addc_co_u32_e32 v3, vcc, 0, v3, vcc
	v_cmp_le_u64_e32 vcc, s[48:49], v[2:3]
	v_add_u32_e32 v6, s5, v6
	s_mov_b64 s[52:53], 0
	s_orn2_b64 s[54:55], vcc, exec
.LBB201_405:                            ;   in Loop: Header=BB201_406 Depth=2
	s_and_b64 s[54:55], exec, s[54:55]
	s_or_b64 s[0:1], s[54:55], s[0:1]
	s_andn2_b64 s[50:51], s[50:51], exec
	s_and_b64 s[52:53], s[52:53], exec
	s_or_b64 s[50:51], s[50:51], s[52:53]
	s_andn2_b64 exec, exec, s[0:1]
	s_cbranch_execz .LBB201_412
.LBB201_406:                            ;   Parent Loop BB201_31 Depth=1
                                        ; =>  This Inner Loop Header: Depth=2
	v_cmp_gt_u64_e32 vcc, s[2:3], v[2:3]
	s_and_saveexec_b64 s[52:53], vcc
	s_cbranch_execz .LBB201_403
; %bb.407:                              ;   in Loop: Header=BB201_406 Depth=2
	ds_read_b32 v27, v6
	s_waitcnt lgkmcnt(0)
	v_cmp_lt_i32_e32 vcc, -1, v27
	v_cndmask_b32_e32 v7, -1, v50, vcc
	v_xor_b32_e32 v7, v7, v27
	v_cmp_o_f32_e32 vcc, v27, v27
	v_cndmask_b32_e32 v7, -1, v7, vcc
	v_and_b32_e32 v7, v7, v52
	v_cmp_eq_u32_e32 vcc, v7, v48
	s_and_b64 exec, exec, vcc
	s_cbranch_execz .LBB201_403
; %bb.408:                              ;   in Loop: Header=BB201_406 Depth=2
	ds_write_b64 v13, v[26:27] offset:3072
	s_branch .LBB201_403
.LBB201_409:                            ;   in Loop: Header=BB201_406 Depth=2
	s_mov_b64 s[54:55], -1
                                        ; implicit-def: $vgpr2_vgpr3
                                        ; implicit-def: $vgpr6
	s_mov_b64 s[52:53], -1
	s_branch .LBB201_405
.LBB201_410:                            ;   in Loop: Header=BB201_31 Depth=1
                                        ; implicit-def: $sgpr10_sgpr11
	s_branch .LBB201_353
.LBB201_411:                            ;   in Loop: Header=BB201_31 Depth=1
                                        ; implicit-def: $sgpr2_sgpr3
	s_branch .LBB201_370
.LBB201_412:                            ;   in Loop: Header=BB201_31 Depth=1
	s_or_b64 exec, exec, s[0:1]
	s_and_b64 s[0:1], s[50:51], exec
.LBB201_413:                            ;   in Loop: Header=BB201_31 Depth=1
	s_or_b64 exec, exec, s[12:13]
.LBB201_414:                            ;   in Loop: Header=BB201_31 Depth=1
	s_and_b64 vcc, exec, s[10:11]
	s_cbranch_vccz .LBB201_429
; %bb.415:                              ;   in Loop: Header=BB201_31 Depth=1
	v_readlane_b32 s48, v54, 31
	v_readlane_b32 s49, v54, 32
	s_mov_b32 s48, s87
	s_cmp_lg_u64 s[48:49], 0
	v_writelane_b32 v54, s48, 31
	v_writelane_b32 v54, s49, 32
	s_cbranch_scc0 .LBB201_448
; %bb.416:                              ;   in Loop: Header=BB201_31 Depth=1
	v_cvt_f32_u32_e32 v2, s33
	s_sub_u32 s10, 0, s33
	s_subb_u32 s11, 0, 0
	v_mac_f32_e32 v2, 0, v51
	v_rcp_f32_e32 v2, v2
	v_mul_f32_e32 v2, 0x5f7ffffc, v2
	v_mul_f32_e32 v3, 0x2f800000, v2
	v_trunc_f32_e32 v3, v3
	v_mac_f32_e32 v2, 0xcf800000, v3
	v_cvt_u32_f32_e32 v3, v3
	v_cvt_u32_f32_e32 v2, v2
	v_readfirstlane_b32 s12, v3
	v_readfirstlane_b32 s2, v2
	s_mul_i32 s3, s10, s12
	s_mul_hi_u32 s40, s10, s2
	s_mul_i32 s13, s11, s2
	s_add_i32 s3, s40, s3
	s_mul_i32 s41, s10, s2
	s_add_i32 s3, s3, s13
	s_mul_hi_u32 s40, s2, s41
	s_mul_i32 s42, s2, s3
	s_mul_hi_u32 s13, s2, s3
	s_add_u32 s40, s40, s42
	s_addc_u32 s13, 0, s13
	s_mul_hi_u32 s43, s12, s41
	s_mul_i32 s41, s12, s41
	s_add_u32 s40, s40, s41
	s_mul_hi_u32 s42, s12, s3
	s_addc_u32 s13, s13, s43
	s_addc_u32 s40, s42, 0
	s_mul_i32 s3, s12, s3
	s_add_u32 s3, s13, s3
	s_addc_u32 s13, 0, s40
	s_add_u32 s40, s2, s3
	s_cselect_b64 s[2:3], -1, 0
	s_cmp_lg_u64 s[2:3], 0
	s_addc_u32 s12, s12, s13
	s_mul_i32 s2, s10, s12
	s_mul_hi_u32 s3, s10, s40
	s_add_i32 s2, s3, s2
	s_mul_i32 s11, s11, s40
	s_add_i32 s2, s2, s11
	s_mul_i32 s10, s10, s40
	s_mul_hi_u32 s11, s12, s10
	s_mul_i32 s13, s12, s10
	s_mul_i32 s42, s40, s2
	s_mul_hi_u32 s10, s40, s10
	s_mul_hi_u32 s41, s40, s2
	s_add_u32 s10, s10, s42
	s_addc_u32 s41, 0, s41
	s_add_u32 s10, s10, s13
	s_mul_hi_u32 s3, s12, s2
	s_addc_u32 s10, s41, s11
	s_addc_u32 s3, s3, 0
	s_mul_i32 s2, s12, s2
	s_add_u32 s2, s10, s2
	s_addc_u32 s10, 0, s3
	s_add_u32 s11, s40, s2
	s_cselect_b64 s[2:3], -1, 0
	s_cmp_lg_u64 s[2:3], 0
	s_addc_u32 s2, s12, s10
	v_readlane_b32 s40, v54, 29
	s_mul_i32 s10, s40, s2
	s_mul_hi_u32 s12, s40, s11
	s_mul_hi_u32 s3, s40, s2
	s_add_u32 s10, s12, s10
	s_addc_u32 s3, 0, s3
	s_mul_hi_u32 s13, s49, s11
	s_mul_i32 s11, s49, s11
	s_add_u32 s10, s10, s11
	s_mul_hi_u32 s12, s49, s2
	s_addc_u32 s3, s3, s13
	s_addc_u32 s10, s12, 0
	s_mul_i32 s2, s49, s2
	s_add_u32 s2, s3, s2
	s_addc_u32 s3, 0, s10
	s_mul_i32 s3, s33, s3
	s_mul_hi_u32 s10, s33, s2
	s_add_i32 s10, s10, s3
	s_mul_i32 s2, s33, s2
	s_sub_u32 s11, s40, s2
	s_cselect_b64 s[2:3], -1, 0
	s_cmp_lg_u64 s[2:3], 0
	s_subb_u32 s10, s49, s10
	s_sub_u32 s12, s11, s33
	s_cselect_b64 s[2:3], -1, 0
	s_cmp_lg_u64 s[2:3], 0
	s_subb_u32 s13, s10, 0
	;; [unrolled: 4-line block ×3, first 2 shown]
	s_cmp_ge_u32 s12, s33
	s_cselect_b32 s3, -1, 0
	s_cmp_eq_u32 s13, 0
	s_cselect_b32 s3, s3, -1
	s_cmp_lg_u32 s3, 0
	s_cselect_b32 s2, s2, s13
	s_cselect_b32 s12, s40, s12
	s_cmp_ge_u32 s11, s33
	s_cselect_b32 s3, -1, 0
	s_cmp_eq_u32 s10, 0
	s_cselect_b32 s3, s3, -1
	s_cmp_lg_u32 s3, 0
	s_cselect_b32 s3, s2, s10
	s_cselect_b32 s2, s12, s11
	s_cbranch_execnz .LBB201_418
.LBB201_417:                            ;   in Loop: Header=BB201_31 Depth=1
	v_cvt_f32_u32_e32 v2, s33
	s_sub_i32 s2, 0, s33
	v_readlane_b32 s10, v54, 29
	v_rcp_iflag_f32_e32 v2, v2
	v_mul_f32_e32 v2, 0x4f7ffffe, v2
	v_cvt_u32_f32_e32 v2, v2
	v_readfirstlane_b32 s3, v2
	s_mul_i32 s2, s2, s3
	s_mul_hi_u32 s2, s3, s2
	s_add_i32 s3, s3, s2
	s_mul_hi_u32 s2, s10, s3
	s_mul_i32 s2, s2, s33
	s_sub_i32 s2, s10, s2
	s_sub_i32 s3, s2, s33
	s_cmp_ge_u32 s2, s33
	s_cselect_b32 s2, s3, s2
	s_sub_i32 s3, s2, s33
	s_cmp_ge_u32 s2, s33
	s_cselect_b32 s86, s3, s2
	s_mov_b64 s[2:3], s[86:87]
.LBB201_418:                            ;   in Loop: Header=BB201_31 Depth=1
	v_readlane_b32 s10, v54, 29
	v_readlane_b32 s12, v54, 31
	s_sub_u32 s10, s10, s2
	v_readlane_b32 s13, v54, 32
	s_subb_u32 s11, s13, s3
	v_cmp_gt_u64_e32 vcc, s[10:11], v[0:1]
                                        ; implicit-def: $vgpr28
	s_and_saveexec_b64 s[2:3], vcc
	s_cbranch_execz .LBB201_428
; %bb.419:                              ;   in Loop: Header=BB201_31 Depth=1
	v_mov_b32_e32 v2, v24
	v_mov_b32_e32 v7, v1
	s_mov_b64 s[12:13], 0
	v_mov_b32_e32 v3, v25
	v_mov_b32_e32 v6, v0
                                        ; implicit-def: $sgpr40_sgpr41
	s_branch .LBB201_423
.LBB201_420:                            ;   in Loop: Header=BB201_423 Depth=2
	s_or_b64 exec, exec, s[42:43]
	s_waitcnt lgkmcnt(0)
	s_barrier
	ds_read_b64 v[27:28], v13 offset:3072
	s_waitcnt lgkmcnt(0)
	s_barrier
	v_cmp_eq_f32_e32 vcc, 0, v27
	s_cbranch_vccz .LBB201_426
; %bb.421:                              ;   in Loop: Header=BB201_423 Depth=2
	v_add_co_u32_e32 v6, vcc, s33, v6
	v_addc_co_u32_e32 v7, vcc, 0, v7, vcc
	v_mov_b32_e32 v8, s65
	v_add_co_u32_e32 v2, vcc, s64, v2
	v_addc_co_u32_e32 v3, vcc, v3, v8, vcc
	v_cmp_le_u64_e32 vcc, s[10:11], v[6:7]
	s_mov_b64 s[42:43], 0
	s_orn2_b64 s[48:49], vcc, exec
.LBB201_422:                            ;   in Loop: Header=BB201_423 Depth=2
	s_and_b64 s[48:49], exec, s[48:49]
	s_or_b64 s[12:13], s[48:49], s[12:13]
	s_andn2_b64 s[40:41], s[40:41], exec
	s_and_b64 s[42:43], s[42:43], exec
	s_or_b64 s[40:41], s[40:41], s[42:43]
	s_andn2_b64 exec, exec, s[12:13]
	s_cbranch_execz .LBB201_427
.LBB201_423:                            ;   Parent Loop BB201_31 Depth=1
                                        ; =>  This Inner Loop Header: Depth=2
	v_cmp_gt_u64_e32 vcc, s[60:61], v[6:7]
	s_and_saveexec_b64 s[42:43], vcc
	s_cbranch_execz .LBB201_420
; %bb.424:                              ;   in Loop: Header=BB201_423 Depth=2
	global_load_dword v27, v[2:3], off
	s_waitcnt vmcnt(0)
	v_cmp_lt_i32_e32 vcc, -1, v27
	v_cndmask_b32_e32 v8, -1, v50, vcc
	v_xor_b32_e32 v8, v8, v27
	v_cmp_o_f32_e32 vcc, v27, v27
	v_cndmask_b32_e32 v8, -1, v8, vcc
	v_and_b32_e32 v8, v8, v52
	v_cmp_eq_u32_e32 vcc, v8, v48
	s_and_b64 exec, exec, vcc
	s_cbranch_execz .LBB201_420
; %bb.425:                              ;   in Loop: Header=BB201_423 Depth=2
	ds_write_b64 v13, v[26:27] offset:3072
	s_branch .LBB201_420
.LBB201_426:                            ;   in Loop: Header=BB201_423 Depth=2
	s_mov_b64 s[48:49], -1
                                        ; implicit-def: $vgpr6_vgpr7
                                        ; implicit-def: $vgpr2_vgpr3
	s_mov_b64 s[42:43], -1
	s_branch .LBB201_422
.LBB201_427:                            ;   in Loop: Header=BB201_31 Depth=1
	s_or_b64 exec, exec, s[12:13]
	s_andn2_b64 s[0:1], s[0:1], exec
	s_and_b64 s[10:11], s[40:41], exec
	s_or_b64 s[0:1], s[0:1], s[10:11]
.LBB201_428:                            ;   in Loop: Header=BB201_31 Depth=1
	s_or_b64 exec, exec, s[2:3]
	s_mov_b64 s[40:41], 0
	s_mov_b64 s[42:43], -1
.LBB201_429:                            ;   in Loop: Header=BB201_31 Depth=1
	s_orn2_b64 s[0:1], s[0:1], exec
.LBB201_430:                            ;   in Loop: Header=BB201_31 Depth=1
	s_or_b64 exec, exec, s[44:45]
	s_mov_b64 s[2:3], 0
	s_and_saveexec_b64 s[44:45], s[0:1]
	s_cbranch_execz .LBB201_494
; %bb.431:                              ;   in Loop: Header=BB201_31 Depth=1
	v_mov_b32_e32 v2, 1
	s_xor_b64 s[10:11], s[46:47], -1
	v_mov_b32_e32 v12, 1
	v_mov_b32_e32 v3, 0
	s_and_saveexec_b64 s[0:1], s[10:11]
	s_cbranch_execz .LBB201_440
; %bb.432:                              ;   in Loop: Header=BB201_31 Depth=1
	v_cmp_ge_u64_e32 vcc, s[20:21], v[4:5]
	s_and_saveexec_b64 s[2:3], vcc
	s_xor_b64 s[2:3], exec, s[2:3]
	s_cbranch_execz .LBB201_437
; %bb.433:                              ;   in Loop: Header=BB201_31 Depth=1
	v_and_b32_e32 v2, s94, v48
	v_lshl_or_b32 v48, 1, s66, v2
	ds_read_b64 v[2:3], v13 offset:5120
	v_or_b32_e32 v52, s67, v52
	s_waitcnt lgkmcnt(0)
	v_cmp_ne_u64_e32 vcc, 0, v[2:3]
	s_cbranch_vccnz .LBB201_437
; %bb.434:                              ;   in Loop: Header=BB201_31 Depth=1
	s_mov_b64 s[10:11], exec
	v_readlane_b32 s12, v54, 10
	v_readlane_b32 s13, v54, 11
	s_and_b64 s[12:13], s[10:11], s[12:13]
	s_mov_b64 exec, s[12:13]
; %bb.435:                              ;   in Loop: Header=BB201_31 Depth=1
	v_mov_b32_e32 v2, s20
	v_mov_b32_e32 v3, s21
	ds_write_b64 v13, v[2:3] offset:5128
; %bb.436:                              ;   in Loop: Header=BB201_31 Depth=1
	s_or_b64 exec, exec, s[10:11]
	s_waitcnt lgkmcnt(0)
	s_barrier
.LBB201_437:                            ;   in Loop: Header=BB201_31 Depth=1
	s_or_saveexec_b64 s[2:3], s[2:3]
	s_mov_b64 s[10:11], 0
	v_mov_b32_e32 v12, 5
	s_xor_b64 exec, exec, s[2:3]
; %bb.438:                              ;   in Loop: Header=BB201_31 Depth=1
	v_subrev_co_u32_e32 v4, vcc, s20, v4
	v_mov_b32_e32 v2, s21
	v_subb_co_u32_e32 v5, vcc, v5, v2, vcc
	v_mov_b32_e32 v12, 0
	s_mov_b64 s[10:11], exec
; %bb.439:                              ;   in Loop: Header=BB201_31 Depth=1
	s_or_b64 exec, exec, s[2:3]
	v_mov_b32_e32 v2, v4
	s_and_b64 s[2:3], s[10:11], exec
	v_mov_b32_e32 v3, v5
.LBB201_440:                            ;   in Loop: Header=BB201_31 Depth=1
	s_or_b64 exec, exec, s[0:1]
	s_mov_b64 s[0:1], -1
                                        ; implicit-def: $sgpr52_sgpr53
                                        ; implicit-def: $sgpr50_sgpr51
	s_and_saveexec_b64 s[20:21], s[2:3]
	s_cbranch_execz .LBB201_493
; %bb.441:                              ;   in Loop: Header=BB201_31 Depth=1
	s_cmp_eq_u64 s[16:17], 1
	v_cmp_eq_u64_e32 vcc, 1, v[2:3]
	s_cselect_b64 s[0:1], -1, 0
	s_and_b64 s[46:47], s[0:1], vcc
	s_mov_b64 s[2:3], -1
                                        ; implicit-def: $sgpr52_sgpr53
                                        ; implicit-def: $sgpr50_sgpr51
	s_and_saveexec_b64 s[48:49], s[46:47]
	s_cbranch_execz .LBB201_481
; %bb.442:                              ;   in Loop: Header=BB201_31 Depth=1
	ds_read_b64 v[4:5], v13 offset:5120
	s_waitcnt lgkmcnt(0)
	s_barrier
	v_readfirstlane_b32 s2, v4
	v_readfirstlane_b32 s3, v5
	s_mov_b64 s[0:1], exec
	v_readlane_b32 s10, v54, 24
	v_readlane_b32 s11, v54, 25
	s_and_b64 s[10:11], s[0:1], s[10:11]
	s_mov_b64 exec, s[10:11]
; %bb.443:                              ;   in Loop: Header=BB201_31 Depth=1
	ds_write_b32 v45, v13
; %bb.444:                              ;   in Loop: Header=BB201_31 Depth=1
	s_or_b64 exec, exec, s[0:1]
	v_and_b32_e32 v48, s94, v48
	v_or_b32_e32 v52, s67, v52
	s_mov_b64 s[50:51], -1
	s_mov_b64 s[52:53], 0
	s_cmp_eq_u64 s[2:3], 0
	s_mov_b64 s[0:1], 0
	s_mov_b64 s[10:11], -1
	s_waitcnt lgkmcnt(0)
	s_barrier
                                        ; implicit-def: $vgpr28
	s_cbranch_scc1 .LBB201_463
; %bb.445:                              ;   in Loop: Header=BB201_31 Depth=1
	v_readlane_b32 s0, v54, 28
	s_add_u32 s54, s2, s0
	v_readlane_b32 s0, v54, 30
	s_addc_u32 s1, s3, s0
	s_mov_b32 s0, s87
	s_cmp_lg_u64 s[0:1], 0
	s_cbranch_scc0 .LBB201_449
; %bb.446:                              ;   in Loop: Header=BB201_31 Depth=1
	v_cvt_f32_u32_e32 v4, s33
	s_sub_u32 s0, 0, s33
	s_subb_u32 s12, 0, 0
	v_mac_f32_e32 v4, 0, v51
	v_rcp_f32_e32 v4, v4
	v_mul_f32_e32 v4, 0x5f7ffffc, v4
	v_mul_f32_e32 v5, 0x2f800000, v4
	v_trunc_f32_e32 v5, v5
	v_mac_f32_e32 v4, 0xcf800000, v5
	v_cvt_u32_f32_e32 v5, v5
	v_cvt_u32_f32_e32 v4, v4
	v_readfirstlane_b32 s13, v5
	v_readfirstlane_b32 s10, v4
	s_mul_i32 s11, s0, s13
	s_mul_hi_u32 s80, s0, s10
	s_mul_i32 s55, s12, s10
	s_add_i32 s11, s80, s11
	s_mul_i32 s81, s0, s10
	s_add_i32 s11, s11, s55
	s_mul_hi_u32 s80, s10, s81
	s_mul_i32 s86, s10, s11
	s_mul_hi_u32 s55, s10, s11
	s_add_u32 s80, s80, s86
	s_addc_u32 s55, 0, s55
	s_mul_hi_u32 s88, s13, s81
	s_mul_i32 s81, s13, s81
	s_add_u32 s80, s80, s81
	s_mul_hi_u32 s86, s13, s11
	s_addc_u32 s55, s55, s88
	s_addc_u32 s80, s86, 0
	s_mul_i32 s11, s13, s11
	s_add_u32 s11, s55, s11
	s_addc_u32 s55, 0, s80
	s_add_u32 s80, s10, s11
	s_cselect_b64 s[10:11], -1, 0
	s_cmp_lg_u64 s[10:11], 0
	s_addc_u32 s13, s13, s55
	s_mul_i32 s10, s0, s13
	s_mul_hi_u32 s11, s0, s80
	s_add_i32 s10, s11, s10
	s_mul_i32 s12, s12, s80
	s_add_i32 s10, s10, s12
	s_mul_i32 s0, s0, s80
	s_mul_hi_u32 s12, s13, s0
	s_mul_i32 s55, s13, s0
	s_mul_i32 s86, s80, s10
	s_mul_hi_u32 s0, s80, s0
	s_mul_hi_u32 s81, s80, s10
	s_add_u32 s0, s0, s86
	s_addc_u32 s81, 0, s81
	s_add_u32 s0, s0, s55
	s_mul_hi_u32 s11, s13, s10
	s_addc_u32 s0, s81, s12
	s_addc_u32 s11, s11, 0
	s_mul_i32 s10, s13, s10
	s_add_u32 s0, s0, s10
	s_addc_u32 s12, 0, s11
	s_add_u32 s0, s80, s0
	s_cselect_b64 s[10:11], -1, 0
	s_cmp_lg_u64 s[10:11], 0
	s_addc_u32 s10, s13, s12
	s_mul_i32 s12, s54, s10
	s_mul_hi_u32 s13, s54, s0
	s_mul_hi_u32 s11, s54, s10
	s_add_u32 s12, s13, s12
	s_addc_u32 s11, 0, s11
	s_mul_hi_u32 s55, s1, s0
	s_mul_i32 s0, s1, s0
	s_add_u32 s0, s12, s0
	s_mul_hi_u32 s13, s1, s10
	s_addc_u32 s0, s11, s55
	s_addc_u32 s11, s13, 0
	s_mul_i32 s10, s1, s10
	s_add_u32 s0, s0, s10
	s_addc_u32 s10, 0, s11
	s_mul_i32 s10, s33, s10
	s_mul_hi_u32 s11, s33, s0
	s_add_i32 s12, s11, s10
	s_mul_i32 s0, s33, s0
	s_sub_u32 s0, s54, s0
	s_cselect_b64 s[10:11], -1, 0
	s_cmp_lg_u64 s[10:11], 0
	s_subb_u32 s12, s1, s12
	s_sub_u32 s13, s0, s33
	s_cselect_b64 s[10:11], -1, 0
	s_cmp_lg_u64 s[10:11], 0
	s_subb_u32 s55, s12, 0
	;; [unrolled: 4-line block ×3, first 2 shown]
	s_cmp_ge_u32 s13, s33
	s_cselect_b32 s11, -1, 0
	s_cmp_eq_u32 s55, 0
	s_cselect_b32 s11, s11, -1
	s_cmp_lg_u32 s11, 0
	s_cselect_b32 s10, s10, s55
	s_cselect_b32 s13, s80, s13
	s_cmp_ge_u32 s0, s33
	s_cselect_b32 s11, -1, 0
	s_cmp_eq_u32 s12, 0
	s_cselect_b32 s11, s11, -1
	s_cmp_lg_u32 s11, 0
	s_cselect_b32 s11, s10, s12
	s_cselect_b32 s10, s13, s0
	s_mov_b64 s[12:13], 0
	s_branch .LBB201_450
.LBB201_447:                            ;   in Loop: Header=BB201_31 Depth=1
                                        ; implicit-def: $sgpr10_sgpr11
	s_branch .LBB201_400
.LBB201_448:                            ;   in Loop: Header=BB201_31 Depth=1
                                        ; implicit-def: $sgpr2_sgpr3
	s_branch .LBB201_417
.LBB201_449:                            ;   in Loop: Header=BB201_31 Depth=1
	s_mov_b64 s[12:13], -1
                                        ; implicit-def: $sgpr10_sgpr11
.LBB201_450:                            ;   in Loop: Header=BB201_31 Depth=1
	s_andn2_b64 vcc, exec, s[12:13]
	s_cbranch_vccnz .LBB201_452
; %bb.451:                              ;   in Loop: Header=BB201_31 Depth=1
	v_cvt_f32_u32_e32 v4, s33
	s_sub_i32 s0, 0, s33
	v_rcp_iflag_f32_e32 v4, v4
	v_mul_f32_e32 v4, 0x4f7ffffe, v4
	v_cvt_u32_f32_e32 v4, v4
	v_readfirstlane_b32 s10, v4
	s_mul_i32 s0, s0, s10
	s_mul_hi_u32 s0, s10, s0
	s_add_i32 s10, s10, s0
	s_mul_hi_u32 s0, s54, s10
	s_mul_i32 s0, s0, s33
	s_sub_i32 s0, s54, s0
	s_sub_i32 s10, s0, s33
	s_cmp_ge_u32 s0, s33
	s_cselect_b32 s0, s10, s0
	s_sub_i32 s10, s0, s33
	s_cmp_ge_u32 s0, s33
	s_cselect_b32 s86, s10, s0
	s_mov_b64 s[10:11], s[86:87]
.LBB201_452:                            ;   in Loop: Header=BB201_31 Depth=1
	s_sub_u32 s54, s54, s10
	s_subb_u32 s55, s1, s11
	v_cmp_gt_u64_e32 vcc, s[54:55], v[0:1]
	s_mov_b64 s[10:11], 0
	s_mov_b64 s[0:1], 0
                                        ; implicit-def: $vgpr28
	s_and_saveexec_b64 s[12:13], vcc
	s_cbranch_execz .LBB201_462
; %bb.453:                              ;   in Loop: Header=BB201_31 Depth=1
	v_mov_b32_e32 v5, v1
	v_mov_b32_e32 v6, v14
	;; [unrolled: 1-line block ×3, first 2 shown]
                                        ; implicit-def: $sgpr80_sgpr81
	s_branch .LBB201_457
.LBB201_454:                            ;   in Loop: Header=BB201_457 Depth=2
	s_or_b64 exec, exec, s[88:89]
	s_waitcnt lgkmcnt(0)
	s_barrier
	ds_read_b64 v[27:28], v13 offset:3072
	s_waitcnt lgkmcnt(0)
	s_barrier
	v_cmp_neq_f32_e32 vcc, 0, v27
	s_cbranch_vccnz .LBB201_460
; %bb.455:                              ;   in Loop: Header=BB201_457 Depth=2
	v_add_co_u32_e32 v4, vcc, s33, v4
	v_addc_co_u32_e32 v5, vcc, 0, v5, vcc
	v_cmp_le_u64_e32 vcc, s[54:55], v[4:5]
	v_add_u32_e32 v6, s5, v6
	s_mov_b64 s[88:89], 0
	s_orn2_b64 s[90:91], vcc, exec
.LBB201_456:                            ;   in Loop: Header=BB201_457 Depth=2
	s_and_b64 s[90:91], exec, s[90:91]
	s_or_b64 s[0:1], s[90:91], s[0:1]
	s_andn2_b64 s[80:81], s[80:81], exec
	s_and_b64 s[88:89], s[88:89], exec
	s_or_b64 s[80:81], s[80:81], s[88:89]
	s_andn2_b64 exec, exec, s[0:1]
	s_cbranch_execz .LBB201_461
.LBB201_457:                            ;   Parent Loop BB201_31 Depth=1
                                        ; =>  This Inner Loop Header: Depth=2
	v_cmp_gt_u64_e32 vcc, s[2:3], v[4:5]
	s_and_saveexec_b64 s[88:89], vcc
	s_cbranch_execz .LBB201_454
; %bb.458:                              ;   in Loop: Header=BB201_457 Depth=2
	ds_read_b32 v27, v6
	s_waitcnt lgkmcnt(0)
	v_cmp_lt_i32_e32 vcc, -1, v27
	v_cndmask_b32_e32 v7, -1, v50, vcc
	v_xor_b32_e32 v7, v7, v27
	v_cmp_o_f32_e32 vcc, v27, v27
	v_cndmask_b32_e32 v7, -1, v7, vcc
	v_and_b32_e32 v7, v7, v52
	v_cmp_eq_u32_e32 vcc, v7, v48
	s_and_b64 exec, exec, vcc
	s_cbranch_execz .LBB201_454
; %bb.459:                              ;   in Loop: Header=BB201_457 Depth=2
	ds_write_b64 v13, v[26:27] offset:3072
	s_branch .LBB201_454
.LBB201_460:                            ;   in Loop: Header=BB201_457 Depth=2
	s_mov_b64 s[90:91], -1
                                        ; implicit-def: $vgpr4_vgpr5
                                        ; implicit-def: $vgpr6
	s_mov_b64 s[88:89], -1
	s_branch .LBB201_456
.LBB201_461:                            ;   in Loop: Header=BB201_31 Depth=1
	s_or_b64 exec, exec, s[0:1]
	s_and_b64 s[0:1], s[80:81], exec
.LBB201_462:                            ;   in Loop: Header=BB201_31 Depth=1
	s_or_b64 exec, exec, s[12:13]
.LBB201_463:                            ;   in Loop: Header=BB201_31 Depth=1
	s_and_b64 vcc, exec, s[10:11]
	s_cbranch_vccz .LBB201_480
; %bb.464:                              ;   in Loop: Header=BB201_31 Depth=1
	v_readlane_b32 s54, v54, 31
	v_readlane_b32 s55, v54, 32
	s_mov_b32 s54, s87
	s_cmp_lg_u64 s[54:55], 0
	v_writelane_b32 v54, s54, 31
	v_writelane_b32 v54, s55, 32
	s_cbranch_scc0 .LBB201_466
; %bb.465:                              ;   in Loop: Header=BB201_31 Depth=1
	v_cvt_f32_u32_e32 v4, s33
	s_sub_u32 s10, 0, s33
	s_subb_u32 s11, 0, 0
	v_mac_f32_e32 v4, 0, v51
	v_rcp_f32_e32 v4, v4
	v_mul_f32_e32 v4, 0x5f7ffffc, v4
	v_mul_f32_e32 v5, 0x2f800000, v4
	v_trunc_f32_e32 v5, v5
	v_mac_f32_e32 v4, 0xcf800000, v5
	v_cvt_u32_f32_e32 v5, v5
	v_cvt_u32_f32_e32 v4, v4
	v_readfirstlane_b32 s12, v5
	v_readfirstlane_b32 s2, v4
	s_mul_i32 s3, s10, s12
	s_mul_hi_u32 s50, s10, s2
	s_mul_i32 s13, s11, s2
	s_add_i32 s3, s50, s3
	s_mul_i32 s51, s10, s2
	s_add_i32 s3, s3, s13
	s_mul_hi_u32 s50, s2, s51
	s_mul_i32 s52, s2, s3
	s_mul_hi_u32 s13, s2, s3
	s_add_u32 s50, s50, s52
	s_addc_u32 s13, 0, s13
	s_mul_hi_u32 s53, s12, s51
	s_mul_i32 s51, s12, s51
	s_add_u32 s50, s50, s51
	s_mul_hi_u32 s52, s12, s3
	s_addc_u32 s13, s13, s53
	s_addc_u32 s50, s52, 0
	s_mul_i32 s3, s12, s3
	s_add_u32 s3, s13, s3
	s_addc_u32 s13, 0, s50
	s_add_u32 s50, s2, s3
	s_cselect_b64 s[2:3], -1, 0
	s_cmp_lg_u64 s[2:3], 0
	s_addc_u32 s12, s12, s13
	s_mul_i32 s2, s10, s12
	s_mul_hi_u32 s3, s10, s50
	s_add_i32 s2, s3, s2
	s_mul_i32 s11, s11, s50
	s_add_i32 s2, s2, s11
	s_mul_i32 s10, s10, s50
	s_mul_hi_u32 s11, s12, s10
	s_mul_i32 s13, s12, s10
	s_mul_i32 s52, s50, s2
	s_mul_hi_u32 s10, s50, s10
	s_mul_hi_u32 s51, s50, s2
	s_add_u32 s10, s10, s52
	s_addc_u32 s51, 0, s51
	s_add_u32 s10, s10, s13
	s_mul_hi_u32 s3, s12, s2
	s_addc_u32 s10, s51, s11
	s_addc_u32 s3, s3, 0
	s_mul_i32 s2, s12, s2
	s_add_u32 s2, s10, s2
	s_addc_u32 s10, 0, s3
	s_add_u32 s11, s50, s2
	s_cselect_b64 s[2:3], -1, 0
	s_cmp_lg_u64 s[2:3], 0
	s_addc_u32 s2, s12, s10
	v_readlane_b32 s50, v54, 29
	s_mul_i32 s10, s50, s2
	s_mul_hi_u32 s12, s50, s11
	s_mul_hi_u32 s3, s50, s2
	s_add_u32 s10, s12, s10
	s_addc_u32 s3, 0, s3
	s_mul_hi_u32 s13, s55, s11
	s_mul_i32 s11, s55, s11
	s_add_u32 s10, s10, s11
	s_mul_hi_u32 s12, s55, s2
	s_addc_u32 s3, s3, s13
	s_addc_u32 s10, s12, 0
	s_mul_i32 s2, s55, s2
	s_add_u32 s2, s3, s2
	s_addc_u32 s3, 0, s10
	s_mul_i32 s3, s33, s3
	s_mul_hi_u32 s10, s33, s2
	s_add_i32 s10, s10, s3
	s_mul_i32 s2, s33, s2
	s_sub_u32 s11, s50, s2
	s_cselect_b64 s[2:3], -1, 0
	s_cmp_lg_u64 s[2:3], 0
	s_subb_u32 s10, s55, s10
	s_sub_u32 s12, s11, s33
	s_cselect_b64 s[2:3], -1, 0
	s_cmp_lg_u64 s[2:3], 0
	s_subb_u32 s13, s10, 0
	;; [unrolled: 4-line block ×3, first 2 shown]
	s_cmp_ge_u32 s12, s33
	s_cselect_b32 s3, -1, 0
	s_cmp_eq_u32 s13, 0
	s_cselect_b32 s3, s3, -1
	s_cmp_lg_u32 s3, 0
	s_cselect_b32 s2, s2, s13
	s_cselect_b32 s12, s50, s12
	s_cmp_ge_u32 s11, s33
	s_cselect_b32 s3, -1, 0
	s_cmp_eq_u32 s10, 0
	s_cselect_b32 s3, s3, -1
	s_cmp_lg_u32 s3, 0
	s_cselect_b32 s3, s2, s10
	s_cselect_b32 s2, s12, s11
	s_mov_b64 s[10:11], 0
	s_branch .LBB201_467
.LBB201_466:                            ;   in Loop: Header=BB201_31 Depth=1
	s_mov_b64 s[10:11], -1
                                        ; implicit-def: $sgpr2_sgpr3
.LBB201_467:                            ;   in Loop: Header=BB201_31 Depth=1
	s_andn2_b64 vcc, exec, s[10:11]
	s_cbranch_vccnz .LBB201_469
; %bb.468:                              ;   in Loop: Header=BB201_31 Depth=1
	v_cvt_f32_u32_e32 v4, s33
	s_sub_i32 s2, 0, s33
	v_readlane_b32 s10, v54, 29
	v_rcp_iflag_f32_e32 v4, v4
	v_mul_f32_e32 v4, 0x4f7ffffe, v4
	v_cvt_u32_f32_e32 v4, v4
	v_readfirstlane_b32 s3, v4
	s_mul_i32 s2, s2, s3
	s_mul_hi_u32 s2, s3, s2
	s_add_i32 s3, s3, s2
	s_mul_hi_u32 s2, s10, s3
	s_mul_i32 s2, s2, s33
	s_sub_i32 s2, s10, s2
	s_sub_i32 s3, s2, s33
	s_cmp_ge_u32 s2, s33
	s_cselect_b32 s2, s3, s2
	s_sub_i32 s3, s2, s33
	s_cmp_ge_u32 s2, s33
	s_cselect_b32 s86, s3, s2
	s_mov_b64 s[2:3], s[86:87]
.LBB201_469:                            ;   in Loop: Header=BB201_31 Depth=1
	v_readlane_b32 s10, v54, 29
	v_readlane_b32 s12, v54, 31
	s_sub_u32 s10, s10, s2
	v_readlane_b32 s13, v54, 32
	s_subb_u32 s11, s13, s3
	v_cmp_gt_u64_e32 vcc, s[10:11], v[0:1]
                                        ; implicit-def: $vgpr28
	s_and_saveexec_b64 s[2:3], vcc
	s_cbranch_execz .LBB201_479
; %bb.470:                              ;   in Loop: Header=BB201_31 Depth=1
	v_mov_b32_e32 v4, v24
	v_mov_b32_e32 v7, v1
	s_mov_b64 s[12:13], 0
	v_mov_b32_e32 v5, v25
	v_mov_b32_e32 v6, v0
                                        ; implicit-def: $sgpr50_sgpr51
	s_branch .LBB201_474
.LBB201_471:                            ;   in Loop: Header=BB201_474 Depth=2
	s_or_b64 exec, exec, s[52:53]
	s_waitcnt lgkmcnt(0)
	s_barrier
	ds_read_b64 v[27:28], v13 offset:3072
	s_waitcnt lgkmcnt(0)
	s_barrier
	v_cmp_eq_f32_e32 vcc, 0, v27
	s_cbranch_vccz .LBB201_477
; %bb.472:                              ;   in Loop: Header=BB201_474 Depth=2
	v_add_co_u32_e32 v6, vcc, s33, v6
	v_addc_co_u32_e32 v7, vcc, 0, v7, vcc
	v_mov_b32_e32 v8, s65
	v_add_co_u32_e32 v4, vcc, s64, v4
	v_addc_co_u32_e32 v5, vcc, v5, v8, vcc
	v_cmp_le_u64_e32 vcc, s[10:11], v[6:7]
	s_mov_b64 s[52:53], 0
	s_orn2_b64 s[54:55], vcc, exec
.LBB201_473:                            ;   in Loop: Header=BB201_474 Depth=2
	s_and_b64 s[54:55], exec, s[54:55]
	s_or_b64 s[12:13], s[54:55], s[12:13]
	s_andn2_b64 s[50:51], s[50:51], exec
	s_and_b64 s[52:53], s[52:53], exec
	s_or_b64 s[50:51], s[50:51], s[52:53]
	s_andn2_b64 exec, exec, s[12:13]
	s_cbranch_execz .LBB201_478
.LBB201_474:                            ;   Parent Loop BB201_31 Depth=1
                                        ; =>  This Inner Loop Header: Depth=2
	v_cmp_gt_u64_e32 vcc, s[60:61], v[6:7]
	s_and_saveexec_b64 s[52:53], vcc
	s_cbranch_execz .LBB201_471
; %bb.475:                              ;   in Loop: Header=BB201_474 Depth=2
	global_load_dword v27, v[4:5], off
	s_waitcnt vmcnt(0)
	v_cmp_lt_i32_e32 vcc, -1, v27
	v_cndmask_b32_e32 v8, -1, v50, vcc
	v_xor_b32_e32 v8, v8, v27
	v_cmp_o_f32_e32 vcc, v27, v27
	v_cndmask_b32_e32 v8, -1, v8, vcc
	v_and_b32_e32 v8, v8, v52
	v_cmp_eq_u32_e32 vcc, v8, v48
	s_and_b64 exec, exec, vcc
	s_cbranch_execz .LBB201_471
; %bb.476:                              ;   in Loop: Header=BB201_474 Depth=2
	ds_write_b64 v13, v[26:27] offset:3072
	s_branch .LBB201_471
.LBB201_477:                            ;   in Loop: Header=BB201_474 Depth=2
	s_mov_b64 s[54:55], -1
                                        ; implicit-def: $vgpr6_vgpr7
                                        ; implicit-def: $vgpr4_vgpr5
	s_mov_b64 s[52:53], -1
	s_branch .LBB201_473
.LBB201_478:                            ;   in Loop: Header=BB201_31 Depth=1
	s_or_b64 exec, exec, s[12:13]
	s_andn2_b64 s[0:1], s[0:1], exec
	s_and_b64 s[10:11], s[50:51], exec
	s_or_b64 s[0:1], s[0:1], s[10:11]
.LBB201_479:                            ;   in Loop: Header=BB201_31 Depth=1
	s_or_b64 exec, exec, s[2:3]
	s_mov_b64 s[50:51], 0
	s_mov_b64 s[52:53], -1
.LBB201_480:                            ;   in Loop: Header=BB201_31 Depth=1
	s_orn2_b64 s[2:3], s[0:1], exec
.LBB201_481:                            ;   in Loop: Header=BB201_31 Depth=1
	s_or_b64 exec, exec, s[48:49]
	s_mov_b64 s[10:11], 0
	s_and_saveexec_b64 s[0:1], s[2:3]
	s_cbranch_execz .LBB201_492
; %bb.482:                              ;   in Loop: Header=BB201_31 Depth=1
	v_mov_b32_e32 v4, 1
	s_xor_b64 s[10:11], s[46:47], -1
	v_mov_b32_e32 v5, 0
	v_mov_b32_e32 v12, 1
	s_and_saveexec_b64 s[2:3], s[10:11]
	s_cbranch_execz .LBB201_491
; %bb.483:                              ;   in Loop: Header=BB201_31 Depth=1
	v_cmp_ge_u64_e32 vcc, s[16:17], v[2:3]
	s_and_saveexec_b64 s[10:11], vcc
	s_xor_b64 s[10:11], exec, s[10:11]
	s_cbranch_execz .LBB201_488
; %bb.484:                              ;   in Loop: Header=BB201_31 Depth=1
	ds_read_b64 v[4:5], v13 offset:5120
	v_and_b32_e32 v48, s94, v48
	v_or_b32_e32 v52, s67, v52
	s_waitcnt lgkmcnt(0)
	v_cmp_ne_u64_e32 vcc, 0, v[4:5]
	s_cbranch_vccnz .LBB201_488
; %bb.485:                              ;   in Loop: Header=BB201_31 Depth=1
	s_mov_b64 s[12:13], exec
	v_readlane_b32 s46, v54, 10
	v_readlane_b32 s47, v54, 11
	s_and_b64 s[46:47], s[12:13], s[46:47]
	s_mov_b64 exec, s[46:47]
; %bb.486:                              ;   in Loop: Header=BB201_31 Depth=1
	v_mov_b32_e32 v4, s16
	v_mov_b32_e32 v5, s17
	ds_write_b64 v13, v[4:5] offset:5128
; %bb.487:                              ;   in Loop: Header=BB201_31 Depth=1
	s_or_b64 exec, exec, s[12:13]
	s_waitcnt lgkmcnt(0)
	s_barrier
.LBB201_488:                            ;   in Loop: Header=BB201_31 Depth=1
	s_andn2_saveexec_b64 s[10:11], s[10:11]
; %bb.489:                              ;   in Loop: Header=BB201_31 Depth=1
	v_mov_b32_e32 v4, s17
	v_subrev_co_u32_e32 v2, vcc, s16, v2
	v_subb_co_u32_e32 v3, vcc, v3, v4, vcc
; %bb.490:                              ;   in Loop: Header=BB201_31 Depth=1
	s_or_b64 exec, exec, s[10:11]
	v_mov_b32_e32 v5, v3
	v_mov_b32_e32 v12, 5
	;; [unrolled: 1-line block ×3, first 2 shown]
.LBB201_491:                            ;   in Loop: Header=BB201_31 Depth=1
	s_or_b64 exec, exec, s[2:3]
	v_mov_b32_e32 v2, v4
	s_mov_b64 s[10:11], exec
	v_mov_b32_e32 v3, v5
.LBB201_492:                            ;   in Loop: Header=BB201_31 Depth=1
	s_or_b64 exec, exec, s[0:1]
	s_orn2_b64 s[0:1], s[10:11], exec
.LBB201_493:                            ;   in Loop: Header=BB201_31 Depth=1
	s_or_b64 exec, exec, s[20:21]
	s_andn2_b64 s[2:3], s[42:43], exec
	s_and_b64 s[10:11], s[52:53], exec
	s_or_b64 s[42:43], s[2:3], s[10:11]
	s_andn2_b64 s[2:3], s[40:41], exec
	s_and_b64 s[10:11], s[50:51], exec
	v_mov_b32_e32 v5, v3
	s_or_b64 s[40:41], s[2:3], s[10:11]
	s_and_b64 s[2:3], s[0:1], exec
	v_mov_b32_e32 v4, v2
.LBB201_494:                            ;   in Loop: Header=BB201_31 Depth=1
	s_or_b64 exec, exec, s[44:45]
	s_orn2_b64 s[0:1], s[2:3], exec
.LBB201_495:                            ;   in Loop: Header=BB201_31 Depth=1
	s_or_b64 exec, exec, s[22:23]
	s_andn2_b64 s[2:3], s[36:37], exec
	s_and_b64 s[10:11], s[42:43], exec
	s_or_b64 s[36:37], s[2:3], s[10:11]
	s_andn2_b64 s[2:3], s[24:25], exec
	s_and_b64 s[10:11], s[40:41], exec
	v_mov_b32_e32 v2, v4
	s_or_b64 s[24:25], s[2:3], s[10:11]
	s_and_b64 s[2:3], s[0:1], exec
	v_mov_b32_e32 v3, v5
.LBB201_496:                            ;   in Loop: Header=BB201_31 Depth=1
	s_or_b64 exec, exec, s[38:39]
	s_orn2_b64 s[0:1], s[2:3], exec
.LBB201_497:                            ;   in Loop: Header=BB201_31 Depth=1
	s_or_b64 exec, exec, s[6:7]
	s_mov_b64 s[2:3], s[28:29]
	s_mov_b64 s[6:7], s[26:27]
	s_and_saveexec_b64 s[10:11], s[0:1]
; %bb.498:                              ;   in Loop: Header=BB201_31 Depth=1
	v_cmp_ne_u32_e64 s[6:7], 5, v12
	v_cmp_eq_u32_e32 vcc, 5, v12
	s_andn2_b64 s[0:1], s[26:27], exec
	s_and_b64 s[2:3], s[6:7], exec
	s_or_b64 s[6:7], s[0:1], s[2:3]
	s_andn2_b64 s[0:1], s[28:29], exec
	s_and_b64 s[2:3], vcc, exec
	s_or_b64 s[2:3], s[0:1], s[2:3]
; %bb.499:                              ;   in Loop: Header=BB201_31 Depth=1
	s_or_b64 exec, exec, s[10:11]
	s_andn2_b64 s[0:1], s[14:15], exec
	s_and_b64 s[10:11], s[36:37], exec
	s_or_b64 s[14:15], s[0:1], s[10:11]
	s_andn2_b64 s[0:1], s[18:19], exec
	s_and_b64 s[10:11], s[24:25], exec
	s_or_b64 s[18:19], s[0:1], s[10:11]
	s_andn2_b64 s[0:1], s[26:27], exec
	s_and_b64 s[6:7], s[6:7], exec
	s_or_b64 s[26:27], s[0:1], s[6:7]
	s_andn2_b64 s[0:1], s[28:29], exec
	s_and_b64 s[2:3], s[2:3], exec
	s_or_b64 s[28:29], s[0:1], s[2:3]
.LBB201_500:                            ;   in Loop: Header=BB201_31 Depth=1
	s_or_b64 exec, exec, s[34:35]
	s_mov_b64 s[34:35], 0
	s_mov_b64 s[36:37], 0
	s_and_saveexec_b64 s[0:1], s[28:29]
.LBB201_501:                            ;   in Loop: Header=BB201_31 Depth=1
	v_mov_b32_e32 v12, 0
	s_or_b64 s[26:27], s[26:27], exec
.LBB201_502:                            ;   in Loop: Header=BB201_31 Depth=1
	s_or_b64 exec, exec, s[0:1]
	s_andn2_b64 s[0:1], s[82:83], exec
	s_and_b64 s[6:7], s[14:15], exec
	s_or_b64 s[10:11], s[0:1], s[6:7]
	v_readlane_b32 s0, v54, 57
	v_readlane_b32 s1, v54, 58
	s_andn2_b64 s[0:1], s[0:1], exec
	s_and_b64 s[6:7], s[18:19], exec
	s_or_b64 s[18:19], s[0:1], s[6:7]
	v_readlane_b32 s0, v54, 59
	v_readlane_b32 s1, v54, 60
	;; [unrolled: 5-line block ×3, first 2 shown]
	s_andn2_b64 s[0:1], s[0:1], exec
	s_and_b64 s[6:7], s[34:35], exec
	v_mov_b32_e32 v30, v3
	s_mov_b64 s[2:3], -1
	s_andn2_b64 s[22:23], s[84:85], exec
	s_or_b64 s[14:15], s[0:1], s[6:7]
	v_mov_b32_e32 v29, v2
	s_and_saveexec_b64 s[0:1], s[26:27]
	v_readlane_b32 s24, v54, 49
	s_xor_b64 s[0:1], exec, s[0:1]
	v_readlane_b32 s25, v54, 50
	s_cbranch_execz .LBB201_30
; %bb.503:                              ;   in Loop: Header=BB201_31 Depth=1
	s_mov_b64 s[20:21], s[10:11]
	v_cmp_eq_u32_e32 vcc, 0, v12
	s_mov_b64 s[6:7], -1
	s_and_saveexec_b64 s[10:11], vcc
	s_cbranch_execz .LBB201_29
; %bb.504:                              ;   in Loop: Header=BB201_31 Depth=1
	v_readlane_b32 s2, v54, 48
	s_xor_b32 s2, s2, 1
	s_add_i32 s12, s66, -2
	s_cmp_eq_u32 s66, 0
	v_writelane_b32 v54, s2, 48
	s_cselect_b64 s[2:3], -1, 0
	s_xor_b64 s[6:7], exec, -1
	s_orn2_b64 s[2:3], s[2:3], exec
	s_mov_b32 s66, s12
	s_branch .LBB201_29
.LBB201_505:
	s_or_b64 exec, exec, s[68:69]
	v_readlane_b32 s0, v54, 53
	v_readlane_b32 s1, v54, 54
	s_xor_b64 s[10:11], s[0:1], -1
	v_readlane_b32 s0, v54, 55
	v_readlane_b32 s1, v54, 56
	s_xor_b64 s[2:3], s[8:9], -1
	s_xor_b64 s[8:9], s[0:1], -1
	v_readlane_b32 s0, v54, 51
	v_readlane_b32 s1, v54, 52
	s_xor_b64 s[6:7], s[30:31], -1
	s_xor_b64 s[0:1], s[0:1], -1
	s_mov_b64 s[4:5], 0
	s_and_saveexec_b64 s[12:13], s[8:9]
	s_xor_b64 s[8:9], exec, s[12:13]
	s_cbranch_execnz .LBB201_510
; %bb.506:
	s_andn2_saveexec_b64 s[0:1], s[8:9]
	s_cbranch_execnz .LBB201_529
.LBB201_507:
	s_or_b64 exec, exec, s[0:1]
	s_and_saveexec_b64 s[0:1], s[4:5]
.LBB201_508:
	; divergent unreachable
.LBB201_509:
	s_endpgm
.LBB201_510:
	s_and_saveexec_b64 s[12:13], s[10:11]
	s_xor_b64 s[10:11], exec, s[12:13]
	s_cbranch_execz .LBB201_527
; %bb.511:
	s_and_saveexec_b64 s[12:13], s[6:7]
	s_xor_b64 s[12:13], exec, s[12:13]
	s_cbranch_execz .LBB201_525
; %bb.512:
	;; [unrolled: 4-line block ×3, first 2 shown]
	s_and_saveexec_b64 s[2:3], s[0:1]
	s_xor_b64 s[0:1], exec, s[2:3]
; %bb.514:
	v_bfrev_b32_e32 v2, 1
	v_cmp_lt_i32_e32 vcc, -1, v48
	v_cndmask_b32_e64 v2, v2, -1, vcc
	v_xor_b32_e32 v28, v2, v48
; %bb.515:
	s_or_b64 exec, exec, s[0:1]
	s_mov_b64 s[0:1], exec
	v_readlane_b32 s2, v54, 10
	v_readlane_b32 s3, v54, 11
	;; [unrolled: 1-line block ×4, first 2 shown]
	s_and_b64 s[2:3], s[0:1], s[2:3]
	v_readlane_b32 s43, v54, 45
	v_readlane_b32 s45, v54, 15
	s_mov_b64 exec, s[2:3]
; %bb.516:
	v_mov_b32_e32 v2, 0
	v_mov_b32_e32 v3, v2
	ds_write_b64 v2, v[2:3] offset:5136
; %bb.517:
	s_or_b64 exec, exec, s[0:1]
	v_mov_b32_e32 v18, 0
	s_waitcnt lgkmcnt(0)
	s_barrier
	s_mov_b64 s[0:1], exec
	v_readlane_b32 s2, v54, 22
	v_readlane_b32 s3, v54, 23
	s_and_b64 s[2:3], s[0:1], s[2:3]
	s_mov_b64 exec, s[2:3]
	s_cbranch_execz .LBB201_519
; %bb.518:
	global_load_dword v18, v[10:11], off
.LBB201_519:
	s_or_b64 exec, exec, s[0:1]
	v_readlane_b32 s2, v54, 2
	s_add_u32 s0, s60, 63
	v_readlane_b32 s3, v54, 3
	v_readlane_b32 s4, v54, 0
	s_addc_u32 s17, s61, 0
	s_and_b32 s16, s0, 0xffffffc0
	v_readlane_b32 s5, v54, 1
	s_mul_i32 s0, s4, s3
	s_mul_hi_u32 s1, s4, s2
	s_add_i32 s0, s1, s0
	s_mul_i32 s1, s5, s2
	s_add_i32 s1, s0, s1
	s_mul_i32 s0, s4, s2
	v_readlane_b32 s4, v54, 4
	v_readlane_b32 s5, v54, 5
	s_mul_i32 s2, s4, s79
	s_mul_hi_u32 s3, s4, s78
	s_add_i32 s2, s3, s2
	s_mul_i32 s3, s5, s78
	s_add_i32 s3, s2, s3
	s_mul_i32 s2, s4, s78
	s_lshl_b64 s[0:1], s[0:1], 2
	v_readlane_b32 s4, v54, 6
	v_readlane_b32 s5, v54, 7
	s_add_u32 s4, s4, s0
	s_addc_u32 s5, s5, s1
	s_lshl_b64 s[0:1], s[56:57], 2
	s_add_u32 s36, s4, s0
	s_addc_u32 s37, s5, s1
	s_lshl_b64 s[0:1], s[2:3], 3
	v_readlane_b32 s2, v54, 8
	v_readlane_b32 s3, v54, 9
	s_add_u32 s2, s2, s0
	s_addc_u32 s3, s3, s1
	s_lshl_b64 s[0:1], s[74:75], 3
	s_add_u32 s38, s2, s0
	s_addc_u32 s39, s3, s1
	v_readlane_b32 s0, v54, 12
	v_readlane_b32 s1, v54, 13
	v_bfrev_b32_e32 v17, 1
	v_cmp_lt_i32_e32 vcc, -1, v28
	s_load_dwordx2 s[18:19], s[0:1], 0x368
	s_load_dwordx2 s[20:21], s[0:1], 0x510
	v_cndmask_b32_e32 v2, -1, v17, vcc
	v_xor_b32_e32 v2, v2, v28
	v_cmp_o_f32_e32 vcc, v28, v28
	v_cndmask_b32_e32 v16, -1, v2, vcc
	v_cmp_gt_u64_e32 vcc, s[16:17], v[0:1]
	s_mov_b64 s[6:7], -1
	s_mov_b64 s[2:3], 0
	s_mov_b64 s[0:1], 0
	s_and_saveexec_b64 s[22:23], vcc
	s_cbranch_execnz .LBB201_530
; %bb.520:
	s_or_b64 exec, exec, s[22:23]
	s_and_saveexec_b64 s[4:5], s[6:7]
	s_cbranch_execnz .LBB201_547
.LBB201_521:
	s_or_b64 exec, exec, s[4:5]
	s_and_saveexec_b64 s[4:5], s[0:1]
	s_xor_b64 s[0:1], exec, s[4:5]
	s_cbranch_execnz .LBB201_570
.LBB201_522:
	s_or_b64 exec, exec, s[0:1]
	s_and_b64 s[4:5], s[2:3], exec
.LBB201_523:
	s_andn2_saveexec_b64 s[0:1], s[14:15]
	s_cbranch_execnz .LBB201_572
.LBB201_524:
	s_or_b64 exec, exec, s[0:1]
	s_and_b64 s[4:5], s[4:5], exec
.LBB201_525:
	s_andn2_saveexec_b64 s[0:1], s[12:13]
	s_cbranch_execnz .LBB201_571
.LBB201_526:
	s_or_b64 exec, exec, s[0:1]
	s_and_b64 s[4:5], s[4:5], exec
.LBB201_527:
	s_andn2_saveexec_b64 s[0:1], s[10:11]
	s_cbranch_execnz .LBB201_566
.LBB201_528:
	s_or_b64 exec, exec, s[0:1]
	s_and_b64 s[4:5], s[4:5], exec
	s_andn2_saveexec_b64 s[0:1], s[8:9]
	s_cbranch_execz .LBB201_507
.LBB201_529:
	s_or_b64 s[4:5], s[4:5], exec
	s_trap 2
	s_or_b64 exec, exec, s[0:1]
	s_and_saveexec_b64 s[0:1], s[4:5]
	s_cbranch_execnz .LBB201_508
	s_branch .LBB201_509
.LBB201_530:
	v_add_u32_e32 v4, s33, v0
	v_mad_u64_u32 v[2:3], s[0:1], s58, v4, 0
	s_add_u32 s4, s42, s72
	v_readlane_b32 s6, v54, 46
	v_mad_u64_u32 v[3:4], s[0:1], s59, v4, v[3:4]
	s_addc_u32 s0, s43, s73
	v_readlane_b32 s7, v54, 47
	s_add_u32 s1, s4, s6
	v_lshlrev_b64 v[2:3], 2, v[2:3]
	s_addc_u32 s0, s0, s7
	v_mov_b32_e32 v4, s0
	v_add_co_u32_e64 v2, s[4:5], s1, v2
	v_mov_b32_e32 v13, v1
	v_addc_co_u32_e64 v3, s[4:5], v4, v3, s[4:5]
	s_mov_b64 s[0:1], 0
	v_mov_b32_e32 v5, 0
	v_mov_b32_e32 v12, v0
                                        ; implicit-def: $sgpr24_sgpr25
                                        ; implicit-def: $vgpr8_vgpr9
	s_branch .LBB201_532
.LBB201_531:                            ;   in Loop: Header=BB201_532 Depth=1
	s_or_b64 exec, exec, s[26:27]
	s_xor_b64 s[4:5], s[28:29], -1
	s_and_b64 s[6:7], exec, s[6:7]
	s_or_b64 s[0:1], s[6:7], s[0:1]
	s_andn2_b64 s[6:7], s[24:25], exec
	s_and_b64 s[4:5], s[4:5], exec
	v_mov_b32_e32 v13, v7
	s_or_b64 s[24:25], s[6:7], s[4:5]
	s_waitcnt vmcnt(0)
	v_mov_b32_e32 v18, v19
	v_mov_b32_e32 v12, v6
	s_andn2_b64 exec, exec, s[0:1]
	s_cbranch_execz .LBB201_546
.LBB201_532:                            ; =>This Inner Loop Header: Depth=1
	v_add_co_u32_e64 v6, s[4:5], s33, v12
	v_addc_co_u32_e64 v7, s[4:5], 0, v13, s[4:5]
	v_cmp_gt_u64_e64 s[4:5], s[60:61], v[6:7]
	v_mov_b32_e32 v19, 0
	s_and_saveexec_b64 s[6:7], s[4:5]
	s_cbranch_execz .LBB201_534
; %bb.533:                              ;   in Loop: Header=BB201_532 Depth=1
	global_load_dword v19, v[2:3], off
.LBB201_534:                            ;   in Loop: Header=BB201_532 Depth=1
	s_or_b64 exec, exec, s[6:7]
	v_cmp_gt_u64_e64 s[4:5], s[60:61], v[12:13]
	s_mov_b64 s[26:27], 0
	s_and_saveexec_b64 s[6:7], s[4:5]
	s_cbranch_execz .LBB201_536
; %bb.535:                              ;   in Loop: Header=BB201_532 Depth=1
	s_waitcnt vmcnt(0)
	v_cmp_lt_i32_e64 s[4:5], -1, v18
	v_cndmask_b32_e64 v4, -1, v17, s[4:5]
	v_xor_b32_e32 v4, v4, v18
	v_cmp_o_f32_e64 s[4:5], v18, v18
	v_cndmask_b32_e64 v4, -1, v4, s[4:5]
	v_cmp_gt_u32_e64 s[4:5], v4, v16
	v_cndmask_b32_e64 v14, 0, 1, s[4:5]
	v_cmp_lt_u32_e64 s[4:5], v4, v16
	v_cndmask_b32_e64 v4, 0, 1, s[4:5]
	v_cndmask_b32_e64 v4, v4, v14, s[44:45]
	v_and_b32_e32 v4, 1, v4
	v_cmp_eq_u32_e64 s[4:5], 1, v4
	s_and_b64 s[26:27], s[4:5], exec
.LBB201_536:                            ;   in Loop: Header=BB201_532 Depth=1
	s_or_b64 exec, exec, s[6:7]
	v_cndmask_b32_e64 v4, 0, 1, s[26:27]
	v_cmp_ne_u32_e64 s[4:5], 0, v4
	s_cmp_lg_u64 s[4:5], 0
	s_cselect_b64 s[6:7], -1, 0
	s_and_b64 s[6:7], s[92:93], s[6:7]
	s_and_saveexec_b64 s[28:29], s[6:7]
	s_cbranch_execz .LBB201_540
; %bb.537:                              ;   in Loop: Header=BB201_532 Depth=1
	s_mov_b64 s[34:35], exec
	v_mbcnt_lo_u32_b32 v4, s34, 0
	v_mbcnt_hi_u32_b32 v14, s35, v4
	s_bcnt1_i32_b64 s40, s[4:5]
	v_cmp_eq_u32_e64 s[6:7], 0, v14
                                        ; implicit-def: $vgpr8_vgpr9
	s_and_saveexec_b64 s[30:31], s[6:7]
	s_cbranch_execz .LBB201_539
; %bb.538:                              ;   in Loop: Header=BB201_532 Depth=1
	s_bcnt1_i32_b64 s6, s[34:35]
	s_mul_i32 s6, s40, s6
	v_mov_b32_e32 v4, s6
	s_waitcnt lgkmcnt(0)
	ds_add_rtn_u64 v[8:9], v5, v[4:5] offset:5136
.LBB201_539:                            ;   in Loop: Header=BB201_532 Depth=1
	s_or_b64 exec, exec, s[30:31]
	s_waitcnt lgkmcnt(0)
	v_readfirstlane_b32 s6, v9
	v_readfirstlane_b32 s7, v8
	v_mov_b32_e32 v8, s7
	v_mov_b32_e32 v9, s6
	v_mad_u64_u32 v[8:9], s[6:7], s40, v14, v[8:9]
.LBB201_540:                            ;   in Loop: Header=BB201_532 Depth=1
	s_or_b64 exec, exec, s[28:29]
	s_waitcnt lgkmcnt(0)
	ds_bpermute_b32 v8, v41, v8
	ds_bpermute_b32 v9, v41, v9
	s_mov_b64 s[6:7], -1
	s_mov_b64 s[30:31], -1
	s_and_saveexec_b64 s[28:29], s[26:27]
	s_cbranch_execz .LBB201_544
; %bb.541:                              ;   in Loop: Header=BB201_532 Depth=1
	v_and_b32_e32 v14, s4, v43
	v_and_b32_e32 v4, s5, v42
	v_bcnt_u32_b32 v14, v14, 0
	v_bcnt_u32_b32 v4, v4, v14
	s_waitcnt lgkmcnt(0)
	v_add_co_u32_e64 v14, s[4:5], v8, v4
	v_addc_co_u32_e64 v15, s[4:5], 0, v9, s[4:5]
	v_cmp_gt_u64_e64 s[4:5], s[62:63], v[14:15]
	s_mov_b64 s[26:27], 0
	s_and_saveexec_b64 s[30:31], s[4:5]
	s_cbranch_execz .LBB201_543
; %bb.542:                              ;   in Loop: Header=BB201_532 Depth=1
	v_mul_lo_u32 v4, v15, s18
	v_mul_lo_u32 v22, v14, s19
	v_mad_u64_u32 v[20:21], s[4:5], v14, s18, 0
	v_mul_lo_u32 v23, v15, s20
	v_mul_lo_u32 v24, v14, s21
	v_mad_u64_u32 v[14:15], s[4:5], v14, s20, 0
	v_add3_u32 v21, v21, v22, v4
	v_lshlrev_b64 v[20:21], 2, v[20:21]
	v_add3_u32 v15, v15, v24, v23
	v_mov_b32_e32 v4, s37
	v_add_co_u32_e64 v20, s[4:5], s36, v20
	v_lshlrev_b64 v[14:15], 3, v[14:15]
	v_addc_co_u32_e64 v21, s[4:5], v4, v21, s[4:5]
	v_mov_b32_e32 v4, s39
	v_add_co_u32_e64 v14, s[4:5], s38, v14
	s_mov_b64 s[26:27], exec
	v_addc_co_u32_e64 v15, s[4:5], v4, v15, s[4:5]
	s_waitcnt vmcnt(0)
	global_store_dword v[20:21], v18, off
	global_store_dwordx2 v[14:15], v[12:13], off
.LBB201_543:                            ;   in Loop: Header=BB201_532 Depth=1
	s_or_b64 exec, exec, s[30:31]
	s_orn2_b64 s[30:31], s[26:27], exec
.LBB201_544:                            ;   in Loop: Header=BB201_532 Depth=1
	s_or_b64 exec, exec, s[28:29]
	s_mov_b64 s[28:29], -1
	s_and_saveexec_b64 s[26:27], s[30:31]
	s_cbranch_execz .LBB201_531
; %bb.545:                              ;   in Loop: Header=BB201_532 Depth=1
	v_mov_b32_e32 v4, s65
	v_add_co_u32_e64 v2, s[4:5], s64, v2
	v_addc_co_u32_e64 v3, s[4:5], v3, v4, s[4:5]
	v_cmp_le_u64_e64 s[4:5], s[16:17], v[6:7]
	s_xor_b64 s[28:29], exec, -1
	s_orn2_b64 s[6:7], s[4:5], exec
	s_branch .LBB201_531
.LBB201_546:
	s_or_b64 exec, exec, s[0:1]
	s_mov_b64 s[0:1], exec
	s_orn2_b64 s[6:7], s[24:25], exec
	s_or_b64 exec, exec, s[22:23]
	s_and_saveexec_b64 s[4:5], s[6:7]
	s_cbranch_execz .LBB201_521
.LBB201_547:
	v_mov_b32_e32 v13, 0
	s_waitcnt vmcnt(0) lgkmcnt(0)
	s_barrier
	s_mov_b64 s[2:3], exec
	v_readlane_b32 s6, v54, 22
	v_readlane_b32 s7, v54, 23
	s_and_b64 s[6:7], s[2:3], s[6:7]
	s_mov_b64 exec, s[6:7]
	s_cbranch_execz .LBB201_549
; %bb.548:
	global_load_dword v13, v[10:11], off
.LBB201_549:
	s_or_b64 exec, exec, s[2:3]
	s_mov_b64 s[2:3], 0
	s_and_saveexec_b64 s[6:7], vcc
	s_cbranch_execz .LBB201_569
; %bb.550:
	v_add_u32_e32 v4, s33, v0
	v_mad_u64_u32 v[2:3], s[2:3], s58, v4, 0
	s_add_u32 s22, s42, s72
	v_readlane_b32 s24, v54, 46
	v_mad_u64_u32 v[3:4], s[2:3], s59, v4, v[3:4]
	s_addc_u32 s2, s43, s73
	v_readlane_b32 s25, v54, 47
	s_add_u32 s3, s22, s24
	v_lshlrev_b64 v[2:3], 2, v[2:3]
	s_addc_u32 s2, s2, s25
	v_mov_b32_e32 v4, s2
	v_add_co_u32_e32 v2, vcc, s3, v2
	v_addc_co_u32_e32 v3, vcc, v4, v3, vcc
	s_mov_b64 s[22:23], 0
	v_bfrev_b32_e32 v12, 1
	v_mov_b32_e32 v5, 0
                                        ; implicit-def: $sgpr24_sgpr25
                                        ; implicit-def: $vgpr8_vgpr9
	s_branch .LBB201_553
.LBB201_551:                            ;   in Loop: Header=BB201_553 Depth=1
	s_or_b64 exec, exec, s[28:29]
	s_orn2_b64 s[30:31], s[34:35], exec
	s_orn2_b64 s[28:29], s[26:27], exec
.LBB201_552:                            ;   in Loop: Header=BB201_553 Depth=1
	s_or_b64 exec, exec, s[2:3]
	s_xor_b64 s[2:3], s[30:31], -1
	s_and_b64 s[26:27], exec, s[28:29]
	s_or_b64 s[22:23], s[26:27], s[22:23]
	s_andn2_b64 s[24:25], s[24:25], exec
	s_and_b64 s[2:3], s[2:3], exec
	v_mov_b32_e32 v0, v6
	s_or_b64 s[24:25], s[24:25], s[2:3]
	v_mov_b32_e32 v1, v7
	v_mov_b32_e32 v13, v14
	s_andn2_b64 exec, exec, s[22:23]
	s_cbranch_execz .LBB201_567
.LBB201_553:                            ; =>This Inner Loop Header: Depth=1
	v_add_co_u32_e32 v6, vcc, s33, v0
	v_addc_co_u32_e32 v7, vcc, 0, v1, vcc
	v_cmp_gt_u64_e32 vcc, s[60:61], v[6:7]
	v_mov_b32_e32 v14, 0
	s_and_saveexec_b64 s[2:3], vcc
	s_cbranch_execz .LBB201_555
; %bb.554:                              ;   in Loop: Header=BB201_553 Depth=1
	global_load_dword v14, v[2:3], off
.LBB201_555:                            ;   in Loop: Header=BB201_553 Depth=1
	s_or_b64 exec, exec, s[2:3]
	s_waitcnt vmcnt(0)
	v_cmp_lt_i32_e64 s[2:3], -1, v13
	v_cndmask_b32_e64 v4, -1, v12, s[2:3]
	v_xor_b32_e32 v4, v4, v13
	v_cmp_o_f32_e64 s[2:3], v13, v13
	v_cmp_gt_u64_e32 vcc, s[60:61], v[0:1]
	v_cndmask_b32_e64 v4, -1, v4, s[2:3]
	v_cmp_eq_u32_e64 s[2:3], v4, v16
	s_and_b64 s[26:27], vcc, s[2:3]
	v_cndmask_b32_e64 v4, 0, 1, s[26:27]
	v_cmp_ne_u32_e32 vcc, 0, v4
	s_cmp_lg_u64 vcc, 0
	s_cselect_b64 s[2:3], -1, 0
	s_and_b64 s[2:3], s[92:93], s[2:3]
	s_and_saveexec_b64 s[28:29], s[2:3]
	s_cbranch_execz .LBB201_559
; %bb.556:                              ;   in Loop: Header=BB201_553 Depth=1
	s_mov_b64 s[34:35], exec
	v_mbcnt_lo_u32_b32 v4, s34, 0
	v_mbcnt_hi_u32_b32 v10, s35, v4
	s_bcnt1_i32_b64 s40, vcc
	v_cmp_eq_u32_e64 s[2:3], 0, v10
                                        ; implicit-def: $vgpr8_vgpr9
	s_and_saveexec_b64 s[30:31], s[2:3]
; %bb.557:                              ;   in Loop: Header=BB201_553 Depth=1
	s_bcnt1_i32_b64 s2, s[34:35]
	s_mul_i32 s2, s40, s2
	v_mov_b32_e32 v4, s2
	ds_add_rtn_u64 v[8:9], v5, v[4:5] offset:5136
; %bb.558:                              ;   in Loop: Header=BB201_553 Depth=1
	s_or_b64 exec, exec, s[30:31]
	s_waitcnt lgkmcnt(0)
	v_readfirstlane_b32 s2, v9
	v_readfirstlane_b32 s3, v8
	v_mov_b32_e32 v8, s3
	v_mov_b32_e32 v9, s2
	v_mad_u64_u32 v[8:9], s[2:3], s40, v10, v[8:9]
.LBB201_559:                            ;   in Loop: Header=BB201_553 Depth=1
	s_or_b64 exec, exec, s[28:29]
	ds_bpermute_b32 v8, v41, v8
	ds_bpermute_b32 v9, v41, v9
	s_cmp_eq_u64 vcc, 0
	s_cselect_b64 s[30:31], -1, 0
	s_mov_b64 s[28:29], -1
	s_waitcnt lgkmcnt(0)
	v_cmp_gt_u64_e64 s[2:3], s[62:63], v[8:9]
	s_or_b64 s[34:35], s[30:31], s[2:3]
	s_mov_b64 s[30:31], -1
	s_and_saveexec_b64 s[2:3], s[34:35]
	s_cbranch_execz .LBB201_552
; %bb.560:                              ;   in Loop: Header=BB201_553 Depth=1
	v_and_b32_e32 v10, vcc_lo, v43
	v_and_b32_e32 v4, vcc_hi, v42
	v_bcnt_u32_b32 v10, v10, 0
	v_bcnt_u32_b32 v4, v4, v10
	v_mov_b32_e32 v11, s63
	v_sub_co_u32_e32 v10, vcc, s62, v8
	v_subb_co_u32_e32 v11, vcc, v11, v9, vcc
	v_cmp_gt_u64_e32 vcc, v[10:11], v[4:5]
	s_mov_b64 s[34:35], -1
	s_and_b64 s[40:41], s[26:27], vcc
	s_mov_b64 s[26:27], -1
	s_and_saveexec_b64 s[28:29], s[40:41]
	s_cbranch_execz .LBB201_564
; %bb.561:                              ;   in Loop: Header=BB201_553 Depth=1
	v_add_co_u32_e32 v10, vcc, v8, v4
	v_addc_co_u32_e32 v11, vcc, 0, v9, vcc
	v_cmp_gt_u64_e32 vcc, s[62:63], v[10:11]
	s_mov_b64 s[30:31], 0
	s_and_saveexec_b64 s[34:35], vcc
; %bb.562:                              ;   in Loop: Header=BB201_553 Depth=1
	v_mul_lo_u32 v4, v11, s18
	v_mul_lo_u32 v15, v10, s19
	v_mad_u64_u32 v[17:18], s[40:41], v10, s18, 0
	v_mul_lo_u32 v19, v11, s20
	v_mul_lo_u32 v20, v10, s21
	v_mad_u64_u32 v[10:11], s[40:41], v10, s20, 0
	v_add3_u32 v18, v18, v15, v4
	v_lshlrev_b64 v[17:18], 2, v[17:18]
	v_add3_u32 v11, v11, v20, v19
	v_mov_b32_e32 v4, s37
	v_add_co_u32_e32 v17, vcc, s36, v17
	v_lshlrev_b64 v[10:11], 3, v[10:11]
	v_addc_co_u32_e32 v18, vcc, v4, v18, vcc
	v_mov_b32_e32 v4, s39
	v_add_co_u32_e32 v10, vcc, s38, v10
	s_mov_b64 s[30:31], exec
	v_addc_co_u32_e32 v11, vcc, v4, v11, vcc
	global_store_dword v[17:18], v13, off
	global_store_dwordx2 v[10:11], v[0:1], off
; %bb.563:                              ;   in Loop: Header=BB201_553 Depth=1
	s_or_b64 exec, exec, s[34:35]
	s_xor_b64 s[34:35], exec, -1
	s_orn2_b64 s[30:31], s[30:31], exec
.LBB201_564:                            ;   in Loop: Header=BB201_553 Depth=1
	s_or_b64 exec, exec, s[28:29]
	s_and_saveexec_b64 s[28:29], s[30:31]
	s_cbranch_execz .LBB201_551
; %bb.565:                              ;   in Loop: Header=BB201_553 Depth=1
	v_mov_b32_e32 v0, s65
	v_add_co_u32_e32 v2, vcc, s64, v2
	v_addc_co_u32_e32 v3, vcc, v3, v0, vcc
	v_cmp_le_u64_e32 vcc, s[16:17], v[6:7]
	s_or_b64 s[34:35], s[34:35], exec
	s_orn2_b64 s[26:27], vcc, exec
	s_branch .LBB201_551
.LBB201_566:
	s_or_b64 s[4:5], s[4:5], exec
	s_trap 2
	s_branch .LBB201_528
.LBB201_567:
	s_or_b64 exec, exec, s[22:23]
	s_mov_b64 s[2:3], 0
	s_and_saveexec_b64 s[16:17], s[24:25]
	s_xor_b64 s[16:17], exec, s[16:17]
	s_cbranch_execnz .LBB201_573
.LBB201_568:
	s_or_b64 exec, exec, s[16:17]
	s_and_b64 s[2:3], s[2:3], exec
.LBB201_569:
	s_or_b64 exec, exec, s[6:7]
	s_and_b64 s[2:3], s[2:3], exec
	s_andn2_b64 s[0:1], s[0:1], exec
	s_or_b64 exec, exec, s[4:5]
	s_and_saveexec_b64 s[4:5], s[0:1]
	s_xor_b64 s[0:1], exec, s[4:5]
	s_cbranch_execz .LBB201_522
.LBB201_570:
	s_trap 2
	s_or_b64 s[2:3], s[2:3], exec
	s_branch .LBB201_522
.LBB201_571:
	s_or_b64 s[4:5], s[4:5], exec
	s_trap 2
	s_branch .LBB201_526
.LBB201_572:
	s_trap 2
	s_or_b64 s[4:5], s[4:5], exec
	s_branch .LBB201_524
.LBB201_573:
	s_mov_b64 s[2:3], exec
	s_trap 2
	s_branch .LBB201_568
	.section	.rodata,"a",@progbits
	.p2align	6, 0x0
	.amdhsa_kernel _ZN2at6native6sbtopk10gatherTopKIfmLin1ELb0EEEvNS_4cuda6detail10TensorInfoIKT_T0_EES8_S8_bS8_S8_NS5_IS6_S8_EES8_NS5_IlS8_EES8_PS6_
		.amdhsa_group_segment_fixed_size 5152
		.amdhsa_private_segment_fixed_size 0
		.amdhsa_kernarg_size 1568
		.amdhsa_user_sgpr_count 6
		.amdhsa_user_sgpr_private_segment_buffer 1
		.amdhsa_user_sgpr_dispatch_ptr 0
		.amdhsa_user_sgpr_queue_ptr 0
		.amdhsa_user_sgpr_kernarg_segment_ptr 1
		.amdhsa_user_sgpr_dispatch_id 0
		.amdhsa_user_sgpr_flat_scratch_init 0
		.amdhsa_user_sgpr_private_segment_size 0
		.amdhsa_uses_dynamic_stack 0
		.amdhsa_system_sgpr_private_segment_wavefront_offset 0
		.amdhsa_system_sgpr_workgroup_id_x 1
		.amdhsa_system_sgpr_workgroup_id_y 1
		.amdhsa_system_sgpr_workgroup_id_z 1
		.amdhsa_system_sgpr_workgroup_info 0
		.amdhsa_system_vgpr_workitem_id 0
		.amdhsa_next_free_vgpr 55
		.amdhsa_next_free_sgpr 96
		.amdhsa_reserve_vcc 1
		.amdhsa_reserve_flat_scratch 0
		.amdhsa_float_round_mode_32 0
		.amdhsa_float_round_mode_16_64 0
		.amdhsa_float_denorm_mode_32 3
		.amdhsa_float_denorm_mode_16_64 3
		.amdhsa_dx10_clamp 1
		.amdhsa_ieee_mode 1
		.amdhsa_fp16_overflow 0
		.amdhsa_exception_fp_ieee_invalid_op 0
		.amdhsa_exception_fp_denorm_src 0
		.amdhsa_exception_fp_ieee_div_zero 0
		.amdhsa_exception_fp_ieee_overflow 0
		.amdhsa_exception_fp_ieee_underflow 0
		.amdhsa_exception_fp_ieee_inexact 0
		.amdhsa_exception_int_div_zero 0
	.end_amdhsa_kernel
	.section	.text._ZN2at6native6sbtopk10gatherTopKIfmLin1ELb0EEEvNS_4cuda6detail10TensorInfoIKT_T0_EES8_S8_bS8_S8_NS5_IS6_S8_EES8_NS5_IlS8_EES8_PS6_,"axG",@progbits,_ZN2at6native6sbtopk10gatherTopKIfmLin1ELb0EEEvNS_4cuda6detail10TensorInfoIKT_T0_EES8_S8_bS8_S8_NS5_IS6_S8_EES8_NS5_IlS8_EES8_PS6_,comdat
.Lfunc_end201:
	.size	_ZN2at6native6sbtopk10gatherTopKIfmLin1ELb0EEEvNS_4cuda6detail10TensorInfoIKT_T0_EES8_S8_bS8_S8_NS5_IS6_S8_EES8_NS5_IlS8_EES8_PS6_, .Lfunc_end201-_ZN2at6native6sbtopk10gatherTopKIfmLin1ELb0EEEvNS_4cuda6detail10TensorInfoIKT_T0_EES8_S8_bS8_S8_NS5_IS6_S8_EES8_NS5_IlS8_EES8_PS6_
                                        ; -- End function
	.set _ZN2at6native6sbtopk10gatherTopKIfmLin1ELb0EEEvNS_4cuda6detail10TensorInfoIKT_T0_EES8_S8_bS8_S8_NS5_IS6_S8_EES8_NS5_IlS8_EES8_PS6_.num_vgpr, 55
	.set _ZN2at6native6sbtopk10gatherTopKIfmLin1ELb0EEEvNS_4cuda6detail10TensorInfoIKT_T0_EES8_S8_bS8_S8_NS5_IS6_S8_EES8_NS5_IlS8_EES8_PS6_.num_agpr, 0
	.set _ZN2at6native6sbtopk10gatherTopKIfmLin1ELb0EEEvNS_4cuda6detail10TensorInfoIKT_T0_EES8_S8_bS8_S8_NS5_IS6_S8_EES8_NS5_IlS8_EES8_PS6_.numbered_sgpr, 96
	.set _ZN2at6native6sbtopk10gatherTopKIfmLin1ELb0EEEvNS_4cuda6detail10TensorInfoIKT_T0_EES8_S8_bS8_S8_NS5_IS6_S8_EES8_NS5_IlS8_EES8_PS6_.num_named_barrier, 0
	.set _ZN2at6native6sbtopk10gatherTopKIfmLin1ELb0EEEvNS_4cuda6detail10TensorInfoIKT_T0_EES8_S8_bS8_S8_NS5_IS6_S8_EES8_NS5_IlS8_EES8_PS6_.private_seg_size, 0
	.set _ZN2at6native6sbtopk10gatherTopKIfmLin1ELb0EEEvNS_4cuda6detail10TensorInfoIKT_T0_EES8_S8_bS8_S8_NS5_IS6_S8_EES8_NS5_IlS8_EES8_PS6_.uses_vcc, 1
	.set _ZN2at6native6sbtopk10gatherTopKIfmLin1ELb0EEEvNS_4cuda6detail10TensorInfoIKT_T0_EES8_S8_bS8_S8_NS5_IS6_S8_EES8_NS5_IlS8_EES8_PS6_.uses_flat_scratch, 0
	.set _ZN2at6native6sbtopk10gatherTopKIfmLin1ELb0EEEvNS_4cuda6detail10TensorInfoIKT_T0_EES8_S8_bS8_S8_NS5_IS6_S8_EES8_NS5_IlS8_EES8_PS6_.has_dyn_sized_stack, 0
	.set _ZN2at6native6sbtopk10gatherTopKIfmLin1ELb0EEEvNS_4cuda6detail10TensorInfoIKT_T0_EES8_S8_bS8_S8_NS5_IS6_S8_EES8_NS5_IlS8_EES8_PS6_.has_recursion, 0
	.set _ZN2at6native6sbtopk10gatherTopKIfmLin1ELb0EEEvNS_4cuda6detail10TensorInfoIKT_T0_EES8_S8_bS8_S8_NS5_IS6_S8_EES8_NS5_IlS8_EES8_PS6_.has_indirect_call, 0
	.section	.AMDGPU.csdata,"",@progbits
; Kernel info:
; codeLenInByte = 28272
; TotalNumSgprs: 100
; NumVgprs: 55
; ScratchSize: 0
; MemoryBound: 0
; FloatMode: 240
; IeeeMode: 1
; LDSByteSize: 5152 bytes/workgroup (compile time only)
; SGPRBlocks: 12
; VGPRBlocks: 13
; NumSGPRsForWavesPerEU: 100
; NumVGPRsForWavesPerEU: 55
; Occupancy: 4
; WaveLimiterHint : 1
; COMPUTE_PGM_RSRC2:SCRATCH_EN: 0
; COMPUTE_PGM_RSRC2:USER_SGPR: 6
; COMPUTE_PGM_RSRC2:TRAP_HANDLER: 0
; COMPUTE_PGM_RSRC2:TGID_X_EN: 1
; COMPUTE_PGM_RSRC2:TGID_Y_EN: 1
; COMPUTE_PGM_RSRC2:TGID_Z_EN: 1
; COMPUTE_PGM_RSRC2:TIDIG_COMP_CNT: 0
	.section	.text._ZN2at6native6mbtopk23computeBlockDigitCountsIN3c104HalfEmjLi1EEEvNS_4cuda6detail10TensorInfoIKT_T0_EEjPjjSA_iijT1_PSD_Ps,"axG",@progbits,_ZN2at6native6mbtopk23computeBlockDigitCountsIN3c104HalfEmjLi1EEEvNS_4cuda6detail10TensorInfoIKT_T0_EEjPjjSA_iijT1_PSD_Ps,comdat
	.protected	_ZN2at6native6mbtopk23computeBlockDigitCountsIN3c104HalfEmjLi1EEEvNS_4cuda6detail10TensorInfoIKT_T0_EEjPjjSA_iijT1_PSD_Ps ; -- Begin function _ZN2at6native6mbtopk23computeBlockDigitCountsIN3c104HalfEmjLi1EEEvNS_4cuda6detail10TensorInfoIKT_T0_EEjPjjSA_iijT1_PSD_Ps
	.globl	_ZN2at6native6mbtopk23computeBlockDigitCountsIN3c104HalfEmjLi1EEEvNS_4cuda6detail10TensorInfoIKT_T0_EEjPjjSA_iijT1_PSD_Ps
	.p2align	8
	.type	_ZN2at6native6mbtopk23computeBlockDigitCountsIN3c104HalfEmjLi1EEEvNS_4cuda6detail10TensorInfoIKT_T0_EEjPjjSA_iijT1_PSD_Ps,@function
_ZN2at6native6mbtopk23computeBlockDigitCountsIN3c104HalfEmjLi1EEEvNS_4cuda6detail10TensorInfoIKT_T0_EEjPjjSA_iijT1_PSD_Ps: ; @_ZN2at6native6mbtopk23computeBlockDigitCountsIN3c104HalfEmjLi1EEEvNS_4cuda6detail10TensorInfoIKT_T0_EEjPjjSA_iijT1_PSD_Ps
; %bb.0:
	s_load_dwordx4 s[0:3], s[4:5], 0x1c0
	s_load_dword s9, s[4:5], 0x1b0
	s_load_dwordx2 s[10:11], s[4:5], 0x1e0
	s_mov_b32 s13, 0
	s_waitcnt lgkmcnt(0)
	v_cvt_f32_u32_e32 v1, s2
	s_mul_i32 s8, s11, s8
	s_add_i32 s7, s8, s7
	v_rcp_iflag_f32_e32 v1, v1
	s_mul_i32 s14, s7, s10
	s_sub_i32 s11, 0, s2
	s_add_i32 s14, s14, s6
	v_mul_f32_e32 v1, 0x4f7ffffe, v1
	v_cvt_u32_f32_e32 v1, v1
	v_readfirstlane_b32 s6, v1
	s_mul_i32 s11, s11, s6
	s_mul_hi_u32 s7, s6, s11
	s_add_i32 s6, s6, s7
	s_mul_hi_u32 s6, s14, s6
	s_mul_i32 s7, s6, s2
	s_sub_i32 s7, s14, s7
	s_add_i32 s8, s6, 1
	s_sub_i32 s10, s7, s2
	s_cmp_ge_u32 s7, s2
	s_cselect_b32 s6, s8, s6
	s_cselect_b32 s7, s10, s7
	s_add_i32 s8, s6, 1
	s_cmp_ge_u32 s7, s2
	s_cselect_b32 s12, s8, s6
	s_cmp_ge_u32 s12, s9
	s_cbranch_scc1 .LBB202_21
; %bb.1:
	s_load_dwordx4 s[8:11], s[4:5], 0x1d0
	s_lshl_b64 s[6:7], s[12:13], 2
	s_movk_i32 s13, 0x100
	v_cmp_gt_u32_e32 vcc, s13, v0
	v_lshlrev_b32_e32 v1, 2, v0
	s_waitcnt lgkmcnt(0)
	s_add_u32 s8, s8, s6
	s_addc_u32 s9, s9, s7
	s_and_saveexec_b64 s[6:7], vcc
; %bb.2:
	v_mov_b32_e32 v2, 0
	ds_write_b32 v1, v2
; %bb.3:
	s_or_b64 exec, exec, s[6:7]
	s_load_dword s13, s[4:5], 0x1a0
	s_mul_i32 s6, s12, s2
	s_sub_i32 s6, s14, s6
	s_add_i32 s15, s6, 1
	s_mul_i32 s6, s1, s6
	s_lshl_b32 s16, s6, 8
	s_waitcnt lgkmcnt(0)
	s_sub_i32 s6, s13, s16
	s_add_u32 s6, s6, 0xff
	s_addc_u32 s7, 0, 0
	s_lshr_b64 s[6:7], s[6:7], 8
	s_cmp_lt_u32 s15, s2
	s_cselect_b32 s15, s1, s6
	s_cmp_lt_i32 s15, 1
	s_mov_b32 s1, 0
	s_barrier
	s_cbranch_scc1 .LBB202_19
; %bb.4:
	s_load_dwordx2 s[18:19], s[4:5], 0xd0
	s_load_dwordx2 s[6:7], s[4:5], 0x1b8
	;; [unrolled: 1-line block ×3, first 2 shown]
	s_load_dword s2, s[8:9], 0x0
	v_add_u32_e32 v2, s16, v0
	s_waitcnt lgkmcnt(0)
	s_mul_i32 s4, s19, s12
	s_mul_hi_u32 s5, s18, s12
	s_add_i32 s5, s5, s4
	s_mul_i32 s4, s18, s12
	s_lshl_b64 s[4:5], s[4:5], 1
	s_add_u32 s9, s20, s4
	s_addc_u32 s12, s21, s5
	s_and_b32 s8, s0, 0xff
	s_cmp_eq_u32 s15, 1
	s_cbranch_scc1 .LBB202_14
; %bb.5:
	s_and_b32 s16, s15, 0x7ffffffe
	s_mov_b32 s17, 0
	v_mov_b32_e32 v3, 1
	v_mov_b32_e32 v4, 0xffff
	;; [unrolled: 1-line block ×4, first 2 shown]
	s_branch .LBB202_7
.LBB202_6:                              ;   in Loop: Header=BB202_7 Depth=1
	s_or_b64 exec, exec, s[4:5]
	s_add_i32 s17, s17, 2
	s_cmp_eq_u32 s16, s17
	v_add_u32_e32 v6, 0x200, v6
	s_cbranch_scc1 .LBB202_13
.LBB202_7:                              ; =>This Inner Loop Header: Depth=1
	v_cmp_gt_u32_e64 s[0:1], s13, v6
	s_and_saveexec_b64 s[4:5], s[0:1]
	s_cbranch_execz .LBB202_10
; %bb.8:                                ;   in Loop: Header=BB202_7 Depth=1
	v_mad_u64_u32 v[7:8], s[0:1], s6, v6, 0
	v_mad_u64_u32 v[8:9], s[0:1], s7, v6, v[8:9]
	v_mov_b32_e32 v9, s12
	v_lshlrev_b64 v[7:8], 1, v[7:8]
	v_add_co_u32_e64 v7, s[0:1], s9, v7
	v_addc_co_u32_e64 v8, s[0:1], v9, v8, s[0:1]
	global_load_ushort v7, v[7:8], off
	s_waitcnt vmcnt(0)
	v_cmp_lt_i16_e64 s[0:1], -1, v7
	v_cndmask_b32_e64 v8, v4, v5, s[0:1]
	v_xor_b32_sdwa v8, v8, v7 dst_sel:DWORD dst_unused:UNUSED_PAD src0_sel:DWORD src1_sel:WORD_0
	v_cmp_o_f16_e64 s[0:1], v7, v7
	v_cndmask_b32_e64 v7, v4, v8, s[0:1]
	v_xor_b32_e32 v8, s2, v7
	v_and_b32_e32 v8, s3, v8
	v_cmp_eq_u32_e64 s[0:1], 0, v8
	s_and_b64 exec, exec, s[0:1]
; %bb.9:                                ;   in Loop: Header=BB202_7 Depth=1
	v_bfe_u32 v7, v7, s8, 8
	v_lshlrev_b32_e32 v7, 2, v7
	ds_add_u32 v7, v3
.LBB202_10:                             ;   in Loop: Header=BB202_7 Depth=1
	s_or_b64 exec, exec, s[4:5]
	v_add_u32_e32 v7, 0x100, v6
	v_cmp_gt_u32_e64 s[0:1], s13, v7
	s_and_saveexec_b64 s[4:5], s[0:1]
	s_cbranch_execz .LBB202_6
; %bb.11:                               ;   in Loop: Header=BB202_7 Depth=1
	v_mad_u64_u32 v[8:9], s[0:1], s6, v7, 0
	v_mad_u64_u32 v[9:10], s[0:1], s7, v7, v[9:10]
	v_mov_b32_e32 v10, s12
	v_lshlrev_b64 v[7:8], 1, v[8:9]
	v_add_co_u32_e64 v7, s[0:1], s9, v7
	v_addc_co_u32_e64 v8, s[0:1], v10, v8, s[0:1]
	global_load_ushort v7, v[7:8], off
	s_waitcnt vmcnt(0)
	v_cmp_lt_i16_e64 s[0:1], -1, v7
	v_cndmask_b32_e64 v8, v4, v5, s[0:1]
	v_xor_b32_sdwa v8, v8, v7 dst_sel:DWORD dst_unused:UNUSED_PAD src0_sel:DWORD src1_sel:WORD_0
	v_cmp_o_f16_e64 s[0:1], v7, v7
	v_cndmask_b32_e64 v7, v4, v8, s[0:1]
	v_xor_b32_e32 v8, s2, v7
	v_and_b32_e32 v8, s3, v8
	v_cmp_eq_u32_e64 s[0:1], 0, v8
	s_and_b64 exec, exec, s[0:1]
	s_cbranch_execz .LBB202_6
; %bb.12:                               ;   in Loop: Header=BB202_7 Depth=1
	v_bfe_u32 v7, v7, s8, 8
	v_lshlrev_b32_e32 v7, 2, v7
	ds_add_u32 v7, v3
	s_branch .LBB202_6
.LBB202_13:
	s_lshl_b32 s1, s16, 8
.LBB202_14:
	s_bitcmp0_b32 s15, 0
	s_cbranch_scc1 .LBB202_19
; %bb.15:
	v_add_u32_e32 v2, s1, v2
	v_cmp_gt_u32_e64 s[0:1], s13, v2
	s_and_saveexec_b64 s[4:5], s[0:1]
	s_cbranch_execz .LBB202_18
; %bb.16:
	v_mad_u64_u32 v[3:4], s[0:1], s6, v2, 0
	v_mad_u64_u32 v[4:5], s[0:1], s7, v2, v[4:5]
	v_mov_b32_e32 v5, s12
	v_lshlrev_b64 v[2:3], 1, v[3:4]
	v_mov_b32_e32 v4, 0x8000
	v_add_co_u32_e64 v2, s[0:1], s9, v2
	v_addc_co_u32_e64 v3, s[0:1], v5, v3, s[0:1]
	global_load_ushort v2, v[2:3], off
	v_mov_b32_e32 v3, 0xffff
	s_waitcnt vmcnt(0)
	v_cmp_lt_i16_e64 s[0:1], -1, v2
	v_cndmask_b32_e64 v4, v3, v4, s[0:1]
	v_xor_b32_sdwa v4, v4, v2 dst_sel:DWORD dst_unused:UNUSED_PAD src0_sel:DWORD src1_sel:WORD_0
	v_cmp_o_f16_e64 s[0:1], v2, v2
	v_cndmask_b32_e64 v2, v3, v4, s[0:1]
	v_xor_b32_e32 v3, s2, v2
	v_and_b32_e32 v3, s3, v3
	v_cmp_eq_u32_e64 s[0:1], 0, v3
	s_and_b64 exec, exec, s[0:1]
; %bb.17:
	v_bfe_u32 v2, v2, s8, 8
	v_lshlrev_b32_e32 v2, 2, v2
	v_mov_b32_e32 v3, 1
	ds_add_u32 v2, v3
.LBB202_18:
	s_or_b64 exec, exec, s[4:5]
.LBB202_19:
	s_waitcnt lgkmcnt(0)
	s_barrier
	s_and_saveexec_b64 s[0:1], vcc
	s_cbranch_execz .LBB202_21
; %bb.20:
	v_lshl_or_b32 v2, s14, 8, v0
	v_mov_b32_e32 v3, 0
	ds_read_b32 v5, v1
	v_lshlrev_b64 v[2:3], 1, v[2:3]
	v_mov_b32_e32 v4, s11
	v_add_co_u32_e32 v0, vcc, s10, v2
	v_addc_co_u32_e32 v1, vcc, v4, v3, vcc
	s_waitcnt lgkmcnt(0)
	global_store_short v[0:1], v5, off
.LBB202_21:
	s_endpgm
	.section	.rodata,"a",@progbits
	.p2align	6, 0x0
	.amdhsa_kernel _ZN2at6native6mbtopk23computeBlockDigitCountsIN3c104HalfEmjLi1EEEvNS_4cuda6detail10TensorInfoIKT_T0_EEjPjjSA_iijT1_PSD_Ps
		.amdhsa_group_segment_fixed_size 1024
		.amdhsa_private_segment_fixed_size 0
		.amdhsa_kernarg_size 736
		.amdhsa_user_sgpr_count 6
		.amdhsa_user_sgpr_private_segment_buffer 1
		.amdhsa_user_sgpr_dispatch_ptr 0
		.amdhsa_user_sgpr_queue_ptr 0
		.amdhsa_user_sgpr_kernarg_segment_ptr 1
		.amdhsa_user_sgpr_dispatch_id 0
		.amdhsa_user_sgpr_flat_scratch_init 0
		.amdhsa_user_sgpr_private_segment_size 0
		.amdhsa_uses_dynamic_stack 0
		.amdhsa_system_sgpr_private_segment_wavefront_offset 0
		.amdhsa_system_sgpr_workgroup_id_x 1
		.amdhsa_system_sgpr_workgroup_id_y 1
		.amdhsa_system_sgpr_workgroup_id_z 1
		.amdhsa_system_sgpr_workgroup_info 0
		.amdhsa_system_vgpr_workitem_id 0
		.amdhsa_next_free_vgpr 11
		.amdhsa_next_free_sgpr 22
		.amdhsa_reserve_vcc 1
		.amdhsa_reserve_flat_scratch 0
		.amdhsa_float_round_mode_32 0
		.amdhsa_float_round_mode_16_64 0
		.amdhsa_float_denorm_mode_32 3
		.amdhsa_float_denorm_mode_16_64 3
		.amdhsa_dx10_clamp 1
		.amdhsa_ieee_mode 1
		.amdhsa_fp16_overflow 0
		.amdhsa_exception_fp_ieee_invalid_op 0
		.amdhsa_exception_fp_denorm_src 0
		.amdhsa_exception_fp_ieee_div_zero 0
		.amdhsa_exception_fp_ieee_overflow 0
		.amdhsa_exception_fp_ieee_underflow 0
		.amdhsa_exception_fp_ieee_inexact 0
		.amdhsa_exception_int_div_zero 0
	.end_amdhsa_kernel
	.section	.text._ZN2at6native6mbtopk23computeBlockDigitCountsIN3c104HalfEmjLi1EEEvNS_4cuda6detail10TensorInfoIKT_T0_EEjPjjSA_iijT1_PSD_Ps,"axG",@progbits,_ZN2at6native6mbtopk23computeBlockDigitCountsIN3c104HalfEmjLi1EEEvNS_4cuda6detail10TensorInfoIKT_T0_EEjPjjSA_iijT1_PSD_Ps,comdat
.Lfunc_end202:
	.size	_ZN2at6native6mbtopk23computeBlockDigitCountsIN3c104HalfEmjLi1EEEvNS_4cuda6detail10TensorInfoIKT_T0_EEjPjjSA_iijT1_PSD_Ps, .Lfunc_end202-_ZN2at6native6mbtopk23computeBlockDigitCountsIN3c104HalfEmjLi1EEEvNS_4cuda6detail10TensorInfoIKT_T0_EEjPjjSA_iijT1_PSD_Ps
                                        ; -- End function
	.set _ZN2at6native6mbtopk23computeBlockDigitCountsIN3c104HalfEmjLi1EEEvNS_4cuda6detail10TensorInfoIKT_T0_EEjPjjSA_iijT1_PSD_Ps.num_vgpr, 11
	.set _ZN2at6native6mbtopk23computeBlockDigitCountsIN3c104HalfEmjLi1EEEvNS_4cuda6detail10TensorInfoIKT_T0_EEjPjjSA_iijT1_PSD_Ps.num_agpr, 0
	.set _ZN2at6native6mbtopk23computeBlockDigitCountsIN3c104HalfEmjLi1EEEvNS_4cuda6detail10TensorInfoIKT_T0_EEjPjjSA_iijT1_PSD_Ps.numbered_sgpr, 22
	.set _ZN2at6native6mbtopk23computeBlockDigitCountsIN3c104HalfEmjLi1EEEvNS_4cuda6detail10TensorInfoIKT_T0_EEjPjjSA_iijT1_PSD_Ps.num_named_barrier, 0
	.set _ZN2at6native6mbtopk23computeBlockDigitCountsIN3c104HalfEmjLi1EEEvNS_4cuda6detail10TensorInfoIKT_T0_EEjPjjSA_iijT1_PSD_Ps.private_seg_size, 0
	.set _ZN2at6native6mbtopk23computeBlockDigitCountsIN3c104HalfEmjLi1EEEvNS_4cuda6detail10TensorInfoIKT_T0_EEjPjjSA_iijT1_PSD_Ps.uses_vcc, 1
	.set _ZN2at6native6mbtopk23computeBlockDigitCountsIN3c104HalfEmjLi1EEEvNS_4cuda6detail10TensorInfoIKT_T0_EEjPjjSA_iijT1_PSD_Ps.uses_flat_scratch, 0
	.set _ZN2at6native6mbtopk23computeBlockDigitCountsIN3c104HalfEmjLi1EEEvNS_4cuda6detail10TensorInfoIKT_T0_EEjPjjSA_iijT1_PSD_Ps.has_dyn_sized_stack, 0
	.set _ZN2at6native6mbtopk23computeBlockDigitCountsIN3c104HalfEmjLi1EEEvNS_4cuda6detail10TensorInfoIKT_T0_EEjPjjSA_iijT1_PSD_Ps.has_recursion, 0
	.set _ZN2at6native6mbtopk23computeBlockDigitCountsIN3c104HalfEmjLi1EEEvNS_4cuda6detail10TensorInfoIKT_T0_EEjPjjSA_iijT1_PSD_Ps.has_indirect_call, 0
	.section	.AMDGPU.csdata,"",@progbits
; Kernel info:
; codeLenInByte = 1008
; TotalNumSgprs: 26
; NumVgprs: 11
; ScratchSize: 0
; MemoryBound: 0
; FloatMode: 240
; IeeeMode: 1
; LDSByteSize: 1024 bytes/workgroup (compile time only)
; SGPRBlocks: 3
; VGPRBlocks: 2
; NumSGPRsForWavesPerEU: 26
; NumVGPRsForWavesPerEU: 11
; Occupancy: 10
; WaveLimiterHint : 1
; COMPUTE_PGM_RSRC2:SCRATCH_EN: 0
; COMPUTE_PGM_RSRC2:USER_SGPR: 6
; COMPUTE_PGM_RSRC2:TRAP_HANDLER: 0
; COMPUTE_PGM_RSRC2:TGID_X_EN: 1
; COMPUTE_PGM_RSRC2:TGID_Y_EN: 1
; COMPUTE_PGM_RSRC2:TGID_Z_EN: 1
; COMPUTE_PGM_RSRC2:TIDIG_COMP_CNT: 0
	.section	.text._ZN2at6native6mbtopk10gatherTopKIN3c104HalfEmLi1EEEvNS_4cuda6detail10TensorInfoIKT_T0_EESA_SA_bjSA_NS7_IS8_SA_EESA_NS7_IlSA_EESA_jjPS8_PjSF_j,"axG",@progbits,_ZN2at6native6mbtopk10gatherTopKIN3c104HalfEmLi1EEEvNS_4cuda6detail10TensorInfoIKT_T0_EESA_SA_bjSA_NS7_IS8_SA_EESA_NS7_IlSA_EESA_jjPS8_PjSF_j,comdat
	.protected	_ZN2at6native6mbtopk10gatherTopKIN3c104HalfEmLi1EEEvNS_4cuda6detail10TensorInfoIKT_T0_EESA_SA_bjSA_NS7_IS8_SA_EESA_NS7_IlSA_EESA_jjPS8_PjSF_j ; -- Begin function _ZN2at6native6mbtopk10gatherTopKIN3c104HalfEmLi1EEEvNS_4cuda6detail10TensorInfoIKT_T0_EESA_SA_bjSA_NS7_IS8_SA_EESA_NS7_IlSA_EESA_jjPS8_PjSF_j
	.globl	_ZN2at6native6mbtopk10gatherTopKIN3c104HalfEmLi1EEEvNS_4cuda6detail10TensorInfoIKT_T0_EESA_SA_bjSA_NS7_IS8_SA_EESA_NS7_IlSA_EESA_jjPS8_PjSF_j
	.p2align	8
	.type	_ZN2at6native6mbtopk10gatherTopKIN3c104HalfEmLi1EEEvNS_4cuda6detail10TensorInfoIKT_T0_EESA_SA_bjSA_NS7_IS8_SA_EESA_NS7_IlSA_EESA_jjPS8_PjSF_j,@function
_ZN2at6native6mbtopk10gatherTopKIN3c104HalfEmLi1EEEvNS_4cuda6detail10TensorInfoIKT_T0_EESA_SA_bjSA_NS7_IS8_SA_EESA_NS7_IlSA_EESA_jjPS8_PjSF_j: ; @_ZN2at6native6mbtopk10gatherTopKIN3c104HalfEmLi1EEEvNS_4cuda6detail10TensorInfoIKT_T0_EESA_SA_bjSA_NS7_IS8_SA_EESA_NS7_IlSA_EESA_jjPS8_PjSF_j
; %bb.0:
	s_load_dwordx2 s[0:1], s[4:5], 0x538
	s_load_dword s2, s[4:5], 0x530
	s_waitcnt lgkmcnt(0)
	s_mul_i32 s1, s1, s8
	s_add_i32 s1, s1, s7
	s_mul_i32 s0, s1, s0
	s_add_i32 s0, s0, s6
	s_cmp_ge_u32 s0, s2
	s_cbranch_scc1 .LBB203_42
; %bb.1:
	s_load_dwordx2 s[20:21], s[4:5], 0x510
	s_load_dwordx4 s[8:11], s[4:5], 0x1a0
	s_mov_b32 s7, 0
	s_waitcnt lgkmcnt(0)
	v_cvt_f32_u32_e32 v1, s21
	s_sub_i32 s2, 0, s21
	s_lshl_b32 s1, s20, 8
	v_rcp_iflag_f32_e32 v1, v1
	v_mul_f32_e32 v1, 0x4f7ffffe, v1
	v_cvt_u32_f32_e32 v1, v1
	v_readfirstlane_b32 s3, v1
	s_mul_i32 s2, s2, s3
	s_mul_hi_u32 s2, s3, s2
	s_add_i32 s3, s3, s2
	s_mul_hi_u32 s2, s0, s3
	s_mul_i32 s3, s2, s21
	s_sub_i32 s3, s0, s3
	s_add_i32 s6, s2, 1
	s_sub_i32 s12, s3, s21
	s_cmp_ge_u32 s3, s21
	s_cselect_b32 s2, s6, s2
	s_cselect_b32 s3, s12, s3
	s_add_i32 s6, s2, 1
	s_cmp_ge_u32 s3, s21
	s_cselect_b32 s6, s6, s2
	s_mul_i32 s24, s6, s21
	s_sub_i32 s40, s0, s24
	s_add_i32 s0, s40, 1
	s_cmp_lt_u32 s0, s21
	s_mul_i32 s33, s40, s1
	s_cbranch_scc1 .LBB203_3
; %bb.2:
	s_sub_u32 s0, s8, s33
	s_subb_u32 s1, s9, 0
	s_add_u32 s0, s0, 0xff
	s_addc_u32 s1, s1, 0
	s_ashr_i32 s2, s1, 31
	s_lshr_b32 s2, s2, 24
	s_add_u32 s0, s0, s2
	s_addc_u32 s1, s1, 0
	s_lshr_b64 s[0:1], s[0:1], 8
	s_mov_b32 s20, s0
.LBB203_3:
	s_load_dwordx4 s[12:15], s[4:5], 0x518
	s_lshl_b64 s[0:1], s[6:7], 1
	v_mov_b32_e32 v1, 0
	v_cmp_eq_u32_e64 s[2:3], 0, v0
	s_waitcnt lgkmcnt(0)
	s_add_u32 s0, s12, s0
	s_addc_u32 s1, s13, s1
	global_load_ushort v1, v1, s[0:1]
	s_load_dwordx2 s[22:23], s[4:5], 0x0
	s_load_dwordx2 s[30:31], s[4:5], 0xd0
	;; [unrolled: 1-line block ×4, first 2 shown]
	v_cmp_ne_u32_e64 s[0:1], 0, v0
	s_waitcnt vmcnt(0)
	v_readfirstlane_b32 s7, v1
	s_and_saveexec_b64 s[12:13], s[2:3]
	s_cbranch_execz .LBB203_19
; %bb.4:
	s_load_dwordx2 s[34:35], s[4:5], 0x528
	s_mov_b32 s25, 0
	s_lshl_b64 s[36:37], s[24:25], 2
	s_add_u32 s16, s14, s36
	s_addc_u32 s17, s15, s37
	s_waitcnt lgkmcnt(0)
	s_add_u32 s18, s34, s36
	s_addc_u32 s19, s35, s37
	s_mov_b32 s24, 0
	s_mov_b32 s41, 0
	s_cmp_lt_u32 s21, 4
	s_cbranch_scc1 .LBB203_16
; %bb.5:
	s_mov_b32 s42, 0
.LBB203_6:                              ; =>This Inner Loop Header: Depth=1
	s_add_u32 s38, s14, s36
	s_addc_u32 s39, s15, s37
	s_load_dwordx4 s[16:19], s[38:39], 0x0
	s_add_u32 s38, s34, s36
	s_addc_u32 s39, s35, s37
	s_cmp_ge_u32 s42, s40
	s_cbranch_scc0 .LBB203_13
; %bb.7:                                ;   in Loop: Header=BB203_6 Depth=1
	s_add_i32 s43, s42, 1
	s_cmp_ge_u32 s43, s40
	s_cbranch_scc0 .LBB203_14
.LBB203_8:                              ;   in Loop: Header=BB203_6 Depth=1
	s_add_i32 s43, s43, 1
	s_cmp_ge_u32 s43, s40
	s_cbranch_scc0 .LBB203_15
.LBB203_9:                              ;   in Loop: Header=BB203_6 Depth=1
	s_add_i32 s43, s43, 1
	s_cmp_ge_u32 s43, s40
	s_cbranch_scc1 .LBB203_11
.LBB203_10:                             ;   in Loop: Header=BB203_6 Depth=1
	s_load_dword s38, s[38:39], 0xc
	s_waitcnt lgkmcnt(0)
	s_add_i32 s25, s25, s19
	s_add_i32 s24, s38, s24
.LBB203_11:                             ;   in Loop: Header=BB203_6 Depth=1
	s_waitcnt lgkmcnt(0)
	s_add_i32 s16, s16, s41
	s_add_i32 s16, s16, s17
	;; [unrolled: 1-line block ×4, first 2 shown]
	s_add_u32 s14, s14, 16
	s_addc_u32 s15, s15, 0
	s_add_u32 s34, s34, 16
	s_addc_u32 s35, s35, 0
	s_add_i32 s39, s43, 4
	s_add_u32 s18, s34, s36
	s_addc_u32 s19, s35, s37
	s_add_u32 s16, s14, s36
	s_addc_u32 s17, s15, s37
	s_add_i32 s38, s43, 1
	s_cmp_ge_u32 s39, s21
	s_cbranch_scc1 .LBB203_17
; %bb.12:                               ;   in Loop: Header=BB203_6 Depth=1
	s_mov_b32 s42, s38
	s_branch .LBB203_6
.LBB203_13:                             ;   in Loop: Header=BB203_6 Depth=1
	s_load_dword s43, s[38:39], 0x0
	s_waitcnt lgkmcnt(0)
	s_add_i32 s25, s16, s25
	s_add_i32 s24, s43, s24
	;; [unrolled: 1-line block ×3, first 2 shown]
	s_cmp_ge_u32 s43, s40
	s_cbranch_scc1 .LBB203_8
.LBB203_14:                             ;   in Loop: Header=BB203_6 Depth=1
	s_load_dword s44, s[38:39], 0x4
	s_waitcnt lgkmcnt(0)
	s_add_i32 s25, s25, s17
	s_add_i32 s24, s44, s24
	;; [unrolled: 1-line block ×3, first 2 shown]
	s_cmp_ge_u32 s43, s40
	s_cbranch_scc1 .LBB203_9
.LBB203_15:                             ;   in Loop: Header=BB203_6 Depth=1
	s_load_dword s44, s[38:39], 0x8
	s_waitcnt lgkmcnt(0)
	s_add_i32 s25, s25, s18
	s_add_i32 s24, s44, s24
	;; [unrolled: 1-line block ×3, first 2 shown]
	s_cmp_ge_u32 s43, s40
	s_cbranch_scc0 .LBB203_10
	s_branch .LBB203_11
.LBB203_16:
	s_mov_b32 s14, 0
	s_cmp_ge_u32 s14, s21
	s_cbranch_scc0 .LBB203_40
	s_branch .LBB203_18
.LBB203_17:
	s_add_i32 s14, s42, 4
	s_cmp_ge_u32 s14, s21
	s_cbranch_scc0 .LBB203_40
.LBB203_18:
	v_mov_b32_e32 v1, s24
	v_mov_b32_e32 v2, s41
	;; [unrolled: 1-line block ×4, first 2 shown]
	ds_write_b96 v4, v[1:3] offset:1056
.LBB203_19:
	s_or_b64 exec, exec, s[12:13]
	s_load_dwordx4 s[12:15], s[4:5], 0x1b8
	s_load_dwordx4 s[16:19], s[4:5], 0x360
	s_cmp_eq_u32 s20, 0
	s_waitcnt lgkmcnt(0)
	s_barrier
	s_cbranch_scc1 .LBB203_42
; %bb.20:
	s_mul_i32 s21, s31, s6
	s_mul_hi_u32 s24, s30, s6
	s_add_i32 s25, s24, s21
	s_mul_i32 s21, s29, s6
	s_mul_hi_u32 s29, s28, s6
	s_mul_i32 s24, s30, s6
	s_add_i32 s29, s29, s21
	s_mul_i32 s21, s27, s6
	s_mul_hi_u32 s27, s26, s6
	s_add_i32 s27, s27, s21
	s_lshl_b64 s[24:25], s[24:25], 1
	s_mul_i32 s28, s28, s6
	s_add_u32 s21, s22, s24
	s_addc_u32 s22, s23, s25
	s_lshl_b64 s[24:25], s[28:29], 1
	s_mul_i32 s26, s26, s6
	s_add_u32 s23, s14, s24
	s_addc_u32 s24, s15, s25
	s_lshl_b64 s[14:15], s[26:27], 3
	v_mov_b32_e32 v5, 0
	s_add_u32 s25, s18, s14
	ds_read_b96 v[1:3], v5 offset:1056
	s_addc_u32 s26, s19, s15
	s_and_b32 s14, 0xffff, s7
	s_sext_i32_i16 s6, s7
	s_cmp_gt_i32 s6, -1
	s_mov_b32 s6, 0x8000
	s_cselect_b32 s15, s6, 0xffff
	v_cmp_o_f16_e64 s[6:7], s7, s7
	s_xor_b32 s14, s15, s14
	s_and_b64 s[6:7], s[6:7], exec
	s_waitcnt lgkmcnt(0)
	v_add_u32_e32 v1, v1, v2
	v_lshrrev_b32_e32 v2, 3, v0
	s_load_dword s6, s[4:5], 0x1b0
	v_and_b32_e32 v2, 28, v2
	v_lshl_add_u32 v8, v0, 2, v2
	v_lshrrev_b32_e32 v2, 1, v0
	s_cselect_b32 s27, s14, 0xffff
	s_load_dwordx2 s[14:15], s[4:5], 0x508
	v_and_b32_e32 v9, 0x7c, v2
	v_add_u32_e32 v2, -1, v0
	v_lshrrev_b32_e32 v4, 3, v2
	v_and_b32_e32 v4, 0x1ffffffc, v4
	s_waitcnt lgkmcnt(0)
	s_bitcmp1_b32 s6, 0
	v_lshl_add_u32 v11, v2, 2, v4
	v_mbcnt_lo_u32_b32 v2, -1, 0
	s_cselect_b64 s[4:5], -1, 0
	v_cmp_gt_u32_e64 s[6:7], 64, v0
	v_lshlrev_b32_e32 v10, 4, v0
	v_add_u32_e32 v4, s33, v0
	v_mov_b32_e32 v0, 0xffff
	v_mov_b32_e32 v12, 0x8000
	v_mbcnt_hi_u32_b32 v13, -1, v2
                                        ; implicit-def: $vgpr14
	s_branch .LBB203_23
.LBB203_21:                             ;   in Loop: Header=BB203_23 Depth=1
	s_or_b64 exec, exec, s[18:19]
	v_add_u32_e32 v1, v2, v1
.LBB203_22:                             ;   in Loop: Header=BB203_23 Depth=1
	s_add_i32 s20, s20, -1
	v_add_u32_e32 v3, v15, v3
	s_cmp_lg_u32 s20, 0
	v_add_u32_e32 v4, 0x100, v4
	s_cbranch_scc0 .LBB203_42
.LBB203_23:                             ; =>This Inner Loop Header: Depth=1
	v_cmp_gt_u64_e32 vcc, s[8:9], v[4:5]
	v_mov_b32_e32 v2, v5
	v_mov_b32_e32 v6, v5
	s_and_saveexec_b64 s[18:19], vcc
	s_cbranch_execz .LBB203_25
; %bb.24:                               ;   in Loop: Header=BB203_23 Depth=1
	v_mad_u64_u32 v[6:7], s[28:29], s12, v4, 0
	v_mov_b32_e32 v2, v7
	v_mad_u64_u32 v[14:15], s[28:29], s13, v4, v[2:3]
	v_mov_b32_e32 v2, s22
	v_mov_b32_e32 v7, v14
	v_lshlrev_b64 v[6:7], 1, v[6:7]
	v_add_co_u32_e32 v6, vcc, s21, v6
	v_addc_co_u32_e32 v7, vcc, v2, v7, vcc
	global_load_ushort v14, v[6:7], off
	s_waitcnt vmcnt(0)
	v_cmp_lt_i16_e32 vcc, -1, v14
	v_cndmask_b32_e32 v2, v0, v12, vcc
	v_xor_b32_sdwa v2, v2, v14 dst_sel:DWORD dst_unused:UNUSED_PAD src0_sel:DWORD src1_sel:WORD_0
	v_cmp_o_f16_e32 vcc, v14, v14
	v_cndmask_b32_e32 v6, v0, v2, vcc
	v_cmp_lt_u32_e32 vcc, s27, v6
	v_cndmask_b32_e64 v2, 0, 1, vcc
	v_cmp_gt_u32_e32 vcc, s27, v6
	v_cndmask_b32_e64 v7, 0, 1, vcc
	v_cndmask_b32_e64 v2, v7, v2, s[4:5]
	v_cmp_eq_u32_e32 vcc, s27, v6
	v_and_b32_e32 v2, 1, v2
	v_cndmask_b32_e64 v6, 0, 1, vcc
.LBB203_25:                             ;   in Loop: Header=BB203_23 Depth=1
	s_or_b64 exec, exec, s[18:19]
	ds_write_b32 v8, v2
	s_waitcnt vmcnt(0) lgkmcnt(0)
	s_barrier
	s_and_saveexec_b64 s[18:19], s[6:7]
	s_cbranch_execz .LBB203_27
; %bb.26:                               ;   in Loop: Header=BB203_23 Depth=1
	v_add_u32_e32 v7, v9, v10
	ds_read2_b32 v[15:16], v7 offset1:1
	ds_read2_b32 v[17:18], v7 offset0:2 offset1:3
	v_and_b32_e32 v19, 15, v13
	v_cmp_ne_u32_e32 vcc, 0, v19
	s_waitcnt lgkmcnt(1)
	v_add_u32_e32 v16, v16, v15
	s_waitcnt lgkmcnt(0)
	v_add3_u32 v16, v16, v17, v18
	v_bfe_i32 v18, v13, 4, 1
	; wave barrier
	s_nop 0
	v_mov_b32_dpp v17, v16 row_shr:1 row_mask:0xf bank_mask:0xf
	v_cndmask_b32_e32 v17, 0, v17, vcc
	v_add_u32_e32 v16, v17, v16
	v_cmp_lt_u32_e32 vcc, 1, v19
	s_nop 0
	v_mov_b32_dpp v17, v16 row_shr:2 row_mask:0xf bank_mask:0xf
	v_cndmask_b32_e32 v17, 0, v17, vcc
	v_add_u32_e32 v16, v16, v17
	v_cmp_lt_u32_e32 vcc, 3, v19
	;; [unrolled: 5-line block ×4, first 2 shown]
	s_nop 0
	v_mov_b32_dpp v17, v16 row_bcast:15 row_mask:0xf bank_mask:0xf
	v_and_b32_e32 v17, v18, v17
	v_add_u32_e32 v16, v16, v17
	v_and_b32_e32 v18, 64, v13
	s_nop 0
	v_mov_b32_dpp v17, v16 row_bcast:31 row_mask:0xf bank_mask:0xf
	v_cndmask_b32_e32 v17, 0, v17, vcc
	v_add_u32_e32 v16, v16, v17
	v_add_u32_e32 v17, -1, v13
	v_cmp_lt_i32_e32 vcc, v17, v18
	v_cndmask_b32_e32 v17, v17, v13, vcc
	v_lshlrev_b32_e32 v17, 2, v17
	ds_bpermute_b32 v16, v17, v16
	s_waitcnt lgkmcnt(0)
	v_add_u32_e32 v15, v16, v15
	v_cndmask_b32_e64 v17, v15, v2, s[2:3]
	ds_write_b32 v7, v17
	; wave barrier
	ds_read2_b32 v[15:16], v7 offset0:1 offset1:2
	ds_read_b32 v18, v7 offset:12
	s_waitcnt lgkmcnt(1)
	v_add_u32_e32 v15, v15, v17
	v_add_u32_e32 v16, v16, v15
	ds_write2_b32 v7, v15, v16 offset0:1 offset1:2
	s_waitcnt lgkmcnt(1)
	v_add_u32_e32 v15, v18, v16
	ds_write_b32 v7, v15 offset:12
.LBB203_27:                             ;   in Loop: Header=BB203_23 Depth=1
	s_or_b64 exec, exec, s[18:19]
	v_mov_b32_e32 v7, 0
	s_waitcnt lgkmcnt(0)
	s_barrier
	s_and_saveexec_b64 s[18:19], s[0:1]
; %bb.28:                               ;   in Loop: Header=BB203_23 Depth=1
	ds_read_b32 v7, v11
; %bb.29:                               ;   in Loop: Header=BB203_23 Depth=1
	s_or_b64 exec, exec, s[18:19]
	ds_read_b32 v15, v5 offset:1048
	v_cmp_ne_u32_e32 vcc, 0, v2
	s_waitcnt lgkmcnt(0)
	s_barrier
	s_and_saveexec_b64 s[18:19], vcc
	s_cbranch_execz .LBB203_31
; %bb.30:                               ;   in Loop: Header=BB203_23 Depth=1
	v_add_u32_e32 v7, v7, v3
	v_mad_u64_u32 v[16:17], s[28:29], s16, v7, 0
	v_mad_u64_u32 v[18:19], s[28:29], s14, v7, 0
	v_mov_b32_e32 v2, v17
	v_mad_u64_u32 v[20:21], s[28:29], s17, v7, v[2:3]
	v_mov_b32_e32 v2, v19
	v_mov_b32_e32 v21, s24
	;; [unrolled: 1-line block ×3, first 2 shown]
	v_lshlrev_b64 v[16:17], 1, v[16:17]
	v_mad_u64_u32 v[19:20], s[28:29], s15, v7, v[2:3]
	v_add_co_u32_e32 v16, vcc, s23, v16
	v_addc_co_u32_e32 v17, vcc, v21, v17, vcc
	global_store_short v[16:17], v14, off
	v_lshlrev_b64 v[16:17], 3, v[18:19]
	v_mov_b32_e32 v2, s26
	v_add_co_u32_e32 v16, vcc, s25, v16
	v_addc_co_u32_e32 v17, vcc, v2, v17, vcc
	global_store_dwordx2 v[16:17], v[4:5], off
.LBB203_31:                             ;   in Loop: Header=BB203_23 Depth=1
	s_or_b64 exec, exec, s[18:19]
	v_mov_b32_e32 v2, v5
	v_cmp_le_u64_e32 vcc, s[10:11], v[1:2]
	s_cbranch_vccnz .LBB203_22
; %bb.32:                               ;   in Loop: Header=BB203_23 Depth=1
	ds_write_b32 v8, v6
	s_waitcnt vmcnt(0) lgkmcnt(0)
	s_barrier
	s_and_saveexec_b64 s[18:19], s[6:7]
	s_cbranch_execz .LBB203_34
; %bb.33:                               ;   in Loop: Header=BB203_23 Depth=1
	v_add_u32_e32 v2, v9, v10
	ds_read2_b32 v[16:17], v2 offset1:1
	ds_read2_b32 v[18:19], v2 offset0:2 offset1:3
	v_and_b32_e32 v7, 15, v13
	v_cmp_ne_u32_e32 vcc, 0, v7
	s_waitcnt lgkmcnt(1)
	v_add_u32_e32 v17, v17, v16
	s_waitcnt lgkmcnt(0)
	v_add3_u32 v17, v17, v18, v19
	; wave barrier
	s_nop 1
	v_mov_b32_dpp v18, v17 row_shr:1 row_mask:0xf bank_mask:0xf
	v_cndmask_b32_e32 v18, 0, v18, vcc
	v_add_u32_e32 v17, v18, v17
	v_cmp_lt_u32_e32 vcc, 1, v7
	s_nop 0
	v_mov_b32_dpp v18, v17 row_shr:2 row_mask:0xf bank_mask:0xf
	v_cndmask_b32_e32 v18, 0, v18, vcc
	v_add_u32_e32 v17, v17, v18
	v_cmp_lt_u32_e32 vcc, 3, v7
	;; [unrolled: 5-line block ×3, first 2 shown]
	s_nop 0
	v_mov_b32_dpp v18, v17 row_shr:8 row_mask:0xf bank_mask:0xf
	v_cndmask_b32_e32 v7, 0, v18, vcc
	v_add_u32_e32 v7, v17, v7
	v_bfe_i32 v18, v13, 4, 1
	v_cmp_lt_u32_e32 vcc, 31, v13
	v_mov_b32_dpp v17, v7 row_bcast:15 row_mask:0xf bank_mask:0xf
	v_and_b32_e32 v17, v18, v17
	v_add_u32_e32 v7, v7, v17
	v_and_b32_e32 v18, 64, v13
	s_nop 0
	v_mov_b32_dpp v17, v7 row_bcast:31 row_mask:0xf bank_mask:0xf
	v_cndmask_b32_e32 v17, 0, v17, vcc
	v_add_u32_e32 v7, v7, v17
	v_add_u32_e32 v17, -1, v13
	v_cmp_lt_i32_e32 vcc, v17, v18
	v_cndmask_b32_e32 v17, v17, v13, vcc
	v_lshlrev_b32_e32 v17, 2, v17
	ds_bpermute_b32 v7, v17, v7
	s_waitcnt lgkmcnt(0)
	v_add_u32_e32 v7, v7, v16
	v_cndmask_b32_e64 v7, v7, v6, s[2:3]
	ds_write_b32 v2, v7
	; wave barrier
	ds_read2_b32 v[16:17], v2 offset0:1 offset1:2
	ds_read_b32 v18, v2 offset:12
	s_waitcnt lgkmcnt(1)
	v_add_u32_e32 v7, v16, v7
	v_add_u32_e32 v16, v17, v7
	ds_write2_b32 v2, v7, v16 offset0:1 offset1:2
	s_waitcnt lgkmcnt(1)
	v_add_u32_e32 v7, v18, v16
	ds_write_b32 v2, v7 offset:12
.LBB203_34:                             ;   in Loop: Header=BB203_23 Depth=1
	s_or_b64 exec, exec, s[18:19]
	v_mov_b32_e32 v7, 0
	s_waitcnt lgkmcnt(0)
	s_barrier
	s_and_saveexec_b64 s[18:19], s[0:1]
; %bb.35:                               ;   in Loop: Header=BB203_23 Depth=1
	ds_read_b32 v7, v11
; %bb.36:                               ;   in Loop: Header=BB203_23 Depth=1
	s_or_b64 exec, exec, s[18:19]
	ds_read_b32 v2, v5 offset:1048
	v_cmp_ne_u32_e32 vcc, 0, v6
	s_waitcnt lgkmcnt(0)
	s_barrier
	s_and_saveexec_b64 s[18:19], vcc
	s_cbranch_execz .LBB203_21
; %bb.37:                               ;   in Loop: Header=BB203_23 Depth=1
	v_add_u32_e32 v6, v7, v1
	v_mov_b32_e32 v7, v5
	v_cmp_gt_u64_e32 vcc, s[10:11], v[6:7]
	s_and_b64 exec, exec, vcc
	s_cbranch_execz .LBB203_21
; %bb.38:                               ;   in Loop: Header=BB203_23 Depth=1
	v_mad_u64_u32 v[16:17], s[28:29], s16, v6, 0
	v_mad_u64_u32 v[18:19], s[28:29], s14, v6, 0
	v_mov_b32_e32 v7, v17
	v_mad_u64_u32 v[20:21], s[28:29], s17, v6, v[7:8]
	v_mov_b32_e32 v7, v19
	v_mad_u64_u32 v[6:7], s[28:29], s15, v6, v[7:8]
	v_mov_b32_e32 v17, v20
	v_lshlrev_b64 v[16:17], 1, v[16:17]
	v_mov_b32_e32 v19, v6
	v_mov_b32_e32 v21, s24
	v_add_co_u32_e32 v16, vcc, s23, v16
	v_lshlrev_b64 v[6:7], 3, v[18:19]
	v_addc_co_u32_e32 v17, vcc, v21, v17, vcc
	global_store_short v[16:17], v14, off
	v_mov_b32_e32 v16, s26
	v_add_co_u32_e32 v6, vcc, s25, v6
	v_addc_co_u32_e32 v7, vcc, v16, v7, vcc
	global_store_dwordx2 v[6:7], v[4:5], off
	s_branch .LBB203_21
.LBB203_39:                             ;   in Loop: Header=BB203_40 Depth=1
	s_add_u32 s16, s16, 4
	s_addc_u32 s17, s17, 0
	s_waitcnt lgkmcnt(0)
	s_add_i32 s41, s15, s41
	s_add_u32 s18, s18, 4
	s_addc_u32 s19, s19, 0
	s_add_i32 s14, s14, 1
	s_cmp_lt_u32 s14, s21
	s_cbranch_scc0 .LBB203_18
.LBB203_40:                             ; =>This Inner Loop Header: Depth=1
	s_load_dword s15, s[16:17], 0x0
	s_cmp_ge_u32 s14, s40
	s_cbranch_scc1 .LBB203_39
; %bb.41:                               ;   in Loop: Header=BB203_40 Depth=1
	s_load_dword s34, s[18:19], 0x0
	s_waitcnt lgkmcnt(0)
	s_add_i32 s25, s15, s25
	s_add_i32 s24, s34, s24
	s_branch .LBB203_39
.LBB203_42:
	s_endpgm
	.section	.rodata,"a",@progbits
	.p2align	6, 0x0
	.amdhsa_kernel _ZN2at6native6mbtopk10gatherTopKIN3c104HalfEmLi1EEEvNS_4cuda6detail10TensorInfoIKT_T0_EESA_SA_bjSA_NS7_IS8_SA_EESA_NS7_IlSA_EESA_jjPS8_PjSF_j
		.amdhsa_group_segment_fixed_size 1068
		.amdhsa_private_segment_fixed_size 0
		.amdhsa_kernarg_size 1592
		.amdhsa_user_sgpr_count 6
		.amdhsa_user_sgpr_private_segment_buffer 1
		.amdhsa_user_sgpr_dispatch_ptr 0
		.amdhsa_user_sgpr_queue_ptr 0
		.amdhsa_user_sgpr_kernarg_segment_ptr 1
		.amdhsa_user_sgpr_dispatch_id 0
		.amdhsa_user_sgpr_flat_scratch_init 0
		.amdhsa_user_sgpr_private_segment_size 0
		.amdhsa_uses_dynamic_stack 0
		.amdhsa_system_sgpr_private_segment_wavefront_offset 0
		.amdhsa_system_sgpr_workgroup_id_x 1
		.amdhsa_system_sgpr_workgroup_id_y 1
		.amdhsa_system_sgpr_workgroup_id_z 1
		.amdhsa_system_sgpr_workgroup_info 0
		.amdhsa_system_vgpr_workitem_id 0
		.amdhsa_next_free_vgpr 22
		.amdhsa_next_free_sgpr 45
		.amdhsa_reserve_vcc 1
		.amdhsa_reserve_flat_scratch 0
		.amdhsa_float_round_mode_32 0
		.amdhsa_float_round_mode_16_64 0
		.amdhsa_float_denorm_mode_32 3
		.amdhsa_float_denorm_mode_16_64 3
		.amdhsa_dx10_clamp 1
		.amdhsa_ieee_mode 1
		.amdhsa_fp16_overflow 0
		.amdhsa_exception_fp_ieee_invalid_op 0
		.amdhsa_exception_fp_denorm_src 0
		.amdhsa_exception_fp_ieee_div_zero 0
		.amdhsa_exception_fp_ieee_overflow 0
		.amdhsa_exception_fp_ieee_underflow 0
		.amdhsa_exception_fp_ieee_inexact 0
		.amdhsa_exception_int_div_zero 0
	.end_amdhsa_kernel
	.section	.text._ZN2at6native6mbtopk10gatherTopKIN3c104HalfEmLi1EEEvNS_4cuda6detail10TensorInfoIKT_T0_EESA_SA_bjSA_NS7_IS8_SA_EESA_NS7_IlSA_EESA_jjPS8_PjSF_j,"axG",@progbits,_ZN2at6native6mbtopk10gatherTopKIN3c104HalfEmLi1EEEvNS_4cuda6detail10TensorInfoIKT_T0_EESA_SA_bjSA_NS7_IS8_SA_EESA_NS7_IlSA_EESA_jjPS8_PjSF_j,comdat
.Lfunc_end203:
	.size	_ZN2at6native6mbtopk10gatherTopKIN3c104HalfEmLi1EEEvNS_4cuda6detail10TensorInfoIKT_T0_EESA_SA_bjSA_NS7_IS8_SA_EESA_NS7_IlSA_EESA_jjPS8_PjSF_j, .Lfunc_end203-_ZN2at6native6mbtopk10gatherTopKIN3c104HalfEmLi1EEEvNS_4cuda6detail10TensorInfoIKT_T0_EESA_SA_bjSA_NS7_IS8_SA_EESA_NS7_IlSA_EESA_jjPS8_PjSF_j
                                        ; -- End function
	.set _ZN2at6native6mbtopk10gatherTopKIN3c104HalfEmLi1EEEvNS_4cuda6detail10TensorInfoIKT_T0_EESA_SA_bjSA_NS7_IS8_SA_EESA_NS7_IlSA_EESA_jjPS8_PjSF_j.num_vgpr, 22
	.set _ZN2at6native6mbtopk10gatherTopKIN3c104HalfEmLi1EEEvNS_4cuda6detail10TensorInfoIKT_T0_EESA_SA_bjSA_NS7_IS8_SA_EESA_NS7_IlSA_EESA_jjPS8_PjSF_j.num_agpr, 0
	.set _ZN2at6native6mbtopk10gatherTopKIN3c104HalfEmLi1EEEvNS_4cuda6detail10TensorInfoIKT_T0_EESA_SA_bjSA_NS7_IS8_SA_EESA_NS7_IlSA_EESA_jjPS8_PjSF_j.numbered_sgpr, 45
	.set _ZN2at6native6mbtopk10gatherTopKIN3c104HalfEmLi1EEEvNS_4cuda6detail10TensorInfoIKT_T0_EESA_SA_bjSA_NS7_IS8_SA_EESA_NS7_IlSA_EESA_jjPS8_PjSF_j.num_named_barrier, 0
	.set _ZN2at6native6mbtopk10gatherTopKIN3c104HalfEmLi1EEEvNS_4cuda6detail10TensorInfoIKT_T0_EESA_SA_bjSA_NS7_IS8_SA_EESA_NS7_IlSA_EESA_jjPS8_PjSF_j.private_seg_size, 0
	.set _ZN2at6native6mbtopk10gatherTopKIN3c104HalfEmLi1EEEvNS_4cuda6detail10TensorInfoIKT_T0_EESA_SA_bjSA_NS7_IS8_SA_EESA_NS7_IlSA_EESA_jjPS8_PjSF_j.uses_vcc, 1
	.set _ZN2at6native6mbtopk10gatherTopKIN3c104HalfEmLi1EEEvNS_4cuda6detail10TensorInfoIKT_T0_EESA_SA_bjSA_NS7_IS8_SA_EESA_NS7_IlSA_EESA_jjPS8_PjSF_j.uses_flat_scratch, 0
	.set _ZN2at6native6mbtopk10gatherTopKIN3c104HalfEmLi1EEEvNS_4cuda6detail10TensorInfoIKT_T0_EESA_SA_bjSA_NS7_IS8_SA_EESA_NS7_IlSA_EESA_jjPS8_PjSF_j.has_dyn_sized_stack, 0
	.set _ZN2at6native6mbtopk10gatherTopKIN3c104HalfEmLi1EEEvNS_4cuda6detail10TensorInfoIKT_T0_EESA_SA_bjSA_NS7_IS8_SA_EESA_NS7_IlSA_EESA_jjPS8_PjSF_j.has_recursion, 0
	.set _ZN2at6native6mbtopk10gatherTopKIN3c104HalfEmLi1EEEvNS_4cuda6detail10TensorInfoIKT_T0_EESA_SA_bjSA_NS7_IS8_SA_EESA_NS7_IlSA_EESA_jjPS8_PjSF_j.has_indirect_call, 0
	.section	.AMDGPU.csdata,"",@progbits
; Kernel info:
; codeLenInByte = 2292
; TotalNumSgprs: 49
; NumVgprs: 22
; ScratchSize: 0
; MemoryBound: 0
; FloatMode: 240
; IeeeMode: 1
; LDSByteSize: 1068 bytes/workgroup (compile time only)
; SGPRBlocks: 6
; VGPRBlocks: 5
; NumSGPRsForWavesPerEU: 49
; NumVGPRsForWavesPerEU: 22
; Occupancy: 10
; WaveLimiterHint : 1
; COMPUTE_PGM_RSRC2:SCRATCH_EN: 0
; COMPUTE_PGM_RSRC2:USER_SGPR: 6
; COMPUTE_PGM_RSRC2:TRAP_HANDLER: 0
; COMPUTE_PGM_RSRC2:TGID_X_EN: 1
; COMPUTE_PGM_RSRC2:TGID_Y_EN: 1
; COMPUTE_PGM_RSRC2:TGID_Z_EN: 1
; COMPUTE_PGM_RSRC2:TIDIG_COMP_CNT: 0
	.section	.text._ZN2at6native6sbtopk10gatherTopKIN3c104HalfEmLi1ELb0EEEvNS_4cuda6detail10TensorInfoIKT_T0_EESA_SA_bSA_SA_NS7_IS8_SA_EESA_NS7_IlSA_EESA_PS8_,"axG",@progbits,_ZN2at6native6sbtopk10gatherTopKIN3c104HalfEmLi1ELb0EEEvNS_4cuda6detail10TensorInfoIKT_T0_EESA_SA_bSA_SA_NS7_IS8_SA_EESA_NS7_IlSA_EESA_PS8_,comdat
	.protected	_ZN2at6native6sbtopk10gatherTopKIN3c104HalfEmLi1ELb0EEEvNS_4cuda6detail10TensorInfoIKT_T0_EESA_SA_bSA_SA_NS7_IS8_SA_EESA_NS7_IlSA_EESA_PS8_ ; -- Begin function _ZN2at6native6sbtopk10gatherTopKIN3c104HalfEmLi1ELb0EEEvNS_4cuda6detail10TensorInfoIKT_T0_EESA_SA_bSA_SA_NS7_IS8_SA_EESA_NS7_IlSA_EESA_PS8_
	.globl	_ZN2at6native6sbtopk10gatherTopKIN3c104HalfEmLi1ELb0EEEvNS_4cuda6detail10TensorInfoIKT_T0_EESA_SA_bSA_SA_NS7_IS8_SA_EESA_NS7_IlSA_EESA_PS8_
	.p2align	8
	.type	_ZN2at6native6sbtopk10gatherTopKIN3c104HalfEmLi1ELb0EEEvNS_4cuda6detail10TensorInfoIKT_T0_EESA_SA_bSA_SA_NS7_IS8_SA_EESA_NS7_IlSA_EESA_PS8_,@function
_ZN2at6native6sbtopk10gatherTopKIN3c104HalfEmLi1ELb0EEEvNS_4cuda6detail10TensorInfoIKT_T0_EESA_SA_bSA_SA_NS7_IS8_SA_EESA_NS7_IlSA_EESA_PS8_: ; @_ZN2at6native6sbtopk10gatherTopKIN3c104HalfEmLi1ELb0EEEvNS_4cuda6detail10TensorInfoIKT_T0_EESA_SA_bSA_SA_NS7_IS8_SA_EESA_NS7_IlSA_EESA_PS8_
; %bb.0:
	s_load_dwordx2 s[12:13], s[4:5], 0x520
	s_load_dwordx4 s[24:27], s[4:5], 0x1b8
	s_add_u32 s2, s4, 0x520
	s_addc_u32 s3, s5, 0
	s_mov_b32 s17, 0
	s_waitcnt lgkmcnt(0)
	s_mul_i32 s0, s13, s8
	s_add_i32 s0, s0, s7
	s_mul_i32 s0, s0, s12
	s_add_i32 s16, s0, s6
	v_mov_b32_e32 v1, s16
	v_mov_b32_e32 v2, s17
	v_cmp_le_u64_e32 vcc, s[24:25], v[1:2]
	s_cbranch_vccnz .LBB204_497
; %bb.1:
	s_load_dwordx2 s[0:1], s[4:5], 0x440
                                        ; implicit-def: $vgpr52 : SGPR spill to VGPR lane
	v_cmp_eq_u32_e64 s[8:9], 0, v0
	s_waitcnt lgkmcnt(0)
	v_writelane_b32 v52, s0, 0
	v_writelane_b32 v52, s1, 1
	s_load_dwordx2 s[0:1], s[4:5], 0x370
	s_waitcnt lgkmcnt(0)
	v_writelane_b32 v52, s0, 2
	v_writelane_b32 v52, s1, 3
	s_load_dwordx2 s[0:1], s[4:5], 0x298
	s_waitcnt lgkmcnt(0)
	v_writelane_b32 v52, s0, 4
	v_writelane_b32 v52, s1, 5
	s_load_dwordx4 s[28:31], s[4:5], 0x1a0
	s_load_dwordx2 s[0:1], s[4:5], 0x1c8
	s_waitcnt lgkmcnt(0)
	v_writelane_b32 v52, s0, 6
	v_writelane_b32 v52, s1, 7
	s_load_dwordx2 s[0:1], s[4:5], 0xd0
	s_load_dwordx2 s[10:11], s[4:5], 0x0
	s_mov_b64 s[14:15], exec
	v_writelane_b32 v52, s8, 8
	v_writelane_b32 v52, s9, 9
	s_and_b64 s[8:9], s[14:15], s[8:9]
	s_mov_b64 exec, s[8:9]
	s_cbranch_execz .LBB204_3
; %bb.2:
	v_mov_b32_e32 v1, 0
	v_mov_b32_e32 v3, s28
	v_mov_b32_e32 v4, s29
	v_mov_b32_e32 v2, v1
	ds_write_b32 v1, v1 offset:5144
	ds_write_b128 v1, v[1:4] offset:5120
.LBB204_3:
	s_or_b64 exec, exec, s[14:15]
	v_writelane_b32 v52, s4, 10
	s_waitcnt lgkmcnt(0)
	s_mul_i32 s1, s1, s16
	s_mul_hi_u32 s7, s0, s16
	v_writelane_b32 v52, s5, 11
	s_load_dword s4, s[4:5], 0x1b0
	s_add_i32 s1, s7, s1
	s_mov_b32 s8, s16
	s_mul_i32 s0, s0, s16
	v_writelane_b32 v52, s8, 12
	s_lshl_b64 s[0:1], s[0:1], 1
	v_writelane_b32 v52, s9, 13
	s_add_u32 s50, s10, s0
	v_writelane_b32 v52, s0, 14
	s_addc_u32 s51, s11, s1
	s_waitcnt lgkmcnt(0)
	s_bitcmp1_b32 s4, 0
	v_mbcnt_lo_u32_b32 v1, -1, 0
	v_mad_u64_u32 v[4:5], s[4:5], s26, v0, 0
	v_writelane_b32 v52, s1, 15
	s_cselect_b64 s[0:1], -1, 0
	v_mbcnt_hi_u32_b32 v31, -1, v1
	v_writelane_b32 v52, s0, 16
	v_cmp_gt_u32_e32 vcc, 64, v0
	v_cmp_gt_i32_e64 s[10:11], 4, v31
	v_writelane_b32 v52, s1, 17
	s_and_b64 s[4:5], vcc, s[10:11]
	v_writelane_b32 v52, s4, 18
	v_mov_b32_e32 v3, v5
	v_writelane_b32 v52, s5, 19
	v_mad_u64_u32 v[5:6], s[4:5], s27, v0, v[3:4]
	v_mov_b32_e32 v1, 0x600
	v_mov_b32_e32 v2, 0
	v_lshlrev_b64 v[6:7], 1, v[4:5]
	v_cmp_gt_u64_e64 s[4:5], s[28:29], v[1:2]
	v_mov_b32_e32 v2, s51
	v_add_co_u32_e32 v12, vcc, s50, v6
	v_mov_b32_e32 v3, 0
	v_addc_co_u32_e32 v13, vcc, v2, v7, vcc
	v_lshlrev_b64 v[6:7], v31, -1
	v_add_u32_e32 v2, 2, v0
	v_cmp_gt_u64_e32 vcc, s[28:29], v[2:3]
	v_not_b32_e32 v28, v7
	v_mov_b32_e32 v7, s29
	v_writelane_b32 v52, s4, 20
	v_mov_b32_e32 v1, v3
	v_cndmask_b32_e32 v8, 0, v7, vcc
	v_mov_b32_e32 v7, s28
	v_writelane_b32 v52, s5, 21
	v_cmp_gt_u64_e64 s[4:5], s[28:29], v[0:1]
	v_cndmask_b32_e32 v2, v2, v7, vcc
	v_not_b32_e32 v7, v0
	v_add_co_u32_e32 v7, vcc, v2, v7
	v_writelane_b32 v52, s4, 22
	v_addc_co_u32_e32 v8, vcc, -1, v8, vcc
	v_writelane_b32 v52, s5, 23
	v_cmp_lt_u64_e64 s[4:5], 1, v[7:8]
	v_and_b32_e32 v14, -2, v7
	v_writelane_b32 v52, s4, 24
	v_mov_b32_e32 v15, v8
	v_writelane_b32 v52, s5, 25
	v_cmp_ne_u64_e64 s[4:5], v[7:8], v[14:15]
	v_lshlrev_b32_e32 v32, 3, v0
	v_writelane_b32 v52, s4, 26
	v_or_b32_e32 v7, 6, v32
	v_writelane_b32 v52, s5, 27
	v_mad_u64_u32 v[16:17], s[4:5], s26, v7, 0
	v_or_b32_e32 v9, 4, v32
	v_mad_u64_u32 v[18:19], s[4:5], s26, v9, 0
	v_mov_b32_e32 v2, v17
	v_mad_u64_u32 v[7:8], s[4:5], s27, v7, v[2:3]
	v_mov_b32_e32 v2, v19
	v_mad_u64_u32 v[8:9], s[4:5], s27, v9, v[2:3]
	v_or_b32_e32 v9, 2, v32
	v_mad_u64_u32 v[19:20], s[4:5], s26, v9, 0
	v_not_b32_e32 v29, v6
	v_mov_b32_e32 v33, v7
	v_mov_b32_e32 v2, v20
	v_mad_u64_u32 v[6:7], s[4:5], s27, v9, v[2:3]
	s_barrier
	s_load_dword s4, s[2:3], 0xc
	s_xor_b64 s[52:53], s[0:1], -1
	v_cmp_gt_u32_e64 s[8:9], 2, v0
	v_writelane_b32 v52, s8, 28
	v_writelane_b32 v52, s9, 29
	s_waitcnt lgkmcnt(0)
	s_and_b32 s33, s4, 0xffff
	s_bfe_u32 s4, s4, 0xa0006
	s_cmp_gt_u32 s33, 63
	s_cselect_b64 s[8:9], -1, 0
	v_writelane_b32 v52, s8, 30
	s_add_u32 s5, s33, -1
	v_writelane_b32 v52, s9, 31
	s_addc_u32 s7, 0, -1
	v_writelane_b32 v52, s5, 32
	s_add_u32 s5, s5, s28
	s_addc_u32 s61, s7, s29
	s_cmp_lt_u32 s6, s12
	v_writelane_b32 v52, s5, 33
	s_cselect_b32 s5, 12, 18
	s_add_u32 s2, s2, s5
	v_writelane_b32 v52, s7, 34
	s_addc_u32 s3, s3, 0
	v_writelane_b32 v52, s2, 35
	v_writelane_b32 v52, s3, 36
	s_add_i32 s2, s4, -1
	s_bfe_u32 s3, s33, 0x30006
	s_and_b32 s2, s2, 0xffff
	s_cmp_gt_u32 s2, 6
	s_cselect_b64 s[6:7], -1, 0
	v_writelane_b32 v52, s6, 37
	s_and_b32 s62, s4, 0x3f8
	v_writelane_b32 v52, s7, 38
	s_cmp_lg_u32 s3, 0
	v_writelane_b32 v52, s3, 39
	s_cselect_b64 s[2:3], -1, 0
	v_writelane_b32 v52, s2, 40
	v_writelane_b32 v52, s3, 41
	v_lshlrev_b32_e32 v2, 2, v31
	v_writelane_b32 v52, s52, 42
	v_and_b32_e32 v30, 0x100, v2
	v_lshrrev_b32_e32 v2, 1, v0
	s_mov_b32 s60, s26
	v_writelane_b32 v52, s53, 43
	v_and_b32_e32 v2, 0x1e0, v2
	s_mov_b32 s54, s27
	s_mul_i32 s2, s27, s33
	s_mul_hi_u32 s3, s26, s33
	v_writelane_b32 v52, s60, 44
	v_or_b32_e32 v36, 0xc00, v2
	s_lshl_b64 s[20:21], s[26:27], 1
	v_lshlrev_b64 v[22:23], 3, v[4:5]
	v_mov_b32_e32 v2, 0xc00
	s_add_i32 s3, s3, s2
	s_mul_i32 s2, s26, s33
	v_lshlrev_b32_e32 v39, 1, v0
	v_mov_b32_e32 v24, s30
	v_writelane_b32 v52, s54, 45
	s_mov_b32 s55, 0
	v_cmp_eq_u32_e64 s[0:1], 0, v31
	v_mov_b32_e32 v34, v8
	v_lshlrev_b32_e32 v20, 2, v0
	v_mov_b32_e32 v21, v3
	v_mov_b32_e32 v35, v6
	s_lshl_b64 s[70:71], s[26:27], 3
	v_lshl_or_b32 v37, v31, 3, v2
	s_lshl_b32 s63, s33, 1
	s_lshl_b64 s[34:35], s[2:3], 1
	s_mov_b32 s69, 14
	s_mov_b64 s[72:73], 0
	v_add_u32_e32 v40, 0xc00, v39
	v_mov_b32_e32 v41, 0xffff
	v_mov_b32_e32 v42, 0x8000
	;; [unrolled: 1-line block ×3, first 2 shown]
	v_mov_b32_e32 v44, -1
	v_mov_b32_e32 v45, 0x5040100
	v_mov_b32_e32 v47, 0
	v_add_co_u32_e32 v17, vcc, v14, v0
	v_mov_b32_e32 v25, s31
	v_mov_b32_e32 v38, 0
	s_mov_b32 s68, 0
	v_mov_b32_e32 v46, 0
	v_writelane_b32 v52, s20, 46
                                        ; implicit-def: $sgpr74_sgpr75
                                        ; implicit-def: $sgpr76_sgpr77
                                        ; implicit-def: $sgpr78_sgpr79
                                        ; implicit-def: $sgpr82_sgpr83
                                        ; implicit-def: $sgpr80_sgpr81
                                        ; implicit-def: $sgpr84_sgpr85
                                        ; implicit-def: $sgpr86_sgpr87
                                        ; implicit-def: $sgpr88_sgpr89
                                        ; implicit-def: $sgpr90_sgpr91
                                        ; implicit-def: $sgpr92_sgpr93
	v_writelane_b32 v52, s21, 47
	s_branch .LBB204_6
.LBB204_4:                              ;   in Loop: Header=BB204_6 Depth=1
	s_or_b64 exec, exec, s[8:9]
	s_andn2_b64 s[8:9], s[92:93], exec
	s_and_b64 s[6:7], s[6:7], exec
	v_mov_b32_e32 v25, v5
	s_or_b64 s[92:93], s[8:9], s[6:7]
	s_andn2_b64 s[90:91], s[90:91], exec
	s_andn2_b64 s[88:89], s[88:89], exec
	;; [unrolled: 1-line block ×4, first 2 shown]
	s_orn2_b64 s[4:5], s[4:5], exec
	v_mov_b32_e32 v24, v4
.LBB204_5:                              ;   in Loop: Header=BB204_6 Depth=1
	s_or_b64 exec, exec, s[2:3]
	s_and_b64 s[2:3], exec, s[4:5]
	s_or_b64 s[72:73], s[2:3], s[72:73]
	s_andn2_b64 s[2:3], s[80:81], exec
	s_and_b64 s[4:5], s[92:93], exec
	s_or_b64 s[80:81], s[2:3], s[4:5]
	s_andn2_b64 s[2:3], s[82:83], exec
	s_and_b64 s[4:5], s[90:91], exec
	;; [unrolled: 3-line block ×5, first 2 shown]
	s_or_b64 s[74:75], s[2:3], s[4:5]
	s_andn2_b64 exec, exec, s[72:73]
	s_cbranch_execz .LBB204_493
.LBB204_6:                              ; =>This Loop Header: Depth=1
                                        ;     Child Loop BB204_11 Depth 2
                                        ;     Child Loop BB204_25 Depth 2
	;; [unrolled: 1-line block ×25, first 2 shown]
	ds_read_b128 v[4:7], v3 offset:5120
	s_waitcnt lgkmcnt(0)
	v_readfirstlane_b32 s43, v5
	v_readfirstlane_b32 s42, v4
	s_cmp_lg_u64 s[42:43], 0
	s_cbranch_scc1 .LBB204_38
; %bb.7:                                ;   in Loop: Header=BB204_6 Depth=1
	v_readlane_b32 s2, v52, 20
	v_readlane_b32 s3, v52, 21
	s_and_b64 vcc, exec, s[2:3]
	s_cbranch_vccz .LBB204_19
; %bb.8:                                ;   in Loop: Header=BB204_6 Depth=1
	s_mov_b64 s[2:3], 0x601
	v_cmp_gt_u64_e32 vcc, s[2:3], v[6:7]
	s_mov_b64 s[2:3], 0
	s_mov_b64 s[4:5], 0
	s_cbranch_vccz .LBB204_20
; %bb.9:                                ;   in Loop: Header=BB204_6 Depth=1
	v_readlane_b32 s4, v52, 35
	v_readlane_b32 s5, v52, 36
	global_load_ushort v8, v[12:13], off
	s_mov_b64 s[8:9], 0
	s_nop 2
	global_load_ushort v6, v3, s[4:5]
	s_waitcnt vmcnt(0)
	v_and_b32_e32 v2, 0xffff, v6
	v_add_co_u32_e32 v7, vcc, v0, v2
	v_addc_co_u32_e64 v4, s[4:5], 0, 0, vcc
	v_mul_lo_u32 v9, s20, v4
	v_mov_b32_e32 v4, s50
	v_mov_b32_e32 v5, s51
	v_mul_lo_u32 v10, s21, v7
	v_mad_u64_u32 v[4:5], s[4:5], s20, v7, v[4:5]
	v_readfirstlane_b32 s4, v6
	s_and_b32 s4, 0xffff, s4
	s_mul_i32 s5, s21, s4
	s_mul_hi_u32 s6, s20, s4
	v_mov_b32_e32 v7, v1
	v_add3_u32 v5, v10, v5, v9
	s_add_i32 s14, s6, s5
	s_mul_i32 s15, s20, s4
	v_mov_b32_e32 v6, v0
	s_branch .LBB204_11
.LBB204_10:                             ;   in Loop: Header=BB204_11 Depth=2
	s_or_b64 exec, exec, s[4:5]
	v_mov_b32_e32 v8, s14
	v_add_co_u32_e32 v4, vcc, s15, v4
	v_addc_co_u32_e32 v5, vcc, v5, v8, vcc
	s_waitcnt vmcnt(0)
	v_mov_b32_e32 v8, v9
	s_andn2_b64 exec, exec, s[8:9]
	s_cbranch_execz .LBB204_94
.LBB204_11:                             ;   Parent Loop BB204_6 Depth=1
                                        ; =>  This Inner Loop Header: Depth=2
	v_add_co_u32_e32 v6, vcc, v6, v2
	v_addc_co_u32_e32 v7, vcc, 0, v7, vcc
	v_cmp_gt_u64_e64 s[6:7], s[28:29], v[6:7]
	v_cmp_le_u64_e32 vcc, s[28:29], v[6:7]
	s_waitcnt lgkmcnt(0)
	v_mov_b32_e32 v10, 0
	v_mov_b32_e32 v9, 0
	s_and_saveexec_b64 s[4:5], s[6:7]
	s_cbranch_execz .LBB204_13
; %bb.12:                               ;   in Loop: Header=BB204_11 Depth=2
	global_load_ushort v9, v[4:5], off
.LBB204_13:                             ;   in Loop: Header=BB204_11 Depth=2
	s_or_b64 exec, exec, s[4:5]
	v_cmp_lt_i16_e64 s[6:7], -1, v8
	v_cndmask_b32_e64 v11, v41, v42, s[6:7]
	v_xor_b32_sdwa v11, v11, v8 dst_sel:DWORD dst_unused:UNUSED_PAD src0_sel:DWORD src1_sel:WORD_0
	v_cmp_o_f16_e64 s[6:7], v8, v8
	v_cndmask_b32_e64 v11, v41, v11, s[6:7]
	v_and_b32_e32 v11, v11, v46
	v_cmp_eq_u32_e64 s[18:19], v11, v38
	s_cmp_lg_u64 s[18:19], 0
	s_cselect_b64 s[4:5], -1, 0
	s_and_b64 s[6:7], s[0:1], s[4:5]
	s_and_saveexec_b64 s[4:5], s[6:7]
	s_cbranch_execz .LBB204_17
; %bb.14:                               ;   in Loop: Header=BB204_11 Depth=2
	s_mov_b64 s[12:13], exec
	v_mbcnt_lo_u32_b32 v10, s12, 0
	v_mbcnt_hi_u32_b32 v10, s13, v10
	s_bcnt1_i32_b64 s16, s[18:19]
	v_cmp_eq_u32_e64 s[6:7], 0, v10
                                        ; implicit-def: $vgpr11
	s_and_saveexec_b64 s[10:11], s[6:7]
; %bb.15:                               ;   in Loop: Header=BB204_11 Depth=2
	s_bcnt1_i32_b64 s6, s[12:13]
	s_mul_i32 s6, s16, s6
	v_mov_b32_e32 v11, s6
	ds_add_rtn_u32 v11, v3, v11 offset:5144
; %bb.16:                               ;   in Loop: Header=BB204_11 Depth=2
	s_or_b64 exec, exec, s[10:11]
	s_waitcnt lgkmcnt(0)
	v_readfirstlane_b32 s6, v11
	v_mov_b32_e32 v11, s6
	v_mad_u32_u24 v10, s16, v10, v11
.LBB204_17:                             ;   in Loop: Header=BB204_11 Depth=2
	s_or_b64 exec, exec, s[4:5]
	ds_bpermute_b32 v10, v30, v10
	s_and_b64 s[4:5], exec, vcc
	s_or_b64 s[8:9], s[4:5], s[8:9]
	s_and_saveexec_b64 s[4:5], s[18:19]
	s_cbranch_execz .LBB204_10
; %bb.18:                               ;   in Loop: Header=BB204_11 Depth=2
	v_and_b32_e32 v26, s18, v29
	v_and_b32_e32 v11, s19, v28
	v_bcnt_u32_b32 v26, v26, 0
	v_bcnt_u32_b32 v11, v11, v26
	v_lshlrev_b32_e32 v11, 1, v11
	s_waitcnt lgkmcnt(0)
	v_lshl_add_u32 v10, v10, 1, v11
	ds_write_b16 v10, v8
	s_branch .LBB204_10
.LBB204_19:                             ;   in Loop: Header=BB204_6 Depth=1
	s_mov_b64 s[2:3], -1
	s_mov_b64 s[4:5], 0
.LBB204_20:                             ;   in Loop: Header=BB204_6 Depth=1
	s_and_b64 vcc, exec, s[2:3]
	s_cbranch_vccz .LBB204_36
.LBB204_21:                             ;   in Loop: Header=BB204_6 Depth=1
	s_mov_b64 s[2:3], exec
	v_readlane_b32 s4, v52, 22
	v_readlane_b32 s5, v52, 23
	s_and_b64 s[4:5], s[2:3], s[4:5]
	s_mov_b64 exec, s[4:5]
	s_cbranch_execz .LBB204_33
; %bb.22:                               ;   in Loop: Header=BB204_6 Depth=1
	v_readlane_b32 s4, v52, 35
	v_readlane_b32 s5, v52, 36
	s_nop 4
	global_load_ushort v2, v3, s[4:5]
	global_load_ushort v11, v[12:13], off
	v_mov_b32_e32 v6, v0
	s_waitcnt vmcnt(1)
	v_readfirstlane_b32 s4, v2
	v_add_u32_sdwa v2, v2, v0 dst_sel:DWORD dst_unused:UNUSED_PAD src0_sel:WORD_0 src1_sel:DWORD
	v_cmp_gt_u64_e32 vcc, s[28:29], v[2:3]
	s_and_saveexec_b64 s[8:9], vcc
	s_cbranch_execz .LBB204_32
; %bb.23:                               ;   in Loop: Header=BB204_6 Depth=1
	s_and_b32 s12, s4, 0xffff
	s_cmp_eq_u32 s12, 1
	v_readlane_b32 s6, v52, 24
                                        ; implicit-def: $vgpr6_vgpr7
	s_cselect_b64 s[4:5], -1, 0
	v_readlane_b32 s7, v52, 25
	v_mov_b32_e32 v8, v1
	v_mov_b32_e32 v5, v3
	s_and_b64 s[4:5], s[6:7], s[4:5]
	s_mov_b64 s[10:11], -1
	v_mov_b32_e32 v7, v0
	v_mov_b32_e32 v4, v2
	s_and_saveexec_b64 s[6:7], s[4:5]
	s_cbranch_execz .LBB204_27
; %bb.24:                               ;   in Loop: Header=BB204_6 Depth=1
	v_add_co_u32_e32 v4, vcc, 1, v2
	v_addc_co_u32_e64 v5, s[4:5], 0, 0, vcc
	v_mov_b32_e32 v8, v14
	v_mov_b32_e32 v7, v5
	s_waitcnt vmcnt(0)
	v_lshlrev_b32_e32 v26, 16, v11
	s_mov_b64 s[10:11], 0
	v_mov_b32_e32 v9, v15
	v_mov_b32_e32 v10, v39
	;; [unrolled: 1-line block ×5, first 2 shown]
.LBB204_25:                             ;   Parent Loop BB204_6 Depth=1
                                        ; =>  This Inner Loop Header: Depth=2
	v_mul_lo_u32 v11, v7, s26
	v_mul_lo_u32 v27, v6, s27
	v_mad_u64_u32 v[48:49], s[4:5], v6, s26, 0
	v_mad_u64_u32 v[50:51], s[4:5], v4, s60, 0
	v_add3_u32 v49, v49, v27, v11
	v_mul_lo_u32 v11, v5, s60
	v_mul_lo_u32 v27, v4, s54
	v_lshlrev_b64 v[48:49], 1, v[48:49]
	s_mov_b32 s4, 0x5040100
	v_add3_u32 v51, v51, v27, v11
	v_lshlrev_b64 v[50:51], 1, v[50:51]
	v_mov_b32_e32 v11, s51
	v_add_co_u32_e32 v50, vcc, s50, v50
	v_addc_co_u32_e32 v51, vcc, v11, v51, vcc
	v_add_co_u32_e32 v48, vcc, s50, v48
	v_addc_co_u32_e32 v49, vcc, v11, v49, vcc
	global_load_ushort v27, v[50:51], off
	global_load_ushort v11, v[48:49], off
	v_add_co_u32_e32 v6, vcc, 2, v6
	v_addc_co_u32_e32 v7, vcc, 0, v7, vcc
	v_add_co_u32_e32 v4, vcc, 2, v4
	v_addc_co_u32_e32 v5, vcc, 0, v5, vcc
	v_add_co_u32_e32 v8, vcc, -2, v8
	v_addc_co_u32_e32 v9, vcc, -1, v9, vcc
	v_cmp_eq_u64_e32 vcc, 0, v[8:9]
	s_or_b64 s[10:11], vcc, s[10:11]
	s_waitcnt vmcnt(1)
	v_alignbit_b32 v26, v27, v26, 16
	s_waitcnt vmcnt(0)
	v_perm_b32 v48, v11, v27, s4
	ds_write_b32 v10, v26
	v_add_u32_e32 v10, 4, v10
	v_mov_b32_e32 v26, v48
	s_andn2_b64 exec, exec, s[10:11]
	s_cbranch_execnz .LBB204_25
; %bb.26:                               ;   in Loop: Header=BB204_6 Depth=1
	s_or_b64 exec, exec, s[10:11]
	v_readlane_b32 s4, v52, 26
	v_add_co_u32_e32 v4, vcc, v2, v14
	v_readlane_b32 s5, v52, 27
	v_addc_co_u32_e32 v5, vcc, 0, v15, vcc
	v_add_co_u32_e32 v6, vcc, -1, v4
	s_orn2_b64 s[10:11], s[4:5], exec
	v_mov_b32_e32 v7, v17
	v_mov_b32_e32 v8, v18
.LBB204_27:                             ;   in Loop: Header=BB204_6 Depth=1
	s_or_b64 exec, exec, s[6:7]
	s_and_saveexec_b64 s[4:5], s[10:11]
	s_cbranch_execz .LBB204_31
; %bb.28:                               ;   in Loop: Header=BB204_6 Depth=1
	v_mov_b32_e32 v8, s50
	v_mov_b32_e32 v9, s51
	v_mad_u64_u32 v[9:10], s[6:7], s20, v4, v[8:9]
	v_mul_lo_u32 v2, s20, v5
	v_mul_lo_u32 v6, s21, v4
	s_mul_i32 s6, s21, s12
	s_mul_hi_u32 s7, s20, s12
	s_mov_b64 s[10:11], 0
	s_sub_u32 s13, 0, s12
	v_add3_u32 v10, v6, v10, v2
	s_add_i32 s14, s7, s6
.LBB204_29:                             ;   Parent Loop BB204_6 Depth=1
                                        ; =>  This Inner Loop Header: Depth=2
	s_waitcnt vmcnt(0)
	v_mov_b32_e32 v2, v11
	global_load_ushort v11, v[9:10], off
	v_mov_b32_e32 v27, v5
	v_mov_b32_e32 v26, v4
	v_lshlrev_b32_e32 v4, 1, v7
	ds_write_b16 v4, v2
	v_add_co_u32_e32 v4, vcc, s12, v26
	v_addc_co_u32_e32 v5, vcc, 0, v27, vcc
	s_mul_i32 s6, s20, s12
	v_mov_b32_e32 v2, s14
	v_add_co_u32_e32 v9, vcc, s6, v9
	v_addc_co_u32_e32 v10, vcc, v10, v2, vcc
	v_cmp_le_u64_e32 vcc, s[28:29], v[4:5]
	v_add_co_u32_e64 v6, s[6:7], s13, v4
	s_or_b64 s[10:11], vcc, s[10:11]
	v_mov_b32_e32 v7, v26
	v_mov_b32_e32 v8, v27
	s_andn2_b64 exec, exec, s[10:11]
	s_cbranch_execnz .LBB204_29
; %bb.30:                               ;   in Loop: Header=BB204_6 Depth=1
	s_or_b64 exec, exec, s[10:11]
.LBB204_31:                             ;   in Loop: Header=BB204_6 Depth=1
	s_or_b64 exec, exec, s[4:5]
.LBB204_32:                             ;   in Loop: Header=BB204_6 Depth=1
	s_or_b64 exec, exec, s[8:9]
	v_lshlrev_b32_e32 v2, 1, v6
	s_waitcnt vmcnt(0)
	ds_write_b16 v2, v11
.LBB204_33:                             ;   in Loop: Header=BB204_6 Depth=1
	s_or_b64 exec, exec, s[2:3]
	s_waitcnt lgkmcnt(0)
	s_barrier
	s_mov_b64 s[2:3], exec
	v_readlane_b32 s4, v52, 8
	v_readlane_b32 s5, v52, 9
	s_and_b64 s[4:5], s[2:3], s[4:5]
	s_mov_b64 exec, s[4:5]
; %bb.34:                               ;   in Loop: Header=BB204_6 Depth=1
	v_mov_b32_e32 v4, s28
	v_mov_b32_e32 v5, s29
	ds_write_b64 v3, v[4:5] offset:5120
; %bb.35:                               ;   in Loop: Header=BB204_6 Depth=1
	s_or_b64 exec, exec, s[2:3]
	s_mov_b64 s[4:5], -1
	s_waitcnt lgkmcnt(0)
	s_barrier
.LBB204_36:                             ;   in Loop: Header=BB204_6 Depth=1
	s_mov_b64 s[42:43], 0
	s_and_b64 vcc, exec, s[4:5]
	s_cbranch_vccz .LBB204_38
; %bb.37:                               ;   in Loop: Header=BB204_6 Depth=1
	ds_read_b64 v[4:5], v3 offset:5120
	s_waitcnt lgkmcnt(0)
	v_readfirstlane_b32 s42, v4
.LBB204_38:                             ;   in Loop: Header=BB204_6 Depth=1
	s_cmp_lt_i32 s42, 1
	s_mov_b64 s[2:3], -1
                                        ; implicit-def: $vgpr4_vgpr5
                                        ; implicit-def: $vgpr8_vgpr9
	s_cbranch_scc1 .LBB204_48
; %bb.39:                               ;   in Loop: Header=BB204_6 Depth=1
	s_and_b64 vcc, exec, s[2:3]
	s_cbranch_vccnz .LBB204_62
.LBB204_40:                             ;   in Loop: Header=BB204_6 Depth=1
	s_lshl_b32 s4, s68, 6
	s_and_saveexec_b64 s[2:3], s[0:1]
	s_cbranch_execz .LBB204_42
.LBB204_41:                             ;   in Loop: Header=BB204_6 Depth=1
	v_lshl_add_u32 v2, s4, 3, v36
	ds_write_b128 v2, v[4:7]
	ds_write_b128 v2, v[8:11] offset:16
.LBB204_42:                             ;   in Loop: Header=BB204_6 Depth=1
	s_or_b64 exec, exec, s[2:3]
	s_waitcnt lgkmcnt(0)
	s_barrier
	s_mov_b64 s[2:3], exec
	v_readlane_b32 s6, v52, 18
	v_readlane_b32 s7, v52, 19
	s_and_b64 s[6:7], s[2:3], s[6:7]
	s_mov_b64 exec, s[6:7]
	s_cbranch_execz .LBB204_77
; %bb.43:                               ;   in Loop: Header=BB204_6 Depth=1
	v_readlane_b32 s6, v52, 30
	v_mov_b32_e32 v4, 0
	v_readlane_b32 s7, v52, 31
	v_mov_b32_e32 v5, 0
	s_andn2_b64 vcc, exec, s[6:7]
	s_cbranch_vccnz .LBB204_76
; %bb.44:                               ;   in Loop: Header=BB204_6 Depth=1
	v_readlane_b32 s6, v52, 37
	v_readlane_b32 s7, v52, 38
	s_andn2_b64 vcc, exec, s[6:7]
	s_cbranch_vccnz .LBB204_72
; %bb.45:                               ;   in Loop: Header=BB204_6 Depth=1
	v_mov_b32_e32 v4, 0
	v_lshl_add_u32 v2, s68, 9, v37
	v_mov_b32_e32 v5, 0
	s_mov_b32 s5, 0
.LBB204_46:                             ;   Parent Loop BB204_6 Depth=1
                                        ; =>  This Inner Loop Header: Depth=2
	ds_read2_b64 v[6:9], v2 offset1:4
	s_add_i32 s5, s5, 8
	s_cmp_eq_u32 s62, s5
	s_waitcnt lgkmcnt(0)
	v_add_co_u32_e32 v4, vcc, v6, v4
	v_addc_co_u32_e32 v5, vcc, v7, v5, vcc
	v_add_co_u32_e32 v8, vcc, v8, v4
	v_addc_co_u32_e32 v9, vcc, v9, v5, vcc
	ds_read2_b64 v[4:7], v2 offset0:8 offset1:12
	s_waitcnt lgkmcnt(0)
	v_add_co_u32_e32 v4, vcc, v4, v8
	v_addc_co_u32_e32 v5, vcc, v5, v9, vcc
	v_add_co_u32_e32 v8, vcc, v6, v4
	v_addc_co_u32_e32 v9, vcc, v7, v5, vcc
	ds_read2_b64 v[4:7], v2 offset0:16 offset1:20
	s_waitcnt lgkmcnt(0)
	v_add_co_u32_e32 v4, vcc, v4, v8
	v_addc_co_u32_e32 v5, vcc, v5, v9, vcc
	v_add_co_u32_e32 v8, vcc, v6, v4
	v_addc_co_u32_e32 v9, vcc, v7, v5, vcc
	ds_read2_b64 v[4:7], v2 offset0:24 offset1:28
	v_add_u32_e32 v2, 0x100, v2
	s_waitcnt lgkmcnt(0)
	v_add_co_u32_e32 v4, vcc, v4, v8
	v_addc_co_u32_e32 v5, vcc, v5, v9, vcc
	v_add_co_u32_e32 v4, vcc, v6, v4
	v_addc_co_u32_e32 v5, vcc, v7, v5, vcc
	s_cbranch_scc0 .LBB204_46
; %bb.47:                               ;   in Loop: Header=BB204_6 Depth=1
	s_mov_b32 s5, s62
	s_branch .LBB204_73
.LBB204_48:                             ;   in Loop: Header=BB204_6 Depth=1
	v_readlane_b32 s2, v52, 35
	v_readlane_b32 s3, v52, 36
	s_nop 4
	global_load_ushort v2, v3, s[2:3]
	s_mov_b32 s2, s55
	s_waitcnt vmcnt(0)
	v_readfirstlane_b32 s3, v2
	s_and_b32 s10, s3, 0xffff
	s_lshl_b32 s8, s10, 2
	s_mov_b32 s3, s29
	s_cmp_lg_u64 s[2:3], 0
	s_cbranch_scc0 .LBB204_71
; %bb.49:                               ;   in Loop: Header=BB204_6 Depth=1
	v_cvt_f32_u32_e32 v2, s8
	s_sub_u32 s4, 0, s8
	s_subb_u32 s5, 0, 0
	v_mac_f32_e32 v2, 0, v43
	v_rcp_f32_e32 v2, v2
	v_mul_f32_e32 v2, 0x5f7ffffc, v2
	v_mul_f32_e32 v4, 0x2f800000, v2
	v_trunc_f32_e32 v4, v4
	v_mac_f32_e32 v2, 0xcf800000, v4
	v_cvt_u32_f32_e32 v4, v4
	v_cvt_u32_f32_e32 v2, v2
	v_readfirstlane_b32 s6, v4
	v_readfirstlane_b32 s2, v2
	s_mul_i32 s3, s4, s6
	s_mul_hi_u32 s9, s4, s2
	s_mul_i32 s7, s5, s2
	s_add_i32 s3, s9, s3
	s_mul_i32 s11, s4, s2
	s_add_i32 s3, s3, s7
	s_mul_hi_u32 s9, s2, s11
	s_mul_i32 s12, s2, s3
	s_mul_hi_u32 s7, s2, s3
	s_add_u32 s9, s9, s12
	s_addc_u32 s7, 0, s7
	s_mul_hi_u32 s13, s6, s11
	s_mul_i32 s11, s6, s11
	s_add_u32 s9, s9, s11
	s_mul_hi_u32 s12, s6, s3
	s_addc_u32 s7, s7, s13
	s_addc_u32 s9, s12, 0
	s_mul_i32 s3, s6, s3
	s_add_u32 s3, s7, s3
	s_addc_u32 s7, 0, s9
	s_add_u32 s9, s2, s3
	s_cselect_b64 s[2:3], -1, 0
	s_cmp_lg_u64 s[2:3], 0
	s_addc_u32 s6, s6, s7
	s_mul_i32 s2, s4, s6
	s_mul_hi_u32 s3, s4, s9
	s_add_i32 s2, s3, s2
	s_mul_i32 s5, s5, s9
	s_add_i32 s2, s2, s5
	s_mul_i32 s4, s4, s9
	s_mul_hi_u32 s5, s6, s4
	s_mul_i32 s7, s6, s4
	s_mul_i32 s12, s9, s2
	s_mul_hi_u32 s4, s9, s4
	s_mul_hi_u32 s11, s9, s2
	s_add_u32 s4, s4, s12
	s_addc_u32 s11, 0, s11
	s_add_u32 s4, s4, s7
	s_mul_hi_u32 s3, s6, s2
	s_addc_u32 s4, s11, s5
	s_addc_u32 s3, s3, 0
	s_mul_i32 s2, s6, s2
	s_add_u32 s2, s4, s2
	s_addc_u32 s4, 0, s3
	s_add_u32 s5, s9, s2
	s_cselect_b64 s[2:3], -1, 0
	s_cmp_lg_u64 s[2:3], 0
	s_addc_u32 s2, s6, s4
	s_mul_i32 s4, s28, s2
	s_mul_hi_u32 s6, s28, s5
	s_mul_hi_u32 s3, s28, s2
	s_add_u32 s4, s6, s4
	s_addc_u32 s3, 0, s3
	s_mul_hi_u32 s7, s29, s5
	s_mul_i32 s5, s29, s5
	s_add_u32 s4, s4, s5
	s_mul_hi_u32 s6, s29, s2
	s_addc_u32 s3, s3, s7
	s_addc_u32 s4, s6, 0
	s_mul_i32 s2, s29, s2
	s_add_u32 s2, s3, s2
	s_addc_u32 s3, 0, s4
	s_mul_i32 s3, s8, s3
	s_mul_hi_u32 s4, s8, s2
	s_add_i32 s4, s4, s3
	s_mul_i32 s2, s8, s2
	s_sub_u32 s5, s28, s2
	s_cselect_b64 s[2:3], -1, 0
	s_cmp_lg_u64 s[2:3], 0
	s_subb_u32 s4, s29, s4
	s_sub_u32 s6, s5, s8
	s_cselect_b64 s[2:3], -1, 0
	s_cmp_lg_u64 s[2:3], 0
	s_subb_u32 s7, s4, 0
	;; [unrolled: 4-line block ×3, first 2 shown]
	s_cmp_ge_u32 s6, s8
	s_cselect_b32 s3, -1, 0
	s_cmp_eq_u32 s7, 0
	s_cselect_b32 s3, s3, -1
	s_cmp_lg_u32 s3, 0
	s_cselect_b32 s2, s2, s7
	s_cselect_b32 s6, s9, s6
	s_cmp_ge_u32 s5, s8
	s_cselect_b32 s3, -1, 0
	s_cmp_eq_u32 s4, 0
	s_cselect_b32 s3, s3, -1
	s_cmp_lg_u32 s3, 0
	s_cselect_b32 s3, s2, s4
	s_cselect_b32 s2, s6, s5
	s_cbranch_execnz .LBB204_51
.LBB204_50:                             ;   in Loop: Header=BB204_6 Depth=1
	v_cvt_f32_u32_e32 v2, s8
	s_sub_i32 s2, 0, s8
	v_rcp_iflag_f32_e32 v2, v2
	v_mul_f32_e32 v2, 0x4f7ffffe, v2
	v_cvt_u32_f32_e32 v2, v2
	v_readfirstlane_b32 s3, v2
	s_mul_i32 s2, s2, s3
	s_mul_hi_u32 s2, s3, s2
	s_add_i32 s3, s3, s2
	s_mul_hi_u32 s2, s28, s3
	s_mul_i32 s2, s2, s8
	s_sub_i32 s2, s28, s2
	s_sub_i32 s3, s2, s8
	s_cmp_ge_u32 s2, s8
	s_cselect_b32 s2, s3, s2
	s_sub_i32 s3, s2, s8
	s_cmp_ge_u32 s2, s8
	s_cselect_b32 s54, s3, s2
	s_mov_b64 s[2:3], s[54:55]
	v_readlane_b32 s54, v52, 45
.LBB204_51:                             ;   in Loop: Header=BB204_6 Depth=1
	s_sub_u32 s2, s28, s2
	s_subb_u32 s3, s29, s3
	v_cmp_gt_u64_e32 vcc, s[2:3], v[20:21]
	v_mov_b32_e32 v4, 0
	v_mov_b32_e32 v6, 0
	v_mov_b32_e32 v8, 0
	v_mov_b32_e32 v10, 0
	v_mov_b32_e32 v5, 0
	v_mov_b32_e32 v7, 0
	v_mov_b32_e32 v9, 0
	v_mov_b32_e32 v11, 0
	s_and_saveexec_b64 s[12:13], vcc
	s_cbranch_execz .LBB204_55
; %bb.52:                               ;   in Loop: Header=BB204_6 Depth=1
	s_mul_i32 s4, s71, s10
	s_mul_hi_u32 s5, s70, s10
	v_mov_b32_e32 v27, v21
	s_add_i32 s4, s5, s4
	s_mov_b64 s[14:15], 0
	s_mov_b64 s[20:21], s[50:51]
	;; [unrolled: 1-line block ×6, first 2 shown]
	v_mov_b32_e32 v26, v20
.LBB204_53:                             ;   Parent Loop BB204_6 Depth=1
                                        ; =>  This Inner Loop Header: Depth=2
	v_add_co_u32_e32 v4, vcc, s20, v22
	v_mov_b32_e32 v2, s21
	v_addc_co_u32_e32 v5, vcc, v2, v23, vcc
	global_load_ushort v6, v[4:5], off
	v_add_co_u32_e32 v4, vcc, s20, v19
	v_addc_co_u32_e32 v5, vcc, v2, v35, vcc
	global_load_ushort v7, v[4:5], off
	v_add_co_u32_e32 v4, vcc, s20, v18
	;; [unrolled: 3-line block ×3, first 2 shown]
	v_addc_co_u32_e32 v5, vcc, v2, v33, vcc
	global_load_ushort v2, v[4:5], off
	s_waitcnt vmcnt(3)
	v_cmp_lt_i16_e32 vcc, -1, v6
	v_cndmask_b32_e32 v4, v41, v42, vcc
	v_cmp_o_f16_e32 vcc, v6, v6
	v_xor_b32_sdwa v4, v4, v6 dst_sel:DWORD dst_unused:UNUSED_PAD src0_sel:DWORD src1_sel:WORD_0
	v_cndmask_b32_e32 v4, v41, v4, vcc
	s_waitcnt vmcnt(2)
	v_cmp_lt_i16_e32 vcc, -1, v7
	v_cndmask_b32_e32 v5, v41, v42, vcc
	v_cmp_o_f16_e32 vcc, v7, v7
	v_xor_b32_sdwa v5, v5, v7 dst_sel:DWORD dst_unused:UNUSED_PAD src0_sel:DWORD src1_sel:WORD_0
	v_cndmask_b32_e32 v5, v41, v5, vcc
	;; [unrolled: 6-line block ×3, first 2 shown]
	s_waitcnt vmcnt(0)
	v_cmp_lt_i16_e32 vcc, -1, v2
	v_cndmask_b32_e32 v7, v41, v42, vcc
	v_cmp_o_f16_e32 vcc, v2, v2
	v_xor_b32_sdwa v2, v7, v2 dst_sel:DWORD dst_unused:UNUSED_PAD src0_sel:DWORD src1_sel:WORD_0
	v_and_b32_e32 v7, v4, v46
	v_bfe_u32 v4, v4, s69, 2
	v_cndmask_b32_e32 v2, v41, v2, vcc
	v_cmp_eq_u32_e32 vcc, v7, v38
	v_and_b32_e32 v7, v5, v46
	v_bfe_u32 v5, v5, s69, 2
	v_cmp_eq_u32_e64 s[24:25], 0, v4
	v_cmp_eq_u32_e64 s[6:7], v7, v38
	v_and_b32_e32 v7, v6, v46
	v_bfe_u32 v6, v6, s69, 2
	s_and_b64 s[16:17], vcc, s[24:25]
	v_cmp_eq_u32_e64 s[24:25], 0, v5
	v_cmp_eq_u32_e64 s[18:19], v7, v38
	v_and_b32_e32 v7, v2, v46
	v_bfe_u32 v2, v2, s69, 2
	s_and_b64 s[40:41], s[6:7], s[24:25]
	v_cmp_eq_u32_e64 s[24:25], 0, v6
	v_cmp_eq_u32_e64 s[22:23], v7, v38
	s_and_b64 s[48:49], s[18:19], s[24:25]
	v_cmp_eq_u32_e64 s[24:25], 0, v2
	v_cndmask_b32_e64 v7, 0, 1, s[16:17]
	s_and_b64 s[52:53], s[22:23], s[24:25]
	v_cmp_ne_u32_e64 s[24:25], 0, v7
	v_cndmask_b32_e64 v7, 0, 1, s[40:41]
	s_bcnt1_i32_b64 s5, s[24:25]
	v_cmp_ne_u32_e64 s[24:25], 0, v7
	v_cndmask_b32_e64 v7, 0, 1, s[48:49]
	s_bcnt1_i32_b64 s9, s[24:25]
	;; [unrolled: 3-line block ×3, first 2 shown]
	v_cmp_ne_u32_e64 s[24:25], 0, v7
	s_bcnt1_i32_b64 s16, s[24:25]
	s_add_u32 s5, s5, s46
	s_addc_u32 s17, 0, s47
	s_add_u32 s5, s5, s9
	s_addc_u32 s9, s17, 0
	;; [unrolled: 2-line block ×3, first 2 shown]
	s_add_u32 s46, s5, s16
	v_cmp_eq_u32_e64 s[24:25], 1, v4
	s_addc_u32 s47, s9, 0
	s_and_b64 s[16:17], vcc, s[24:25]
	v_cmp_eq_u32_e64 s[24:25], 1, v5
	s_and_b64 s[40:41], s[6:7], s[24:25]
	v_cmp_eq_u32_e64 s[24:25], 1, v6
	s_and_b64 s[48:49], s[18:19], s[24:25]
	v_cmp_eq_u32_e64 s[24:25], 1, v2
	v_cndmask_b32_e64 v7, 0, 1, s[16:17]
	s_and_b64 s[52:53], s[22:23], s[24:25]
	v_cmp_ne_u32_e64 s[24:25], 0, v7
	v_cndmask_b32_e64 v7, 0, 1, s[40:41]
	s_bcnt1_i32_b64 s5, s[24:25]
	v_cmp_ne_u32_e64 s[24:25], 0, v7
	v_cndmask_b32_e64 v7, 0, 1, s[48:49]
	s_bcnt1_i32_b64 s9, s[24:25]
	;; [unrolled: 3-line block ×3, first 2 shown]
	v_cmp_ne_u32_e64 s[24:25], 0, v7
	s_bcnt1_i32_b64 s16, s[24:25]
	s_add_u32 s5, s5, s44
	s_addc_u32 s17, 0, s45
	s_add_u32 s5, s5, s9
	s_addc_u32 s9, s17, 0
	;; [unrolled: 2-line block ×3, first 2 shown]
	s_add_u32 s44, s5, s16
	v_cmp_eq_u32_e64 s[24:25], 2, v4
	s_addc_u32 s45, s9, 0
	s_and_b64 s[16:17], vcc, s[24:25]
	v_cmp_eq_u32_e64 s[24:25], 2, v5
	s_and_b64 s[40:41], s[6:7], s[24:25]
	v_cmp_eq_u32_e64 s[24:25], 2, v6
	s_and_b64 s[48:49], s[18:19], s[24:25]
	v_cmp_eq_u32_e64 s[24:25], 2, v2
	v_cndmask_b32_e64 v7, 0, 1, s[16:17]
	s_and_b64 s[52:53], s[22:23], s[24:25]
	v_cmp_ne_u32_e64 s[24:25], 0, v7
	v_cndmask_b32_e64 v7, 0, 1, s[40:41]
	s_bcnt1_i32_b64 s5, s[24:25]
	v_cmp_ne_u32_e64 s[24:25], 0, v7
	v_cndmask_b32_e64 v7, 0, 1, s[48:49]
	s_bcnt1_i32_b64 s9, s[24:25]
	v_cmp_ne_u32_e64 s[24:25], 0, v7
	v_cndmask_b32_e64 v7, 0, 1, s[52:53]
	s_bcnt1_i32_b64 s11, s[24:25]
	v_cmp_ne_u32_e64 s[24:25], 0, v7
	s_bcnt1_i32_b64 s16, s[24:25]
	s_add_u32 s5, s5, s38
	s_addc_u32 s17, 0, s39
	s_add_u32 s5, s5, s9
	s_addc_u32 s9, s17, 0
	;; [unrolled: 2-line block ×3, first 2 shown]
	s_add_u32 s38, s5, s16
	v_cmp_eq_u32_e64 s[24:25], 3, v4
	s_addc_u32 s39, s9, 0
	s_and_b64 s[16:17], vcc, s[24:25]
	v_cmp_eq_u32_e32 vcc, 3, v5
	s_and_b64 s[6:7], s[6:7], vcc
	v_cmp_eq_u32_e32 vcc, 3, v6
	s_and_b64 s[18:19], s[18:19], vcc
	v_cmp_eq_u32_e32 vcc, 3, v2
	v_cndmask_b32_e64 v2, 0, 1, s[16:17]
	s_and_b64 s[22:23], s[22:23], vcc
	v_cmp_ne_u32_e32 vcc, 0, v2
	v_cndmask_b32_e64 v2, 0, 1, s[6:7]
	s_bcnt1_i32_b64 s5, vcc
	v_cmp_ne_u32_e32 vcc, 0, v2
	v_cndmask_b32_e64 v2, 0, 1, s[18:19]
	s_bcnt1_i32_b64 s6, vcc
	;; [unrolled: 3-line block ×3, first 2 shown]
	v_cmp_ne_u32_e32 vcc, 0, v2
	s_bcnt1_i32_b64 s9, vcc
	s_add_u32 s5, s5, s36
	s_addc_u32 s11, 0, s37
	s_add_u32 s5, s5, s6
	s_addc_u32 s6, s11, 0
	;; [unrolled: 2-line block ×3, first 2 shown]
	s_add_u32 s36, s5, s9
	v_add_co_u32_e32 v26, vcc, s8, v26
	s_addc_u32 s37, s6, 0
	v_addc_co_u32_e32 v27, vcc, 0, v27, vcc
	s_mul_i32 s5, s70, s10
	s_add_u32 s20, s20, s5
	v_cmp_le_u64_e32 vcc, s[2:3], v[26:27]
	s_addc_u32 s21, s21, s4
	v_mov_b32_e32 v4, s46
	v_mov_b32_e32 v6, s44
	;; [unrolled: 1-line block ×4, first 2 shown]
	s_or_b64 s[14:15], vcc, s[14:15]
	v_mov_b32_e32 v5, s47
	v_mov_b32_e32 v7, s45
	;; [unrolled: 1-line block ×4, first 2 shown]
	s_andn2_b64 exec, exec, s[14:15]
	s_cbranch_execnz .LBB204_53
; %bb.54:                               ;   in Loop: Header=BB204_6 Depth=1
	s_or_b64 exec, exec, s[14:15]
	v_readlane_b32 s52, v52, 42
	v_readlane_b32 s53, v52, 43
.LBB204_55:                             ;   in Loop: Header=BB204_6 Depth=1
	s_or_b64 exec, exec, s[12:13]
	v_mov_b32_e32 v2, s3
	v_add_co_u32_e32 v26, vcc, s2, v0
	v_addc_co_u32_e32 v27, vcc, 0, v2, vcc
	v_cmp_gt_u64_e32 vcc, s[28:29], v[26:27]
	s_and_saveexec_b64 s[2:3], vcc
	s_cbranch_execz .LBB204_61
; %bb.56:                               ;   in Loop: Header=BB204_6 Depth=1
	v_mul_lo_u32 v2, v27, s26
	v_mul_lo_u32 v50, v26, s27
	v_mad_u64_u32 v[48:49], s[4:5], v26, s26, 0
	s_mov_b64 s[8:9], 0
	v_add3_u32 v49, v49, v50, v2
	v_lshlrev_b64 v[48:49], 1, v[48:49]
	v_mov_b32_e32 v2, s51
	v_add_co_u32_e32 v48, vcc, s50, v48
	v_addc_co_u32_e32 v49, vcc, v2, v49, vcc
	global_load_ushort v48, v[48:49], off
	s_branch .LBB204_58
.LBB204_57:                             ;   in Loop: Header=BB204_58 Depth=2
	s_or_b64 exec, exec, s[4:5]
	s_and_b64 s[4:5], exec, vcc
	s_waitcnt vmcnt(0)
	v_cmp_lt_i16_e32 vcc, -1, v48
	v_cndmask_b32_e32 v49, v41, v42, vcc
	v_xor_b32_sdwa v49, v49, v48 dst_sel:DWORD dst_unused:UNUSED_PAD src0_sel:DWORD src1_sel:WORD_0
	v_cmp_o_f16_e32 vcc, v48, v48
	v_cndmask_b32_e32 v48, v41, v49, vcc
	v_and_b32_e32 v49, v48, v46
	v_bfe_u32 v48, v48, s69, 2
	s_or_b64 s[8:9], s[4:5], s[8:9]
	v_cmp_eq_u32_e32 vcc, v49, v38
	v_cmp_eq_u32_e64 s[6:7], 0, v48
	s_and_b64 s[4:5], vcc, s[6:7]
	v_cndmask_b32_e64 v49, 0, 1, s[4:5]
	v_cmp_ne_u32_e64 s[6:7], 0, v49
	s_bcnt1_i32_b64 s4, s[6:7]
	v_add_co_u32_e64 v4, s[6:7], s4, v4
	v_addc_co_u32_e64 v5, s[6:7], 0, v5, s[6:7]
	v_cmp_eq_u32_e64 s[6:7], 1, v48
	s_and_b64 s[4:5], vcc, s[6:7]
	v_cndmask_b32_e64 v49, 0, 1, s[4:5]
	v_cmp_ne_u32_e64 s[6:7], 0, v49
	s_bcnt1_i32_b64 s4, s[6:7]
	v_add_co_u32_e64 v6, s[6:7], s4, v6
	v_addc_co_u32_e64 v7, s[6:7], 0, v7, s[6:7]
	;; [unrolled: 7-line block ×3, first 2 shown]
	v_cmp_eq_u32_e64 s[6:7], 3, v48
	s_and_b64 s[4:5], vcc, s[6:7]
	v_cndmask_b32_e64 v48, 0, 1, s[4:5]
	v_cmp_ne_u32_e32 vcc, 0, v48
	s_bcnt1_i32_b64 s4, vcc
	v_add_co_u32_e32 v10, vcc, s4, v10
	v_addc_co_u32_e32 v11, vcc, 0, v11, vcc
	v_mov_b32_e32 v48, v2
	s_andn2_b64 exec, exec, s[8:9]
	s_cbranch_execz .LBB204_60
.LBB204_58:                             ;   Parent Loop BB204_6 Depth=1
                                        ; =>  This Inner Loop Header: Depth=2
	v_add_co_u32_e32 v26, vcc, s10, v26
	v_addc_co_u32_e32 v27, vcc, 0, v27, vcc
	v_cmp_gt_u64_e64 s[6:7], s[28:29], v[26:27]
	v_cmp_le_u64_e32 vcc, s[28:29], v[26:27]
	v_mov_b32_e32 v2, 0
	s_and_saveexec_b64 s[4:5], s[6:7]
	s_cbranch_execz .LBB204_57
; %bb.59:                               ;   in Loop: Header=BB204_58 Depth=2
	v_mul_lo_u32 v2, v27, s26
	v_mul_lo_u32 v51, v26, s27
	v_mad_u64_u32 v[49:50], s[6:7], v26, s26, 0
	v_add3_u32 v50, v50, v51, v2
	v_lshlrev_b64 v[49:50], 1, v[49:50]
	v_mov_b32_e32 v2, s51
	v_add_co_u32_e64 v49, s[6:7], s50, v49
	v_addc_co_u32_e64 v50, s[6:7], v2, v50, s[6:7]
	global_load_ushort v2, v[49:50], off
	s_branch .LBB204_57
.LBB204_60:                             ;   in Loop: Header=BB204_6 Depth=1
	s_or_b64 exec, exec, s[8:9]
.LBB204_61:                             ;   in Loop: Header=BB204_6 Depth=1
	s_or_b64 exec, exec, s[2:3]
	s_branch .LBB204_40
.LBB204_62:                             ;   in Loop: Header=BB204_6 Depth=1
	v_readlane_b32 s2, v52, 35
	v_readlane_b32 s3, v52, 36
	v_mov_b32_e32 v8, 0
	v_mov_b32_e32 v9, 0
	s_nop 2
	global_load_ushort v2, v3, s[2:3]
	s_waitcnt vmcnt(0)
	v_readfirstlane_b32 s2, v2
	s_and_b32 s4, 0xffff, s2
	s_lshl_b32 s5, s4, 2
	v_cvt_f32_u32_e32 v4, s5
	s_sub_i32 s2, 0, s5
	v_rcp_iflag_f32_e32 v6, v4
	v_mov_b32_e32 v4, 0
	v_mov_b32_e32 v5, 0
	v_mul_f32_e32 v6, 0x4f7ffffe, v6
	v_cvt_u32_f32_e32 v10, v6
	v_mov_b32_e32 v6, 0
	v_mov_b32_e32 v7, 0
	v_readfirstlane_b32 s3, v10
	s_mul_i32 s2, s2, s3
	s_mul_hi_u32 s2, s3, s2
	s_add_i32 s3, s3, s2
	s_mul_hi_u32 s2, s42, s3
	s_mul_i32 s3, s2, s5
	s_sub_i32 s3, s42, s3
	s_add_i32 s6, s2, 1
	s_sub_i32 s7, s3, s5
	s_cmp_ge_u32 s3, s5
	s_cselect_b32 s2, s6, s2
	s_cselect_b32 s3, s7, s3
	s_add_i32 s6, s2, 1
	s_cmp_ge_u32 s3, s5
	s_cselect_b32 s2, s6, s2
	s_mul_hi_u32 s3, s4, s2
	s_mul_i32 s2, s4, s2
	s_lshl_b64 s[12:13], s[2:3], 2
	v_cmp_gt_u64_e32 vcc, s[12:13], v[20:21]
	v_mov_b32_e32 v10, 0
	v_mov_b32_e32 v11, 0
	s_and_saveexec_b64 s[14:15], vcc
	s_cbranch_execz .LBB204_66
; %bb.63:                               ;   in Loop: Header=BB204_6 Depth=1
	v_mov_b32_e32 v27, v21
	s_lshl_b32 s3, s4, 3
	s_mov_b64 s[20:21], 0
	v_mov_b32_e32 v48, v32
	s_mov_b64 s[36:37], 0
	s_mov_b64 s[38:39], 0
	;; [unrolled: 1-line block ×4, first 2 shown]
	v_mov_b32_e32 v26, v20
.LBB204_64:                             ;   Parent Loop BB204_6 Depth=1
                                        ; =>  This Inner Loop Header: Depth=2
	ds_read_b64 v[4:5], v48
	v_add_u32_e32 v48, s3, v48
	s_waitcnt lgkmcnt(0)
	v_cmp_lt_i16_e32 vcc, -1, v4
	v_cndmask_b32_e32 v6, v41, v42, vcc
	v_cmp_o_f16_e32 vcc, v4, v4
	v_xor_b32_sdwa v6, v6, v4 dst_sel:DWORD dst_unused:UNUSED_PAD src0_sel:DWORD src1_sel:WORD_0
	v_cndmask_b32_e32 v6, v41, v6, vcc
	v_cmp_gt_i16_sdwa vcc, v4, v44 src0_sel:WORD_1 src1_sel:DWORD
	v_cndmask_b32_e32 v7, v41, v42, vcc
	v_cmp_o_f16_sdwa vcc, v4, v4 src0_sel:WORD_1 src1_sel:WORD_1
	v_xor_b32_sdwa v4, v7, v4 dst_sel:DWORD dst_unused:UNUSED_PAD src0_sel:DWORD src1_sel:WORD_1
	v_cndmask_b32_e32 v4, v41, v4, vcc
	v_cmp_lt_i16_e32 vcc, -1, v5
	v_cndmask_b32_e32 v7, v41, v42, vcc
	v_cmp_o_f16_e32 vcc, v5, v5
	v_xor_b32_sdwa v7, v7, v5 dst_sel:DWORD dst_unused:UNUSED_PAD src0_sel:DWORD src1_sel:WORD_0
	v_cndmask_b32_e32 v7, v41, v7, vcc
	v_cmp_gt_i16_sdwa vcc, v5, v44 src0_sel:WORD_1 src1_sel:DWORD
	v_cndmask_b32_e32 v8, v41, v42, vcc
	v_cmp_o_f16_sdwa vcc, v5, v5 src0_sel:WORD_1 src1_sel:WORD_1
	v_xor_b32_sdwa v5, v8, v5 dst_sel:DWORD dst_unused:UNUSED_PAD src0_sel:DWORD src1_sel:WORD_1
	v_and_b32_e32 v8, v6, v46
	v_bfe_u32 v6, v6, s69, 2
	v_cndmask_b32_e32 v5, v41, v5, vcc
	v_cmp_eq_u32_e32 vcc, v8, v38
	v_and_b32_e32 v8, v4, v46
	v_bfe_u32 v4, v4, s69, 2
	v_cmp_eq_u32_e64 s[24:25], 0, v6
	v_cmp_eq_u32_e64 s[6:7], v8, v38
	v_and_b32_e32 v8, v7, v46
	v_bfe_u32 v7, v7, s69, 2
	s_and_b64 s[8:9], vcc, s[24:25]
	v_cmp_eq_u32_e64 s[24:25], 0, v4
	v_cmp_eq_u32_e64 s[18:19], v8, v38
	v_and_b32_e32 v8, v5, v46
	v_bfe_u32 v5, v5, s69, 2
	s_and_b64 s[10:11], s[6:7], s[24:25]
	v_cmp_eq_u32_e64 s[24:25], 0, v7
	v_cmp_eq_u32_e64 s[22:23], v8, v38
	s_and_b64 s[16:17], s[18:19], s[24:25]
	v_cmp_eq_u32_e64 s[24:25], 0, v5
	v_cndmask_b32_e64 v8, 0, 1, s[8:9]
	s_and_b64 s[40:41], s[22:23], s[24:25]
	v_cmp_ne_u32_e64 s[24:25], 0, v8
	v_cndmask_b32_e64 v8, 0, 1, s[10:11]
	s_bcnt1_i32_b64 s8, s[24:25]
	v_cmp_ne_u32_e64 s[24:25], 0, v8
	v_cndmask_b32_e64 v8, 0, 1, s[16:17]
	s_bcnt1_i32_b64 s9, s[24:25]
	;; [unrolled: 3-line block ×3, first 2 shown]
	v_cmp_ne_u32_e64 s[24:25], 0, v8
	s_bcnt1_i32_b64 s11, s[24:25]
	s_add_u32 s8, s8, s46
	s_addc_u32 s16, 0, s47
	s_add_u32 s8, s8, s9
	s_addc_u32 s9, s16, 0
	;; [unrolled: 2-line block ×3, first 2 shown]
	s_add_u32 s46, s8, s11
	v_cmp_eq_u32_e64 s[24:25], 1, v6
	s_addc_u32 s47, s9, 0
	s_and_b64 s[8:9], vcc, s[24:25]
	v_cmp_eq_u32_e64 s[24:25], 1, v4
	s_and_b64 s[10:11], s[6:7], s[24:25]
	v_cmp_eq_u32_e64 s[24:25], 1, v7
	s_and_b64 s[16:17], s[18:19], s[24:25]
	v_cmp_eq_u32_e64 s[24:25], 1, v5
	v_cndmask_b32_e64 v8, 0, 1, s[8:9]
	s_and_b64 s[40:41], s[22:23], s[24:25]
	v_cmp_ne_u32_e64 s[24:25], 0, v8
	v_cndmask_b32_e64 v8, 0, 1, s[10:11]
	s_bcnt1_i32_b64 s8, s[24:25]
	v_cmp_ne_u32_e64 s[24:25], 0, v8
	v_cndmask_b32_e64 v8, 0, 1, s[16:17]
	s_bcnt1_i32_b64 s9, s[24:25]
	;; [unrolled: 3-line block ×3, first 2 shown]
	v_cmp_ne_u32_e64 s[24:25], 0, v8
	s_bcnt1_i32_b64 s11, s[24:25]
	s_add_u32 s8, s8, s44
	s_addc_u32 s16, 0, s45
	s_add_u32 s8, s8, s9
	s_addc_u32 s9, s16, 0
	s_add_u32 s8, s8, s10
	s_addc_u32 s9, s9, 0
	s_add_u32 s44, s8, s11
	v_cmp_eq_u32_e64 s[24:25], 2, v6
	s_addc_u32 s45, s9, 0
	s_and_b64 s[8:9], vcc, s[24:25]
	v_cmp_eq_u32_e64 s[24:25], 2, v4
	s_and_b64 s[10:11], s[6:7], s[24:25]
	v_cmp_eq_u32_e64 s[24:25], 2, v7
	s_and_b64 s[16:17], s[18:19], s[24:25]
	v_cmp_eq_u32_e64 s[24:25], 2, v5
	v_cndmask_b32_e64 v8, 0, 1, s[8:9]
	s_and_b64 s[40:41], s[22:23], s[24:25]
	v_cmp_ne_u32_e64 s[24:25], 0, v8
	v_cndmask_b32_e64 v8, 0, 1, s[10:11]
	s_bcnt1_i32_b64 s8, s[24:25]
	v_cmp_ne_u32_e64 s[24:25], 0, v8
	v_cndmask_b32_e64 v8, 0, 1, s[16:17]
	s_bcnt1_i32_b64 s9, s[24:25]
	;; [unrolled: 3-line block ×3, first 2 shown]
	v_cmp_ne_u32_e64 s[24:25], 0, v8
	s_bcnt1_i32_b64 s11, s[24:25]
	s_add_u32 s8, s8, s38
	s_addc_u32 s16, 0, s39
	s_add_u32 s8, s8, s9
	s_addc_u32 s9, s16, 0
	;; [unrolled: 2-line block ×3, first 2 shown]
	s_add_u32 s38, s8, s11
	v_cmp_eq_u32_e64 s[24:25], 3, v6
	s_addc_u32 s39, s9, 0
	s_and_b64 s[8:9], vcc, s[24:25]
	v_cmp_eq_u32_e32 vcc, 3, v4
	s_and_b64 s[6:7], s[6:7], vcc
	v_cmp_eq_u32_e32 vcc, 3, v7
	s_and_b64 s[10:11], s[18:19], vcc
	v_cmp_eq_u32_e32 vcc, 3, v5
	v_cndmask_b32_e64 v4, 0, 1, s[8:9]
	s_and_b64 s[16:17], s[22:23], vcc
	v_cmp_ne_u32_e32 vcc, 0, v4
	v_cndmask_b32_e64 v4, 0, 1, s[6:7]
	s_bcnt1_i32_b64 s8, vcc
	v_cmp_ne_u32_e32 vcc, 0, v4
	v_cndmask_b32_e64 v4, 0, 1, s[10:11]
	s_bcnt1_i32_b64 s6, vcc
	;; [unrolled: 3-line block ×3, first 2 shown]
	v_cmp_ne_u32_e32 vcc, 0, v4
	s_bcnt1_i32_b64 s9, vcc
	s_add_u32 s8, s8, s36
	s_addc_u32 s10, 0, s37
	s_add_u32 s6, s8, s6
	s_addc_u32 s8, s10, 0
	s_add_u32 s6, s6, s7
	v_add_co_u32_e32 v26, vcc, s5, v26
	s_addc_u32 s7, s8, 0
	v_addc_co_u32_e32 v27, vcc, 0, v27, vcc
	s_add_u32 s36, s6, s9
	v_cmp_le_u64_e32 vcc, s[12:13], v[26:27]
	s_addc_u32 s37, s7, 0
	v_mov_b32_e32 v4, s46
	v_mov_b32_e32 v6, s44
	;; [unrolled: 1-line block ×4, first 2 shown]
	s_or_b64 s[20:21], vcc, s[20:21]
	v_mov_b32_e32 v5, s47
	v_mov_b32_e32 v7, s45
	;; [unrolled: 1-line block ×4, first 2 shown]
	s_andn2_b64 exec, exec, s[20:21]
	s_cbranch_execnz .LBB204_64
; %bb.65:                               ;   in Loop: Header=BB204_6 Depth=1
	s_or_b64 exec, exec, s[20:21]
.LBB204_66:                             ;   in Loop: Header=BB204_6 Depth=1
	s_or_b64 exec, exec, s[14:15]
	v_mov_b32_e32 v27, s13
	v_add_co_u32_e32 v26, vcc, s12, v0
	s_and_b32 s54, s42, 0x7fffffff
	v_addc_co_u32_e32 v27, vcc, 0, v27, vcc
	v_cmp_gt_u64_e32 vcc, s[54:55], v[26:27]
	s_and_saveexec_b64 s[8:9], vcc
	s_cbranch_execz .LBB204_70
; %bb.67:                               ;   in Loop: Header=BB204_6 Depth=1
	v_lshl_add_u32 v48, s2, 3, v39
	s_lshl_b32 s4, s4, 1
	s_mov_b64 s[2:3], 0
.LBB204_68:                             ;   Parent Loop BB204_6 Depth=1
                                        ; =>  This Inner Loop Header: Depth=2
	ds_read_u16 v49, v48
	v_add_u32_e32 v48, s4, v48
	s_waitcnt lgkmcnt(0)
	v_cmp_lt_i16_e32 vcc, -1, v49
	v_cndmask_b32_e32 v50, v41, v42, vcc
	v_cmp_o_f16_e32 vcc, v49, v49
	v_xor_b32_sdwa v49, v50, v49 dst_sel:DWORD dst_unused:UNUSED_PAD src0_sel:DWORD src1_sel:WORD_0
	v_cndmask_b32_e32 v49, v41, v49, vcc
	v_and_b32_e32 v50, v49, v46
	v_bfe_u32 v49, v49, s69, 2
	v_cmp_eq_u32_e32 vcc, v50, v38
	v_cmp_eq_u32_e64 s[6:7], 0, v49
	s_and_b64 s[6:7], vcc, s[6:7]
	v_cndmask_b32_e64 v50, 0, 1, s[6:7]
	v_cmp_ne_u32_e64 s[6:7], 0, v50
	s_bcnt1_i32_b64 s5, s[6:7]
	v_add_co_u32_e64 v4, s[6:7], s5, v4
	v_addc_co_u32_e64 v5, s[6:7], 0, v5, s[6:7]
	v_cmp_eq_u32_e64 s[6:7], 1, v49
	s_and_b64 s[6:7], vcc, s[6:7]
	v_cndmask_b32_e64 v50, 0, 1, s[6:7]
	v_cmp_ne_u32_e64 s[6:7], 0, v50
	s_bcnt1_i32_b64 s5, s[6:7]
	v_add_co_u32_e64 v6, s[6:7], s5, v6
	v_addc_co_u32_e64 v7, s[6:7], 0, v7, s[6:7]
	;; [unrolled: 7-line block ×3, first 2 shown]
	v_cmp_eq_u32_e64 s[6:7], 3, v49
	s_and_b64 s[6:7], vcc, s[6:7]
	v_cndmask_b32_e64 v49, 0, 1, s[6:7]
	v_cmp_ne_u32_e32 vcc, 0, v49
	s_bcnt1_i32_b64 s5, vcc
	v_add_co_u32_e32 v10, vcc, s5, v10
	v_addc_co_u32_e32 v11, vcc, 0, v11, vcc
	v_add_co_u32_sdwa v26, vcc, v26, v2 dst_sel:DWORD dst_unused:UNUSED_PAD src0_sel:DWORD src1_sel:WORD_0
	v_addc_co_u32_e32 v27, vcc, 0, v27, vcc
	v_cmp_le_u64_e32 vcc, s[54:55], v[26:27]
	s_or_b64 s[2:3], vcc, s[2:3]
	s_andn2_b64 exec, exec, s[2:3]
	s_cbranch_execnz .LBB204_68
; %bb.69:                               ;   in Loop: Header=BB204_6 Depth=1
	s_or_b64 exec, exec, s[2:3]
.LBB204_70:                             ;   in Loop: Header=BB204_6 Depth=1
	s_or_b64 exec, exec, s[8:9]
	v_readlane_b32 s54, v52, 45
	s_lshl_b32 s4, s68, 6
	s_and_saveexec_b64 s[2:3], s[0:1]
	s_cbranch_execnz .LBB204_41
	s_branch .LBB204_42
.LBB204_71:                             ;   in Loop: Header=BB204_6 Depth=1
                                        ; implicit-def: $sgpr2_sgpr3
	s_branch .LBB204_50
.LBB204_72:                             ;   in Loop: Header=BB204_6 Depth=1
	v_mov_b32_e32 v4, 0
	v_mov_b32_e32 v5, 0
	s_mov_b32 s5, 0
.LBB204_73:                             ;   in Loop: Header=BB204_6 Depth=1
	v_readlane_b32 s6, v52, 40
	v_readlane_b32 s7, v52, 41
	s_andn2_b64 vcc, exec, s[6:7]
	s_cbranch_vccnz .LBB204_76
; %bb.74:                               ;   in Loop: Header=BB204_6 Depth=1
	s_lshl_b32 s6, s68, 9
	s_lshl_b32 s5, s5, 5
	s_add_i32 s6, s6, s5
	v_add_u32_e32 v2, s6, v37
	v_readlane_b32 s5, v52, 39
.LBB204_75:                             ;   Parent Loop BB204_6 Depth=1
                                        ; =>  This Inner Loop Header: Depth=2
	ds_read_b64 v[6:7], v2
	s_add_i32 s5, s5, -1
	v_add_u32_e32 v2, 32, v2
	s_cmp_lg_u32 s5, 0
	s_waitcnt lgkmcnt(0)
	v_add_co_u32_e32 v4, vcc, v6, v4
	v_addc_co_u32_e32 v5, vcc, v7, v5, vcc
	s_cbranch_scc1 .LBB204_75
.LBB204_76:                             ;   in Loop: Header=BB204_6 Depth=1
	v_add_lshl_u32 v2, s4, v31, 3
	ds_write_b64 v2, v[4:5] offset:3072
.LBB204_77:                             ;   in Loop: Header=BB204_6 Depth=1
	s_or_b64 exec, exec, s[2:3]
	s_lshl_b32 s2, s4, 3
	v_mov_b32_e32 v2, s2
	s_waitcnt lgkmcnt(0)
	s_barrier
	ds_read_b128 v[4:7], v2 offset:3072
	ds_read_b128 v[8:11], v2 offset:3088
	s_lshl_b32 s56, 3, s69
	v_cmp_eq_u64_e64 s[18:19], 1, v[24:25]
	s_not_b32 s57, s56
	s_waitcnt lgkmcnt(1)
	v_readfirstlane_b32 s23, v5
	v_readfirstlane_b32 s22, v4
	v_readfirstlane_b32 s95, v7
	v_readfirstlane_b32 s94, v6
	s_waitcnt lgkmcnt(0)
	v_readfirstlane_b32 s43, v9
	v_readfirstlane_b32 s42, v8
	;; [unrolled: 1-line block ×4, first 2 shown]
	s_mov_b64 s[12:13], -1
	s_mov_b64 s[24:25], 0
	s_andn2_b64 vcc, exec, s[52:53]
	s_mov_b64 s[48:49], 0
	s_mov_b64 s[46:47], 0
                                        ; implicit-def: $sgpr14_sgpr15
                                        ; implicit-def: $sgpr2_sgpr3
                                        ; implicit-def: $vgpr4_vgpr5
                                        ; implicit-def: $vgpr2
                                        ; implicit-def: $vgpr11
                                        ; implicit-def: $vgpr10
                                        ; implicit-def: $vgpr8
	s_cbranch_vccnz .LBB204_285
; %bb.78:                               ;   in Loop: Header=BB204_6 Depth=1
	s_cmp_eq_u64 s[22:23], 1
	s_cselect_b64 s[2:3], -1, 0
	s_and_b64 s[6:7], s[2:3], s[18:19]
	s_mov_b64 s[4:5], -1
	v_mov_b32_e32 v11, v38
	v_mov_b32_e32 v10, v46
	;; [unrolled: 1-line block ×3, first 2 shown]
                                        ; implicit-def: $sgpr2_sgpr3
                                        ; implicit-def: $sgpr14_sgpr15
	s_and_saveexec_b64 s[8:9], s[6:7]
	s_cbranch_execz .LBB204_118
; %bb.79:                               ;   in Loop: Header=BB204_6 Depth=1
	ds_read_b64 v[4:5], v3 offset:5120
	s_waitcnt lgkmcnt(0)
	s_barrier
	v_readfirstlane_b32 s12, v4
	v_readfirstlane_b32 s13, v5
	s_mov_b64 s[2:3], exec
	v_readlane_b32 s4, v52, 28
	v_readlane_b32 s5, v52, 29
	s_and_b64 s[4:5], s[2:3], s[4:5]
	s_mov_b64 exec, s[4:5]
; %bb.80:                               ;   in Loop: Header=BB204_6 Depth=1
	ds_write_b16 v40, v3
; %bb.81:                               ;   in Loop: Header=BB204_6 Depth=1
	s_or_b64 exec, exec, s[2:3]
	v_and_b32_e32 v11, s57, v38
	v_or_b32_e32 v10, s56, v46
	s_mov_b64 s[14:15], -1
	s_mov_b64 s[2:3], 0
	s_cmp_eq_u64 s[12:13], 0
	s_mov_b64 s[10:11], 0
	s_mov_b64 s[16:17], -1
	s_waitcnt lgkmcnt(0)
	s_barrier
                                        ; implicit-def: $vgpr8
	s_cbranch_scc1 .LBB204_99
; %bb.82:                               ;   in Loop: Header=BB204_6 Depth=1
	v_readlane_b32 s4, v52, 32
	s_add_u32 s20, s12, s4
	v_readlane_b32 s4, v52, 34
	s_addc_u32 s11, s13, s4
	s_mov_b32 s10, s55
	s_cmp_lg_u64 s[10:11], 0
	s_cbranch_scc0 .LBB204_102
; %bb.83:                               ;   in Loop: Header=BB204_6 Depth=1
	v_cvt_f32_u32_e32 v2, s33
	s_sub_u32 s10, 0, s33
	s_subb_u32 s16, 0, 0
	v_mac_f32_e32 v2, 0, v43
	v_rcp_f32_e32 v2, v2
	v_mul_f32_e32 v2, 0x5f7ffffc, v2
	v_mul_f32_e32 v4, 0x2f800000, v2
	v_trunc_f32_e32 v4, v4
	v_mac_f32_e32 v2, 0xcf800000, v4
	v_cvt_u32_f32_e32 v4, v4
	v_cvt_u32_f32_e32 v2, v2
	v_readfirstlane_b32 s17, v4
	v_readfirstlane_b32 s4, v2
	s_mul_i32 s5, s10, s17
	s_mul_hi_u32 s36, s10, s4
	s_mul_i32 s21, s16, s4
	s_add_i32 s5, s36, s5
	s_mul_i32 s37, s10, s4
	s_add_i32 s5, s5, s21
	s_mul_hi_u32 s36, s4, s37
	s_mul_i32 s38, s4, s5
	s_mul_hi_u32 s21, s4, s5
	s_add_u32 s36, s36, s38
	s_addc_u32 s21, 0, s21
	s_mul_hi_u32 s39, s17, s37
	s_mul_i32 s37, s17, s37
	s_add_u32 s36, s36, s37
	s_mul_hi_u32 s38, s17, s5
	s_addc_u32 s21, s21, s39
	s_addc_u32 s36, s38, 0
	s_mul_i32 s5, s17, s5
	s_add_u32 s5, s21, s5
	s_addc_u32 s21, 0, s36
	s_add_u32 s36, s4, s5
	s_cselect_b64 s[4:5], -1, 0
	s_cmp_lg_u64 s[4:5], 0
	s_addc_u32 s17, s17, s21
	s_mul_i32 s4, s10, s17
	s_mul_hi_u32 s5, s10, s36
	s_add_i32 s4, s5, s4
	s_mul_i32 s16, s16, s36
	s_add_i32 s4, s4, s16
	s_mul_i32 s10, s10, s36
	s_mul_hi_u32 s16, s17, s10
	s_mul_i32 s21, s17, s10
	s_mul_i32 s38, s36, s4
	s_mul_hi_u32 s10, s36, s10
	s_mul_hi_u32 s37, s36, s4
	s_add_u32 s10, s10, s38
	s_addc_u32 s37, 0, s37
	s_add_u32 s10, s10, s21
	s_mul_hi_u32 s5, s17, s4
	s_addc_u32 s10, s37, s16
	s_addc_u32 s5, s5, 0
	s_mul_i32 s4, s17, s4
	s_add_u32 s4, s10, s4
	s_addc_u32 s10, 0, s5
	s_add_u32 s16, s36, s4
	s_cselect_b64 s[4:5], -1, 0
	s_cmp_lg_u64 s[4:5], 0
	s_addc_u32 s4, s17, s10
	s_mul_i32 s10, s20, s4
	s_mul_hi_u32 s17, s20, s16
	s_mul_hi_u32 s5, s20, s4
	s_add_u32 s10, s17, s10
	s_addc_u32 s5, 0, s5
	s_mul_hi_u32 s21, s11, s16
	s_mul_i32 s16, s11, s16
	s_add_u32 s10, s10, s16
	s_mul_hi_u32 s17, s11, s4
	s_addc_u32 s5, s5, s21
	s_addc_u32 s10, s17, 0
	s_mul_i32 s4, s11, s4
	s_add_u32 s4, s5, s4
	s_addc_u32 s5, 0, s10
	s_mul_i32 s5, s33, s5
	s_mul_hi_u32 s10, s33, s4
	s_add_i32 s10, s10, s5
	s_mul_i32 s4, s33, s4
	s_sub_u32 s16, s20, s4
	s_cselect_b64 s[4:5], -1, 0
	s_cmp_lg_u64 s[4:5], 0
	s_subb_u32 s10, s11, s10
	s_sub_u32 s17, s16, s33
	s_cselect_b64 s[4:5], -1, 0
	s_cmp_lg_u64 s[4:5], 0
	s_subb_u32 s21, s10, 0
	;; [unrolled: 4-line block ×3, first 2 shown]
	s_cmp_ge_u32 s17, s33
	s_cselect_b32 s5, -1, 0
	s_cmp_eq_u32 s21, 0
	s_cselect_b32 s5, s5, -1
	s_cmp_lg_u32 s5, 0
	s_cselect_b32 s4, s4, s21
	s_cselect_b32 s17, s36, s17
	s_cmp_ge_u32 s16, s33
	s_cselect_b32 s5, -1, 0
	s_cmp_eq_u32 s10, 0
	s_cselect_b32 s5, s5, -1
	s_cmp_lg_u32 s5, 0
	s_cselect_b32 s5, s4, s10
	s_cselect_b32 s4, s17, s16
	s_cbranch_execnz .LBB204_85
.LBB204_84:                             ;   in Loop: Header=BB204_6 Depth=1
	v_cvt_f32_u32_e32 v2, s33
	s_sub_i32 s4, 0, s33
	v_rcp_iflag_f32_e32 v2, v2
	v_mul_f32_e32 v2, 0x4f7ffffe, v2
	v_cvt_u32_f32_e32 v2, v2
	v_readfirstlane_b32 s5, v2
	s_mul_i32 s4, s4, s5
	s_mul_hi_u32 s4, s5, s4
	s_add_i32 s5, s5, s4
	s_mul_hi_u32 s4, s20, s5
	s_mul_i32 s4, s4, s33
	s_sub_i32 s4, s20, s4
	s_sub_i32 s5, s4, s33
	s_cmp_ge_u32 s4, s33
	s_cselect_b32 s4, s5, s4
	s_sub_i32 s5, s4, s33
	s_cmp_ge_u32 s4, s33
	s_cselect_b32 s54, s5, s4
	s_mov_b64 s[4:5], s[54:55]
	v_readlane_b32 s54, v52, 45
.LBB204_85:                             ;   in Loop: Header=BB204_6 Depth=1
	s_sub_u32 s20, s20, s4
	s_subb_u32 s21, s11, s5
	v_cmp_gt_u64_e32 vcc, s[20:21], v[0:1]
	s_mov_b64 s[16:17], 0
	s_mov_b64 s[10:11], 0
                                        ; implicit-def: $vgpr8
	s_and_saveexec_b64 s[4:5], vcc
	s_cbranch_execz .LBB204_98
; %bb.86:                               ;   in Loop: Header=BB204_6 Depth=1
	v_mov_b32_e32 v5, v1
	v_mov_b32_e32 v2, v39
	;; [unrolled: 1-line block ×3, first 2 shown]
                                        ; implicit-def: $sgpr36_sgpr37
	s_branch .LBB204_90
.LBB204_87:                             ;   in Loop: Header=BB204_90 Depth=2
	s_or_b64 exec, exec, s[38:39]
	s_waitcnt lgkmcnt(0)
	s_barrier
	ds_read_b32 v6, v3 offset:3072
	s_waitcnt lgkmcnt(0)
	s_barrier
	v_cmp_neq_f16_e32 vcc, 0, v6
	s_cbranch_vccnz .LBB204_93
; %bb.88:                               ;   in Loop: Header=BB204_90 Depth=2
	v_add_co_u32_e32 v4, vcc, s33, v4
	v_addc_co_u32_e32 v5, vcc, 0, v5, vcc
	v_cmp_le_u64_e32 vcc, s[20:21], v[4:5]
	v_add_u32_e32 v2, s63, v2
	s_mov_b64 s[38:39], 0
	s_orn2_b64 s[40:41], vcc, exec
.LBB204_89:                             ;   in Loop: Header=BB204_90 Depth=2
	s_and_b64 s[40:41], exec, s[40:41]
	s_or_b64 s[10:11], s[40:41], s[10:11]
	s_andn2_b64 s[36:37], s[36:37], exec
	s_and_b64 s[38:39], s[38:39], exec
	s_or_b64 s[36:37], s[36:37], s[38:39]
	s_andn2_b64 exec, exec, s[10:11]
	s_cbranch_execz .LBB204_97
.LBB204_90:                             ;   Parent Loop BB204_6 Depth=1
                                        ; =>  This Inner Loop Header: Depth=2
	v_cmp_gt_u64_e32 vcc, s[12:13], v[4:5]
	s_and_saveexec_b64 s[38:39], vcc
	s_cbranch_execz .LBB204_87
; %bb.91:                               ;   in Loop: Header=BB204_90 Depth=2
	ds_read_u16 v6, v2
	s_waitcnt lgkmcnt(0)
	v_cmp_lt_i16_e32 vcc, -1, v6
	v_cndmask_b32_e32 v7, v41, v42, vcc
	v_xor_b32_sdwa v7, v7, v6 dst_sel:DWORD dst_unused:UNUSED_PAD src0_sel:DWORD src1_sel:WORD_0
	v_cmp_o_f16_e32 vcc, v6, v6
	v_cndmask_b32_e32 v7, v41, v7, vcc
	v_and_b32_e32 v7, v7, v10
	v_cmp_eq_u32_e32 vcc, v7, v11
	s_and_b64 exec, exec, vcc
	s_cbranch_execz .LBB204_87
; %bb.92:                               ;   in Loop: Header=BB204_90 Depth=2
	s_movk_i32 s40, 0x3c00
	v_perm_b32 v6, v6, s40, v45
	ds_write_b32 v3, v6 offset:3072
	s_branch .LBB204_87
.LBB204_93:                             ;   in Loop: Header=BB204_90 Depth=2
	s_mov_b64 s[40:41], -1
                                        ; implicit-def: $vgpr4_vgpr5
                                        ; implicit-def: $vgpr2
	s_mov_b64 s[38:39], -1
	s_branch .LBB204_89
.LBB204_94:                             ;   in Loop: Header=BB204_6 Depth=1
	s_or_b64 exec, exec, s[8:9]
	s_waitcnt lgkmcnt(0)
	s_barrier
	s_mov_b64 s[4:5], exec
	v_readlane_b32 s6, v52, 8
	v_readlane_b32 s7, v52, 9
	s_and_b64 s[6:7], s[4:5], s[6:7]
	s_mov_b64 exec, s[6:7]
	s_cbranch_execz .LBB204_96
; %bb.95:                               ;   in Loop: Header=BB204_6 Depth=1
	ds_read_b32 v4, v3 offset:5144
	s_waitcnt lgkmcnt(0)
	v_ashrrev_i32_e32 v5, 31, v4
	ds_write_b64 v3, v[4:5] offset:5120
.LBB204_96:                             ;   in Loop: Header=BB204_6 Depth=1
	s_or_b64 exec, exec, s[4:5]
	s_waitcnt lgkmcnt(0)
	s_barrier
	s_mov_b64 s[4:5], -1
	s_and_b64 vcc, exec, s[2:3]
	s_cbranch_vccnz .LBB204_21
	s_branch .LBB204_36
.LBB204_97:                             ;   in Loop: Header=BB204_6 Depth=1
	s_or_b64 exec, exec, s[10:11]
	v_lshrrev_b32_e32 v8, 16, v6
	s_and_b64 s[10:11], s[36:37], exec
.LBB204_98:                             ;   in Loop: Header=BB204_6 Depth=1
	s_or_b64 exec, exec, s[4:5]
.LBB204_99:                             ;   in Loop: Header=BB204_6 Depth=1
	s_and_b64 vcc, exec, s[16:17]
	s_cbranch_vccz .LBB204_117
; %bb.100:                              ;   in Loop: Header=BB204_6 Depth=1
	s_mov_b32 s60, s55
	s_cmp_lg_u64 s[60:61], 0
	s_cbranch_scc0 .LBB204_103
; %bb.101:                              ;   in Loop: Header=BB204_6 Depth=1
	v_cvt_f32_u32_e32 v2, s33
	s_sub_u32 s4, 0, s33
	s_subb_u32 s5, 0, 0
	v_mac_f32_e32 v2, 0, v43
	v_rcp_f32_e32 v2, v2
	v_mul_f32_e32 v2, 0x5f7ffffc, v2
	v_mul_f32_e32 v4, 0x2f800000, v2
	v_trunc_f32_e32 v4, v4
	v_mac_f32_e32 v2, 0xcf800000, v4
	v_cvt_u32_f32_e32 v4, v4
	v_cvt_u32_f32_e32 v2, v2
	v_readfirstlane_b32 s12, v4
	v_readfirstlane_b32 s2, v2
	s_mul_i32 s3, s4, s12
	s_mul_hi_u32 s14, s4, s2
	s_mul_i32 s13, s5, s2
	s_add_i32 s3, s14, s3
	s_mul_i32 s15, s4, s2
	s_add_i32 s3, s3, s13
	s_mul_hi_u32 s14, s2, s15
	s_mul_i32 s16, s2, s3
	s_mul_hi_u32 s13, s2, s3
	s_add_u32 s14, s14, s16
	s_addc_u32 s13, 0, s13
	s_mul_hi_u32 s17, s12, s15
	s_mul_i32 s15, s12, s15
	s_add_u32 s14, s14, s15
	s_mul_hi_u32 s16, s12, s3
	s_addc_u32 s13, s13, s17
	s_addc_u32 s14, s16, 0
	s_mul_i32 s3, s12, s3
	s_add_u32 s3, s13, s3
	s_addc_u32 s13, 0, s14
	s_add_u32 s14, s2, s3
	s_cselect_b64 s[2:3], -1, 0
	s_cmp_lg_u64 s[2:3], 0
	s_addc_u32 s12, s12, s13
	s_mul_i32 s2, s4, s12
	s_mul_hi_u32 s3, s4, s14
	s_add_i32 s2, s3, s2
	s_mul_i32 s5, s5, s14
	s_add_i32 s2, s2, s5
	s_mul_i32 s4, s4, s14
	s_mul_hi_u32 s5, s12, s4
	s_mul_i32 s13, s12, s4
	s_mul_i32 s16, s14, s2
	s_mul_hi_u32 s4, s14, s4
	s_mul_hi_u32 s15, s14, s2
	s_add_u32 s4, s4, s16
	s_addc_u32 s15, 0, s15
	s_add_u32 s4, s4, s13
	s_mul_hi_u32 s3, s12, s2
	s_addc_u32 s4, s15, s5
	s_addc_u32 s3, s3, 0
	s_mul_i32 s2, s12, s2
	s_add_u32 s2, s4, s2
	s_addc_u32 s4, 0, s3
	s_add_u32 s5, s14, s2
	s_cselect_b64 s[2:3], -1, 0
	s_cmp_lg_u64 s[2:3], 0
	s_addc_u32 s2, s12, s4
	v_readlane_b32 s15, v52, 33
	s_mul_i32 s4, s15, s2
	s_mul_hi_u32 s12, s15, s5
	s_mul_hi_u32 s3, s15, s2
	s_add_u32 s4, s12, s4
	s_addc_u32 s3, 0, s3
	s_mul_hi_u32 s13, s61, s5
	s_mul_i32 s5, s61, s5
	s_add_u32 s4, s4, s5
	s_mul_hi_u32 s12, s61, s2
	s_addc_u32 s3, s3, s13
	s_addc_u32 s4, s12, 0
	s_mul_i32 s2, s61, s2
	s_add_u32 s2, s3, s2
	s_addc_u32 s3, 0, s4
	s_mul_i32 s3, s33, s3
	s_mul_hi_u32 s4, s33, s2
	s_add_i32 s4, s4, s3
	s_mul_i32 s2, s33, s2
	s_sub_u32 s5, s15, s2
	s_cselect_b64 s[2:3], -1, 0
	s_cmp_lg_u64 s[2:3], 0
	s_subb_u32 s4, s61, s4
	s_sub_u32 s12, s5, s33
	s_cselect_b64 s[2:3], -1, 0
	s_cmp_lg_u64 s[2:3], 0
	s_subb_u32 s13, s4, 0
	;; [unrolled: 4-line block ×3, first 2 shown]
	s_cmp_ge_u32 s12, s33
	s_cselect_b32 s3, -1, 0
	s_cmp_eq_u32 s13, 0
	s_cselect_b32 s3, s3, -1
	s_cmp_lg_u32 s3, 0
	s_cselect_b32 s2, s2, s13
	s_cselect_b32 s12, s14, s12
	s_cmp_ge_u32 s5, s33
	s_cselect_b32 s3, -1, 0
	s_cmp_eq_u32 s4, 0
	s_cselect_b32 s3, s3, -1
	s_cmp_lg_u32 s3, 0
	s_cselect_b32 s3, s2, s4
	s_cselect_b32 s2, s12, s5
	s_mov_b64 s[4:5], 0
	s_branch .LBB204_104
.LBB204_102:                            ;   in Loop: Header=BB204_6 Depth=1
                                        ; implicit-def: $sgpr4_sgpr5
	s_andn2_b64 vcc, exec, s[16:17]
	s_cbranch_vccz .LBB204_84
	s_branch .LBB204_85
.LBB204_103:                            ;   in Loop: Header=BB204_6 Depth=1
	s_mov_b64 s[4:5], -1
	v_readlane_b32 s15, v52, 33
                                        ; implicit-def: $sgpr2_sgpr3
.LBB204_104:                            ;   in Loop: Header=BB204_6 Depth=1
	s_andn2_b64 vcc, exec, s[4:5]
	v_readlane_b32 s60, v52, 44
	s_cbranch_vccnz .LBB204_106
; %bb.105:                              ;   in Loop: Header=BB204_6 Depth=1
	v_cvt_f32_u32_e32 v2, s33
	s_sub_i32 s2, 0, s33
	v_rcp_iflag_f32_e32 v2, v2
	v_mul_f32_e32 v2, 0x4f7ffffe, v2
	v_cvt_u32_f32_e32 v2, v2
	v_readfirstlane_b32 s3, v2
	s_mul_i32 s2, s2, s3
	s_mul_hi_u32 s2, s3, s2
	s_add_i32 s3, s3, s2
	s_mul_hi_u32 s2, s15, s3
	s_mul_i32 s2, s2, s33
	s_sub_i32 s2, s15, s2
	s_sub_i32 s3, s2, s33
	s_cmp_ge_u32 s2, s33
	s_cselect_b32 s2, s3, s2
	s_sub_i32 s3, s2, s33
	s_cmp_ge_u32 s2, s33
	s_cselect_b32 s54, s3, s2
	s_mov_b64 s[2:3], s[54:55]
	v_readlane_b32 s54, v52, 45
.LBB204_106:                            ;   in Loop: Header=BB204_6 Depth=1
	s_sub_u32 s12, s15, s2
	s_subb_u32 s13, s61, s3
	v_cmp_gt_u64_e32 vcc, s[12:13], v[0:1]
                                        ; implicit-def: $vgpr8
	s_and_saveexec_b64 s[2:3], vcc
	s_cbranch_execz .LBB204_116
; %bb.107:                              ;   in Loop: Header=BB204_6 Depth=1
	v_mov_b32_e32 v4, v12
	v_mov_b32_e32 v7, v1
	s_mov_b64 s[4:5], 0
	v_mov_b32_e32 v5, v13
	v_mov_b32_e32 v6, v0
                                        ; implicit-def: $sgpr14_sgpr15
	s_branch .LBB204_111
.LBB204_108:                            ;   in Loop: Header=BB204_111 Depth=2
	s_or_b64 exec, exec, s[16:17]
	s_waitcnt lgkmcnt(0)
	s_barrier
	ds_read_b32 v2, v3 offset:3072
	s_waitcnt lgkmcnt(0)
	s_barrier
	v_cmp_neq_f16_e32 vcc, 0, v2
	s_cbranch_vccnz .LBB204_114
; %bb.109:                              ;   in Loop: Header=BB204_111 Depth=2
	v_add_co_u32_e32 v6, vcc, s33, v6
	v_addc_co_u32_e32 v7, vcc, 0, v7, vcc
	v_mov_b32_e32 v8, s35
	v_add_co_u32_e32 v4, vcc, s34, v4
	v_addc_co_u32_e32 v5, vcc, v5, v8, vcc
	v_cmp_le_u64_e32 vcc, s[12:13], v[6:7]
	s_mov_b64 s[16:17], 0
	s_orn2_b64 s[20:21], vcc, exec
.LBB204_110:                            ;   in Loop: Header=BB204_111 Depth=2
	s_and_b64 s[20:21], exec, s[20:21]
	s_or_b64 s[4:5], s[20:21], s[4:5]
	s_andn2_b64 s[14:15], s[14:15], exec
	s_and_b64 s[16:17], s[16:17], exec
	s_or_b64 s[14:15], s[14:15], s[16:17]
	s_andn2_b64 exec, exec, s[4:5]
	s_cbranch_execz .LBB204_115
.LBB204_111:                            ;   Parent Loop BB204_6 Depth=1
                                        ; =>  This Inner Loop Header: Depth=2
	v_cmp_gt_u64_e32 vcc, s[28:29], v[6:7]
	s_and_saveexec_b64 s[16:17], vcc
	s_cbranch_execz .LBB204_108
; %bb.112:                              ;   in Loop: Header=BB204_111 Depth=2
	global_load_ushort v2, v[4:5], off
	s_waitcnt vmcnt(0)
	v_cmp_lt_i16_e32 vcc, -1, v2
	v_cndmask_b32_e32 v8, v41, v42, vcc
	v_xor_b32_sdwa v8, v8, v2 dst_sel:DWORD dst_unused:UNUSED_PAD src0_sel:DWORD src1_sel:WORD_0
	v_cmp_o_f16_e32 vcc, v2, v2
	v_cndmask_b32_e32 v8, v41, v8, vcc
	v_and_b32_e32 v8, v8, v10
	v_cmp_eq_u32_e32 vcc, v8, v11
	s_and_b64 exec, exec, vcc
	s_cbranch_execz .LBB204_108
; %bb.113:                              ;   in Loop: Header=BB204_111 Depth=2
	s_movk_i32 s20, 0x3c00
	v_perm_b32 v2, v2, s20, v45
	ds_write_b32 v3, v2 offset:3072
	s_branch .LBB204_108
.LBB204_114:                            ;   in Loop: Header=BB204_111 Depth=2
	s_mov_b64 s[20:21], -1
                                        ; implicit-def: $vgpr6_vgpr7
                                        ; implicit-def: $vgpr4_vgpr5
	s_mov_b64 s[16:17], -1
	s_branch .LBB204_110
.LBB204_115:                            ;   in Loop: Header=BB204_6 Depth=1
	s_or_b64 exec, exec, s[4:5]
	s_andn2_b64 s[4:5], s[10:11], exec
	s_and_b64 s[10:11], s[14:15], exec
	v_lshrrev_b32_e32 v8, 16, v2
	s_or_b64 s[10:11], s[4:5], s[10:11]
.LBB204_116:                            ;   in Loop: Header=BB204_6 Depth=1
	s_or_b64 exec, exec, s[2:3]
	s_mov_b64 s[14:15], 0
	s_mov_b64 s[2:3], -1
.LBB204_117:                            ;   in Loop: Header=BB204_6 Depth=1
	s_orn2_b64 s[4:5], s[10:11], exec
.LBB204_118:                            ;   in Loop: Header=BB204_6 Depth=1
	s_or_b64 exec, exec, s[8:9]
	s_mov_b64 s[12:13], 0
	s_mov_b64 s[48:49], 0
	;; [unrolled: 1-line block ×3, first 2 shown]
                                        ; implicit-def: $vgpr4_vgpr5
                                        ; implicit-def: $vgpr2
	s_and_saveexec_b64 s[36:37], s[4:5]
	s_cbranch_execz .LBB204_284
; %bb.119:                              ;   in Loop: Header=BB204_6 Depth=1
	v_mov_b32_e32 v4, 1
	s_xor_b64 s[4:5], s[6:7], -1
	v_mov_b32_e32 v2, 1
	v_mov_b32_e32 v5, 0
	s_mov_b64 s[8:9], 0
	s_and_saveexec_b64 s[6:7], s[4:5]
	s_cbranch_execz .LBB204_128
; %bb.120:                              ;   in Loop: Header=BB204_6 Depth=1
	v_cmp_ge_u64_e32 vcc, s[22:23], v[24:25]
	s_and_saveexec_b64 s[4:5], vcc
	s_xor_b64 s[4:5], exec, s[4:5]
	s_cbranch_execz .LBB204_125
; %bb.121:                              ;   in Loop: Header=BB204_6 Depth=1
	ds_read_b64 v[4:5], v3 offset:5120
	v_and_b32_e32 v11, s57, v11
	v_or_b32_e32 v10, s56, v10
	s_waitcnt lgkmcnt(0)
	v_cmp_ne_u64_e32 vcc, 0, v[4:5]
	s_cbranch_vccnz .LBB204_125
; %bb.122:                              ;   in Loop: Header=BB204_6 Depth=1
	s_mov_b64 s[8:9], exec
	v_readlane_b32 s10, v52, 8
	v_readlane_b32 s11, v52, 9
	s_and_b64 s[10:11], s[8:9], s[10:11]
	s_mov_b64 exec, s[10:11]
; %bb.123:                              ;   in Loop: Header=BB204_6 Depth=1
	v_mov_b32_e32 v4, s22
	v_mov_b32_e32 v5, s23
	ds_write_b64 v3, v[4:5] offset:5128
; %bb.124:                              ;   in Loop: Header=BB204_6 Depth=1
	s_or_b64 exec, exec, s[8:9]
	s_waitcnt lgkmcnt(0)
	s_barrier
.LBB204_125:                            ;   in Loop: Header=BB204_6 Depth=1
	s_or_saveexec_b64 s[4:5], s[4:5]
	v_mov_b32_e32 v4, v24
	s_mov_b64 s[8:9], 0
	v_mov_b32_e32 v2, 8
	v_mov_b32_e32 v5, v25
	s_xor_b64 exec, exec, s[4:5]
; %bb.126:                              ;   in Loop: Header=BB204_6 Depth=1
	v_subrev_co_u32_e32 v4, vcc, s22, v24
	v_mov_b32_e32 v2, s23
	v_subb_co_u32_e32 v5, vcc, v25, v2, vcc
	v_mov_b32_e32 v2, 0
	s_mov_b64 s[8:9], exec
; %bb.127:                              ;   in Loop: Header=BB204_6 Depth=1
	s_or_b64 exec, exec, s[4:5]
	s_and_b64 s[8:9], s[8:9], exec
.LBB204_128:                            ;   in Loop: Header=BB204_6 Depth=1
	s_or_b64 exec, exec, s[6:7]
	s_mov_b64 s[4:5], -1
                                        ; implicit-def: $sgpr46_sgpr47
                                        ; implicit-def: $sgpr48_sgpr49
	s_and_saveexec_b64 s[6:7], s[8:9]
	s_xor_b64 s[6:7], exec, s[6:7]
	s_cbranch_execz .LBB204_281
; %bb.129:                              ;   in Loop: Header=BB204_6 Depth=1
	s_cmp_eq_u64 s[94:95], 1
	v_cmp_eq_u64_e32 vcc, 1, v[4:5]
	s_cselect_b64 s[4:5], -1, 0
	s_and_b64 s[8:9], s[4:5], vcc
	s_mov_b64 s[4:5], -1
                                        ; implicit-def: $sgpr48_sgpr49
                                        ; implicit-def: $sgpr46_sgpr47
	s_and_saveexec_b64 s[20:21], s[8:9]
	s_cbranch_execz .LBB204_166
; %bb.130:                              ;   in Loop: Header=BB204_6 Depth=1
	ds_read_b64 v[6:7], v3 offset:5120
	s_waitcnt lgkmcnt(0)
	s_barrier
	v_readfirstlane_b32 s38, v6
	v_readfirstlane_b32 s39, v7
	s_mov_b64 s[4:5], exec
	v_readlane_b32 s10, v52, 28
	v_readlane_b32 s11, v52, 29
	s_and_b64 s[10:11], s[4:5], s[10:11]
	s_mov_b64 exec, s[10:11]
; %bb.131:                              ;   in Loop: Header=BB204_6 Depth=1
	ds_write_b16 v40, v3
; %bb.132:                              ;   in Loop: Header=BB204_6 Depth=1
	s_or_b64 exec, exec, s[4:5]
	v_and_b32_e32 v6, s57, v11
	v_lshl_or_b32 v11, 1, s69, v6
	v_or_b32_e32 v10, s56, v10
	s_mov_b64 s[46:47], -1
	s_mov_b64 s[48:49], 0
	s_cmp_eq_u64 s[38:39], 0
	s_mov_b64 s[10:11], 0
	s_mov_b64 s[40:41], -1
	s_waitcnt lgkmcnt(0)
	s_barrier
                                        ; implicit-def: $vgpr8
	s_cbranch_scc1 .LBB204_147
; %bb.133:                              ;   in Loop: Header=BB204_6 Depth=1
	v_readlane_b32 s4, v52, 32
	s_add_u32 s40, s38, s4
	v_readlane_b32 s4, v52, 34
	s_addc_u32 s11, s39, s4
	s_mov_b32 s10, s55
	s_cmp_lg_u64 s[10:11], 0
	s_cbranch_scc0 .LBB204_150
; %bb.134:                              ;   in Loop: Header=BB204_6 Depth=1
	v_cvt_f32_u32_e32 v6, s33
	s_sub_u32 s10, 0, s33
	s_subb_u32 s16, 0, 0
	v_mac_f32_e32 v6, 0, v43
	v_rcp_f32_e32 v6, v6
	v_mul_f32_e32 v6, 0x5f7ffffc, v6
	v_mul_f32_e32 v7, 0x2f800000, v6
	v_trunc_f32_e32 v7, v7
	v_mac_f32_e32 v6, 0xcf800000, v7
	v_cvt_u32_f32_e32 v7, v7
	v_cvt_u32_f32_e32 v6, v6
	v_readfirstlane_b32 s17, v7
	v_readfirstlane_b32 s4, v6
	s_mul_i32 s5, s10, s17
	s_mul_hi_u32 s52, s10, s4
	s_mul_i32 s41, s16, s4
	s_add_i32 s5, s52, s5
	s_mul_i32 s53, s10, s4
	s_add_i32 s5, s5, s41
	s_mul_hi_u32 s52, s4, s53
	s_mul_i32 s54, s4, s5
	s_mul_hi_u32 s41, s4, s5
	s_add_u32 s52, s52, s54
	s_addc_u32 s41, 0, s41
	s_mul_hi_u32 s58, s17, s53
	s_mul_i32 s53, s17, s53
	s_add_u32 s52, s52, s53
	s_mul_hi_u32 s54, s17, s5
	s_addc_u32 s41, s41, s58
	s_addc_u32 s52, s54, 0
	s_mul_i32 s5, s17, s5
	s_add_u32 s5, s41, s5
	s_addc_u32 s41, 0, s52
	s_add_u32 s52, s4, s5
	s_cselect_b64 s[4:5], -1, 0
	s_cmp_lg_u64 s[4:5], 0
	s_addc_u32 s17, s17, s41
	s_mul_i32 s4, s10, s17
	s_mul_hi_u32 s5, s10, s52
	s_add_i32 s4, s5, s4
	s_mul_i32 s16, s16, s52
	s_add_i32 s4, s4, s16
	s_mul_i32 s10, s10, s52
	s_mul_hi_u32 s16, s17, s10
	s_mul_i32 s41, s17, s10
	s_mul_i32 s54, s52, s4
	s_mul_hi_u32 s10, s52, s10
	s_mul_hi_u32 s53, s52, s4
	s_add_u32 s10, s10, s54
	s_addc_u32 s53, 0, s53
	s_add_u32 s10, s10, s41
	s_mul_hi_u32 s5, s17, s4
	s_addc_u32 s10, s53, s16
	s_addc_u32 s5, s5, 0
	s_mul_i32 s4, s17, s4
	s_add_u32 s4, s10, s4
	s_addc_u32 s10, 0, s5
	s_add_u32 s16, s52, s4
	s_cselect_b64 s[4:5], -1, 0
	s_cmp_lg_u64 s[4:5], 0
	s_addc_u32 s4, s17, s10
	s_mul_i32 s10, s40, s4
	s_mul_hi_u32 s17, s40, s16
	s_mul_hi_u32 s5, s40, s4
	s_add_u32 s10, s17, s10
	s_addc_u32 s5, 0, s5
	s_mul_hi_u32 s41, s11, s16
	s_mul_i32 s16, s11, s16
	s_add_u32 s10, s10, s16
	s_mul_hi_u32 s17, s11, s4
	s_addc_u32 s5, s5, s41
	s_addc_u32 s10, s17, 0
	s_mul_i32 s4, s11, s4
	s_add_u32 s4, s5, s4
	s_addc_u32 s5, 0, s10
	s_mul_i32 s5, s33, s5
	s_mul_hi_u32 s10, s33, s4
	s_add_i32 s10, s10, s5
	s_mul_i32 s4, s33, s4
	s_sub_u32 s16, s40, s4
	s_cselect_b64 s[4:5], -1, 0
	s_cmp_lg_u64 s[4:5], 0
	s_subb_u32 s10, s11, s10
	s_sub_u32 s17, s16, s33
	s_cselect_b64 s[4:5], -1, 0
	s_cmp_lg_u64 s[4:5], 0
	s_subb_u32 s41, s10, 0
	;; [unrolled: 4-line block ×3, first 2 shown]
	s_cmp_ge_u32 s17, s33
	s_cselect_b32 s5, -1, 0
	s_cmp_eq_u32 s41, 0
	s_cselect_b32 s5, s5, -1
	s_cmp_lg_u32 s5, 0
	s_cselect_b32 s4, s4, s41
	s_cselect_b32 s17, s52, s17
	s_cmp_ge_u32 s16, s33
	s_cselect_b32 s5, -1, 0
	s_cmp_eq_u32 s10, 0
	s_cselect_b32 s5, s5, -1
	s_cmp_lg_u32 s5, 0
	s_cselect_b32 s5, s4, s10
	s_cselect_b32 s4, s17, s16
	s_cbranch_execnz .LBB204_136
.LBB204_135:                            ;   in Loop: Header=BB204_6 Depth=1
	v_cvt_f32_u32_e32 v6, s33
	s_sub_i32 s4, 0, s33
	v_rcp_iflag_f32_e32 v6, v6
	v_mul_f32_e32 v6, 0x4f7ffffe, v6
	v_cvt_u32_f32_e32 v6, v6
	v_readfirstlane_b32 s5, v6
	s_mul_i32 s4, s4, s5
	s_mul_hi_u32 s4, s5, s4
	s_add_i32 s5, s5, s4
	s_mul_hi_u32 s4, s40, s5
	s_mul_i32 s4, s4, s33
	s_sub_i32 s4, s40, s4
	s_sub_i32 s5, s4, s33
	s_cmp_ge_u32 s4, s33
	s_cselect_b32 s4, s5, s4
	s_sub_i32 s5, s4, s33
	s_cmp_ge_u32 s4, s33
	s_cselect_b32 s54, s5, s4
	s_mov_b64 s[4:5], s[54:55]
.LBB204_136:                            ;   in Loop: Header=BB204_6 Depth=1
	s_sub_u32 s4, s40, s4
	s_subb_u32 s5, s11, s5
	v_cmp_gt_u64_e32 vcc, s[4:5], v[0:1]
	s_mov_b64 s[40:41], 0
	s_mov_b64 s[10:11], 0
                                        ; implicit-def: $vgpr8
	s_and_saveexec_b64 s[16:17], vcc
	v_readlane_b32 s54, v52, 45
	s_cbranch_execz .LBB204_146
; %bb.137:                              ;   in Loop: Header=BB204_6 Depth=1
	v_mov_b32_e32 v7, v1
	v_mov_b32_e32 v8, v39
	;; [unrolled: 1-line block ×3, first 2 shown]
                                        ; implicit-def: $sgpr58_sgpr59
	s_branch .LBB204_141
.LBB204_138:                            ;   in Loop: Header=BB204_141 Depth=2
	s_or_b64 exec, exec, s[64:65]
	s_waitcnt lgkmcnt(0)
	s_barrier
	ds_read_b32 v9, v3 offset:3072
	s_waitcnt lgkmcnt(0)
	s_barrier
	v_cmp_neq_f16_e32 vcc, 0, v9
	s_cbranch_vccnz .LBB204_144
; %bb.139:                              ;   in Loop: Header=BB204_141 Depth=2
	v_add_co_u32_e32 v6, vcc, s33, v6
	v_addc_co_u32_e32 v7, vcc, 0, v7, vcc
	v_cmp_le_u64_e32 vcc, s[4:5], v[6:7]
	v_add_u32_e32 v8, s63, v8
	s_mov_b64 s[52:53], 0
	s_orn2_b64 s[64:65], vcc, exec
.LBB204_140:                            ;   in Loop: Header=BB204_141 Depth=2
	s_and_b64 s[64:65], exec, s[64:65]
	s_or_b64 s[10:11], s[64:65], s[10:11]
	s_andn2_b64 s[58:59], s[58:59], exec
	s_and_b64 s[52:53], s[52:53], exec
	s_or_b64 s[58:59], s[58:59], s[52:53]
	s_andn2_b64 exec, exec, s[10:11]
	s_cbranch_execz .LBB204_145
.LBB204_141:                            ;   Parent Loop BB204_6 Depth=1
                                        ; =>  This Inner Loop Header: Depth=2
	v_cmp_gt_u64_e32 vcc, s[38:39], v[6:7]
	s_and_saveexec_b64 s[64:65], vcc
	s_cbranch_execz .LBB204_138
; %bb.142:                              ;   in Loop: Header=BB204_141 Depth=2
	ds_read_u16 v9, v8
	s_waitcnt lgkmcnt(0)
	v_cmp_lt_i16_e32 vcc, -1, v9
	v_cndmask_b32_e32 v26, v41, v42, vcc
	v_xor_b32_sdwa v26, v26, v9 dst_sel:DWORD dst_unused:UNUSED_PAD src0_sel:DWORD src1_sel:WORD_0
	v_cmp_o_f16_e32 vcc, v9, v9
	v_cndmask_b32_e32 v26, v41, v26, vcc
	v_and_b32_e32 v26, v26, v10
	v_cmp_eq_u32_e32 vcc, v26, v11
	s_and_b64 exec, exec, vcc
	s_cbranch_execz .LBB204_138
; %bb.143:                              ;   in Loop: Header=BB204_141 Depth=2
	s_movk_i32 s52, 0x3c00
	v_perm_b32 v9, v9, s52, v45
	ds_write_b32 v3, v9 offset:3072
	s_branch .LBB204_138
.LBB204_144:                            ;   in Loop: Header=BB204_141 Depth=2
	s_mov_b64 s[64:65], -1
                                        ; implicit-def: $vgpr6_vgpr7
                                        ; implicit-def: $vgpr8
	s_mov_b64 s[52:53], -1
	s_branch .LBB204_140
.LBB204_145:                            ;   in Loop: Header=BB204_6 Depth=1
	s_or_b64 exec, exec, s[10:11]
	v_lshrrev_b32_e32 v8, 16, v9
	s_and_b64 s[10:11], s[58:59], exec
.LBB204_146:                            ;   in Loop: Header=BB204_6 Depth=1
	s_or_b64 exec, exec, s[16:17]
	v_readlane_b32 s52, v52, 42
	v_readlane_b32 s53, v52, 43
.LBB204_147:                            ;   in Loop: Header=BB204_6 Depth=1
	s_and_b64 vcc, exec, s[40:41]
	s_cbranch_vccz .LBB204_165
; %bb.148:                              ;   in Loop: Header=BB204_6 Depth=1
	s_mov_b32 s60, s55
	s_cmp_lg_u64 s[60:61], 0
	s_cbranch_scc0 .LBB204_151
; %bb.149:                              ;   in Loop: Header=BB204_6 Depth=1
	v_cvt_f32_u32_e32 v6, s33
	s_sub_u32 s16, 0, s33
	s_subb_u32 s17, 0, 0
	v_mac_f32_e32 v6, 0, v43
	v_rcp_f32_e32 v6, v6
	v_mul_f32_e32 v6, 0x5f7ffffc, v6
	v_mul_f32_e32 v7, 0x2f800000, v6
	v_trunc_f32_e32 v7, v7
	v_mac_f32_e32 v6, 0xcf800000, v7
	v_cvt_u32_f32_e32 v7, v7
	v_cvt_u32_f32_e32 v6, v6
	v_readfirstlane_b32 s38, v7
	v_readfirstlane_b32 s4, v6
	s_mul_i32 s5, s16, s38
	s_mul_hi_u32 s40, s16, s4
	s_mul_i32 s39, s17, s4
	s_add_i32 s5, s40, s5
	s_mul_i32 s41, s16, s4
	s_add_i32 s5, s5, s39
	s_mul_hi_u32 s40, s4, s41
	s_mul_i32 s46, s4, s5
	s_mul_hi_u32 s39, s4, s5
	s_add_u32 s40, s40, s46
	s_addc_u32 s39, 0, s39
	s_mul_hi_u32 s47, s38, s41
	s_mul_i32 s41, s38, s41
	s_add_u32 s40, s40, s41
	s_mul_hi_u32 s46, s38, s5
	s_addc_u32 s39, s39, s47
	s_addc_u32 s40, s46, 0
	s_mul_i32 s5, s38, s5
	s_add_u32 s5, s39, s5
	s_addc_u32 s39, 0, s40
	s_add_u32 s40, s4, s5
	s_cselect_b64 s[4:5], -1, 0
	s_cmp_lg_u64 s[4:5], 0
	s_addc_u32 s38, s38, s39
	s_mul_i32 s4, s16, s38
	s_mul_hi_u32 s5, s16, s40
	s_add_i32 s4, s5, s4
	s_mul_i32 s17, s17, s40
	s_add_i32 s4, s4, s17
	s_mul_i32 s16, s16, s40
	s_mul_hi_u32 s17, s38, s16
	s_mul_i32 s39, s38, s16
	s_mul_i32 s46, s40, s4
	s_mul_hi_u32 s16, s40, s16
	s_mul_hi_u32 s41, s40, s4
	s_add_u32 s16, s16, s46
	s_addc_u32 s41, 0, s41
	s_add_u32 s16, s16, s39
	s_mul_hi_u32 s5, s38, s4
	s_addc_u32 s16, s41, s17
	s_addc_u32 s5, s5, 0
	s_mul_i32 s4, s38, s4
	s_add_u32 s4, s16, s4
	s_addc_u32 s16, 0, s5
	s_add_u32 s17, s40, s4
	s_cselect_b64 s[4:5], -1, 0
	s_cmp_lg_u64 s[4:5], 0
	s_addc_u32 s4, s38, s16
	v_readlane_b32 s41, v52, 33
	s_mul_i32 s16, s41, s4
	s_mul_hi_u32 s38, s41, s17
	s_mul_hi_u32 s5, s41, s4
	s_add_u32 s16, s38, s16
	s_addc_u32 s5, 0, s5
	s_mul_hi_u32 s39, s61, s17
	s_mul_i32 s17, s61, s17
	s_add_u32 s16, s16, s17
	s_mul_hi_u32 s38, s61, s4
	s_addc_u32 s5, s5, s39
	s_addc_u32 s16, s38, 0
	s_mul_i32 s4, s61, s4
	s_add_u32 s4, s5, s4
	s_addc_u32 s5, 0, s16
	s_mul_i32 s5, s33, s5
	s_mul_hi_u32 s16, s33, s4
	s_add_i32 s16, s16, s5
	s_mul_i32 s4, s33, s4
	s_sub_u32 s17, s41, s4
	s_cselect_b64 s[4:5], -1, 0
	s_cmp_lg_u64 s[4:5], 0
	s_subb_u32 s16, s61, s16
	s_sub_u32 s38, s17, s33
	s_cselect_b64 s[4:5], -1, 0
	s_cmp_lg_u64 s[4:5], 0
	s_subb_u32 s39, s16, 0
	;; [unrolled: 4-line block ×3, first 2 shown]
	s_cmp_ge_u32 s38, s33
	s_cselect_b32 s5, -1, 0
	s_cmp_eq_u32 s39, 0
	s_cselect_b32 s5, s5, -1
	s_cmp_lg_u32 s5, 0
	s_cselect_b32 s4, s4, s39
	s_cselect_b32 s38, s40, s38
	s_cmp_ge_u32 s17, s33
	s_cselect_b32 s5, -1, 0
	s_cmp_eq_u32 s16, 0
	s_cselect_b32 s5, s5, -1
	s_cmp_lg_u32 s5, 0
	s_cselect_b32 s5, s4, s16
	s_cselect_b32 s4, s38, s17
	s_mov_b64 s[16:17], 0
	s_branch .LBB204_152
.LBB204_150:                            ;   in Loop: Header=BB204_6 Depth=1
                                        ; implicit-def: $sgpr4_sgpr5
	s_branch .LBB204_135
.LBB204_151:                            ;   in Loop: Header=BB204_6 Depth=1
	s_mov_b64 s[16:17], -1
	v_readlane_b32 s41, v52, 33
                                        ; implicit-def: $sgpr4_sgpr5
.LBB204_152:                            ;   in Loop: Header=BB204_6 Depth=1
	s_andn2_b64 vcc, exec, s[16:17]
	v_readlane_b32 s60, v52, 44
	s_cbranch_vccnz .LBB204_154
; %bb.153:                              ;   in Loop: Header=BB204_6 Depth=1
	v_cvt_f32_u32_e32 v6, s33
	s_sub_i32 s4, 0, s33
	v_rcp_iflag_f32_e32 v6, v6
	v_mul_f32_e32 v6, 0x4f7ffffe, v6
	v_cvt_u32_f32_e32 v6, v6
	v_readfirstlane_b32 s5, v6
	s_mul_i32 s4, s4, s5
	s_mul_hi_u32 s4, s5, s4
	s_add_i32 s5, s5, s4
	s_mul_hi_u32 s4, s41, s5
	s_mul_i32 s4, s4, s33
	s_sub_i32 s4, s41, s4
	s_sub_i32 s5, s4, s33
	s_cmp_ge_u32 s4, s33
	s_cselect_b32 s4, s5, s4
	s_sub_i32 s5, s4, s33
	s_cmp_ge_u32 s4, s33
	s_cselect_b32 s54, s5, s4
	s_mov_b64 s[4:5], s[54:55]
	v_readlane_b32 s54, v52, 45
.LBB204_154:                            ;   in Loop: Header=BB204_6 Depth=1
	s_sub_u32 s38, s41, s4
	s_subb_u32 s39, s61, s5
	v_cmp_gt_u64_e32 vcc, s[38:39], v[0:1]
                                        ; implicit-def: $vgpr8
	s_and_saveexec_b64 s[16:17], vcc
	s_cbranch_execz .LBB204_164
; %bb.155:                              ;   in Loop: Header=BB204_6 Depth=1
	v_mov_b32_e32 v6, v12
	v_mov_b32_e32 v9, v1
	s_mov_b64 s[4:5], 0
	v_mov_b32_e32 v7, v13
	v_mov_b32_e32 v8, v0
                                        ; implicit-def: $sgpr40_sgpr41
	s_branch .LBB204_159
.LBB204_156:                            ;   in Loop: Header=BB204_159 Depth=2
	s_or_b64 exec, exec, s[46:47]
	s_waitcnt lgkmcnt(0)
	s_barrier
	ds_read_b32 v26, v3 offset:3072
	s_waitcnt lgkmcnt(0)
	s_barrier
	v_cmp_eq_f16_e32 vcc, 0, v26
	s_cbranch_vccz .LBB204_162
; %bb.157:                              ;   in Loop: Header=BB204_159 Depth=2
	v_add_co_u32_e32 v8, vcc, s33, v8
	v_addc_co_u32_e32 v9, vcc, 0, v9, vcc
	v_mov_b32_e32 v27, s35
	v_add_co_u32_e32 v6, vcc, s34, v6
	v_addc_co_u32_e32 v7, vcc, v7, v27, vcc
	v_cmp_le_u64_e32 vcc, s[38:39], v[8:9]
	s_mov_b64 s[46:47], 0
	s_orn2_b64 s[48:49], vcc, exec
.LBB204_158:                            ;   in Loop: Header=BB204_159 Depth=2
	s_and_b64 s[48:49], exec, s[48:49]
	s_or_b64 s[4:5], s[48:49], s[4:5]
	s_andn2_b64 s[40:41], s[40:41], exec
	s_and_b64 s[46:47], s[46:47], exec
	s_or_b64 s[40:41], s[40:41], s[46:47]
	s_andn2_b64 exec, exec, s[4:5]
	s_cbranch_execz .LBB204_163
.LBB204_159:                            ;   Parent Loop BB204_6 Depth=1
                                        ; =>  This Inner Loop Header: Depth=2
	v_cmp_gt_u64_e32 vcc, s[28:29], v[8:9]
	s_and_saveexec_b64 s[46:47], vcc
	s_cbranch_execz .LBB204_156
; %bb.160:                              ;   in Loop: Header=BB204_159 Depth=2
	global_load_ushort v26, v[6:7], off
	s_waitcnt vmcnt(0)
	v_cmp_lt_i16_e32 vcc, -1, v26
	v_cndmask_b32_e32 v27, v41, v42, vcc
	v_xor_b32_sdwa v27, v27, v26 dst_sel:DWORD dst_unused:UNUSED_PAD src0_sel:DWORD src1_sel:WORD_0
	v_cmp_o_f16_e32 vcc, v26, v26
	v_cndmask_b32_e32 v27, v41, v27, vcc
	v_and_b32_e32 v27, v27, v10
	v_cmp_eq_u32_e32 vcc, v27, v11
	s_and_b64 exec, exec, vcc
	s_cbranch_execz .LBB204_156
; %bb.161:                              ;   in Loop: Header=BB204_159 Depth=2
	s_movk_i32 s48, 0x3c00
	v_perm_b32 v26, v26, s48, v45
	ds_write_b32 v3, v26 offset:3072
	s_branch .LBB204_156
.LBB204_162:                            ;   in Loop: Header=BB204_159 Depth=2
	s_mov_b64 s[48:49], -1
                                        ; implicit-def: $vgpr8_vgpr9
                                        ; implicit-def: $vgpr6_vgpr7
	s_mov_b64 s[46:47], -1
	s_branch .LBB204_158
.LBB204_163:                            ;   in Loop: Header=BB204_6 Depth=1
	s_or_b64 exec, exec, s[4:5]
	s_andn2_b64 s[4:5], s[10:11], exec
	s_and_b64 s[10:11], s[40:41], exec
	v_lshrrev_b32_e32 v8, 16, v26
	s_or_b64 s[10:11], s[4:5], s[10:11]
.LBB204_164:                            ;   in Loop: Header=BB204_6 Depth=1
	s_or_b64 exec, exec, s[16:17]
	s_mov_b64 s[46:47], 0
	s_mov_b64 s[48:49], -1
.LBB204_165:                            ;   in Loop: Header=BB204_6 Depth=1
	s_orn2_b64 s[4:5], s[10:11], exec
.LBB204_166:                            ;   in Loop: Header=BB204_6 Depth=1
	s_or_b64 exec, exec, s[20:21]
	s_mov_b64 s[10:11], 0
	s_and_saveexec_b64 s[38:39], s[4:5]
	s_cbranch_execz .LBB204_280
; %bb.167:                              ;   in Loop: Header=BB204_6 Depth=1
	v_mov_b32_e32 v6, 1
	s_xor_b64 s[4:5], s[8:9], -1
	v_mov_b32_e32 v2, 1
	v_mov_b32_e32 v7, 0
	s_and_saveexec_b64 s[8:9], s[4:5]
	s_cbranch_execz .LBB204_176
; %bb.168:                              ;   in Loop: Header=BB204_6 Depth=1
	v_cmp_ge_u64_e32 vcc, s[94:95], v[4:5]
	s_and_saveexec_b64 s[4:5], vcc
	s_xor_b64 s[4:5], exec, s[4:5]
	s_cbranch_execz .LBB204_173
; %bb.169:                              ;   in Loop: Header=BB204_6 Depth=1
	ds_read_b64 v[6:7], v3 offset:5120
	v_and_b32_e32 v2, s57, v11
	v_lshl_or_b32 v11, 1, s69, v2
	v_or_b32_e32 v10, s56, v10
	s_waitcnt lgkmcnt(0)
	v_cmp_ne_u64_e32 vcc, 0, v[6:7]
	s_cbranch_vccnz .LBB204_173
; %bb.170:                              ;   in Loop: Header=BB204_6 Depth=1
	s_mov_b64 s[10:11], exec
	v_readlane_b32 s16, v52, 8
	v_readlane_b32 s17, v52, 9
	s_and_b64 s[16:17], s[10:11], s[16:17]
	s_mov_b64 exec, s[16:17]
; %bb.171:                              ;   in Loop: Header=BB204_6 Depth=1
	v_mov_b32_e32 v6, s94
	v_mov_b32_e32 v7, s95
	ds_write_b64 v3, v[6:7] offset:5128
; %bb.172:                              ;   in Loop: Header=BB204_6 Depth=1
	s_or_b64 exec, exec, s[10:11]
	s_waitcnt lgkmcnt(0)
	s_barrier
.LBB204_173:                            ;   in Loop: Header=BB204_6 Depth=1
	s_or_saveexec_b64 s[4:5], s[4:5]
	s_mov_b64 s[10:11], 0
	v_mov_b32_e32 v2, 8
	s_xor_b64 exec, exec, s[4:5]
; %bb.174:                              ;   in Loop: Header=BB204_6 Depth=1
	v_subrev_co_u32_e32 v4, vcc, s94, v4
	v_mov_b32_e32 v2, s95
	v_subb_co_u32_e32 v5, vcc, v5, v2, vcc
	v_mov_b32_e32 v2, 0
	s_mov_b64 s[10:11], exec
; %bb.175:                              ;   in Loop: Header=BB204_6 Depth=1
	s_or_b64 exec, exec, s[4:5]
	v_mov_b32_e32 v7, v5
	s_and_b64 s[10:11], s[10:11], exec
	v_mov_b32_e32 v6, v4
.LBB204_176:                            ;   in Loop: Header=BB204_6 Depth=1
	s_or_b64 exec, exec, s[8:9]
	s_mov_b64 s[4:5], -1
                                        ; implicit-def: $sgpr58_sgpr59
                                        ; implicit-def: $sgpr8_sgpr9
                                        ; kill: killed $sgpr8_sgpr9
	s_and_saveexec_b64 s[20:21], s[10:11]
	s_cbranch_execz .LBB204_279
; %bb.177:                              ;   in Loop: Header=BB204_6 Depth=1
	s_cmp_eq_u64 s[42:43], 1
	v_cmp_eq_u64_e32 vcc, 1, v[6:7]
	s_cselect_b64 s[4:5], -1, 0
	s_and_b64 s[8:9], s[4:5], vcc
	s_mov_b64 s[4:5], -1
                                        ; implicit-def: $sgpr10_sgpr11
                                        ; kill: killed $sgpr10_sgpr11
                                        ; implicit-def: $sgpr58_sgpr59
	s_and_saveexec_b64 s[40:41], s[8:9]
	s_cbranch_execz .LBB204_215
; %bb.178:                              ;   in Loop: Header=BB204_6 Depth=1
	ds_read_b64 v[4:5], v3 offset:5120
	s_waitcnt lgkmcnt(0)
	s_barrier
	v_readfirstlane_b32 s58, v4
	v_readfirstlane_b32 s59, v5
	s_mov_b64 s[4:5], exec
	v_readlane_b32 s10, v52, 28
	v_readlane_b32 s11, v52, 29
	s_and_b64 s[10:11], s[4:5], s[10:11]
	s_mov_b64 exec, s[10:11]
; %bb.179:                              ;   in Loop: Header=BB204_6 Depth=1
	ds_write_b16 v40, v3
; %bb.180:                              ;   in Loop: Header=BB204_6 Depth=1
	s_or_b64 exec, exec, s[4:5]
	v_and_b32_e32 v4, s57, v11
	s_mov_b64 s[4:5], 0
	v_lshl_or_b32 v11, 2, s69, v4
	v_or_b32_e32 v10, s56, v10
	v_writelane_b32 v52, s4, 50
	s_cmp_eq_u64 s[58:59], 0
	s_mov_b64 s[10:11], 0
	s_mov_b64 s[16:17], -1
	s_waitcnt lgkmcnt(0)
	s_barrier
	v_writelane_b32 v52, s5, 51
                                        ; implicit-def: $vgpr8
	s_cbranch_scc1 .LBB204_195
; %bb.181:                              ;   in Loop: Header=BB204_6 Depth=1
	v_readlane_b32 s4, v52, 32
	s_add_u32 s52, s58, s4
	v_readlane_b32 s4, v52, 34
	s_addc_u32 s11, s59, s4
	s_mov_b32 s10, s55
	s_cmp_lg_u64 s[10:11], 0
	s_cbranch_scc0 .LBB204_199
; %bb.182:                              ;   in Loop: Header=BB204_6 Depth=1
	v_cvt_f32_u32_e32 v4, s33
	s_sub_u32 s10, 0, s33
	s_subb_u32 s16, 0, 0
	v_mac_f32_e32 v4, 0, v43
	v_rcp_f32_e32 v4, v4
	v_mul_f32_e32 v4, 0x5f7ffffc, v4
	v_mul_f32_e32 v5, 0x2f800000, v4
	v_trunc_f32_e32 v5, v5
	v_mac_f32_e32 v4, 0xcf800000, v5
	v_cvt_u32_f32_e32 v5, v5
	v_cvt_u32_f32_e32 v4, v4
	v_readfirstlane_b32 s17, v5
	v_readfirstlane_b32 s4, v4
	s_mul_i32 s5, s10, s17
	s_mul_hi_u32 s54, s10, s4
	s_mul_i32 s53, s16, s4
	s_add_i32 s5, s54, s5
	s_mul_i32 s60, s10, s4
	s_add_i32 s5, s5, s53
	s_mul_hi_u32 s54, s4, s60
	s_mul_i32 s64, s4, s5
	s_mul_hi_u32 s53, s4, s5
	s_add_u32 s54, s54, s64
	s_addc_u32 s53, 0, s53
	s_mul_hi_u32 s65, s17, s60
	s_mul_i32 s60, s17, s60
	s_add_u32 s54, s54, s60
	s_mul_hi_u32 s64, s17, s5
	s_addc_u32 s53, s53, s65
	s_addc_u32 s54, s64, 0
	s_mul_i32 s5, s17, s5
	s_add_u32 s5, s53, s5
	s_addc_u32 s53, 0, s54
	s_add_u32 s54, s4, s5
	s_cselect_b64 s[4:5], -1, 0
	s_cmp_lg_u64 s[4:5], 0
	s_addc_u32 s17, s17, s53
	s_mul_i32 s4, s10, s17
	s_mul_hi_u32 s5, s10, s54
	s_add_i32 s4, s5, s4
	s_mul_i32 s16, s16, s54
	s_add_i32 s4, s4, s16
	s_mul_i32 s10, s10, s54
	s_mul_hi_u32 s16, s17, s10
	s_mul_i32 s53, s17, s10
	s_mul_i32 s64, s54, s4
	s_mul_hi_u32 s10, s54, s10
	s_mul_hi_u32 s60, s54, s4
	s_add_u32 s10, s10, s64
	s_addc_u32 s60, 0, s60
	s_add_u32 s10, s10, s53
	s_mul_hi_u32 s5, s17, s4
	s_addc_u32 s10, s60, s16
	s_addc_u32 s5, s5, 0
	s_mul_i32 s4, s17, s4
	s_add_u32 s4, s10, s4
	s_addc_u32 s10, 0, s5
	s_add_u32 s16, s54, s4
	s_cselect_b64 s[4:5], -1, 0
	s_cmp_lg_u64 s[4:5], 0
	s_addc_u32 s4, s17, s10
	s_mul_i32 s10, s52, s4
	s_mul_hi_u32 s17, s52, s16
	s_mul_hi_u32 s5, s52, s4
	s_add_u32 s10, s17, s10
	s_addc_u32 s5, 0, s5
	s_mul_hi_u32 s53, s11, s16
	s_mul_i32 s16, s11, s16
	s_add_u32 s10, s10, s16
	s_mul_hi_u32 s17, s11, s4
	s_addc_u32 s5, s5, s53
	s_addc_u32 s10, s17, 0
	s_mul_i32 s4, s11, s4
	s_add_u32 s4, s5, s4
	s_addc_u32 s5, 0, s10
	s_mul_i32 s5, s33, s5
	s_mul_hi_u32 s10, s33, s4
	s_add_i32 s10, s10, s5
	s_mul_i32 s4, s33, s4
	s_sub_u32 s16, s52, s4
	s_cselect_b64 s[4:5], -1, 0
	s_cmp_lg_u64 s[4:5], 0
	s_subb_u32 s10, s11, s10
	s_sub_u32 s17, s16, s33
	s_cselect_b64 s[4:5], -1, 0
	s_cmp_lg_u64 s[4:5], 0
	s_subb_u32 s53, s10, 0
	s_sub_u32 s54, s17, s33
	s_cselect_b64 s[4:5], -1, 0
	s_cmp_lg_u64 s[4:5], 0
	s_subb_u32 s4, s53, 0
	s_cmp_ge_u32 s17, s33
	s_cselect_b32 s5, -1, 0
	s_cmp_eq_u32 s53, 0
	s_cselect_b32 s5, s5, -1
	s_cmp_lg_u32 s5, 0
	s_cselect_b32 s4, s4, s53
	s_cselect_b32 s17, s54, s17
	s_cmp_ge_u32 s16, s33
	s_cselect_b32 s5, -1, 0
	s_cmp_eq_u32 s10, 0
	s_cselect_b32 s5, s5, -1
	s_cmp_lg_u32 s5, 0
	s_cselect_b32 s5, s4, s10
	s_cselect_b32 s4, s17, s16
	s_cbranch_execnz .LBB204_184
.LBB204_183:                            ;   in Loop: Header=BB204_6 Depth=1
	v_cvt_f32_u32_e32 v4, s33
	s_sub_i32 s4, 0, s33
	v_rcp_iflag_f32_e32 v4, v4
	v_mul_f32_e32 v4, 0x4f7ffffe, v4
	v_cvt_u32_f32_e32 v4, v4
	v_readfirstlane_b32 s5, v4
	s_mul_i32 s4, s4, s5
	s_mul_hi_u32 s4, s5, s4
	s_add_i32 s5, s5, s4
	s_mul_hi_u32 s4, s52, s5
	s_mul_i32 s4, s4, s33
	s_sub_i32 s4, s52, s4
	s_sub_i32 s5, s4, s33
	s_cmp_ge_u32 s4, s33
	s_cselect_b32 s4, s5, s4
	s_sub_i32 s5, s4, s33
	s_cmp_ge_u32 s4, s33
	s_cselect_b32 s54, s5, s4
	s_mov_b64 s[4:5], s[54:55]
.LBB204_184:                            ;   in Loop: Header=BB204_6 Depth=1
	s_sub_u32 s64, s52, s4
	s_subb_u32 s65, s11, s5
	v_cmp_gt_u64_e32 vcc, s[64:65], v[0:1]
	s_mov_b64 s[16:17], 0
	s_mov_b64 s[10:11], 0
                                        ; implicit-def: $vgpr8
	s_and_saveexec_b64 s[4:5], vcc
	v_readlane_b32 s60, v52, 44
	v_readlane_b32 s54, v52, 45
	s_cbranch_execz .LBB204_194
; %bb.185:                              ;   in Loop: Header=BB204_6 Depth=1
	v_mov_b32_e32 v5, v1
	v_mov_b32_e32 v8, v39
	;; [unrolled: 1-line block ×3, first 2 shown]
                                        ; implicit-def: $sgpr66_sgpr67
	s_branch .LBB204_189
.LBB204_186:                            ;   in Loop: Header=BB204_189 Depth=2
	s_or_b64 exec, exec, s[52:53]
	s_waitcnt lgkmcnt(0)
	s_barrier
	ds_read_b32 v9, v3 offset:3072
	s_waitcnt lgkmcnt(0)
	s_barrier
	v_cmp_neq_f16_e32 vcc, 0, v9
	s_cbranch_vccnz .LBB204_192
; %bb.187:                              ;   in Loop: Header=BB204_189 Depth=2
	v_add_co_u32_e32 v4, vcc, s33, v4
	v_addc_co_u32_e32 v5, vcc, 0, v5, vcc
	v_cmp_le_u64_e32 vcc, s[64:65], v[4:5]
	v_add_u32_e32 v8, s63, v8
	s_mov_b64 s[52:53], 0
	s_orn2_b64 vcc, vcc, exec
.LBB204_188:                            ;   in Loop: Header=BB204_189 Depth=2
	s_and_b64 vcc, exec, vcc
	s_or_b64 s[10:11], vcc, s[10:11]
	s_andn2_b64 s[66:67], s[66:67], exec
	s_and_b64 s[52:53], s[52:53], exec
	s_or_b64 s[66:67], s[66:67], s[52:53]
	s_andn2_b64 exec, exec, s[10:11]
	s_cbranch_execz .LBB204_193
.LBB204_189:                            ;   Parent Loop BB204_6 Depth=1
                                        ; =>  This Inner Loop Header: Depth=2
	v_cmp_gt_u64_e32 vcc, s[58:59], v[4:5]
	s_and_saveexec_b64 s[52:53], vcc
	s_cbranch_execz .LBB204_186
; %bb.190:                              ;   in Loop: Header=BB204_189 Depth=2
	ds_read_u16 v9, v8
	s_waitcnt lgkmcnt(0)
	v_cmp_lt_i16_e32 vcc, -1, v9
	v_cndmask_b32_e32 v26, v41, v42, vcc
	v_xor_b32_sdwa v26, v26, v9 dst_sel:DWORD dst_unused:UNUSED_PAD src0_sel:DWORD src1_sel:WORD_0
	v_cmp_o_f16_e32 vcc, v9, v9
	v_cndmask_b32_e32 v26, v41, v26, vcc
	v_and_b32_e32 v26, v26, v10
	v_cmp_eq_u32_e32 vcc, v26, v11
	s_and_b64 exec, exec, vcc
	s_cbranch_execz .LBB204_186
; %bb.191:                              ;   in Loop: Header=BB204_189 Depth=2
	s_movk_i32 vcc_lo, 0x3c00
	v_perm_b32 v9, v9, vcc_lo, v45
	ds_write_b32 v3, v9 offset:3072
	s_branch .LBB204_186
.LBB204_192:                            ;   in Loop: Header=BB204_189 Depth=2
	s_mov_b64 vcc, -1
                                        ; implicit-def: $vgpr4_vgpr5
                                        ; implicit-def: $vgpr8
	s_mov_b64 s[52:53], -1
	s_branch .LBB204_188
.LBB204_193:                            ;   in Loop: Header=BB204_6 Depth=1
	s_or_b64 exec, exec, s[10:11]
	v_lshrrev_b32_e32 v8, 16, v9
	s_and_b64 s[10:11], s[66:67], exec
.LBB204_194:                            ;   in Loop: Header=BB204_6 Depth=1
	s_or_b64 exec, exec, s[4:5]
	v_readlane_b32 s52, v52, 42
	v_readlane_b32 s53, v52, 43
.LBB204_195:                            ;   in Loop: Header=BB204_6 Depth=1
	s_and_b64 vcc, exec, s[16:17]
	s_cbranch_vccz .LBB204_198
; %bb.196:                              ;   in Loop: Header=BB204_6 Depth=1
	s_mov_b32 s60, s55
	s_cmp_lg_u64 s[60:61], 0
	s_cbranch_scc0 .LBB204_200
; %bb.197:                              ;   in Loop: Header=BB204_6 Depth=1
	v_cvt_f32_u32_e32 v4, s33
	s_sub_u32 s16, 0, s33
	s_subb_u32 s17, 0, 0
	v_mac_f32_e32 v4, 0, v43
	v_rcp_f32_e32 v4, v4
	v_mul_f32_e32 v4, 0x5f7ffffc, v4
	v_mul_f32_e32 v5, 0x2f800000, v4
	v_trunc_f32_e32 v5, v5
	v_mac_f32_e32 v4, 0xcf800000, v5
	v_cvt_u32_f32_e32 v5, v5
	v_cvt_u32_f32_e32 v4, v4
	v_readfirstlane_b32 s52, v5
	v_readfirstlane_b32 s4, v4
	s_mul_i32 s5, s16, s52
	s_mul_hi_u32 s54, s16, s4
	s_mul_i32 s53, s17, s4
	s_add_i32 s5, s54, s5
	s_mul_i32 s58, s16, s4
	s_add_i32 s5, s5, s53
	s_mul_hi_u32 s54, s4, s58
	s_mul_i32 s59, s4, s5
	s_mul_hi_u32 s53, s4, s5
	s_add_u32 s54, s54, s59
	s_addc_u32 s53, 0, s53
	s_mul_hi_u32 s60, s52, s58
	s_mul_i32 s58, s52, s58
	s_add_u32 s54, s54, s58
	s_mul_hi_u32 s59, s52, s5
	s_addc_u32 s53, s53, s60
	s_addc_u32 s54, s59, 0
	s_mul_i32 s5, s52, s5
	s_add_u32 s5, s53, s5
	s_addc_u32 s53, 0, s54
	s_add_u32 s54, s4, s5
	s_cselect_b64 s[4:5], -1, 0
	s_cmp_lg_u64 s[4:5], 0
	s_addc_u32 s52, s52, s53
	s_mul_i32 s4, s16, s52
	s_mul_hi_u32 s5, s16, s54
	s_add_i32 s4, s5, s4
	s_mul_i32 s17, s17, s54
	s_add_i32 s4, s4, s17
	s_mul_i32 s16, s16, s54
	s_mul_hi_u32 s17, s52, s16
	s_mul_i32 s53, s52, s16
	s_mul_i32 s59, s54, s4
	s_mul_hi_u32 s16, s54, s16
	s_mul_hi_u32 s58, s54, s4
	s_add_u32 s16, s16, s59
	s_addc_u32 s58, 0, s58
	s_add_u32 s16, s16, s53
	s_mul_hi_u32 s5, s52, s4
	s_addc_u32 s16, s58, s17
	s_addc_u32 s5, s5, 0
	s_mul_i32 s4, s52, s4
	s_add_u32 s4, s16, s4
	s_addc_u32 s16, 0, s5
	s_add_u32 s17, s54, s4
	s_cselect_b64 s[4:5], -1, 0
	s_cmp_lg_u64 s[4:5], 0
	s_addc_u32 s4, s52, s16
	v_readlane_b32 s58, v52, 33
	s_mul_i32 s16, s58, s4
	s_mul_hi_u32 s52, s58, s17
	s_mul_hi_u32 s5, s58, s4
	s_add_u32 s16, s52, s16
	s_addc_u32 s5, 0, s5
	s_mul_hi_u32 s53, s61, s17
	s_mul_i32 s17, s61, s17
	s_add_u32 s16, s16, s17
	s_mul_hi_u32 s52, s61, s4
	s_addc_u32 s5, s5, s53
	s_addc_u32 s16, s52, 0
	s_mul_i32 s4, s61, s4
	s_add_u32 s4, s5, s4
	s_addc_u32 s5, 0, s16
	s_mul_i32 s5, s33, s5
	s_mul_hi_u32 s16, s33, s4
	s_add_i32 s16, s16, s5
	s_mul_i32 s4, s33, s4
	s_sub_u32 s17, s58, s4
	s_cselect_b64 s[4:5], -1, 0
	s_cmp_lg_u64 s[4:5], 0
	s_subb_u32 s16, s61, s16
	s_sub_u32 s52, s17, s33
	s_cselect_b64 s[4:5], -1, 0
	s_cmp_lg_u64 s[4:5], 0
	s_subb_u32 s53, s16, 0
	s_sub_u32 s54, s52, s33
	s_cselect_b64 s[4:5], -1, 0
	s_cmp_lg_u64 s[4:5], 0
	s_subb_u32 s4, s53, 0
	s_cmp_ge_u32 s52, s33
	s_cselect_b32 s5, -1, 0
	s_cmp_eq_u32 s53, 0
	s_cselect_b32 s5, s5, -1
	s_cmp_lg_u32 s5, 0
	s_cselect_b32 s4, s4, s53
	s_cselect_b32 s52, s54, s52
	s_cmp_ge_u32 s17, s33
	s_cselect_b32 s5, -1, 0
	s_cmp_eq_u32 s16, 0
	s_cselect_b32 s5, s5, -1
	s_cmp_lg_u32 s5, 0
	s_cselect_b32 s5, s4, s16
	s_cselect_b32 s4, s52, s17
	v_readlane_b32 s52, v52, 42
	v_readlane_b32 s53, v52, 43
	s_mov_b64 s[16:17], 0
	s_branch .LBB204_201
.LBB204_198:                            ;   in Loop: Header=BB204_6 Depth=1
	s_mov_b64 s[58:59], -1
	s_branch .LBB204_214
.LBB204_199:                            ;   in Loop: Header=BB204_6 Depth=1
                                        ; implicit-def: $sgpr4_sgpr5
	s_andn2_b64 vcc, exec, s[16:17]
	s_cbranch_vccz .LBB204_183
	s_branch .LBB204_184
.LBB204_200:                            ;   in Loop: Header=BB204_6 Depth=1
	s_mov_b64 s[16:17], -1
	v_readlane_b32 s58, v52, 33
                                        ; implicit-def: $sgpr4_sgpr5
.LBB204_201:                            ;   in Loop: Header=BB204_6 Depth=1
	s_andn2_b64 vcc, exec, s[16:17]
	v_readlane_b32 s60, v52, 44
	s_cbranch_vccnz .LBB204_203
; %bb.202:                              ;   in Loop: Header=BB204_6 Depth=1
	v_cvt_f32_u32_e32 v4, s33
	s_sub_i32 s4, 0, s33
	v_rcp_iflag_f32_e32 v4, v4
	v_mul_f32_e32 v4, 0x4f7ffffe, v4
	v_cvt_u32_f32_e32 v4, v4
	v_readfirstlane_b32 s5, v4
	s_mul_i32 s4, s4, s5
	s_mul_hi_u32 s4, s5, s4
	s_add_i32 s5, s5, s4
	s_mul_hi_u32 s4, s58, s5
	s_mul_i32 s4, s4, s33
	s_sub_i32 s4, s58, s4
	s_sub_i32 s5, s4, s33
	s_cmp_ge_u32 s4, s33
	s_cselect_b32 s4, s5, s4
	s_sub_i32 s5, s4, s33
	s_cmp_ge_u32 s4, s33
	s_cselect_b32 s54, s5, s4
	s_mov_b64 s[4:5], s[54:55]
.LBB204_203:                            ;   in Loop: Header=BB204_6 Depth=1
	s_sub_u32 s58, s58, s4
	s_subb_u32 s59, s61, s5
	v_cmp_gt_u64_e32 vcc, s[58:59], v[0:1]
                                        ; implicit-def: $vgpr8
	s_and_saveexec_b64 s[16:17], vcc
	v_readlane_b32 s54, v52, 45
	s_cbranch_execz .LBB204_213
; %bb.204:                              ;   in Loop: Header=BB204_6 Depth=1
	v_mov_b32_e32 v4, v12
	v_mov_b32_e32 v9, v1
	s_mov_b64 s[4:5], 0
	v_mov_b32_e32 v5, v13
	v_mov_b32_e32 v8, v0
                                        ; implicit-def: $sgpr64_sgpr65
	s_branch .LBB204_208
.LBB204_205:                            ;   in Loop: Header=BB204_208 Depth=2
	s_or_b64 exec, exec, s[52:53]
	s_waitcnt lgkmcnt(0)
	s_barrier
	ds_read_b32 v26, v3 offset:3072
	s_waitcnt lgkmcnt(0)
	s_barrier
	v_cmp_eq_f16_e32 vcc, 0, v26
	s_cbranch_vccz .LBB204_211
; %bb.206:                              ;   in Loop: Header=BB204_208 Depth=2
	v_add_co_u32_e32 v8, vcc, s33, v8
	v_addc_co_u32_e32 v9, vcc, 0, v9, vcc
	v_mov_b32_e32 v27, s35
	v_add_co_u32_e32 v4, vcc, s34, v4
	v_addc_co_u32_e32 v5, vcc, v5, v27, vcc
	v_cmp_le_u64_e32 vcc, s[58:59], v[8:9]
	s_mov_b64 s[52:53], 0
	s_orn2_b64 s[66:67], vcc, exec
.LBB204_207:                            ;   in Loop: Header=BB204_208 Depth=2
	s_and_b64 s[66:67], exec, s[66:67]
	s_or_b64 s[4:5], s[66:67], s[4:5]
	s_andn2_b64 s[64:65], s[64:65], exec
	s_and_b64 s[52:53], s[52:53], exec
	s_or_b64 s[64:65], s[64:65], s[52:53]
	s_andn2_b64 exec, exec, s[4:5]
	s_cbranch_execz .LBB204_212
.LBB204_208:                            ;   Parent Loop BB204_6 Depth=1
                                        ; =>  This Inner Loop Header: Depth=2
	v_cmp_gt_u64_e32 vcc, s[28:29], v[8:9]
	s_and_saveexec_b64 s[52:53], vcc
	s_cbranch_execz .LBB204_205
; %bb.209:                              ;   in Loop: Header=BB204_208 Depth=2
	global_load_ushort v26, v[4:5], off
	s_waitcnt vmcnt(0)
	v_cmp_lt_i16_e32 vcc, -1, v26
	v_cndmask_b32_e32 v27, v41, v42, vcc
	v_xor_b32_sdwa v27, v27, v26 dst_sel:DWORD dst_unused:UNUSED_PAD src0_sel:DWORD src1_sel:WORD_0
	v_cmp_o_f16_e32 vcc, v26, v26
	v_cndmask_b32_e32 v27, v41, v27, vcc
	v_and_b32_e32 v27, v27, v10
	v_cmp_eq_u32_e32 vcc, v27, v11
	s_and_b64 exec, exec, vcc
	s_cbranch_execz .LBB204_205
; %bb.210:                              ;   in Loop: Header=BB204_208 Depth=2
	s_movk_i32 s66, 0x3c00
	v_perm_b32 v26, v26, s66, v45
	ds_write_b32 v3, v26 offset:3072
	s_branch .LBB204_205
.LBB204_211:                            ;   in Loop: Header=BB204_208 Depth=2
	s_mov_b64 s[66:67], -1
                                        ; implicit-def: $vgpr8_vgpr9
                                        ; implicit-def: $vgpr4_vgpr5
	s_mov_b64 s[52:53], -1
	s_branch .LBB204_207
.LBB204_212:                            ;   in Loop: Header=BB204_6 Depth=1
	s_or_b64 exec, exec, s[4:5]
	s_andn2_b64 s[4:5], s[10:11], exec
	s_and_b64 s[10:11], s[64:65], exec
	v_readlane_b32 s52, v52, 42
	v_lshrrev_b32_e32 v8, 16, v26
	s_or_b64 s[10:11], s[4:5], s[10:11]
	v_readlane_b32 s53, v52, 43
.LBB204_213:                            ;   in Loop: Header=BB204_6 Depth=1
	s_or_b64 exec, exec, s[16:17]
	s_mov_b64 s[4:5], -1
	v_writelane_b32 v52, s4, 50
	s_mov_b64 s[58:59], 0
	v_writelane_b32 v52, s5, 51
.LBB204_214:                            ;   in Loop: Header=BB204_6 Depth=1
	s_orn2_b64 s[4:5], s[10:11], exec
.LBB204_215:                            ;   in Loop: Header=BB204_6 Depth=1
	s_or_b64 exec, exec, s[40:41]
	s_mov_b64 s[10:11], 0
	s_and_saveexec_b64 s[40:41], s[4:5]
	s_cbranch_execz .LBB204_278
; %bb.216:                              ;   in Loop: Header=BB204_6 Depth=1
	v_mov_b32_e32 v4, 1
	s_xor_b64 s[4:5], s[8:9], -1
	v_mov_b32_e32 v2, 1
	v_mov_b32_e32 v5, 0
	s_and_saveexec_b64 s[8:9], s[4:5]
	s_cbranch_execz .LBB204_225
; %bb.217:                              ;   in Loop: Header=BB204_6 Depth=1
	v_cmp_ge_u64_e32 vcc, s[42:43], v[6:7]
	s_and_saveexec_b64 s[4:5], vcc
	s_xor_b64 s[4:5], exec, s[4:5]
	s_cbranch_execz .LBB204_222
; %bb.218:                              ;   in Loop: Header=BB204_6 Depth=1
	ds_read_b64 v[4:5], v3 offset:5120
	v_and_b32_e32 v2, s57, v11
	v_lshl_or_b32 v11, 2, s69, v2
	v_or_b32_e32 v10, s56, v10
	s_waitcnt lgkmcnt(0)
	v_cmp_ne_u64_e32 vcc, 0, v[4:5]
	s_cbranch_vccnz .LBB204_222
; %bb.219:                              ;   in Loop: Header=BB204_6 Depth=1
	s_mov_b64 s[10:11], exec
	v_readlane_b32 s16, v52, 8
	v_readlane_b32 s17, v52, 9
	s_and_b64 s[16:17], s[10:11], s[16:17]
	s_mov_b64 exec, s[16:17]
; %bb.220:                              ;   in Loop: Header=BB204_6 Depth=1
	v_mov_b32_e32 v4, s42
	v_mov_b32_e32 v5, s43
	ds_write_b64 v3, v[4:5] offset:5128
; %bb.221:                              ;   in Loop: Header=BB204_6 Depth=1
	s_or_b64 exec, exec, s[10:11]
	s_waitcnt lgkmcnt(0)
	s_barrier
.LBB204_222:                            ;   in Loop: Header=BB204_6 Depth=1
	s_or_saveexec_b64 s[4:5], s[4:5]
	s_mov_b64 s[10:11], 0
	v_mov_b32_e32 v2, 8
	s_xor_b64 exec, exec, s[4:5]
; %bb.223:                              ;   in Loop: Header=BB204_6 Depth=1
	v_subrev_co_u32_e32 v6, vcc, s42, v6
	v_mov_b32_e32 v2, s43
	v_subb_co_u32_e32 v7, vcc, v7, v2, vcc
	v_mov_b32_e32 v2, 0
	s_mov_b64 s[10:11], exec
; %bb.224:                              ;   in Loop: Header=BB204_6 Depth=1
	s_or_b64 exec, exec, s[4:5]
	v_mov_b32_e32 v4, v6
	s_and_b64 s[10:11], s[10:11], exec
	v_mov_b32_e32 v5, v7
.LBB204_225:                            ;   in Loop: Header=BB204_6 Depth=1
	s_or_b64 exec, exec, s[8:9]
	s_mov_b64 s[4:5], -1
                                        ; implicit-def: $sgpr66_sgpr67
                                        ; implicit-def: $sgpr64_sgpr65
	s_and_saveexec_b64 s[8:9], s[10:11]
	s_cbranch_execz .LBB204_277
; %bb.226:                              ;   in Loop: Header=BB204_6 Depth=1
	s_cmp_eq_u64 s[44:45], 1
	v_cmp_eq_u64_e32 vcc, 1, v[4:5]
	s_cselect_b64 s[4:5], -1, 0
	v_writelane_b32 v52, s58, 48
	s_and_b64 s[10:11], s[4:5], vcc
	s_mov_b64 s[4:5], -1
	v_writelane_b32 v52, s59, 49
                                        ; implicit-def: $sgpr66_sgpr67
                                        ; implicit-def: $sgpr64_sgpr65
	s_mov_b64 s[16:17], exec
	v_writelane_b32 v52, s10, 54
	v_writelane_b32 v52, s11, 55
	;; [unrolled: 1-line block ×3, first 2 shown]
	s_and_b64 s[10:11], s[16:17], s[10:11]
	v_writelane_b32 v52, s17, 53
	s_mov_b64 exec, s[10:11]
	s_cbranch_execz .LBB204_265
; %bb.227:                              ;   in Loop: Header=BB204_6 Depth=1
	ds_read_b64 v[6:7], v3 offset:5120
	s_waitcnt lgkmcnt(0)
	s_barrier
	v_readfirstlane_b32 s58, v6
	v_readfirstlane_b32 s59, v7
	s_mov_b64 s[4:5], exec
	v_readlane_b32 s10, v52, 28
	v_readlane_b32 s11, v52, 29
	s_and_b64 s[10:11], s[4:5], s[10:11]
	s_mov_b64 exec, s[10:11]
; %bb.228:                              ;   in Loop: Header=BB204_6 Depth=1
	ds_write_b16 v40, v3
; %bb.229:                              ;   in Loop: Header=BB204_6 Depth=1
	s_or_b64 exec, exec, s[4:5]
	v_or_b32_e32 v11, s56, v11
	v_or_b32_e32 v10, s56, v10
	s_cmp_eq_u64 s[58:59], 0
	s_mov_b64 s[4:5], 0
	s_mov_b64 s[10:11], -1
	s_waitcnt lgkmcnt(0)
	s_barrier
                                        ; implicit-def: $vgpr8
	s_cbranch_scc1 .LBB204_246
; %bb.230:                              ;   in Loop: Header=BB204_6 Depth=1
	v_readlane_b32 s4, v52, 32
	s_add_u32 s52, s58, s4
	v_readlane_b32 s4, v52, 34
	s_addc_u32 s11, s59, s4
	s_mov_b32 s10, s55
	s_cmp_lg_u64 s[10:11], 0
	s_cbranch_scc0 .LBB204_232
; %bb.231:                              ;   in Loop: Header=BB204_6 Depth=1
	v_cvt_f32_u32_e32 v6, s33
	s_sub_u32 s10, 0, s33
	s_subb_u32 s16, 0, 0
	v_mac_f32_e32 v6, 0, v43
	v_rcp_f32_e32 v6, v6
	v_mul_f32_e32 v6, 0x5f7ffffc, v6
	v_mul_f32_e32 v7, 0x2f800000, v6
	v_trunc_f32_e32 v7, v7
	v_mac_f32_e32 v6, 0xcf800000, v7
	v_cvt_u32_f32_e32 v7, v7
	v_cvt_u32_f32_e32 v6, v6
	v_readfirstlane_b32 s17, v7
	v_readfirstlane_b32 s4, v6
	s_mul_i32 s5, s10, s17
	s_mul_hi_u32 s54, s10, s4
	s_mul_i32 s53, s16, s4
	s_add_i32 s5, s54, s5
	s_mul_i32 s60, s10, s4
	s_add_i32 s5, s5, s53
	s_mul_hi_u32 s54, s4, s60
	s_mul_i32 s64, s4, s5
	s_mul_hi_u32 s53, s4, s5
	s_add_u32 s54, s54, s64
	s_addc_u32 s53, 0, s53
	s_mul_hi_u32 s65, s17, s60
	s_mul_i32 s60, s17, s60
	s_add_u32 s54, s54, s60
	s_mul_hi_u32 s64, s17, s5
	s_addc_u32 s53, s53, s65
	s_addc_u32 s54, s64, 0
	s_mul_i32 s5, s17, s5
	s_add_u32 s5, s53, s5
	s_addc_u32 s53, 0, s54
	s_add_u32 s54, s4, s5
	s_cselect_b64 s[4:5], -1, 0
	s_cmp_lg_u64 s[4:5], 0
	s_addc_u32 s17, s17, s53
	s_mul_i32 s4, s10, s17
	s_mul_hi_u32 s5, s10, s54
	s_add_i32 s4, s5, s4
	s_mul_i32 s16, s16, s54
	s_add_i32 s4, s4, s16
	s_mul_i32 s10, s10, s54
	s_mul_hi_u32 s16, s17, s10
	s_mul_i32 s53, s17, s10
	s_mul_i32 s64, s54, s4
	s_mul_hi_u32 s10, s54, s10
	s_mul_hi_u32 s60, s54, s4
	s_add_u32 s10, s10, s64
	s_addc_u32 s60, 0, s60
	s_add_u32 s10, s10, s53
	s_mul_hi_u32 s5, s17, s4
	s_addc_u32 s10, s60, s16
	s_addc_u32 s5, s5, 0
	s_mul_i32 s4, s17, s4
	s_add_u32 s4, s10, s4
	s_addc_u32 s10, 0, s5
	s_add_u32 s16, s54, s4
	s_cselect_b64 s[4:5], -1, 0
	s_cmp_lg_u64 s[4:5], 0
	s_addc_u32 s4, s17, s10
	s_mul_i32 s10, s52, s4
	s_mul_hi_u32 s17, s52, s16
	s_mul_hi_u32 s5, s52, s4
	s_add_u32 s10, s17, s10
	s_addc_u32 s5, 0, s5
	s_mul_hi_u32 s53, s11, s16
	s_mul_i32 s16, s11, s16
	s_add_u32 s10, s10, s16
	s_mul_hi_u32 s17, s11, s4
	s_addc_u32 s5, s5, s53
	s_addc_u32 s10, s17, 0
	s_mul_i32 s4, s11, s4
	s_add_u32 s4, s5, s4
	s_addc_u32 s5, 0, s10
	s_mul_i32 s5, s33, s5
	s_mul_hi_u32 s10, s33, s4
	s_add_i32 s10, s10, s5
	s_mul_i32 s4, s33, s4
	s_sub_u32 s16, s52, s4
	s_cselect_b64 s[4:5], -1, 0
	s_cmp_lg_u64 s[4:5], 0
	s_subb_u32 s10, s11, s10
	s_sub_u32 s17, s16, s33
	s_cselect_b64 s[4:5], -1, 0
	s_cmp_lg_u64 s[4:5], 0
	s_subb_u32 s53, s10, 0
	;; [unrolled: 4-line block ×3, first 2 shown]
	s_cmp_ge_u32 s17, s33
	s_cselect_b32 s5, -1, 0
	s_cmp_eq_u32 s53, 0
	s_cselect_b32 s5, s5, -1
	s_cmp_lg_u32 s5, 0
	s_cselect_b32 s4, s4, s53
	s_cselect_b32 s17, s54, s17
	s_cmp_ge_u32 s16, s33
	s_cselect_b32 s5, -1, 0
	s_cmp_eq_u32 s10, 0
	s_cselect_b32 s5, s5, -1
	s_cmp_lg_u32 s5, 0
	s_cselect_b32 s5, s4, s10
	s_cselect_b32 s4, s17, s16
	s_mov_b64 s[16:17], 0
	s_branch .LBB204_233
.LBB204_232:                            ;   in Loop: Header=BB204_6 Depth=1
	s_mov_b64 s[16:17], -1
                                        ; implicit-def: $sgpr4_sgpr5
.LBB204_233:                            ;   in Loop: Header=BB204_6 Depth=1
	s_andn2_b64 vcc, exec, s[16:17]
	s_cbranch_vccnz .LBB204_235
; %bb.234:                              ;   in Loop: Header=BB204_6 Depth=1
	v_cvt_f32_u32_e32 v6, s33
	s_sub_i32 s4, 0, s33
	v_rcp_iflag_f32_e32 v6, v6
	v_mul_f32_e32 v6, 0x4f7ffffe, v6
	v_cvt_u32_f32_e32 v6, v6
	v_readfirstlane_b32 s5, v6
	s_mul_i32 s4, s4, s5
	s_mul_hi_u32 s4, s5, s4
	s_add_i32 s5, s5, s4
	s_mul_hi_u32 s4, s52, s5
	s_mul_i32 s4, s4, s33
	s_sub_i32 s4, s52, s4
	s_sub_i32 s5, s4, s33
	s_cmp_ge_u32 s4, s33
	s_cselect_b32 s4, s5, s4
	s_sub_i32 s5, s4, s33
	s_cmp_ge_u32 s4, s33
	s_cselect_b32 s54, s5, s4
	s_mov_b64 s[4:5], s[54:55]
.LBB204_235:                            ;   in Loop: Header=BB204_6 Depth=1
	s_sub_u32 s16, s52, s4
	s_subb_u32 s17, s11, s5
	v_cmp_gt_u64_e32 vcc, s[16:17], v[0:1]
	s_mov_b64 s[10:11], 0
	s_mov_b64 s[64:65], 0
                                        ; implicit-def: $vgpr8
	s_and_saveexec_b64 s[4:5], vcc
	v_readlane_b32 s60, v52, 44
	v_readlane_b32 s54, v52, 45
	s_cbranch_execz .LBB204_245
; %bb.236:                              ;   in Loop: Header=BB204_6 Depth=1
	v_mov_b32_e32 v7, v1
	v_mov_b32_e32 v8, v39
	;; [unrolled: 1-line block ×3, first 2 shown]
                                        ; implicit-def: $sgpr66_sgpr67
	s_branch .LBB204_240
.LBB204_237:                            ;   in Loop: Header=BB204_240 Depth=2
	s_or_b64 exec, exec, s[52:53]
	s_waitcnt lgkmcnt(0)
	s_barrier
	ds_read_b32 v9, v3 offset:3072
	s_waitcnt lgkmcnt(0)
	s_barrier
	v_cmp_neq_f16_e32 vcc, 0, v9
	s_cbranch_vccnz .LBB204_243
; %bb.238:                              ;   in Loop: Header=BB204_240 Depth=2
	v_add_co_u32_e32 v6, vcc, s33, v6
	v_addc_co_u32_e32 v7, vcc, 0, v7, vcc
	v_cmp_le_u64_e32 vcc, s[16:17], v[6:7]
	v_add_u32_e32 v8, s63, v8
	s_mov_b64 s[52:53], 0
	s_orn2_b64 vcc, vcc, exec
.LBB204_239:                            ;   in Loop: Header=BB204_240 Depth=2
	s_and_b64 vcc, exec, vcc
	s_or_b64 s[64:65], vcc, s[64:65]
	s_andn2_b64 s[66:67], s[66:67], exec
	s_and_b64 s[52:53], s[52:53], exec
	s_or_b64 s[66:67], s[66:67], s[52:53]
	s_andn2_b64 exec, exec, s[64:65]
	s_cbranch_execz .LBB204_244
.LBB204_240:                            ;   Parent Loop BB204_6 Depth=1
                                        ; =>  This Inner Loop Header: Depth=2
	v_cmp_gt_u64_e32 vcc, s[58:59], v[6:7]
	s_and_saveexec_b64 s[52:53], vcc
	s_cbranch_execz .LBB204_237
; %bb.241:                              ;   in Loop: Header=BB204_240 Depth=2
	ds_read_u16 v9, v8
	s_waitcnt lgkmcnt(0)
	v_cmp_lt_i16_e32 vcc, -1, v9
	v_cndmask_b32_e32 v26, v41, v42, vcc
	v_xor_b32_sdwa v26, v26, v9 dst_sel:DWORD dst_unused:UNUSED_PAD src0_sel:DWORD src1_sel:WORD_0
	v_cmp_o_f16_e32 vcc, v9, v9
	v_cndmask_b32_e32 v26, v41, v26, vcc
	v_and_b32_e32 v26, v26, v10
	v_cmp_eq_u32_e32 vcc, v26, v11
	s_and_b64 exec, exec, vcc
	s_cbranch_execz .LBB204_237
; %bb.242:                              ;   in Loop: Header=BB204_240 Depth=2
	s_movk_i32 vcc_lo, 0x3c00
	v_perm_b32 v9, v9, vcc_lo, v45
	ds_write_b32 v3, v9 offset:3072
	s_branch .LBB204_237
.LBB204_243:                            ;   in Loop: Header=BB204_240 Depth=2
	s_mov_b64 vcc, -1
                                        ; implicit-def: $vgpr6_vgpr7
                                        ; implicit-def: $vgpr8
	s_mov_b64 s[52:53], -1
	s_branch .LBB204_239
.LBB204_244:                            ;   in Loop: Header=BB204_6 Depth=1
	s_or_b64 exec, exec, s[64:65]
	v_lshrrev_b32_e32 v8, 16, v9
	s_and_b64 s[64:65], s[66:67], exec
.LBB204_245:                            ;   in Loop: Header=BB204_6 Depth=1
	s_or_b64 exec, exec, s[4:5]
	v_readlane_b32 s52, v52, 42
	v_readlane_b32 s53, v52, 43
	s_mov_b64 s[4:5], s[64:65]
.LBB204_246:                            ;   in Loop: Header=BB204_6 Depth=1
	s_and_b64 vcc, exec, s[10:11]
	s_cbranch_vccz .LBB204_249
; %bb.247:                              ;   in Loop: Header=BB204_6 Depth=1
	s_mov_b32 s60, s55
	v_writelane_b32 v52, s4, 56
	s_cmp_lg_u64 s[60:61], 0
	v_writelane_b32 v52, s5, 57
	s_cbranch_scc0 .LBB204_250
; %bb.248:                              ;   in Loop: Header=BB204_6 Depth=1
	v_cvt_f32_u32_e32 v6, s33
	s_sub_u32 s10, 0, s33
	s_subb_u32 s11, 0, 0
	v_mac_f32_e32 v6, 0, v43
	v_rcp_f32_e32 v6, v6
	v_mul_f32_e32 v6, 0x5f7ffffc, v6
	v_mul_f32_e32 v7, 0x2f800000, v6
	v_trunc_f32_e32 v7, v7
	v_mac_f32_e32 v6, 0xcf800000, v7
	v_cvt_u32_f32_e32 v7, v7
	v_cvt_u32_f32_e32 v6, v6
	v_readfirstlane_b32 s16, v7
	v_readfirstlane_b32 s4, v6
	s_mul_i32 s5, s10, s16
	s_mul_hi_u32 s52, s10, s4
	s_mul_i32 s17, s11, s4
	s_add_i32 s5, s52, s5
	s_mul_i32 s53, s10, s4
	s_add_i32 s5, s5, s17
	s_mul_hi_u32 s52, s4, s53
	s_mul_i32 s54, s4, s5
	s_mul_hi_u32 s17, s4, s5
	s_add_u32 s52, s52, s54
	s_addc_u32 s17, 0, s17
	s_mul_hi_u32 s58, s16, s53
	s_mul_i32 s53, s16, s53
	s_add_u32 s52, s52, s53
	s_mul_hi_u32 s54, s16, s5
	s_addc_u32 s17, s17, s58
	s_addc_u32 s52, s54, 0
	s_mul_i32 s5, s16, s5
	s_add_u32 s5, s17, s5
	s_addc_u32 s17, 0, s52
	s_add_u32 s52, s4, s5
	s_cselect_b64 s[4:5], -1, 0
	s_cmp_lg_u64 s[4:5], 0
	s_addc_u32 s16, s16, s17
	s_mul_i32 s4, s10, s16
	s_mul_hi_u32 s5, s10, s52
	s_add_i32 s4, s5, s4
	s_mul_i32 s11, s11, s52
	s_add_i32 s4, s4, s11
	s_mul_i32 s10, s10, s52
	s_mul_hi_u32 s11, s16, s10
	s_mul_i32 s17, s16, s10
	s_mul_i32 s54, s52, s4
	s_mul_hi_u32 s10, s52, s10
	s_mul_hi_u32 s53, s52, s4
	s_add_u32 s10, s10, s54
	s_addc_u32 s53, 0, s53
	s_add_u32 s10, s10, s17
	s_mul_hi_u32 s5, s16, s4
	s_addc_u32 s10, s53, s11
	s_addc_u32 s5, s5, 0
	s_mul_i32 s4, s16, s4
	s_add_u32 s4, s10, s4
	s_addc_u32 s10, 0, s5
	s_add_u32 s11, s52, s4
	s_cselect_b64 s[4:5], -1, 0
	s_cmp_lg_u64 s[4:5], 0
	s_addc_u32 s4, s16, s10
	v_readlane_b32 s58, v52, 33
	s_mul_i32 s10, s58, s4
	s_mul_hi_u32 s16, s58, s11
	s_mul_hi_u32 s5, s58, s4
	s_add_u32 s10, s16, s10
	s_addc_u32 s5, 0, s5
	s_mul_hi_u32 s17, s61, s11
	s_mul_i32 s11, s61, s11
	s_add_u32 s10, s10, s11
	s_mul_hi_u32 s16, s61, s4
	s_addc_u32 s5, s5, s17
	s_addc_u32 s10, s16, 0
	s_mul_i32 s4, s61, s4
	s_add_u32 s4, s5, s4
	s_addc_u32 s5, 0, s10
	s_mul_i32 s5, s33, s5
	s_mul_hi_u32 s10, s33, s4
	s_add_i32 s10, s10, s5
	s_mul_i32 s4, s33, s4
	s_sub_u32 s11, s58, s4
	s_cselect_b64 s[4:5], -1, 0
	s_cmp_lg_u64 s[4:5], 0
	s_subb_u32 s10, s61, s10
	s_sub_u32 s16, s11, s33
	s_cselect_b64 s[4:5], -1, 0
	s_cmp_lg_u64 s[4:5], 0
	s_subb_u32 s17, s10, 0
	;; [unrolled: 4-line block ×3, first 2 shown]
	s_cmp_ge_u32 s16, s33
	s_cselect_b32 s5, -1, 0
	s_cmp_eq_u32 s17, 0
	s_cselect_b32 s5, s5, -1
	s_cmp_lg_u32 s5, 0
	s_cselect_b32 s4, s4, s17
	s_cselect_b32 s16, s52, s16
	s_cmp_ge_u32 s11, s33
	s_cselect_b32 s5, -1, 0
	s_cmp_eq_u32 s10, 0
	s_cselect_b32 s5, s5, -1
	v_readlane_b32 s52, v52, 42
	s_cmp_lg_u32 s5, 0
	v_readlane_b32 s53, v52, 43
	s_cselect_b32 s5, s4, s10
	s_cselect_b32 s4, s16, s11
	s_mov_b64 s[10:11], 0
	s_branch .LBB204_251
.LBB204_249:                            ;   in Loop: Header=BB204_6 Depth=1
	s_mov_b64 s[64:65], -1
	s_mov_b64 s[66:67], 0
	s_branch .LBB204_264
.LBB204_250:                            ;   in Loop: Header=BB204_6 Depth=1
	s_mov_b64 s[10:11], -1
	v_readlane_b32 s58, v52, 33
                                        ; implicit-def: $sgpr4_sgpr5
.LBB204_251:                            ;   in Loop: Header=BB204_6 Depth=1
	s_andn2_b64 vcc, exec, s[10:11]
	v_readlane_b32 s60, v52, 44
	s_cbranch_vccnz .LBB204_253
; %bb.252:                              ;   in Loop: Header=BB204_6 Depth=1
	v_cvt_f32_u32_e32 v6, s33
	s_sub_i32 s4, 0, s33
	v_rcp_iflag_f32_e32 v6, v6
	v_mul_f32_e32 v6, 0x4f7ffffe, v6
	v_cvt_u32_f32_e32 v6, v6
	v_readfirstlane_b32 s5, v6
	s_mul_i32 s4, s4, s5
	s_mul_hi_u32 s4, s5, s4
	s_add_i32 s5, s5, s4
	s_mul_hi_u32 s4, s58, s5
	s_mul_i32 s4, s4, s33
	s_sub_i32 s4, s58, s4
	s_sub_i32 s5, s4, s33
	s_cmp_ge_u32 s4, s33
	s_cselect_b32 s4, s5, s4
	s_sub_i32 s5, s4, s33
	s_cmp_ge_u32 s4, s33
	s_cselect_b32 s54, s5, s4
	s_mov_b64 s[4:5], s[54:55]
.LBB204_253:                            ;   in Loop: Header=BB204_6 Depth=1
	s_sub_u32 s16, s58, s4
	s_subb_u32 s17, s61, s5
	v_cmp_gt_u64_e32 vcc, s[16:17], v[0:1]
                                        ; implicit-def: $vgpr8
	s_and_saveexec_b64 s[10:11], vcc
	v_readlane_b32 s54, v52, 45
	s_cbranch_execz .LBB204_263
; %bb.254:                              ;   in Loop: Header=BB204_6 Depth=1
	v_mov_b32_e32 v6, v12
	v_mov_b32_e32 v9, v1
	s_mov_b64 s[4:5], 0
	v_mov_b32_e32 v7, v13
	v_mov_b32_e32 v8, v0
                                        ; implicit-def: $sgpr58_sgpr59
	s_branch .LBB204_258
.LBB204_255:                            ;   in Loop: Header=BB204_258 Depth=2
	s_or_b64 exec, exec, s[52:53]
	s_waitcnt lgkmcnt(0)
	s_barrier
	ds_read_b32 v26, v3 offset:3072
	s_waitcnt lgkmcnt(0)
	s_barrier
	v_cmp_eq_f16_e32 vcc, 0, v26
	s_cbranch_vccz .LBB204_261
; %bb.256:                              ;   in Loop: Header=BB204_258 Depth=2
	v_add_co_u32_e32 v8, vcc, s33, v8
	v_addc_co_u32_e32 v9, vcc, 0, v9, vcc
	v_mov_b32_e32 v27, s35
	v_add_co_u32_e32 v6, vcc, s34, v6
	v_addc_co_u32_e32 v7, vcc, v7, v27, vcc
	v_cmp_le_u64_e32 vcc, s[16:17], v[8:9]
	s_mov_b64 s[52:53], 0
	s_orn2_b64 s[64:65], vcc, exec
.LBB204_257:                            ;   in Loop: Header=BB204_258 Depth=2
	s_and_b64 s[64:65], exec, s[64:65]
	s_or_b64 s[4:5], s[64:65], s[4:5]
	s_andn2_b64 s[58:59], s[58:59], exec
	s_and_b64 s[52:53], s[52:53], exec
	s_or_b64 s[58:59], s[58:59], s[52:53]
	s_andn2_b64 exec, exec, s[4:5]
	s_cbranch_execz .LBB204_262
.LBB204_258:                            ;   Parent Loop BB204_6 Depth=1
                                        ; =>  This Inner Loop Header: Depth=2
	v_cmp_gt_u64_e32 vcc, s[28:29], v[8:9]
	s_and_saveexec_b64 s[52:53], vcc
	s_cbranch_execz .LBB204_255
; %bb.259:                              ;   in Loop: Header=BB204_258 Depth=2
	global_load_ushort v26, v[6:7], off
	s_waitcnt vmcnt(0)
	v_cmp_lt_i16_e32 vcc, -1, v26
	v_cndmask_b32_e32 v27, v41, v42, vcc
	v_xor_b32_sdwa v27, v27, v26 dst_sel:DWORD dst_unused:UNUSED_PAD src0_sel:DWORD src1_sel:WORD_0
	v_cmp_o_f16_e32 vcc, v26, v26
	v_cndmask_b32_e32 v27, v41, v27, vcc
	v_and_b32_e32 v27, v27, v10
	v_cmp_eq_u32_e32 vcc, v27, v11
	s_and_b64 exec, exec, vcc
	s_cbranch_execz .LBB204_255
; %bb.260:                              ;   in Loop: Header=BB204_258 Depth=2
	s_movk_i32 s64, 0x3c00
	v_perm_b32 v26, v26, s64, v45
	ds_write_b32 v3, v26 offset:3072
	s_branch .LBB204_255
.LBB204_261:                            ;   in Loop: Header=BB204_258 Depth=2
	s_mov_b64 s[64:65], -1
                                        ; implicit-def: $vgpr8_vgpr9
                                        ; implicit-def: $vgpr6_vgpr7
	s_mov_b64 s[52:53], -1
	s_branch .LBB204_257
.LBB204_262:                            ;   in Loop: Header=BB204_6 Depth=1
	s_or_b64 exec, exec, s[4:5]
	v_readlane_b32 s4, v52, 56
	v_readlane_b32 s5, v52, 57
	s_andn2_b64 s[4:5], s[4:5], exec
	s_and_b64 s[16:17], s[58:59], exec
	s_or_b64 s[4:5], s[4:5], s[16:17]
	v_writelane_b32 v52, s4, 56
	v_writelane_b32 v52, s5, 57
	v_readlane_b32 s52, v52, 42
	v_lshrrev_b32_e32 v8, 16, v26
	v_readlane_b32 s53, v52, 43
.LBB204_263:                            ;   in Loop: Header=BB204_6 Depth=1
	s_or_b64 exec, exec, s[10:11]
	v_readlane_b32 s4, v52, 56
	s_mov_b64 s[64:65], 0
	s_mov_b64 s[66:67], -1
	v_readlane_b32 s5, v52, 57
.LBB204_264:                            ;   in Loop: Header=BB204_6 Depth=1
	s_orn2_b64 s[4:5], s[4:5], exec
.LBB204_265:                            ;   in Loop: Header=BB204_6 Depth=1
	v_readlane_b32 s10, v52, 52
	v_readlane_b32 s11, v52, 53
	s_or_b64 exec, exec, s[10:11]
	s_mov_b64 s[16:17], 0
	s_and_saveexec_b64 s[10:11], s[4:5]
	v_readlane_b32 s58, v52, 48
	v_readlane_b32 s59, v52, 49
	s_cbranch_execz .LBB204_276
; %bb.266:                              ;   in Loop: Header=BB204_6 Depth=1
	v_readlane_b32 s4, v52, 54
	v_readlane_b32 s5, v52, 55
	v_mov_b32_e32 v6, 1
	s_xor_b64 s[16:17], s[4:5], -1
	v_mov_b32_e32 v7, 0
	v_mov_b32_e32 v2, 1
	s_and_saveexec_b64 s[4:5], s[16:17]
	s_cbranch_execz .LBB204_275
; %bb.267:                              ;   in Loop: Header=BB204_6 Depth=1
	v_cmp_ge_u64_e32 vcc, s[44:45], v[4:5]
	s_and_saveexec_b64 s[16:17], vcc
	s_xor_b64 s[16:17], exec, s[16:17]
	s_cbranch_execz .LBB204_272
; %bb.268:                              ;   in Loop: Header=BB204_6 Depth=1
	ds_read_b64 v[6:7], v3 offset:5120
	v_or_b32_e32 v11, s56, v11
	v_or_b32_e32 v10, s56, v10
	s_waitcnt lgkmcnt(0)
	v_cmp_ne_u64_e32 vcc, 0, v[6:7]
	s_cbranch_vccnz .LBB204_272
; %bb.269:                              ;   in Loop: Header=BB204_6 Depth=1
	s_mov_b64 s[52:53], exec
	v_readlane_b32 s58, v52, 8
	v_readlane_b32 s59, v52, 9
	s_and_b64 s[58:59], s[52:53], s[58:59]
	s_mov_b64 exec, s[58:59]
; %bb.270:                              ;   in Loop: Header=BB204_6 Depth=1
	v_mov_b32_e32 v6, s44
	v_mov_b32_e32 v7, s45
	ds_write_b64 v3, v[6:7] offset:5128
; %bb.271:                              ;   in Loop: Header=BB204_6 Depth=1
	s_or_b64 exec, exec, s[52:53]
	s_waitcnt lgkmcnt(0)
	s_barrier
.LBB204_272:                            ;   in Loop: Header=BB204_6 Depth=1
	s_andn2_saveexec_b64 s[16:17], s[16:17]
; %bb.273:                              ;   in Loop: Header=BB204_6 Depth=1
	v_mov_b32_e32 v2, s45
	v_subrev_co_u32_e32 v4, vcc, s44, v4
	v_subb_co_u32_e32 v5, vcc, v5, v2, vcc
; %bb.274:                              ;   in Loop: Header=BB204_6 Depth=1
	s_or_b64 exec, exec, s[16:17]
	v_mov_b32_e32 v7, v5
	v_readlane_b32 s52, v52, 42
	v_readlane_b32 s58, v52, 48
	v_mov_b32_e32 v2, 8
	v_mov_b32_e32 v6, v4
	v_readlane_b32 s53, v52, 43
	v_readlane_b32 s59, v52, 49
.LBB204_275:                            ;   in Loop: Header=BB204_6 Depth=1
	s_or_b64 exec, exec, s[4:5]
	v_mov_b32_e32 v4, v6
	s_mov_b64 s[16:17], exec
	v_mov_b32_e32 v5, v7
.LBB204_276:                            ;   in Loop: Header=BB204_6 Depth=1
	s_or_b64 exec, exec, s[10:11]
	s_orn2_b64 s[4:5], s[16:17], exec
.LBB204_277:                            ;   in Loop: Header=BB204_6 Depth=1
	s_or_b64 exec, exec, s[8:9]
	v_readlane_b32 s8, v52, 50
	v_readlane_b32 s9, v52, 51
	s_andn2_b64 s[8:9], s[8:9], exec
	s_and_b64 s[10:11], s[66:67], exec
	s_or_b64 s[8:9], s[8:9], s[10:11]
	v_writelane_b32 v52, s8, 50
	v_writelane_b32 v52, s9, 51
	s_andn2_b64 s[8:9], s[58:59], exec
	s_and_b64 s[10:11], s[64:65], exec
	v_mov_b32_e32 v7, v5
	s_or_b64 s[58:59], s[8:9], s[10:11]
	s_and_b64 s[10:11], s[4:5], exec
	v_mov_b32_e32 v6, v4
.LBB204_278:                            ;   in Loop: Header=BB204_6 Depth=1
	s_or_b64 exec, exec, s[40:41]
	s_orn2_b64 s[4:5], s[10:11], exec
.LBB204_279:                            ;   in Loop: Header=BB204_6 Depth=1
	s_or_b64 exec, exec, s[20:21]
	v_readlane_b32 s10, v52, 50
	v_readlane_b32 s11, v52, 51
	s_andn2_b64 s[8:9], s[48:49], exec
	s_and_b64 s[10:11], s[10:11], exec
	s_or_b64 s[48:49], s[8:9], s[10:11]
	s_andn2_b64 s[8:9], s[46:47], exec
	s_and_b64 s[10:11], s[58:59], exec
	v_mov_b32_e32 v4, v6
	s_or_b64 s[46:47], s[8:9], s[10:11]
	s_and_b64 s[10:11], s[4:5], exec
	v_mov_b32_e32 v5, v7
.LBB204_280:                            ;   in Loop: Header=BB204_6 Depth=1
	s_or_b64 exec, exec, s[38:39]
	s_orn2_b64 s[4:5], s[10:11], exec
.LBB204_281:                            ;   in Loop: Header=BB204_6 Depth=1
	s_or_b64 exec, exec, s[6:7]
	s_mov_b64 s[6:7], 0
	s_mov_b64 s[8:9], 0
	s_and_saveexec_b64 s[10:11], s[4:5]
	s_xor_b64 s[4:5], exec, s[10:11]
; %bb.282:                              ;   in Loop: Header=BB204_6 Depth=1
	v_cmp_eq_u32_e32 vcc, 8, v2
	v_cmp_ne_u32_e64 s[6:7], 8, v2
	s_and_b64 s[8:9], s[6:7], exec
	s_and_b64 s[6:7], vcc, exec
; %bb.283:                              ;   in Loop: Header=BB204_6 Depth=1
	s_or_b64 exec, exec, s[4:5]
	s_andn2_b64 s[2:3], s[2:3], exec
	s_and_b64 s[4:5], s[48:49], exec
	s_or_b64 s[2:3], s[2:3], s[4:5]
	s_andn2_b64 s[4:5], s[14:15], exec
	s_and_b64 s[10:11], s[46:47], exec
	s_or_b64 s[14:15], s[4:5], s[10:11]
	s_and_b64 s[46:47], s[8:9], exec
	s_and_b64 s[48:49], s[6:7], exec
.LBB204_284:                            ;   in Loop: Header=BB204_6 Depth=1
	s_or_b64 exec, exec, s[36:37]
.LBB204_285:                            ;   in Loop: Header=BB204_6 Depth=1
	s_and_b64 vcc, exec, s[12:13]
	s_cbranch_vccz .LBB204_302
; %bb.286:                              ;   in Loop: Header=BB204_6 Depth=1
	s_cmp_eq_u64 s[44:45], 1
	s_cselect_b64 s[2:3], -1, 0
	s_and_b64 s[6:7], s[2:3], s[18:19]
	s_mov_b64 s[4:5], -1
                                        ; implicit-def: $sgpr18_sgpr19
                                        ; implicit-def: $sgpr24_sgpr25
	s_and_saveexec_b64 s[2:3], s[6:7]
	s_cbranch_execz .LBB204_324
; %bb.287:                              ;   in Loop: Header=BB204_6 Depth=1
	ds_read_b64 v[4:5], v3 offset:5120
	s_waitcnt lgkmcnt(0)
	s_barrier
	v_readfirstlane_b32 s10, v4
	v_readfirstlane_b32 s11, v5
	s_mov_b64 s[4:5], exec
	v_readlane_b32 s8, v52, 28
	v_readlane_b32 s9, v52, 29
	s_and_b64 s[8:9], s[4:5], s[8:9]
	s_mov_b64 exec, s[8:9]
; %bb.288:                              ;   in Loop: Header=BB204_6 Depth=1
	ds_write_b16 v40, v3
; %bb.289:                              ;   in Loop: Header=BB204_6 Depth=1
	s_or_b64 exec, exec, s[4:5]
	v_or_b32_e32 v38, s56, v38
	v_or_b32_e32 v46, s56, v46
	s_mov_b64 s[24:25], -1
	s_mov_b64 s[18:19], 0
	s_cmp_eq_u64 s[10:11], 0
	s_mov_b64 s[8:9], 0
	s_mov_b64 s[12:13], -1
	s_waitcnt lgkmcnt(0)
	s_barrier
                                        ; implicit-def: $vgpr47
	s_cbranch_scc1 .LBB204_305
; %bb.290:                              ;   in Loop: Header=BB204_6 Depth=1
	v_readlane_b32 s4, v52, 32
	s_add_u32 s14, s10, s4
	v_readlane_b32 s4, v52, 34
	s_addc_u32 s9, s11, s4
	s_mov_b32 s8, s55
	s_cmp_lg_u64 s[8:9], 0
	s_cbranch_scc0 .LBB204_308
; %bb.291:                              ;   in Loop: Header=BB204_6 Depth=1
	v_cvt_f32_u32_e32 v2, s33
	s_sub_u32 s8, 0, s33
	s_subb_u32 s12, 0, 0
	v_mac_f32_e32 v2, 0, v43
	v_rcp_f32_e32 v2, v2
	v_mul_f32_e32 v2, 0x5f7ffffc, v2
	v_mul_f32_e32 v4, 0x2f800000, v2
	v_trunc_f32_e32 v4, v4
	v_mac_f32_e32 v2, 0xcf800000, v4
	v_cvt_u32_f32_e32 v4, v4
	v_cvt_u32_f32_e32 v2, v2
	v_readfirstlane_b32 s13, v4
	v_readfirstlane_b32 s4, v2
	s_mul_i32 s5, s8, s13
	s_mul_hi_u32 s16, s8, s4
	s_mul_i32 s15, s12, s4
	s_add_i32 s5, s16, s5
	s_mul_i32 s17, s8, s4
	s_add_i32 s5, s5, s15
	s_mul_hi_u32 s16, s4, s17
	s_mul_i32 s20, s4, s5
	s_mul_hi_u32 s15, s4, s5
	s_add_u32 s16, s16, s20
	s_addc_u32 s15, 0, s15
	s_mul_hi_u32 s21, s13, s17
	s_mul_i32 s17, s13, s17
	s_add_u32 s16, s16, s17
	s_mul_hi_u32 s20, s13, s5
	s_addc_u32 s15, s15, s21
	s_addc_u32 s16, s20, 0
	s_mul_i32 s5, s13, s5
	s_add_u32 s5, s15, s5
	s_addc_u32 s15, 0, s16
	s_add_u32 s16, s4, s5
	s_cselect_b64 s[4:5], -1, 0
	s_cmp_lg_u64 s[4:5], 0
	s_addc_u32 s13, s13, s15
	s_mul_i32 s4, s8, s13
	s_mul_hi_u32 s5, s8, s16
	s_add_i32 s4, s5, s4
	s_mul_i32 s12, s12, s16
	s_add_i32 s4, s4, s12
	s_mul_i32 s8, s8, s16
	s_mul_hi_u32 s12, s13, s8
	s_mul_i32 s15, s13, s8
	s_mul_i32 s20, s16, s4
	s_mul_hi_u32 s8, s16, s8
	s_mul_hi_u32 s17, s16, s4
	s_add_u32 s8, s8, s20
	s_addc_u32 s17, 0, s17
	s_add_u32 s8, s8, s15
	s_mul_hi_u32 s5, s13, s4
	s_addc_u32 s8, s17, s12
	s_addc_u32 s5, s5, 0
	s_mul_i32 s4, s13, s4
	s_add_u32 s4, s8, s4
	s_addc_u32 s8, 0, s5
	s_add_u32 s12, s16, s4
	s_cselect_b64 s[4:5], -1, 0
	s_cmp_lg_u64 s[4:5], 0
	s_addc_u32 s4, s13, s8
	s_mul_i32 s8, s14, s4
	s_mul_hi_u32 s13, s14, s12
	s_mul_hi_u32 s5, s14, s4
	s_add_u32 s8, s13, s8
	s_addc_u32 s5, 0, s5
	s_mul_hi_u32 s15, s9, s12
	s_mul_i32 s12, s9, s12
	s_add_u32 s8, s8, s12
	s_mul_hi_u32 s13, s9, s4
	s_addc_u32 s5, s5, s15
	s_addc_u32 s8, s13, 0
	s_mul_i32 s4, s9, s4
	s_add_u32 s4, s5, s4
	s_addc_u32 s5, 0, s8
	s_mul_i32 s5, s33, s5
	s_mul_hi_u32 s8, s33, s4
	s_add_i32 s8, s8, s5
	s_mul_i32 s4, s33, s4
	s_sub_u32 s12, s14, s4
	s_cselect_b64 s[4:5], -1, 0
	s_cmp_lg_u64 s[4:5], 0
	s_subb_u32 s8, s9, s8
	s_sub_u32 s13, s12, s33
	s_cselect_b64 s[4:5], -1, 0
	s_cmp_lg_u64 s[4:5], 0
	s_subb_u32 s15, s8, 0
	;; [unrolled: 4-line block ×3, first 2 shown]
	s_cmp_ge_u32 s13, s33
	s_cselect_b32 s5, -1, 0
	s_cmp_eq_u32 s15, 0
	s_cselect_b32 s5, s5, -1
	s_cmp_lg_u32 s5, 0
	s_cselect_b32 s4, s4, s15
	s_cselect_b32 s13, s16, s13
	s_cmp_ge_u32 s12, s33
	s_cselect_b32 s5, -1, 0
	s_cmp_eq_u32 s8, 0
	s_cselect_b32 s5, s5, -1
	s_cmp_lg_u32 s5, 0
	s_cselect_b32 s5, s4, s8
	s_cselect_b32 s4, s13, s12
	s_cbranch_execnz .LBB204_293
.LBB204_292:                            ;   in Loop: Header=BB204_6 Depth=1
	v_cvt_f32_u32_e32 v2, s33
	s_sub_i32 s4, 0, s33
	v_rcp_iflag_f32_e32 v2, v2
	v_mul_f32_e32 v2, 0x4f7ffffe, v2
	v_cvt_u32_f32_e32 v2, v2
	v_readfirstlane_b32 s5, v2
	s_mul_i32 s4, s4, s5
	s_mul_hi_u32 s4, s5, s4
	s_add_i32 s5, s5, s4
	s_mul_hi_u32 s4, s14, s5
	s_mul_i32 s4, s4, s33
	s_sub_i32 s4, s14, s4
	s_sub_i32 s5, s4, s33
	s_cmp_ge_u32 s4, s33
	s_cselect_b32 s4, s5, s4
	s_sub_i32 s5, s4, s33
	s_cmp_ge_u32 s4, s33
	s_cselect_b32 s54, s5, s4
	s_mov_b64 s[4:5], s[54:55]
	v_readlane_b32 s54, v52, 45
.LBB204_293:                            ;   in Loop: Header=BB204_6 Depth=1
	s_sub_u32 s4, s14, s4
	s_subb_u32 s5, s9, s5
	v_cmp_gt_u64_e32 vcc, s[4:5], v[0:1]
	s_mov_b64 s[12:13], 0
	s_mov_b64 s[8:9], 0
                                        ; implicit-def: $vgpr47
	s_and_saveexec_b64 s[14:15], vcc
	s_cbranch_execz .LBB204_304
; %bb.294:                              ;   in Loop: Header=BB204_6 Depth=1
	v_mov_b32_e32 v5, v1
	v_mov_b32_e32 v2, v39
	;; [unrolled: 1-line block ×3, first 2 shown]
                                        ; implicit-def: $sgpr16_sgpr17
	s_branch .LBB204_298
.LBB204_295:                            ;   in Loop: Header=BB204_298 Depth=2
	s_or_b64 exec, exec, s[20:21]
	s_waitcnt lgkmcnt(0)
	s_barrier
	ds_read_b32 v6, v3 offset:3072
	s_waitcnt lgkmcnt(0)
	s_barrier
	v_cmp_neq_f16_e32 vcc, 0, v6
	s_cbranch_vccnz .LBB204_301
; %bb.296:                              ;   in Loop: Header=BB204_298 Depth=2
	v_add_co_u32_e32 v4, vcc, s33, v4
	v_addc_co_u32_e32 v5, vcc, 0, v5, vcc
	v_cmp_le_u64_e32 vcc, s[4:5], v[4:5]
	v_add_u32_e32 v2, s63, v2
	s_mov_b64 s[20:21], 0
	s_orn2_b64 s[36:37], vcc, exec
.LBB204_297:                            ;   in Loop: Header=BB204_298 Depth=2
	s_and_b64 s[36:37], exec, s[36:37]
	s_or_b64 s[8:9], s[36:37], s[8:9]
	s_andn2_b64 s[16:17], s[16:17], exec
	s_and_b64 s[20:21], s[20:21], exec
	s_or_b64 s[16:17], s[16:17], s[20:21]
	s_andn2_b64 exec, exec, s[8:9]
	s_cbranch_execz .LBB204_303
.LBB204_298:                            ;   Parent Loop BB204_6 Depth=1
                                        ; =>  This Inner Loop Header: Depth=2
	v_cmp_gt_u64_e32 vcc, s[10:11], v[4:5]
	s_and_saveexec_b64 s[20:21], vcc
	s_cbranch_execz .LBB204_295
; %bb.299:                              ;   in Loop: Header=BB204_298 Depth=2
	ds_read_u16 v6, v2
	s_waitcnt lgkmcnt(0)
	v_cmp_lt_i16_e32 vcc, -1, v6
	v_cndmask_b32_e32 v7, v41, v42, vcc
	v_xor_b32_sdwa v7, v7, v6 dst_sel:DWORD dst_unused:UNUSED_PAD src0_sel:DWORD src1_sel:WORD_0
	v_cmp_o_f16_e32 vcc, v6, v6
	v_cndmask_b32_e32 v7, v41, v7, vcc
	v_and_b32_e32 v7, v7, v46
	v_cmp_eq_u32_e32 vcc, v7, v38
	s_and_b64 exec, exec, vcc
	s_cbranch_execz .LBB204_295
; %bb.300:                              ;   in Loop: Header=BB204_298 Depth=2
	s_movk_i32 s36, 0x3c00
	v_perm_b32 v6, v6, s36, v45
	ds_write_b32 v3, v6 offset:3072
	s_branch .LBB204_295
.LBB204_301:                            ;   in Loop: Header=BB204_298 Depth=2
	s_mov_b64 s[36:37], -1
                                        ; implicit-def: $vgpr4_vgpr5
                                        ; implicit-def: $vgpr2
	s_mov_b64 s[20:21], -1
	s_branch .LBB204_297
.LBB204_302:                            ;   in Loop: Header=BB204_6 Depth=1
	s_mov_b64 s[18:19], 0
	v_mov_b32_e32 v38, v11
	v_mov_b32_e32 v46, v10
	;; [unrolled: 1-line block ×3, first 2 shown]
	s_and_saveexec_b64 s[4:5], s[48:49]
	s_cbranch_execnz .LBB204_489
	s_branch .LBB204_490
.LBB204_303:                            ;   in Loop: Header=BB204_6 Depth=1
	s_or_b64 exec, exec, s[8:9]
	v_lshrrev_b32_e32 v47, 16, v6
	s_and_b64 s[8:9], s[16:17], exec
.LBB204_304:                            ;   in Loop: Header=BB204_6 Depth=1
	s_or_b64 exec, exec, s[14:15]
.LBB204_305:                            ;   in Loop: Header=BB204_6 Depth=1
	s_and_b64 vcc, exec, s[12:13]
	s_cbranch_vccz .LBB204_323
; %bb.306:                              ;   in Loop: Header=BB204_6 Depth=1
	s_mov_b32 s60, s55
	s_cmp_lg_u64 s[60:61], 0
	s_cbranch_scc0 .LBB204_309
; %bb.307:                              ;   in Loop: Header=BB204_6 Depth=1
	v_cvt_f32_u32_e32 v2, s33
	s_sub_u32 s10, 0, s33
	s_subb_u32 s11, 0, 0
	v_mac_f32_e32 v2, 0, v43
	v_rcp_f32_e32 v2, v2
	v_mul_f32_e32 v2, 0x5f7ffffc, v2
	v_mul_f32_e32 v4, 0x2f800000, v2
	v_trunc_f32_e32 v4, v4
	v_mac_f32_e32 v2, 0xcf800000, v4
	v_cvt_u32_f32_e32 v4, v4
	v_cvt_u32_f32_e32 v2, v2
	v_readfirstlane_b32 s12, v4
	v_readfirstlane_b32 s4, v2
	s_mul_i32 s5, s10, s12
	s_mul_hi_u32 s14, s10, s4
	s_mul_i32 s13, s11, s4
	s_add_i32 s5, s14, s5
	s_mul_i32 s15, s10, s4
	s_add_i32 s5, s5, s13
	s_mul_hi_u32 s14, s4, s15
	s_mul_i32 s16, s4, s5
	s_mul_hi_u32 s13, s4, s5
	s_add_u32 s14, s14, s16
	s_addc_u32 s13, 0, s13
	s_mul_hi_u32 s17, s12, s15
	s_mul_i32 s15, s12, s15
	s_add_u32 s14, s14, s15
	s_mul_hi_u32 s16, s12, s5
	s_addc_u32 s13, s13, s17
	s_addc_u32 s14, s16, 0
	s_mul_i32 s5, s12, s5
	s_add_u32 s5, s13, s5
	s_addc_u32 s13, 0, s14
	s_add_u32 s14, s4, s5
	s_cselect_b64 s[4:5], -1, 0
	s_cmp_lg_u64 s[4:5], 0
	s_addc_u32 s12, s12, s13
	s_mul_i32 s4, s10, s12
	s_mul_hi_u32 s5, s10, s14
	s_add_i32 s4, s5, s4
	s_mul_i32 s11, s11, s14
	s_add_i32 s4, s4, s11
	s_mul_i32 s10, s10, s14
	s_mul_hi_u32 s11, s12, s10
	s_mul_i32 s13, s12, s10
	s_mul_i32 s16, s14, s4
	s_mul_hi_u32 s10, s14, s10
	s_mul_hi_u32 s15, s14, s4
	s_add_u32 s10, s10, s16
	s_addc_u32 s15, 0, s15
	s_add_u32 s10, s10, s13
	s_mul_hi_u32 s5, s12, s4
	s_addc_u32 s10, s15, s11
	s_addc_u32 s5, s5, 0
	s_mul_i32 s4, s12, s4
	s_add_u32 s4, s10, s4
	s_addc_u32 s10, 0, s5
	s_add_u32 s11, s14, s4
	s_cselect_b64 s[4:5], -1, 0
	s_cmp_lg_u64 s[4:5], 0
	s_addc_u32 s4, s12, s10
	v_readlane_b32 s15, v52, 33
	s_mul_i32 s10, s15, s4
	s_mul_hi_u32 s12, s15, s11
	s_mul_hi_u32 s5, s15, s4
	s_add_u32 s10, s12, s10
	s_addc_u32 s5, 0, s5
	s_mul_hi_u32 s13, s61, s11
	s_mul_i32 s11, s61, s11
	s_add_u32 s10, s10, s11
	s_mul_hi_u32 s12, s61, s4
	s_addc_u32 s5, s5, s13
	s_addc_u32 s10, s12, 0
	s_mul_i32 s4, s61, s4
	s_add_u32 s4, s5, s4
	s_addc_u32 s5, 0, s10
	s_mul_i32 s5, s33, s5
	s_mul_hi_u32 s10, s33, s4
	s_add_i32 s10, s10, s5
	s_mul_i32 s4, s33, s4
	s_sub_u32 s11, s15, s4
	s_cselect_b64 s[4:5], -1, 0
	s_cmp_lg_u64 s[4:5], 0
	s_subb_u32 s10, s61, s10
	s_sub_u32 s12, s11, s33
	s_cselect_b64 s[4:5], -1, 0
	s_cmp_lg_u64 s[4:5], 0
	s_subb_u32 s13, s10, 0
	;; [unrolled: 4-line block ×3, first 2 shown]
	s_cmp_ge_u32 s12, s33
	s_cselect_b32 s5, -1, 0
	s_cmp_eq_u32 s13, 0
	s_cselect_b32 s5, s5, -1
	s_cmp_lg_u32 s5, 0
	s_cselect_b32 s4, s4, s13
	s_cselect_b32 s12, s14, s12
	s_cmp_ge_u32 s11, s33
	s_cselect_b32 s5, -1, 0
	s_cmp_eq_u32 s10, 0
	s_cselect_b32 s5, s5, -1
	s_cmp_lg_u32 s5, 0
	s_cselect_b32 s5, s4, s10
	s_cselect_b32 s4, s12, s11
	s_mov_b64 s[10:11], 0
	s_branch .LBB204_310
.LBB204_308:                            ;   in Loop: Header=BB204_6 Depth=1
                                        ; implicit-def: $sgpr4_sgpr5
	s_andn2_b64 vcc, exec, s[12:13]
	s_cbranch_vccz .LBB204_292
	s_branch .LBB204_293
.LBB204_309:                            ;   in Loop: Header=BB204_6 Depth=1
	s_mov_b64 s[10:11], -1
	v_readlane_b32 s15, v52, 33
                                        ; implicit-def: $sgpr4_sgpr5
.LBB204_310:                            ;   in Loop: Header=BB204_6 Depth=1
	s_andn2_b64 vcc, exec, s[10:11]
	v_readlane_b32 s60, v52, 44
	s_cbranch_vccnz .LBB204_312
; %bb.311:                              ;   in Loop: Header=BB204_6 Depth=1
	v_cvt_f32_u32_e32 v2, s33
	s_sub_i32 s4, 0, s33
	v_rcp_iflag_f32_e32 v2, v2
	v_mul_f32_e32 v2, 0x4f7ffffe, v2
	v_cvt_u32_f32_e32 v2, v2
	v_readfirstlane_b32 s5, v2
	s_mul_i32 s4, s4, s5
	s_mul_hi_u32 s4, s5, s4
	s_add_i32 s5, s5, s4
	s_mul_hi_u32 s4, s15, s5
	s_mul_i32 s4, s4, s33
	s_sub_i32 s4, s15, s4
	s_sub_i32 s5, s4, s33
	s_cmp_ge_u32 s4, s33
	s_cselect_b32 s4, s5, s4
	s_sub_i32 s5, s4, s33
	s_cmp_ge_u32 s4, s33
	s_cselect_b32 s54, s5, s4
	s_mov_b64 s[4:5], s[54:55]
	v_readlane_b32 s54, v52, 45
.LBB204_312:                            ;   in Loop: Header=BB204_6 Depth=1
	s_sub_u32 s12, s15, s4
	s_subb_u32 s13, s61, s5
	v_cmp_gt_u64_e32 vcc, s[12:13], v[0:1]
                                        ; implicit-def: $vgpr47
	s_and_saveexec_b64 s[10:11], vcc
	s_cbranch_execz .LBB204_322
; %bb.313:                              ;   in Loop: Header=BB204_6 Depth=1
	v_mov_b32_e32 v4, v12
	v_mov_b32_e32 v7, v1
	s_mov_b64 s[4:5], 0
	v_mov_b32_e32 v5, v13
	v_mov_b32_e32 v6, v0
                                        ; implicit-def: $sgpr14_sgpr15
	s_branch .LBB204_317
.LBB204_314:                            ;   in Loop: Header=BB204_317 Depth=2
	s_or_b64 exec, exec, s[16:17]
	s_waitcnt lgkmcnt(0)
	s_barrier
	ds_read_b32 v2, v3 offset:3072
	s_waitcnt lgkmcnt(0)
	s_barrier
	v_cmp_neq_f16_e32 vcc, 0, v2
	s_cbranch_vccnz .LBB204_320
; %bb.315:                              ;   in Loop: Header=BB204_317 Depth=2
	v_add_co_u32_e32 v6, vcc, s33, v6
	v_addc_co_u32_e32 v7, vcc, 0, v7, vcc
	v_mov_b32_e32 v8, s35
	v_add_co_u32_e32 v4, vcc, s34, v4
	v_addc_co_u32_e32 v5, vcc, v5, v8, vcc
	v_cmp_le_u64_e32 vcc, s[12:13], v[6:7]
	s_mov_b64 s[16:17], 0
	s_orn2_b64 s[18:19], vcc, exec
.LBB204_316:                            ;   in Loop: Header=BB204_317 Depth=2
	s_and_b64 s[18:19], exec, s[18:19]
	s_or_b64 s[4:5], s[18:19], s[4:5]
	s_andn2_b64 s[14:15], s[14:15], exec
	s_and_b64 s[16:17], s[16:17], exec
	s_or_b64 s[14:15], s[14:15], s[16:17]
	s_andn2_b64 exec, exec, s[4:5]
	s_cbranch_execz .LBB204_321
.LBB204_317:                            ;   Parent Loop BB204_6 Depth=1
                                        ; =>  This Inner Loop Header: Depth=2
	v_cmp_gt_u64_e32 vcc, s[28:29], v[6:7]
	s_and_saveexec_b64 s[16:17], vcc
	s_cbranch_execz .LBB204_314
; %bb.318:                              ;   in Loop: Header=BB204_317 Depth=2
	global_load_ushort v2, v[4:5], off
	s_waitcnt vmcnt(0)
	v_cmp_lt_i16_e32 vcc, -1, v2
	v_cndmask_b32_e32 v8, v41, v42, vcc
	v_xor_b32_sdwa v8, v8, v2 dst_sel:DWORD dst_unused:UNUSED_PAD src0_sel:DWORD src1_sel:WORD_0
	v_cmp_o_f16_e32 vcc, v2, v2
	v_cndmask_b32_e32 v8, v41, v8, vcc
	v_and_b32_e32 v8, v8, v46
	v_cmp_eq_u32_e32 vcc, v8, v38
	s_and_b64 exec, exec, vcc
	s_cbranch_execz .LBB204_314
; %bb.319:                              ;   in Loop: Header=BB204_317 Depth=2
	s_movk_i32 s18, 0x3c00
	v_perm_b32 v2, v2, s18, v45
	ds_write_b32 v3, v2 offset:3072
	s_branch .LBB204_314
.LBB204_320:                            ;   in Loop: Header=BB204_317 Depth=2
	s_mov_b64 s[18:19], -1
                                        ; implicit-def: $vgpr6_vgpr7
                                        ; implicit-def: $vgpr4_vgpr5
	s_mov_b64 s[16:17], -1
	s_branch .LBB204_316
.LBB204_321:                            ;   in Loop: Header=BB204_6 Depth=1
	s_or_b64 exec, exec, s[4:5]
	s_andn2_b64 s[4:5], s[8:9], exec
	s_and_b64 s[8:9], s[14:15], exec
	v_lshrrev_b32_e32 v47, 16, v2
	s_or_b64 s[8:9], s[4:5], s[8:9]
.LBB204_322:                            ;   in Loop: Header=BB204_6 Depth=1
	s_or_b64 exec, exec, s[10:11]
	s_mov_b64 s[24:25], 0
	s_mov_b64 s[18:19], -1
.LBB204_323:                            ;   in Loop: Header=BB204_6 Depth=1
	s_orn2_b64 s[4:5], s[8:9], exec
.LBB204_324:                            ;   in Loop: Header=BB204_6 Depth=1
	s_or_b64 exec, exec, s[2:3]
                                        ; implicit-def: $vgpr4_vgpr5
                                        ; implicit-def: $vgpr2
	s_and_saveexec_b64 s[2:3], s[4:5]
	s_cbranch_execz .LBB204_488
; %bb.325:                              ;   in Loop: Header=BB204_6 Depth=1
	v_mov_b32_e32 v4, 1
	s_xor_b64 s[4:5], s[6:7], -1
	v_mov_b32_e32 v2, 1
	v_mov_b32_e32 v5, 0
	s_mov_b64 s[8:9], 0
	s_and_saveexec_b64 s[6:7], s[4:5]
	s_cbranch_execz .LBB204_334
; %bb.326:                              ;   in Loop: Header=BB204_6 Depth=1
	v_cmp_ge_u64_e32 vcc, s[44:45], v[24:25]
	s_and_saveexec_b64 s[4:5], vcc
	s_xor_b64 s[4:5], exec, s[4:5]
	s_cbranch_execz .LBB204_331
; %bb.327:                              ;   in Loop: Header=BB204_6 Depth=1
	ds_read_b64 v[4:5], v3 offset:5120
	v_or_b32_e32 v38, s56, v38
	v_or_b32_e32 v46, s56, v46
	s_waitcnt lgkmcnt(0)
	v_cmp_ne_u64_e32 vcc, 0, v[4:5]
	s_cbranch_vccnz .LBB204_331
; %bb.328:                              ;   in Loop: Header=BB204_6 Depth=1
	s_mov_b64 s[8:9], exec
	v_readlane_b32 s10, v52, 8
	v_readlane_b32 s11, v52, 9
	s_and_b64 s[10:11], s[8:9], s[10:11]
	s_mov_b64 exec, s[10:11]
; %bb.329:                              ;   in Loop: Header=BB204_6 Depth=1
	v_mov_b32_e32 v4, s44
	v_mov_b32_e32 v5, s45
	ds_write_b64 v3, v[4:5] offset:5128
; %bb.330:                              ;   in Loop: Header=BB204_6 Depth=1
	s_or_b64 exec, exec, s[8:9]
	s_waitcnt lgkmcnt(0)
	s_barrier
.LBB204_331:                            ;   in Loop: Header=BB204_6 Depth=1
	s_or_saveexec_b64 s[4:5], s[4:5]
	s_mov_b64 s[8:9], 0
	v_mov_b32_e32 v2, 5
	s_xor_b64 exec, exec, s[4:5]
; %bb.332:                              ;   in Loop: Header=BB204_6 Depth=1
	v_subrev_co_u32_e32 v24, vcc, s44, v24
	v_mov_b32_e32 v2, s45
	v_subb_co_u32_e32 v25, vcc, v25, v2, vcc
	v_mov_b32_e32 v2, 0
	s_mov_b64 s[8:9], exec
; %bb.333:                              ;   in Loop: Header=BB204_6 Depth=1
	s_or_b64 exec, exec, s[4:5]
	v_mov_b32_e32 v4, v24
	s_and_b64 s[8:9], s[8:9], exec
	v_mov_b32_e32 v5, v25
.LBB204_334:                            ;   in Loop: Header=BB204_6 Depth=1
	s_or_b64 exec, exec, s[6:7]
	s_mov_b64 s[4:5], -1
                                        ; implicit-def: $sgpr12_sgpr13
                                        ; implicit-def: $sgpr14_sgpr15
	s_and_saveexec_b64 s[6:7], s[8:9]
	s_xor_b64 s[6:7], exec, s[6:7]
	s_cbranch_execz .LBB204_485
; %bb.335:                              ;   in Loop: Header=BB204_6 Depth=1
	s_cmp_eq_u64 s[42:43], 1
	v_cmp_eq_u64_e32 vcc, 1, v[4:5]
	s_cselect_b64 s[4:5], -1, 0
	s_and_b64 s[8:9], s[4:5], vcc
	s_mov_b64 s[4:5], -1
                                        ; implicit-def: $sgpr14_sgpr15
                                        ; implicit-def: $sgpr12_sgpr13
	s_and_saveexec_b64 s[20:21], s[8:9]
	s_cbranch_execz .LBB204_372
; %bb.336:                              ;   in Loop: Header=BB204_6 Depth=1
	ds_read_b64 v[6:7], v3 offset:5120
	s_waitcnt lgkmcnt(0)
	s_barrier
	v_readfirstlane_b32 s36, v6
	v_readfirstlane_b32 s37, v7
	s_mov_b64 s[4:5], exec
	v_readlane_b32 s10, v52, 28
	v_readlane_b32 s11, v52, 29
	s_and_b64 s[10:11], s[4:5], s[10:11]
	s_mov_b64 exec, s[10:11]
; %bb.337:                              ;   in Loop: Header=BB204_6 Depth=1
	ds_write_b16 v40, v3
; %bb.338:                              ;   in Loop: Header=BB204_6 Depth=1
	s_or_b64 exec, exec, s[4:5]
	v_and_b32_e32 v6, s57, v38
	v_lshl_or_b32 v38, 2, s69, v6
	v_or_b32_e32 v46, s56, v46
	s_mov_b64 s[12:13], -1
	s_mov_b64 s[14:15], 0
	s_cmp_eq_u64 s[36:37], 0
	s_mov_b64 s[10:11], 0
	s_mov_b64 s[38:39], -1
	s_waitcnt lgkmcnt(0)
	s_barrier
                                        ; implicit-def: $vgpr47
	s_cbranch_scc1 .LBB204_353
; %bb.339:                              ;   in Loop: Header=BB204_6 Depth=1
	v_readlane_b32 s4, v52, 32
	s_add_u32 s38, s36, s4
	v_readlane_b32 s4, v52, 34
	s_addc_u32 s11, s37, s4
	s_mov_b32 s10, s55
	s_cmp_lg_u64 s[10:11], 0
	s_cbranch_scc0 .LBB204_356
; %bb.340:                              ;   in Loop: Header=BB204_6 Depth=1
	v_cvt_f32_u32_e32 v6, s33
	s_sub_u32 s10, 0, s33
	s_subb_u32 s16, 0, 0
	v_mac_f32_e32 v6, 0, v43
	v_rcp_f32_e32 v6, v6
	v_mul_f32_e32 v6, 0x5f7ffffc, v6
	v_mul_f32_e32 v7, 0x2f800000, v6
	v_trunc_f32_e32 v7, v7
	v_mac_f32_e32 v6, 0xcf800000, v7
	v_cvt_u32_f32_e32 v7, v7
	v_cvt_u32_f32_e32 v6, v6
	v_readfirstlane_b32 s17, v7
	v_readfirstlane_b32 s4, v6
	s_mul_i32 s5, s10, s17
	s_mul_hi_u32 s40, s10, s4
	s_mul_i32 s39, s16, s4
	s_add_i32 s5, s40, s5
	s_mul_i32 s41, s10, s4
	s_add_i32 s5, s5, s39
	s_mul_hi_u32 s40, s4, s41
	s_mul_i32 s44, s4, s5
	s_mul_hi_u32 s39, s4, s5
	s_add_u32 s40, s40, s44
	s_addc_u32 s39, 0, s39
	s_mul_hi_u32 s45, s17, s41
	s_mul_i32 s41, s17, s41
	s_add_u32 s40, s40, s41
	s_mul_hi_u32 s44, s17, s5
	s_addc_u32 s39, s39, s45
	s_addc_u32 s40, s44, 0
	s_mul_i32 s5, s17, s5
	s_add_u32 s5, s39, s5
	s_addc_u32 s39, 0, s40
	s_add_u32 s40, s4, s5
	s_cselect_b64 s[4:5], -1, 0
	s_cmp_lg_u64 s[4:5], 0
	s_addc_u32 s17, s17, s39
	s_mul_i32 s4, s10, s17
	s_mul_hi_u32 s5, s10, s40
	s_add_i32 s4, s5, s4
	s_mul_i32 s16, s16, s40
	s_add_i32 s4, s4, s16
	s_mul_i32 s10, s10, s40
	s_mul_hi_u32 s16, s17, s10
	s_mul_i32 s39, s17, s10
	s_mul_i32 s44, s40, s4
	s_mul_hi_u32 s10, s40, s10
	s_mul_hi_u32 s41, s40, s4
	s_add_u32 s10, s10, s44
	s_addc_u32 s41, 0, s41
	s_add_u32 s10, s10, s39
	s_mul_hi_u32 s5, s17, s4
	s_addc_u32 s10, s41, s16
	s_addc_u32 s5, s5, 0
	s_mul_i32 s4, s17, s4
	s_add_u32 s4, s10, s4
	s_addc_u32 s10, 0, s5
	s_add_u32 s16, s40, s4
	s_cselect_b64 s[4:5], -1, 0
	s_cmp_lg_u64 s[4:5], 0
	s_addc_u32 s4, s17, s10
	s_mul_i32 s10, s38, s4
	s_mul_hi_u32 s17, s38, s16
	s_mul_hi_u32 s5, s38, s4
	s_add_u32 s10, s17, s10
	s_addc_u32 s5, 0, s5
	s_mul_hi_u32 s39, s11, s16
	s_mul_i32 s16, s11, s16
	s_add_u32 s10, s10, s16
	s_mul_hi_u32 s17, s11, s4
	s_addc_u32 s5, s5, s39
	s_addc_u32 s10, s17, 0
	s_mul_i32 s4, s11, s4
	s_add_u32 s4, s5, s4
	s_addc_u32 s5, 0, s10
	s_mul_i32 s5, s33, s5
	s_mul_hi_u32 s10, s33, s4
	s_add_i32 s10, s10, s5
	s_mul_i32 s4, s33, s4
	s_sub_u32 s16, s38, s4
	s_cselect_b64 s[4:5], -1, 0
	s_cmp_lg_u64 s[4:5], 0
	s_subb_u32 s10, s11, s10
	s_sub_u32 s17, s16, s33
	s_cselect_b64 s[4:5], -1, 0
	s_cmp_lg_u64 s[4:5], 0
	s_subb_u32 s39, s10, 0
	;; [unrolled: 4-line block ×3, first 2 shown]
	s_cmp_ge_u32 s17, s33
	s_cselect_b32 s5, -1, 0
	s_cmp_eq_u32 s39, 0
	s_cselect_b32 s5, s5, -1
	s_cmp_lg_u32 s5, 0
	s_cselect_b32 s4, s4, s39
	s_cselect_b32 s17, s40, s17
	s_cmp_ge_u32 s16, s33
	s_cselect_b32 s5, -1, 0
	s_cmp_eq_u32 s10, 0
	s_cselect_b32 s5, s5, -1
	s_cmp_lg_u32 s5, 0
	s_cselect_b32 s5, s4, s10
	s_cselect_b32 s4, s17, s16
	s_cbranch_execnz .LBB204_342
.LBB204_341:                            ;   in Loop: Header=BB204_6 Depth=1
	v_cvt_f32_u32_e32 v6, s33
	s_sub_i32 s4, 0, s33
	v_rcp_iflag_f32_e32 v6, v6
	v_mul_f32_e32 v6, 0x4f7ffffe, v6
	v_cvt_u32_f32_e32 v6, v6
	v_readfirstlane_b32 s5, v6
	s_mul_i32 s4, s4, s5
	s_mul_hi_u32 s4, s5, s4
	s_add_i32 s5, s5, s4
	s_mul_hi_u32 s4, s38, s5
	s_mul_i32 s4, s4, s33
	s_sub_i32 s4, s38, s4
	s_sub_i32 s5, s4, s33
	s_cmp_ge_u32 s4, s33
	s_cselect_b32 s4, s5, s4
	s_sub_i32 s5, s4, s33
	s_cmp_ge_u32 s4, s33
	s_cselect_b32 s54, s5, s4
	s_mov_b64 s[4:5], s[54:55]
	v_readlane_b32 s54, v52, 45
.LBB204_342:                            ;   in Loop: Header=BB204_6 Depth=1
	s_sub_u32 s4, s38, s4
	s_subb_u32 s5, s11, s5
	v_cmp_gt_u64_e32 vcc, s[4:5], v[0:1]
	s_mov_b64 s[38:39], 0
	s_mov_b64 s[10:11], 0
                                        ; implicit-def: $vgpr47
	s_and_saveexec_b64 s[16:17], vcc
	s_cbranch_execz .LBB204_352
; %bb.343:                              ;   in Loop: Header=BB204_6 Depth=1
	v_mov_b32_e32 v7, v1
	v_mov_b32_e32 v8, v39
	;; [unrolled: 1-line block ×3, first 2 shown]
                                        ; implicit-def: $sgpr40_sgpr41
	s_branch .LBB204_347
.LBB204_344:                            ;   in Loop: Header=BB204_347 Depth=2
	s_or_b64 exec, exec, s[44:45]
	s_waitcnt lgkmcnt(0)
	s_barrier
	ds_read_b32 v9, v3 offset:3072
	s_waitcnt lgkmcnt(0)
	s_barrier
	v_cmp_neq_f16_e32 vcc, 0, v9
	s_cbranch_vccnz .LBB204_350
; %bb.345:                              ;   in Loop: Header=BB204_347 Depth=2
	v_add_co_u32_e32 v6, vcc, s33, v6
	v_addc_co_u32_e32 v7, vcc, 0, v7, vcc
	v_cmp_le_u64_e32 vcc, s[4:5], v[6:7]
	v_add_u32_e32 v8, s63, v8
	s_mov_b64 s[44:45], 0
	s_orn2_b64 s[52:53], vcc, exec
.LBB204_346:                            ;   in Loop: Header=BB204_347 Depth=2
	s_and_b64 s[52:53], exec, s[52:53]
	s_or_b64 s[10:11], s[52:53], s[10:11]
	s_andn2_b64 s[40:41], s[40:41], exec
	s_and_b64 s[44:45], s[44:45], exec
	s_or_b64 s[40:41], s[40:41], s[44:45]
	s_andn2_b64 exec, exec, s[10:11]
	s_cbranch_execz .LBB204_351
.LBB204_347:                            ;   Parent Loop BB204_6 Depth=1
                                        ; =>  This Inner Loop Header: Depth=2
	v_cmp_gt_u64_e32 vcc, s[36:37], v[6:7]
	s_and_saveexec_b64 s[44:45], vcc
	s_cbranch_execz .LBB204_344
; %bb.348:                              ;   in Loop: Header=BB204_347 Depth=2
	ds_read_u16 v9, v8
	s_waitcnt lgkmcnt(0)
	v_cmp_lt_i16_e32 vcc, -1, v9
	v_cndmask_b32_e32 v10, v41, v42, vcc
	v_xor_b32_sdwa v10, v10, v9 dst_sel:DWORD dst_unused:UNUSED_PAD src0_sel:DWORD src1_sel:WORD_0
	v_cmp_o_f16_e32 vcc, v9, v9
	v_cndmask_b32_e32 v10, v41, v10, vcc
	v_and_b32_e32 v10, v10, v46
	v_cmp_eq_u32_e32 vcc, v10, v38
	s_and_b64 exec, exec, vcc
	s_cbranch_execz .LBB204_344
; %bb.349:                              ;   in Loop: Header=BB204_347 Depth=2
	s_movk_i32 s52, 0x3c00
	v_perm_b32 v9, v9, s52, v45
	ds_write_b32 v3, v9 offset:3072
	s_branch .LBB204_344
.LBB204_350:                            ;   in Loop: Header=BB204_347 Depth=2
	s_mov_b64 s[52:53], -1
                                        ; implicit-def: $vgpr6_vgpr7
                                        ; implicit-def: $vgpr8
	s_mov_b64 s[44:45], -1
	s_branch .LBB204_346
.LBB204_351:                            ;   in Loop: Header=BB204_6 Depth=1
	s_or_b64 exec, exec, s[10:11]
	v_readlane_b32 s52, v52, 42
	v_lshrrev_b32_e32 v47, 16, v9
	s_and_b64 s[10:11], s[40:41], exec
	v_readlane_b32 s53, v52, 43
.LBB204_352:                            ;   in Loop: Header=BB204_6 Depth=1
	s_or_b64 exec, exec, s[16:17]
.LBB204_353:                            ;   in Loop: Header=BB204_6 Depth=1
	s_and_b64 vcc, exec, s[38:39]
	s_cbranch_vccz .LBB204_371
; %bb.354:                              ;   in Loop: Header=BB204_6 Depth=1
	s_mov_b32 s60, s55
	s_cmp_lg_u64 s[60:61], 0
	s_cbranch_scc0 .LBB204_357
; %bb.355:                              ;   in Loop: Header=BB204_6 Depth=1
	v_cvt_f32_u32_e32 v6, s33
	s_sub_u32 s12, 0, s33
	s_subb_u32 s13, 0, 0
	v_mac_f32_e32 v6, 0, v43
	v_rcp_f32_e32 v6, v6
	v_mul_f32_e32 v6, 0x5f7ffffc, v6
	v_mul_f32_e32 v7, 0x2f800000, v6
	v_trunc_f32_e32 v7, v7
	v_mac_f32_e32 v6, 0xcf800000, v7
	v_cvt_u32_f32_e32 v7, v7
	v_cvt_u32_f32_e32 v6, v6
	v_readfirstlane_b32 s14, v7
	v_readfirstlane_b32 s4, v6
	s_mul_i32 s5, s12, s14
	s_mul_hi_u32 s16, s12, s4
	s_mul_i32 s15, s13, s4
	s_add_i32 s5, s16, s5
	s_mul_i32 s17, s12, s4
	s_add_i32 s5, s5, s15
	s_mul_hi_u32 s16, s4, s17
	s_mul_i32 s36, s4, s5
	s_mul_hi_u32 s15, s4, s5
	s_add_u32 s16, s16, s36
	s_addc_u32 s15, 0, s15
	s_mul_hi_u32 s37, s14, s17
	s_mul_i32 s17, s14, s17
	s_add_u32 s16, s16, s17
	s_mul_hi_u32 s36, s14, s5
	s_addc_u32 s15, s15, s37
	s_addc_u32 s16, s36, 0
	s_mul_i32 s5, s14, s5
	s_add_u32 s5, s15, s5
	s_addc_u32 s15, 0, s16
	s_add_u32 s16, s4, s5
	s_cselect_b64 s[4:5], -1, 0
	s_cmp_lg_u64 s[4:5], 0
	s_addc_u32 s14, s14, s15
	s_mul_i32 s4, s12, s14
	s_mul_hi_u32 s5, s12, s16
	s_add_i32 s4, s5, s4
	s_mul_i32 s13, s13, s16
	s_add_i32 s4, s4, s13
	s_mul_i32 s12, s12, s16
	s_mul_hi_u32 s13, s14, s12
	s_mul_i32 s15, s14, s12
	s_mul_i32 s36, s16, s4
	s_mul_hi_u32 s12, s16, s12
	s_mul_hi_u32 s17, s16, s4
	s_add_u32 s12, s12, s36
	s_addc_u32 s17, 0, s17
	s_add_u32 s12, s12, s15
	s_mul_hi_u32 s5, s14, s4
	s_addc_u32 s12, s17, s13
	s_addc_u32 s5, s5, 0
	s_mul_i32 s4, s14, s4
	s_add_u32 s4, s12, s4
	s_addc_u32 s12, 0, s5
	s_add_u32 s13, s16, s4
	s_cselect_b64 s[4:5], -1, 0
	s_cmp_lg_u64 s[4:5], 0
	s_addc_u32 s4, s14, s12
	v_readlane_b32 s17, v52, 33
	s_mul_i32 s12, s17, s4
	s_mul_hi_u32 s14, s17, s13
	s_mul_hi_u32 s5, s17, s4
	s_add_u32 s12, s14, s12
	s_addc_u32 s5, 0, s5
	s_mul_hi_u32 s15, s61, s13
	s_mul_i32 s13, s61, s13
	s_add_u32 s12, s12, s13
	s_mul_hi_u32 s14, s61, s4
	s_addc_u32 s5, s5, s15
	s_addc_u32 s12, s14, 0
	s_mul_i32 s4, s61, s4
	s_add_u32 s4, s5, s4
	s_addc_u32 s5, 0, s12
	s_mul_i32 s5, s33, s5
	s_mul_hi_u32 s12, s33, s4
	s_add_i32 s12, s12, s5
	s_mul_i32 s4, s33, s4
	s_sub_u32 s13, s17, s4
	s_cselect_b64 s[4:5], -1, 0
	s_cmp_lg_u64 s[4:5], 0
	s_subb_u32 s12, s61, s12
	s_sub_u32 s14, s13, s33
	s_cselect_b64 s[4:5], -1, 0
	s_cmp_lg_u64 s[4:5], 0
	s_subb_u32 s15, s12, 0
	;; [unrolled: 4-line block ×3, first 2 shown]
	s_cmp_ge_u32 s14, s33
	s_cselect_b32 s5, -1, 0
	s_cmp_eq_u32 s15, 0
	s_cselect_b32 s5, s5, -1
	s_cmp_lg_u32 s5, 0
	s_cselect_b32 s4, s4, s15
	s_cselect_b32 s14, s16, s14
	s_cmp_ge_u32 s13, s33
	s_cselect_b32 s5, -1, 0
	s_cmp_eq_u32 s12, 0
	s_cselect_b32 s5, s5, -1
	s_cmp_lg_u32 s5, 0
	s_cselect_b32 s5, s4, s12
	s_cselect_b32 s4, s14, s13
	s_mov_b64 s[12:13], 0
	s_branch .LBB204_358
.LBB204_356:                            ;   in Loop: Header=BB204_6 Depth=1
                                        ; implicit-def: $sgpr4_sgpr5
	s_branch .LBB204_341
.LBB204_357:                            ;   in Loop: Header=BB204_6 Depth=1
	s_mov_b64 s[12:13], -1
	v_readlane_b32 s17, v52, 33
                                        ; implicit-def: $sgpr4_sgpr5
.LBB204_358:                            ;   in Loop: Header=BB204_6 Depth=1
	s_andn2_b64 vcc, exec, s[12:13]
	v_readlane_b32 s60, v52, 44
	s_cbranch_vccnz .LBB204_360
; %bb.359:                              ;   in Loop: Header=BB204_6 Depth=1
	v_cvt_f32_u32_e32 v6, s33
	s_sub_i32 s4, 0, s33
	v_rcp_iflag_f32_e32 v6, v6
	v_mul_f32_e32 v6, 0x4f7ffffe, v6
	v_cvt_u32_f32_e32 v6, v6
	v_readfirstlane_b32 s5, v6
	s_mul_i32 s4, s4, s5
	s_mul_hi_u32 s4, s5, s4
	s_add_i32 s5, s5, s4
	s_mul_hi_u32 s4, s17, s5
	s_mul_i32 s4, s4, s33
	s_sub_i32 s4, s17, s4
	s_sub_i32 s5, s4, s33
	s_cmp_ge_u32 s4, s33
	s_cselect_b32 s4, s5, s4
	s_sub_i32 s5, s4, s33
	s_cmp_ge_u32 s4, s33
	s_cselect_b32 s54, s5, s4
	s_mov_b64 s[4:5], s[54:55]
	v_readlane_b32 s54, v52, 45
.LBB204_360:                            ;   in Loop: Header=BB204_6 Depth=1
	s_sub_u32 s14, s17, s4
	s_subb_u32 s15, s61, s5
	v_cmp_gt_u64_e32 vcc, s[14:15], v[0:1]
                                        ; implicit-def: $vgpr47
	s_and_saveexec_b64 s[12:13], vcc
	s_cbranch_execz .LBB204_370
; %bb.361:                              ;   in Loop: Header=BB204_6 Depth=1
	v_mov_b32_e32 v6, v12
	v_mov_b32_e32 v9, v1
	s_mov_b64 s[4:5], 0
	v_mov_b32_e32 v7, v13
	v_mov_b32_e32 v8, v0
                                        ; implicit-def: $sgpr16_sgpr17
	s_branch .LBB204_365
.LBB204_362:                            ;   in Loop: Header=BB204_365 Depth=2
	s_or_b64 exec, exec, s[36:37]
	s_waitcnt lgkmcnt(0)
	s_barrier
	ds_read_b32 v10, v3 offset:3072
	s_waitcnt lgkmcnt(0)
	s_barrier
	v_cmp_eq_f16_e32 vcc, 0, v10
	s_cbranch_vccz .LBB204_368
; %bb.363:                              ;   in Loop: Header=BB204_365 Depth=2
	v_add_co_u32_e32 v8, vcc, s33, v8
	v_addc_co_u32_e32 v9, vcc, 0, v9, vcc
	v_mov_b32_e32 v11, s35
	v_add_co_u32_e32 v6, vcc, s34, v6
	v_addc_co_u32_e32 v7, vcc, v7, v11, vcc
	v_cmp_le_u64_e32 vcc, s[14:15], v[8:9]
	s_mov_b64 s[36:37], 0
	s_orn2_b64 s[38:39], vcc, exec
.LBB204_364:                            ;   in Loop: Header=BB204_365 Depth=2
	s_and_b64 s[38:39], exec, s[38:39]
	s_or_b64 s[4:5], s[38:39], s[4:5]
	s_andn2_b64 s[16:17], s[16:17], exec
	s_and_b64 s[36:37], s[36:37], exec
	s_or_b64 s[16:17], s[16:17], s[36:37]
	s_andn2_b64 exec, exec, s[4:5]
	s_cbranch_execz .LBB204_369
.LBB204_365:                            ;   Parent Loop BB204_6 Depth=1
                                        ; =>  This Inner Loop Header: Depth=2
	v_cmp_gt_u64_e32 vcc, s[28:29], v[8:9]
	s_and_saveexec_b64 s[36:37], vcc
	s_cbranch_execz .LBB204_362
; %bb.366:                              ;   in Loop: Header=BB204_365 Depth=2
	global_load_ushort v10, v[6:7], off
	s_waitcnt vmcnt(0)
	v_cmp_lt_i16_e32 vcc, -1, v10
	v_cndmask_b32_e32 v11, v41, v42, vcc
	v_xor_b32_sdwa v11, v11, v10 dst_sel:DWORD dst_unused:UNUSED_PAD src0_sel:DWORD src1_sel:WORD_0
	v_cmp_o_f16_e32 vcc, v10, v10
	v_cndmask_b32_e32 v11, v41, v11, vcc
	v_and_b32_e32 v11, v11, v46
	v_cmp_eq_u32_e32 vcc, v11, v38
	s_and_b64 exec, exec, vcc
	s_cbranch_execz .LBB204_362
; %bb.367:                              ;   in Loop: Header=BB204_365 Depth=2
	s_movk_i32 s38, 0x3c00
	v_perm_b32 v10, v10, s38, v45
	ds_write_b32 v3, v10 offset:3072
	s_branch .LBB204_362
.LBB204_368:                            ;   in Loop: Header=BB204_365 Depth=2
	s_mov_b64 s[38:39], -1
                                        ; implicit-def: $vgpr8_vgpr9
                                        ; implicit-def: $vgpr6_vgpr7
	s_mov_b64 s[36:37], -1
	s_branch .LBB204_364
.LBB204_369:                            ;   in Loop: Header=BB204_6 Depth=1
	s_or_b64 exec, exec, s[4:5]
	s_andn2_b64 s[4:5], s[10:11], exec
	s_and_b64 s[10:11], s[16:17], exec
	v_lshrrev_b32_e32 v47, 16, v10
	s_or_b64 s[10:11], s[4:5], s[10:11]
.LBB204_370:                            ;   in Loop: Header=BB204_6 Depth=1
	s_or_b64 exec, exec, s[12:13]
	s_mov_b64 s[12:13], 0
	s_mov_b64 s[14:15], -1
.LBB204_371:                            ;   in Loop: Header=BB204_6 Depth=1
	s_orn2_b64 s[4:5], s[10:11], exec
.LBB204_372:                            ;   in Loop: Header=BB204_6 Depth=1
	s_or_b64 exec, exec, s[20:21]
	s_mov_b64 s[10:11], 0
	s_and_saveexec_b64 s[36:37], s[4:5]
	s_cbranch_execz .LBB204_484
; %bb.373:                              ;   in Loop: Header=BB204_6 Depth=1
	v_mov_b32_e32 v6, 1
	s_xor_b64 s[4:5], s[8:9], -1
	v_mov_b32_e32 v2, 1
	v_mov_b32_e32 v7, 0
	s_and_saveexec_b64 s[8:9], s[4:5]
	s_cbranch_execz .LBB204_382
; %bb.374:                              ;   in Loop: Header=BB204_6 Depth=1
	v_cmp_ge_u64_e32 vcc, s[42:43], v[4:5]
	s_and_saveexec_b64 s[4:5], vcc
	s_xor_b64 s[4:5], exec, s[4:5]
	s_cbranch_execz .LBB204_379
; %bb.375:                              ;   in Loop: Header=BB204_6 Depth=1
	ds_read_b64 v[6:7], v3 offset:5120
	v_and_b32_e32 v2, s57, v38
	v_lshl_or_b32 v38, 2, s69, v2
	v_or_b32_e32 v46, s56, v46
	s_waitcnt lgkmcnt(0)
	v_cmp_ne_u64_e32 vcc, 0, v[6:7]
	s_cbranch_vccnz .LBB204_379
; %bb.376:                              ;   in Loop: Header=BB204_6 Depth=1
	s_mov_b64 s[10:11], exec
	v_readlane_b32 s16, v52, 8
	v_readlane_b32 s17, v52, 9
	s_and_b64 s[16:17], s[10:11], s[16:17]
	s_mov_b64 exec, s[16:17]
; %bb.377:                              ;   in Loop: Header=BB204_6 Depth=1
	v_mov_b32_e32 v6, s42
	v_mov_b32_e32 v7, s43
	ds_write_b64 v3, v[6:7] offset:5128
; %bb.378:                              ;   in Loop: Header=BB204_6 Depth=1
	s_or_b64 exec, exec, s[10:11]
	s_waitcnt lgkmcnt(0)
	s_barrier
.LBB204_379:                            ;   in Loop: Header=BB204_6 Depth=1
	s_or_saveexec_b64 s[4:5], s[4:5]
	s_mov_b64 s[10:11], 0
	v_mov_b32_e32 v2, 5
	s_xor_b64 exec, exec, s[4:5]
; %bb.380:                              ;   in Loop: Header=BB204_6 Depth=1
	v_subrev_co_u32_e32 v4, vcc, s42, v4
	v_mov_b32_e32 v2, s43
	v_subb_co_u32_e32 v5, vcc, v5, v2, vcc
	v_mov_b32_e32 v2, 0
	s_mov_b64 s[10:11], exec
; %bb.381:                              ;   in Loop: Header=BB204_6 Depth=1
	s_or_b64 exec, exec, s[4:5]
	v_mov_b32_e32 v7, v5
	s_and_b64 s[10:11], s[10:11], exec
	v_mov_b32_e32 v6, v4
.LBB204_382:                            ;   in Loop: Header=BB204_6 Depth=1
	s_or_b64 exec, exec, s[8:9]
	s_mov_b64 s[4:5], -1
                                        ; implicit-def: $sgpr20_sgpr21
                                        ; implicit-def: $sgpr42_sgpr43
	s_and_saveexec_b64 s[38:39], s[10:11]
	s_cbranch_execz .LBB204_483
; %bb.383:                              ;   in Loop: Header=BB204_6 Depth=1
	s_cmp_eq_u64 s[94:95], 1
	v_cmp_eq_u64_e32 vcc, 1, v[6:7]
	s_cselect_b64 s[4:5], -1, 0
	s_and_b64 s[8:9], s[4:5], vcc
	s_mov_b64 s[4:5], -1
                                        ; implicit-def: $sgpr42_sgpr43
                                        ; implicit-def: $sgpr20_sgpr21
	s_and_saveexec_b64 s[40:41], s[8:9]
	s_cbranch_execz .LBB204_420
; %bb.384:                              ;   in Loop: Header=BB204_6 Depth=1
	ds_read_b64 v[4:5], v3 offset:5120
	s_waitcnt lgkmcnt(0)
	s_barrier
	v_readfirstlane_b32 s44, v4
	v_readfirstlane_b32 s45, v5
	s_mov_b64 s[4:5], exec
	v_readlane_b32 s10, v52, 28
	v_readlane_b32 s11, v52, 29
	s_and_b64 s[10:11], s[4:5], s[10:11]
	s_mov_b64 exec, s[10:11]
; %bb.385:                              ;   in Loop: Header=BB204_6 Depth=1
	ds_write_b16 v40, v3
; %bb.386:                              ;   in Loop: Header=BB204_6 Depth=1
	s_or_b64 exec, exec, s[4:5]
	v_and_b32_e32 v4, s57, v38
	v_lshl_or_b32 v38, 1, s69, v4
	v_or_b32_e32 v46, s56, v46
	s_mov_b64 s[20:21], -1
	s_mov_b64 s[42:43], 0
	s_cmp_eq_u64 s[44:45], 0
	s_mov_b64 s[10:11], 0
	s_mov_b64 s[58:59], -1
	s_waitcnt lgkmcnt(0)
	s_barrier
                                        ; implicit-def: $vgpr47
	s_cbranch_scc1 .LBB204_401
; %bb.387:                              ;   in Loop: Header=BB204_6 Depth=1
	v_readlane_b32 s4, v52, 32
	s_add_u32 s52, s44, s4
	v_readlane_b32 s4, v52, 34
	s_addc_u32 s11, s45, s4
	s_mov_b32 s10, s55
	s_cmp_lg_u64 s[10:11], 0
	s_cbranch_scc0 .LBB204_404
; %bb.388:                              ;   in Loop: Header=BB204_6 Depth=1
	v_cvt_f32_u32_e32 v4, s33
	s_sub_u32 s10, 0, s33
	s_subb_u32 s16, 0, 0
	v_mac_f32_e32 v4, 0, v43
	v_rcp_f32_e32 v4, v4
	v_mul_f32_e32 v4, 0x5f7ffffc, v4
	v_mul_f32_e32 v5, 0x2f800000, v4
	v_trunc_f32_e32 v5, v5
	v_mac_f32_e32 v4, 0xcf800000, v5
	v_cvt_u32_f32_e32 v5, v5
	v_cvt_u32_f32_e32 v4, v4
	v_readfirstlane_b32 s17, v5
	v_readfirstlane_b32 s4, v4
	s_mul_i32 s5, s10, s17
	s_mul_hi_u32 s54, s10, s4
	s_mul_i32 s53, s16, s4
	s_add_i32 s5, s54, s5
	s_mul_i32 s58, s10, s4
	s_add_i32 s5, s5, s53
	s_mul_hi_u32 s54, s4, s58
	s_mul_i32 s59, s4, s5
	s_mul_hi_u32 s53, s4, s5
	s_add_u32 s54, s54, s59
	s_addc_u32 s53, 0, s53
	s_mul_hi_u32 s60, s17, s58
	s_mul_i32 s58, s17, s58
	s_add_u32 s54, s54, s58
	s_mul_hi_u32 s59, s17, s5
	s_addc_u32 s53, s53, s60
	s_addc_u32 s54, s59, 0
	s_mul_i32 s5, s17, s5
	s_add_u32 s5, s53, s5
	s_addc_u32 s53, 0, s54
	s_add_u32 s54, s4, s5
	s_cselect_b64 s[4:5], -1, 0
	s_cmp_lg_u64 s[4:5], 0
	s_addc_u32 s17, s17, s53
	s_mul_i32 s4, s10, s17
	s_mul_hi_u32 s5, s10, s54
	s_add_i32 s4, s5, s4
	s_mul_i32 s16, s16, s54
	s_add_i32 s4, s4, s16
	s_mul_i32 s10, s10, s54
	s_mul_hi_u32 s16, s17, s10
	s_mul_i32 s53, s17, s10
	s_mul_i32 s59, s54, s4
	s_mul_hi_u32 s10, s54, s10
	s_mul_hi_u32 s58, s54, s4
	s_add_u32 s10, s10, s59
	s_addc_u32 s58, 0, s58
	s_add_u32 s10, s10, s53
	s_mul_hi_u32 s5, s17, s4
	s_addc_u32 s10, s58, s16
	s_addc_u32 s5, s5, 0
	s_mul_i32 s4, s17, s4
	s_add_u32 s4, s10, s4
	s_addc_u32 s10, 0, s5
	s_add_u32 s16, s54, s4
	s_cselect_b64 s[4:5], -1, 0
	s_cmp_lg_u64 s[4:5], 0
	s_addc_u32 s4, s17, s10
	s_mul_i32 s10, s52, s4
	s_mul_hi_u32 s17, s52, s16
	s_mul_hi_u32 s5, s52, s4
	s_add_u32 s10, s17, s10
	s_addc_u32 s5, 0, s5
	s_mul_hi_u32 s53, s11, s16
	s_mul_i32 s16, s11, s16
	s_add_u32 s10, s10, s16
	s_mul_hi_u32 s17, s11, s4
	s_addc_u32 s5, s5, s53
	s_addc_u32 s10, s17, 0
	s_mul_i32 s4, s11, s4
	s_add_u32 s4, s5, s4
	s_addc_u32 s5, 0, s10
	s_mul_i32 s5, s33, s5
	s_mul_hi_u32 s10, s33, s4
	s_add_i32 s10, s10, s5
	s_mul_i32 s4, s33, s4
	s_sub_u32 s16, s52, s4
	s_cselect_b64 s[4:5], -1, 0
	s_cmp_lg_u64 s[4:5], 0
	s_subb_u32 s10, s11, s10
	s_sub_u32 s17, s16, s33
	s_cselect_b64 s[4:5], -1, 0
	s_cmp_lg_u64 s[4:5], 0
	s_subb_u32 s53, s10, 0
	;; [unrolled: 4-line block ×3, first 2 shown]
	s_cmp_ge_u32 s17, s33
	s_cselect_b32 s5, -1, 0
	s_cmp_eq_u32 s53, 0
	s_cselect_b32 s5, s5, -1
	s_cmp_lg_u32 s5, 0
	s_cselect_b32 s4, s4, s53
	s_cselect_b32 s17, s54, s17
	s_cmp_ge_u32 s16, s33
	s_cselect_b32 s5, -1, 0
	s_cmp_eq_u32 s10, 0
	s_cselect_b32 s5, s5, -1
	s_cmp_lg_u32 s5, 0
	s_cselect_b32 s5, s4, s10
	s_cselect_b32 s4, s17, s16
	s_cbranch_execnz .LBB204_390
.LBB204_389:                            ;   in Loop: Header=BB204_6 Depth=1
	v_cvt_f32_u32_e32 v4, s33
	s_sub_i32 s4, 0, s33
	v_rcp_iflag_f32_e32 v4, v4
	v_mul_f32_e32 v4, 0x4f7ffffe, v4
	v_cvt_u32_f32_e32 v4, v4
	v_readfirstlane_b32 s5, v4
	s_mul_i32 s4, s4, s5
	s_mul_hi_u32 s4, s5, s4
	s_add_i32 s5, s5, s4
	s_mul_hi_u32 s4, s52, s5
	s_mul_i32 s4, s4, s33
	s_sub_i32 s4, s52, s4
	s_sub_i32 s5, s4, s33
	s_cmp_ge_u32 s4, s33
	s_cselect_b32 s4, s5, s4
	s_sub_i32 s5, s4, s33
	s_cmp_ge_u32 s4, s33
	s_cselect_b32 s54, s5, s4
	s_mov_b64 s[4:5], s[54:55]
.LBB204_390:                            ;   in Loop: Header=BB204_6 Depth=1
	s_sub_u32 s4, s52, s4
	s_subb_u32 s5, s11, s5
	v_cmp_gt_u64_e32 vcc, s[4:5], v[0:1]
	s_mov_b64 s[58:59], 0
	s_mov_b64 s[10:11], 0
                                        ; implicit-def: $vgpr47
	s_and_saveexec_b64 s[16:17], vcc
	v_readlane_b32 s60, v52, 44
	v_readlane_b32 s54, v52, 45
	s_cbranch_execz .LBB204_400
; %bb.391:                              ;   in Loop: Header=BB204_6 Depth=1
	v_mov_b32_e32 v5, v1
	v_mov_b32_e32 v8, v39
	;; [unrolled: 1-line block ×3, first 2 shown]
                                        ; implicit-def: $sgpr64_sgpr65
	s_branch .LBB204_395
.LBB204_392:                            ;   in Loop: Header=BB204_395 Depth=2
	s_or_b64 exec, exec, s[66:67]
	s_waitcnt lgkmcnt(0)
	s_barrier
	ds_read_b32 v9, v3 offset:3072
	s_waitcnt lgkmcnt(0)
	s_barrier
	v_cmp_neq_f16_e32 vcc, 0, v9
	s_cbranch_vccnz .LBB204_398
; %bb.393:                              ;   in Loop: Header=BB204_395 Depth=2
	v_add_co_u32_e32 v4, vcc, s33, v4
	v_addc_co_u32_e32 v5, vcc, 0, v5, vcc
	v_cmp_le_u64_e32 vcc, s[4:5], v[4:5]
	v_add_u32_e32 v8, s63, v8
	s_mov_b64 s[52:53], 0
	s_orn2_b64 s[66:67], vcc, exec
.LBB204_394:                            ;   in Loop: Header=BB204_395 Depth=2
	s_and_b64 s[66:67], exec, s[66:67]
	s_or_b64 s[10:11], s[66:67], s[10:11]
	s_andn2_b64 s[64:65], s[64:65], exec
	s_and_b64 s[52:53], s[52:53], exec
	s_or_b64 s[64:65], s[64:65], s[52:53]
	s_andn2_b64 exec, exec, s[10:11]
	s_cbranch_execz .LBB204_399
.LBB204_395:                            ;   Parent Loop BB204_6 Depth=1
                                        ; =>  This Inner Loop Header: Depth=2
	v_cmp_gt_u64_e32 vcc, s[44:45], v[4:5]
	s_and_saveexec_b64 s[66:67], vcc
	s_cbranch_execz .LBB204_392
; %bb.396:                              ;   in Loop: Header=BB204_395 Depth=2
	ds_read_u16 v9, v8
	s_waitcnt lgkmcnt(0)
	v_cmp_lt_i16_e32 vcc, -1, v9
	v_cndmask_b32_e32 v10, v41, v42, vcc
	v_xor_b32_sdwa v10, v10, v9 dst_sel:DWORD dst_unused:UNUSED_PAD src0_sel:DWORD src1_sel:WORD_0
	v_cmp_o_f16_e32 vcc, v9, v9
	v_cndmask_b32_e32 v10, v41, v10, vcc
	v_and_b32_e32 v10, v10, v46
	v_cmp_eq_u32_e32 vcc, v10, v38
	s_and_b64 exec, exec, vcc
	s_cbranch_execz .LBB204_392
; %bb.397:                              ;   in Loop: Header=BB204_395 Depth=2
	s_movk_i32 s52, 0x3c00
	v_perm_b32 v9, v9, s52, v45
	ds_write_b32 v3, v9 offset:3072
	s_branch .LBB204_392
.LBB204_398:                            ;   in Loop: Header=BB204_395 Depth=2
	s_mov_b64 s[66:67], -1
                                        ; implicit-def: $vgpr4_vgpr5
                                        ; implicit-def: $vgpr8
	s_mov_b64 s[52:53], -1
	s_branch .LBB204_394
.LBB204_399:                            ;   in Loop: Header=BB204_6 Depth=1
	s_or_b64 exec, exec, s[10:11]
	v_lshrrev_b32_e32 v47, 16, v9
	s_and_b64 s[10:11], s[64:65], exec
.LBB204_400:                            ;   in Loop: Header=BB204_6 Depth=1
	s_or_b64 exec, exec, s[16:17]
	v_readlane_b32 s52, v52, 42
	v_readlane_b32 s53, v52, 43
.LBB204_401:                            ;   in Loop: Header=BB204_6 Depth=1
	s_and_b64 vcc, exec, s[58:59]
	s_cbranch_vccz .LBB204_419
; %bb.402:                              ;   in Loop: Header=BB204_6 Depth=1
	s_mov_b32 s60, s55
	s_cmp_lg_u64 s[60:61], 0
	s_cbranch_scc0 .LBB204_405
; %bb.403:                              ;   in Loop: Header=BB204_6 Depth=1
	v_cvt_f32_u32_e32 v4, s33
	s_sub_u32 s16, 0, s33
	s_subb_u32 s17, 0, 0
	v_mac_f32_e32 v4, 0, v43
	v_rcp_f32_e32 v4, v4
	v_mul_f32_e32 v4, 0x5f7ffffc, v4
	v_mul_f32_e32 v5, 0x2f800000, v4
	v_trunc_f32_e32 v5, v5
	v_mac_f32_e32 v4, 0xcf800000, v5
	v_cvt_u32_f32_e32 v5, v5
	v_cvt_u32_f32_e32 v4, v4
	v_readfirstlane_b32 s20, v5
	v_readfirstlane_b32 s4, v4
	s_mul_i32 s5, s16, s20
	s_mul_hi_u32 s42, s16, s4
	s_mul_i32 s21, s17, s4
	s_add_i32 s5, s42, s5
	s_mul_i32 s43, s16, s4
	s_add_i32 s5, s5, s21
	s_mul_hi_u32 s42, s4, s43
	s_mul_i32 s44, s4, s5
	s_mul_hi_u32 s21, s4, s5
	s_add_u32 s42, s42, s44
	s_addc_u32 s21, 0, s21
	s_mul_hi_u32 s45, s20, s43
	s_mul_i32 s43, s20, s43
	s_add_u32 s42, s42, s43
	s_mul_hi_u32 s44, s20, s5
	s_addc_u32 s21, s21, s45
	s_addc_u32 s42, s44, 0
	s_mul_i32 s5, s20, s5
	s_add_u32 s5, s21, s5
	s_addc_u32 s21, 0, s42
	s_add_u32 s42, s4, s5
	s_cselect_b64 s[4:5], -1, 0
	s_cmp_lg_u64 s[4:5], 0
	s_addc_u32 s20, s20, s21
	s_mul_i32 s4, s16, s20
	s_mul_hi_u32 s5, s16, s42
	s_add_i32 s4, s5, s4
	s_mul_i32 s17, s17, s42
	s_add_i32 s4, s4, s17
	s_mul_i32 s16, s16, s42
	s_mul_hi_u32 s17, s20, s16
	s_mul_i32 s21, s20, s16
	s_mul_i32 s44, s42, s4
	s_mul_hi_u32 s16, s42, s16
	s_mul_hi_u32 s43, s42, s4
	s_add_u32 s16, s16, s44
	s_addc_u32 s43, 0, s43
	s_add_u32 s16, s16, s21
	s_mul_hi_u32 s5, s20, s4
	s_addc_u32 s16, s43, s17
	s_addc_u32 s5, s5, 0
	s_mul_i32 s4, s20, s4
	s_add_u32 s4, s16, s4
	s_addc_u32 s16, 0, s5
	s_add_u32 s17, s42, s4
	s_cselect_b64 s[4:5], -1, 0
	s_cmp_lg_u64 s[4:5], 0
	s_addc_u32 s4, s20, s16
	v_readlane_b32 s43, v52, 33
	s_mul_i32 s16, s43, s4
	s_mul_hi_u32 s20, s43, s17
	s_mul_hi_u32 s5, s43, s4
	s_add_u32 s16, s20, s16
	s_addc_u32 s5, 0, s5
	s_mul_hi_u32 s21, s61, s17
	s_mul_i32 s17, s61, s17
	s_add_u32 s16, s16, s17
	s_mul_hi_u32 s20, s61, s4
	s_addc_u32 s5, s5, s21
	s_addc_u32 s16, s20, 0
	s_mul_i32 s4, s61, s4
	s_add_u32 s4, s5, s4
	s_addc_u32 s5, 0, s16
	s_mul_i32 s5, s33, s5
	s_mul_hi_u32 s16, s33, s4
	s_add_i32 s16, s16, s5
	s_mul_i32 s4, s33, s4
	s_sub_u32 s17, s43, s4
	s_cselect_b64 s[4:5], -1, 0
	s_cmp_lg_u64 s[4:5], 0
	s_subb_u32 s16, s61, s16
	s_sub_u32 s20, s17, s33
	s_cselect_b64 s[4:5], -1, 0
	s_cmp_lg_u64 s[4:5], 0
	s_subb_u32 s21, s16, 0
	;; [unrolled: 4-line block ×3, first 2 shown]
	s_cmp_ge_u32 s20, s33
	s_cselect_b32 s5, -1, 0
	s_cmp_eq_u32 s21, 0
	s_cselect_b32 s5, s5, -1
	s_cmp_lg_u32 s5, 0
	s_cselect_b32 s4, s4, s21
	s_cselect_b32 s20, s42, s20
	s_cmp_ge_u32 s17, s33
	s_cselect_b32 s5, -1, 0
	s_cmp_eq_u32 s16, 0
	s_cselect_b32 s5, s5, -1
	s_cmp_lg_u32 s5, 0
	s_cselect_b32 s5, s4, s16
	s_cselect_b32 s4, s20, s17
	s_mov_b64 s[16:17], 0
	s_branch .LBB204_406
.LBB204_404:                            ;   in Loop: Header=BB204_6 Depth=1
                                        ; implicit-def: $sgpr4_sgpr5
	s_branch .LBB204_389
.LBB204_405:                            ;   in Loop: Header=BB204_6 Depth=1
	s_mov_b64 s[16:17], -1
	v_readlane_b32 s43, v52, 33
                                        ; implicit-def: $sgpr4_sgpr5
.LBB204_406:                            ;   in Loop: Header=BB204_6 Depth=1
	s_andn2_b64 vcc, exec, s[16:17]
	v_readlane_b32 s60, v52, 44
	s_cbranch_vccnz .LBB204_408
; %bb.407:                              ;   in Loop: Header=BB204_6 Depth=1
	v_cvt_f32_u32_e32 v4, s33
	s_sub_i32 s4, 0, s33
	v_rcp_iflag_f32_e32 v4, v4
	v_mul_f32_e32 v4, 0x4f7ffffe, v4
	v_cvt_u32_f32_e32 v4, v4
	v_readfirstlane_b32 s5, v4
	s_mul_i32 s4, s4, s5
	s_mul_hi_u32 s4, s5, s4
	s_add_i32 s5, s5, s4
	s_mul_hi_u32 s4, s43, s5
	s_mul_i32 s4, s4, s33
	s_sub_i32 s4, s43, s4
	s_sub_i32 s5, s4, s33
	s_cmp_ge_u32 s4, s33
	s_cselect_b32 s4, s5, s4
	s_sub_i32 s5, s4, s33
	s_cmp_ge_u32 s4, s33
	s_cselect_b32 s54, s5, s4
	s_mov_b64 s[4:5], s[54:55]
	v_readlane_b32 s54, v52, 45
.LBB204_408:                            ;   in Loop: Header=BB204_6 Depth=1
	s_sub_u32 s20, s43, s4
	s_subb_u32 s21, s61, s5
	v_cmp_gt_u64_e32 vcc, s[20:21], v[0:1]
                                        ; implicit-def: $vgpr47
	s_and_saveexec_b64 s[16:17], vcc
	s_cbranch_execz .LBB204_418
; %bb.409:                              ;   in Loop: Header=BB204_6 Depth=1
	v_mov_b32_e32 v4, v12
	v_mov_b32_e32 v9, v1
	s_mov_b64 s[4:5], 0
	v_mov_b32_e32 v5, v13
	v_mov_b32_e32 v8, v0
                                        ; implicit-def: $sgpr42_sgpr43
	s_branch .LBB204_413
.LBB204_410:                            ;   in Loop: Header=BB204_413 Depth=2
	s_or_b64 exec, exec, s[44:45]
	s_waitcnt lgkmcnt(0)
	s_barrier
	ds_read_b32 v10, v3 offset:3072
	s_waitcnt lgkmcnt(0)
	s_barrier
	v_cmp_eq_f16_e32 vcc, 0, v10
	s_cbranch_vccz .LBB204_416
; %bb.411:                              ;   in Loop: Header=BB204_413 Depth=2
	v_add_co_u32_e32 v8, vcc, s33, v8
	v_addc_co_u32_e32 v9, vcc, 0, v9, vcc
	v_mov_b32_e32 v11, s35
	v_add_co_u32_e32 v4, vcc, s34, v4
	v_addc_co_u32_e32 v5, vcc, v5, v11, vcc
	v_cmp_le_u64_e32 vcc, s[20:21], v[8:9]
	s_mov_b64 s[44:45], 0
	s_orn2_b64 s[52:53], vcc, exec
.LBB204_412:                            ;   in Loop: Header=BB204_413 Depth=2
	s_and_b64 s[52:53], exec, s[52:53]
	s_or_b64 s[4:5], s[52:53], s[4:5]
	s_andn2_b64 s[42:43], s[42:43], exec
	s_and_b64 s[44:45], s[44:45], exec
	s_or_b64 s[42:43], s[42:43], s[44:45]
	s_andn2_b64 exec, exec, s[4:5]
	s_cbranch_execz .LBB204_417
.LBB204_413:                            ;   Parent Loop BB204_6 Depth=1
                                        ; =>  This Inner Loop Header: Depth=2
	v_cmp_gt_u64_e32 vcc, s[28:29], v[8:9]
	s_and_saveexec_b64 s[44:45], vcc
	s_cbranch_execz .LBB204_410
; %bb.414:                              ;   in Loop: Header=BB204_413 Depth=2
	global_load_ushort v10, v[4:5], off
	s_waitcnt vmcnt(0)
	v_cmp_lt_i16_e32 vcc, -1, v10
	v_cndmask_b32_e32 v11, v41, v42, vcc
	v_xor_b32_sdwa v11, v11, v10 dst_sel:DWORD dst_unused:UNUSED_PAD src0_sel:DWORD src1_sel:WORD_0
	v_cmp_o_f16_e32 vcc, v10, v10
	v_cndmask_b32_e32 v11, v41, v11, vcc
	v_and_b32_e32 v11, v11, v46
	v_cmp_eq_u32_e32 vcc, v11, v38
	s_and_b64 exec, exec, vcc
	s_cbranch_execz .LBB204_410
; %bb.415:                              ;   in Loop: Header=BB204_413 Depth=2
	s_movk_i32 s52, 0x3c00
	v_perm_b32 v10, v10, s52, v45
	ds_write_b32 v3, v10 offset:3072
	s_branch .LBB204_410
.LBB204_416:                            ;   in Loop: Header=BB204_413 Depth=2
	s_mov_b64 s[52:53], -1
                                        ; implicit-def: $vgpr8_vgpr9
                                        ; implicit-def: $vgpr4_vgpr5
	s_mov_b64 s[44:45], -1
	s_branch .LBB204_412
.LBB204_417:                            ;   in Loop: Header=BB204_6 Depth=1
	s_or_b64 exec, exec, s[4:5]
	s_andn2_b64 s[4:5], s[10:11], exec
	s_and_b64 s[10:11], s[42:43], exec
	v_readlane_b32 s52, v52, 42
	v_lshrrev_b32_e32 v47, 16, v10
	s_or_b64 s[10:11], s[4:5], s[10:11]
	v_readlane_b32 s53, v52, 43
.LBB204_418:                            ;   in Loop: Header=BB204_6 Depth=1
	s_or_b64 exec, exec, s[16:17]
	s_mov_b64 s[20:21], 0
	s_mov_b64 s[42:43], -1
.LBB204_419:                            ;   in Loop: Header=BB204_6 Depth=1
	s_orn2_b64 s[4:5], s[10:11], exec
.LBB204_420:                            ;   in Loop: Header=BB204_6 Depth=1
	s_or_b64 exec, exec, s[40:41]
	s_mov_b64 s[10:11], 0
	s_and_saveexec_b64 s[44:45], s[4:5]
	s_cbranch_execz .LBB204_482
; %bb.421:                              ;   in Loop: Header=BB204_6 Depth=1
	v_mov_b32_e32 v4, 1
	s_xor_b64 s[4:5], s[8:9], -1
	v_mov_b32_e32 v2, 1
	v_mov_b32_e32 v5, 0
	s_mov_b64 s[16:17], 0
	s_and_saveexec_b64 s[8:9], s[4:5]
	s_cbranch_execz .LBB204_430
; %bb.422:                              ;   in Loop: Header=BB204_6 Depth=1
	v_cmp_ge_u64_e32 vcc, s[94:95], v[6:7]
	s_and_saveexec_b64 s[4:5], vcc
	s_xor_b64 s[4:5], exec, s[4:5]
	s_cbranch_execz .LBB204_427
; %bb.423:                              ;   in Loop: Header=BB204_6 Depth=1
	ds_read_b64 v[4:5], v3 offset:5120
	v_and_b32_e32 v2, s57, v38
	v_lshl_or_b32 v38, 1, s69, v2
	v_or_b32_e32 v46, s56, v46
	s_waitcnt lgkmcnt(0)
	v_cmp_ne_u64_e32 vcc, 0, v[4:5]
	s_cbranch_vccnz .LBB204_427
; %bb.424:                              ;   in Loop: Header=BB204_6 Depth=1
	s_mov_b64 s[10:11], exec
	v_readlane_b32 s16, v52, 8
	v_readlane_b32 s17, v52, 9
	s_and_b64 s[16:17], s[10:11], s[16:17]
	s_mov_b64 exec, s[16:17]
; %bb.425:                              ;   in Loop: Header=BB204_6 Depth=1
	v_mov_b32_e32 v4, s94
	v_mov_b32_e32 v5, s95
	ds_write_b64 v3, v[4:5] offset:5128
; %bb.426:                              ;   in Loop: Header=BB204_6 Depth=1
	s_or_b64 exec, exec, s[10:11]
	s_waitcnt lgkmcnt(0)
	s_barrier
.LBB204_427:                            ;   in Loop: Header=BB204_6 Depth=1
	s_or_saveexec_b64 s[4:5], s[4:5]
	s_mov_b64 s[10:11], 0
	v_mov_b32_e32 v2, 5
	s_xor_b64 exec, exec, s[4:5]
; %bb.428:                              ;   in Loop: Header=BB204_6 Depth=1
	v_subrev_co_u32_e32 v6, vcc, s94, v6
	v_mov_b32_e32 v2, s95
	v_subb_co_u32_e32 v7, vcc, v7, v2, vcc
	v_mov_b32_e32 v2, 0
	s_mov_b64 s[10:11], exec
; %bb.429:                              ;   in Loop: Header=BB204_6 Depth=1
	s_or_b64 exec, exec, s[4:5]
	v_mov_b32_e32 v4, v6
	s_and_b64 s[16:17], s[10:11], exec
	v_mov_b32_e32 v5, v7
.LBB204_430:                            ;   in Loop: Header=BB204_6 Depth=1
	s_or_b64 exec, exec, s[8:9]
	s_mov_b64 s[4:5], -1
                                        ; implicit-def: $sgpr66_sgpr67
                                        ; implicit-def: $sgpr64_sgpr65
	s_and_saveexec_b64 s[40:41], s[16:17]
	s_cbranch_execz .LBB204_481
; %bb.431:                              ;   in Loop: Header=BB204_6 Depth=1
	s_cmp_eq_u64 s[22:23], 1
	v_cmp_eq_u64_e32 vcc, 1, v[4:5]
	s_cselect_b64 s[4:5], -1, 0
	s_and_b64 s[8:9], s[4:5], vcc
	s_mov_b64 s[4:5], -1
                                        ; implicit-def: $sgpr66_sgpr67
                                        ; implicit-def: $sgpr64_sgpr65
	s_mov_b64 s[10:11], exec
	v_writelane_b32 v52, s8, 48
	v_writelane_b32 v52, s9, 49
	;; [unrolled: 1-line block ×3, first 2 shown]
	s_and_b64 s[8:9], s[10:11], s[8:9]
	v_writelane_b32 v52, s11, 51
	s_mov_b64 exec, s[8:9]
	s_cbranch_execz .LBB204_469
; %bb.432:                              ;   in Loop: Header=BB204_6 Depth=1
	ds_read_b64 v[6:7], v3 offset:5120
	s_waitcnt lgkmcnt(0)
	s_barrier
	v_readfirstlane_b32 s58, v6
	v_readfirstlane_b32 s59, v7
	s_mov_b64 s[4:5], exec
	v_readlane_b32 s8, v52, 28
	v_readlane_b32 s9, v52, 29
	s_and_b64 s[8:9], s[4:5], s[8:9]
	s_mov_b64 exec, s[8:9]
; %bb.433:                              ;   in Loop: Header=BB204_6 Depth=1
	ds_write_b16 v40, v3
; %bb.434:                              ;   in Loop: Header=BB204_6 Depth=1
	s_or_b64 exec, exec, s[4:5]
	s_mov_b64 s[4:5], -1
	v_and_b32_e32 v38, s57, v38
	v_or_b32_e32 v46, s56, v46
	v_writelane_b32 v52, s4, 52
	s_mov_b64 s[66:67], 0
	s_cmp_eq_u64 s[58:59], 0
	s_mov_b64 s[94:95], 0
	s_mov_b64 s[8:9], -1
	s_waitcnt lgkmcnt(0)
	s_barrier
	v_writelane_b32 v52, s5, 53
                                        ; implicit-def: $vgpr47
	s_cbranch_scc1 .LBB204_451
; %bb.435:                              ;   in Loop: Header=BB204_6 Depth=1
	v_readlane_b32 s4, v52, 32
	s_add_u32 s10, s58, s4
	v_readlane_b32 s4, v52, 34
	s_addc_u32 s95, s59, s4
	s_mov_b32 s94, s55
	s_cmp_lg_u64 s[94:95], 0
	s_cbranch_scc0 .LBB204_437
; %bb.436:                              ;   in Loop: Header=BB204_6 Depth=1
	v_cvt_f32_u32_e32 v6, s33
	s_sub_u32 s8, 0, s33
	s_subb_u32 s9, 0, 0
	v_mac_f32_e32 v6, 0, v43
	v_rcp_f32_e32 v6, v6
	v_mul_f32_e32 v6, 0x5f7ffffc, v6
	v_mul_f32_e32 v7, 0x2f800000, v6
	v_trunc_f32_e32 v7, v7
	v_mac_f32_e32 v6, 0xcf800000, v7
	v_cvt_u32_f32_e32 v7, v7
	v_cvt_u32_f32_e32 v6, v6
	v_readfirstlane_b32 s11, v7
	v_readfirstlane_b32 s4, v6
	s_mul_i32 s5, s8, s11
	s_mul_hi_u32 s17, s8, s4
	s_mul_i32 s16, s9, s4
	s_add_i32 s5, s17, s5
	s_mul_i32 s52, s8, s4
	s_add_i32 s5, s5, s16
	s_mul_hi_u32 s17, s4, s52
	s_mul_i32 s53, s4, s5
	s_mul_hi_u32 s16, s4, s5
	s_add_u32 s17, s17, s53
	s_addc_u32 s16, 0, s16
	s_mul_hi_u32 s54, s11, s52
	s_mul_i32 s52, s11, s52
	s_add_u32 s17, s17, s52
	s_mul_hi_u32 s53, s11, s5
	s_addc_u32 s16, s16, s54
	s_addc_u32 s17, s53, 0
	s_mul_i32 s5, s11, s5
	s_add_u32 s5, s16, s5
	s_addc_u32 s16, 0, s17
	s_add_u32 s17, s4, s5
	s_cselect_b64 s[4:5], -1, 0
	s_cmp_lg_u64 s[4:5], 0
	s_addc_u32 s11, s11, s16
	s_mul_i32 s4, s8, s11
	s_mul_hi_u32 s5, s8, s17
	s_add_i32 s4, s5, s4
	s_mul_i32 s9, s9, s17
	s_add_i32 s4, s4, s9
	s_mul_i32 s8, s8, s17
	s_mul_hi_u32 s9, s11, s8
	s_mul_i32 s16, s11, s8
	s_mul_i32 s53, s17, s4
	s_mul_hi_u32 s8, s17, s8
	s_mul_hi_u32 s52, s17, s4
	s_add_u32 s8, s8, s53
	s_addc_u32 s52, 0, s52
	s_add_u32 s8, s8, s16
	s_mul_hi_u32 s5, s11, s4
	s_addc_u32 s8, s52, s9
	s_addc_u32 s5, s5, 0
	s_mul_i32 s4, s11, s4
	s_add_u32 s4, s8, s4
	s_addc_u32 s8, 0, s5
	s_add_u32 s9, s17, s4
	s_cselect_b64 s[4:5], -1, 0
	s_cmp_lg_u64 s[4:5], 0
	s_addc_u32 s4, s11, s8
	s_mul_i32 s8, s10, s4
	s_mul_hi_u32 s11, s10, s9
	s_mul_hi_u32 s5, s10, s4
	s_add_u32 s8, s11, s8
	s_addc_u32 s5, 0, s5
	s_mul_hi_u32 s16, s95, s9
	s_mul_i32 s9, s95, s9
	s_add_u32 s8, s8, s9
	s_mul_hi_u32 s11, s95, s4
	s_addc_u32 s5, s5, s16
	s_addc_u32 s8, s11, 0
	s_mul_i32 s4, s95, s4
	s_add_u32 s4, s5, s4
	s_addc_u32 s5, 0, s8
	s_mul_i32 s5, s33, s5
	s_mul_hi_u32 s8, s33, s4
	s_add_i32 s8, s8, s5
	s_mul_i32 s4, s33, s4
	s_sub_u32 s9, s10, s4
	s_cselect_b64 s[4:5], -1, 0
	s_cmp_lg_u64 s[4:5], 0
	s_subb_u32 s8, s95, s8
	s_sub_u32 s11, s9, s33
	s_cselect_b64 s[4:5], -1, 0
	s_cmp_lg_u64 s[4:5], 0
	s_subb_u32 s16, s8, 0
	;; [unrolled: 4-line block ×3, first 2 shown]
	s_cmp_ge_u32 s11, s33
	s_cselect_b32 s5, -1, 0
	s_cmp_eq_u32 s16, 0
	s_cselect_b32 s5, s5, -1
	s_cmp_lg_u32 s5, 0
	s_cselect_b32 s4, s4, s16
	s_cselect_b32 s11, s17, s11
	s_cmp_ge_u32 s9, s33
	s_cselect_b32 s5, -1, 0
	s_cmp_eq_u32 s8, 0
	s_cselect_b32 s5, s5, -1
	s_cmp_lg_u32 s5, 0
	s_cselect_b32 s5, s4, s8
	s_cselect_b32 s4, s11, s9
	s_mov_b64 s[8:9], 0
	s_branch .LBB204_438
.LBB204_437:                            ;   in Loop: Header=BB204_6 Depth=1
                                        ; implicit-def: $sgpr4_sgpr5
.LBB204_438:                            ;   in Loop: Header=BB204_6 Depth=1
	s_andn2_b64 vcc, exec, s[8:9]
	s_cbranch_vccnz .LBB204_440
; %bb.439:                              ;   in Loop: Header=BB204_6 Depth=1
	v_cvt_f32_u32_e32 v6, s33
	s_sub_i32 s4, 0, s33
	v_rcp_iflag_f32_e32 v6, v6
	v_mul_f32_e32 v6, 0x4f7ffffe, v6
	v_cvt_u32_f32_e32 v6, v6
	v_readfirstlane_b32 s5, v6
	s_mul_i32 s4, s4, s5
	s_mul_hi_u32 s4, s5, s4
	s_add_i32 s5, s5, s4
	s_mul_hi_u32 s4, s10, s5
	s_mul_i32 s4, s4, s33
	s_sub_i32 s4, s10, s4
	s_sub_i32 s5, s4, s33
	s_cmp_ge_u32 s4, s33
	s_cselect_b32 s4, s5, s4
	s_sub_i32 s5, s4, s33
	s_cmp_ge_u32 s4, s33
	s_cselect_b32 s54, s5, s4
	s_mov_b64 s[4:5], s[54:55]
.LBB204_440:                            ;   in Loop: Header=BB204_6 Depth=1
	s_sub_u32 s4, s10, s4
	s_subb_u32 s5, s95, s5
	v_cmp_gt_u64_e32 vcc, s[4:5], v[0:1]
	s_mov_b64 s[8:9], 0
	s_mov_b64 s[94:95], 0
                                        ; implicit-def: $vgpr47
	s_and_saveexec_b64 s[16:17], vcc
	v_readlane_b32 s54, v52, 45
	s_cbranch_execz .LBB204_450
; %bb.441:                              ;   in Loop: Header=BB204_6 Depth=1
	v_mov_b32_e32 v7, v1
	v_mov_b32_e32 v8, v39
	;; [unrolled: 1-line block ×3, first 2 shown]
                                        ; implicit-def: $sgpr64_sgpr65
	s_branch .LBB204_445
.LBB204_442:                            ;   in Loop: Header=BB204_445 Depth=2
	s_or_b64 exec, exec, s[10:11]
	s_waitcnt lgkmcnt(0)
	s_barrier
	ds_read_b32 v9, v3 offset:3072
	s_waitcnt lgkmcnt(0)
	s_barrier
	v_cmp_neq_f16_e32 vcc, 0, v9
	s_cbranch_vccnz .LBB204_448
; %bb.443:                              ;   in Loop: Header=BB204_445 Depth=2
	v_add_co_u32_e32 v6, vcc, s33, v6
	v_addc_co_u32_e32 v7, vcc, 0, v7, vcc
	v_cmp_le_u64_e32 vcc, s[4:5], v[6:7]
	v_add_u32_e32 v8, s63, v8
	s_mov_b64 s[10:11], 0
	s_orn2_b64 s[52:53], vcc, exec
.LBB204_444:                            ;   in Loop: Header=BB204_445 Depth=2
	s_and_b64 s[52:53], exec, s[52:53]
	s_or_b64 s[94:95], s[52:53], s[94:95]
	s_andn2_b64 s[52:53], s[64:65], exec
	s_and_b64 s[10:11], s[10:11], exec
	s_or_b64 s[64:65], s[52:53], s[10:11]
	s_andn2_b64 exec, exec, s[94:95]
	s_cbranch_execz .LBB204_449
.LBB204_445:                            ;   Parent Loop BB204_6 Depth=1
                                        ; =>  This Inner Loop Header: Depth=2
	v_cmp_gt_u64_e32 vcc, s[58:59], v[6:7]
	s_and_saveexec_b64 s[10:11], vcc
	s_cbranch_execz .LBB204_442
; %bb.446:                              ;   in Loop: Header=BB204_445 Depth=2
	ds_read_u16 v9, v8
	s_waitcnt lgkmcnt(0)
	v_cmp_lt_i16_e32 vcc, -1, v9
	v_cndmask_b32_e32 v10, v41, v42, vcc
	v_xor_b32_sdwa v10, v10, v9 dst_sel:DWORD dst_unused:UNUSED_PAD src0_sel:DWORD src1_sel:WORD_0
	v_cmp_o_f16_e32 vcc, v9, v9
	v_cndmask_b32_e32 v10, v41, v10, vcc
	v_and_b32_e32 v10, v10, v46
	v_cmp_eq_u32_e32 vcc, v10, v38
	s_and_b64 exec, exec, vcc
	s_cbranch_execz .LBB204_442
; %bb.447:                              ;   in Loop: Header=BB204_445 Depth=2
	s_movk_i32 s52, 0x3c00
	v_perm_b32 v9, v9, s52, v45
	ds_write_b32 v3, v9 offset:3072
	s_branch .LBB204_442
.LBB204_448:                            ;   in Loop: Header=BB204_445 Depth=2
	s_mov_b64 s[52:53], -1
                                        ; implicit-def: $vgpr6_vgpr7
                                        ; implicit-def: $vgpr8
	s_mov_b64 s[10:11], -1
	s_branch .LBB204_444
.LBB204_449:                            ;   in Loop: Header=BB204_6 Depth=1
	s_or_b64 exec, exec, s[94:95]
	v_lshrrev_b32_e32 v47, 16, v9
	s_and_b64 s[94:95], s[64:65], exec
.LBB204_450:                            ;   in Loop: Header=BB204_6 Depth=1
	s_or_b64 exec, exec, s[16:17]
	v_readlane_b32 s52, v52, 42
	v_readlane_b32 s53, v52, 43
.LBB204_451:                            ;   in Loop: Header=BB204_6 Depth=1
	s_and_b64 vcc, exec, s[8:9]
	s_cbranch_vccz .LBB204_468
; %bb.452:                              ;   in Loop: Header=BB204_6 Depth=1
	s_mov_b32 s60, s55
	s_cmp_lg_u64 s[60:61], 0
	s_cbranch_scc0 .LBB204_454
; %bb.453:                              ;   in Loop: Header=BB204_6 Depth=1
	v_cvt_f32_u32_e32 v6, s33
	s_sub_u32 s8, 0, s33
	s_subb_u32 s9, 0, 0
	v_mac_f32_e32 v6, 0, v43
	v_rcp_f32_e32 v6, v6
	v_mul_f32_e32 v6, 0x5f7ffffc, v6
	v_mul_f32_e32 v7, 0x2f800000, v6
	v_trunc_f32_e32 v7, v7
	v_mac_f32_e32 v6, 0xcf800000, v7
	v_cvt_u32_f32_e32 v7, v7
	v_cvt_u32_f32_e32 v6, v6
	v_readfirstlane_b32 s10, v7
	v_readfirstlane_b32 s4, v6
	s_mul_i32 s5, s8, s10
	s_mul_hi_u32 s16, s8, s4
	s_mul_i32 s11, s9, s4
	s_add_i32 s5, s16, s5
	s_mul_i32 s17, s8, s4
	s_add_i32 s5, s5, s11
	s_mul_hi_u32 s16, s4, s17
	s_mul_i32 s52, s4, s5
	s_mul_hi_u32 s11, s4, s5
	s_add_u32 s16, s16, s52
	s_addc_u32 s11, 0, s11
	s_mul_hi_u32 s53, s10, s17
	s_mul_i32 s17, s10, s17
	s_add_u32 s16, s16, s17
	s_mul_hi_u32 s52, s10, s5
	s_addc_u32 s11, s11, s53
	s_addc_u32 s16, s52, 0
	s_mul_i32 s5, s10, s5
	s_add_u32 s5, s11, s5
	s_addc_u32 s11, 0, s16
	s_add_u32 s16, s4, s5
	s_cselect_b64 s[4:5], -1, 0
	s_cmp_lg_u64 s[4:5], 0
	s_addc_u32 s10, s10, s11
	s_mul_i32 s4, s8, s10
	s_mul_hi_u32 s5, s8, s16
	s_add_i32 s4, s5, s4
	s_mul_i32 s9, s9, s16
	s_add_i32 s4, s4, s9
	s_mul_i32 s8, s8, s16
	s_mul_hi_u32 s9, s10, s8
	s_mul_i32 s11, s10, s8
	s_mul_i32 s52, s16, s4
	s_mul_hi_u32 s8, s16, s8
	s_mul_hi_u32 s17, s16, s4
	s_add_u32 s8, s8, s52
	s_addc_u32 s17, 0, s17
	s_add_u32 s8, s8, s11
	s_mul_hi_u32 s5, s10, s4
	s_addc_u32 s8, s17, s9
	s_addc_u32 s5, s5, 0
	s_mul_i32 s4, s10, s4
	s_add_u32 s4, s8, s4
	s_addc_u32 s8, 0, s5
	s_add_u32 s9, s16, s4
	s_cselect_b64 s[4:5], -1, 0
	s_cmp_lg_u64 s[4:5], 0
	s_addc_u32 s4, s10, s8
	v_readlane_b32 s17, v52, 33
	s_mul_i32 s8, s17, s4
	s_mul_hi_u32 s10, s17, s9
	s_mul_hi_u32 s5, s17, s4
	s_add_u32 s8, s10, s8
	s_addc_u32 s5, 0, s5
	s_mul_hi_u32 s11, s61, s9
	s_mul_i32 s9, s61, s9
	s_add_u32 s8, s8, s9
	s_mul_hi_u32 s10, s61, s4
	s_addc_u32 s5, s5, s11
	s_addc_u32 s8, s10, 0
	s_mul_i32 s4, s61, s4
	s_add_u32 s4, s5, s4
	s_addc_u32 s5, 0, s8
	s_mul_i32 s5, s33, s5
	s_mul_hi_u32 s8, s33, s4
	s_add_i32 s8, s8, s5
	s_mul_i32 s4, s33, s4
	s_sub_u32 s9, s17, s4
	s_cselect_b64 s[4:5], -1, 0
	s_cmp_lg_u64 s[4:5], 0
	s_subb_u32 s8, s61, s8
	s_sub_u32 s10, s9, s33
	s_cselect_b64 s[4:5], -1, 0
	s_cmp_lg_u64 s[4:5], 0
	s_subb_u32 s11, s8, 0
	;; [unrolled: 4-line block ×3, first 2 shown]
	s_cmp_ge_u32 s10, s33
	s_cselect_b32 s5, -1, 0
	s_cmp_eq_u32 s11, 0
	s_cselect_b32 s5, s5, -1
	s_cmp_lg_u32 s5, 0
	s_cselect_b32 s4, s4, s11
	s_cselect_b32 s10, s16, s10
	s_cmp_ge_u32 s9, s33
	s_cselect_b32 s5, -1, 0
	s_cmp_eq_u32 s8, 0
	s_cselect_b32 s5, s5, -1
	v_readlane_b32 s52, v52, 42
	s_cmp_lg_u32 s5, 0
	v_readlane_b32 s53, v52, 43
	s_cselect_b32 s5, s4, s8
	s_cselect_b32 s4, s10, s9
	s_mov_b64 s[8:9], 0
	s_branch .LBB204_455
.LBB204_454:                            ;   in Loop: Header=BB204_6 Depth=1
	s_mov_b64 s[8:9], -1
	v_readlane_b32 s17, v52, 33
                                        ; implicit-def: $sgpr4_sgpr5
.LBB204_455:                            ;   in Loop: Header=BB204_6 Depth=1
	s_andn2_b64 vcc, exec, s[8:9]
	v_readlane_b32 s60, v52, 44
	s_cbranch_vccnz .LBB204_457
; %bb.456:                              ;   in Loop: Header=BB204_6 Depth=1
	v_cvt_f32_u32_e32 v6, s33
	s_sub_i32 s4, 0, s33
	v_rcp_iflag_f32_e32 v6, v6
	v_mul_f32_e32 v6, 0x4f7ffffe, v6
	v_cvt_u32_f32_e32 v6, v6
	v_readfirstlane_b32 s5, v6
	s_mul_i32 s4, s4, s5
	s_mul_hi_u32 s4, s5, s4
	s_add_i32 s5, s5, s4
	s_mul_hi_u32 s4, s17, s5
	s_mul_i32 s4, s4, s33
	s_sub_i32 s4, s17, s4
	s_sub_i32 s5, s4, s33
	s_cmp_ge_u32 s4, s33
	s_cselect_b32 s4, s5, s4
	s_sub_i32 s5, s4, s33
	s_cmp_ge_u32 s4, s33
	s_cselect_b32 s54, s5, s4
	s_mov_b64 s[4:5], s[54:55]
	v_readlane_b32 s54, v52, 45
.LBB204_457:                            ;   in Loop: Header=BB204_6 Depth=1
	s_sub_u32 s10, s17, s4
	s_subb_u32 s11, s61, s5
	v_cmp_gt_u64_e32 vcc, s[10:11], v[0:1]
                                        ; implicit-def: $vgpr47
	s_and_saveexec_b64 s[8:9], vcc
	s_cbranch_execz .LBB204_467
; %bb.458:                              ;   in Loop: Header=BB204_6 Depth=1
	v_mov_b32_e32 v6, v12
	v_mov_b32_e32 v9, v1
	s_mov_b64 s[4:5], 0
	v_mov_b32_e32 v7, v13
	v_mov_b32_e32 v8, v0
                                        ; implicit-def: $sgpr16_sgpr17
	s_branch .LBB204_462
.LBB204_459:                            ;   in Loop: Header=BB204_462 Depth=2
	s_or_b64 exec, exec, s[58:59]
	s_waitcnt lgkmcnt(0)
	s_barrier
	ds_read_b32 v10, v3 offset:3072
	s_waitcnt lgkmcnt(0)
	s_barrier
	v_cmp_eq_f16_e32 vcc, 0, v10
	s_cbranch_vccz .LBB204_465
; %bb.460:                              ;   in Loop: Header=BB204_462 Depth=2
	v_add_co_u32_e32 v8, vcc, s33, v8
	v_addc_co_u32_e32 v9, vcc, 0, v9, vcc
	v_mov_b32_e32 v11, s35
	v_add_co_u32_e32 v6, vcc, s34, v6
	v_addc_co_u32_e32 v7, vcc, v7, v11, vcc
	v_cmp_le_u64_e32 vcc, s[10:11], v[8:9]
	s_mov_b64 s[52:53], 0
	s_orn2_b64 s[58:59], vcc, exec
.LBB204_461:                            ;   in Loop: Header=BB204_462 Depth=2
	s_and_b64 s[58:59], exec, s[58:59]
	s_or_b64 s[4:5], s[58:59], s[4:5]
	s_andn2_b64 s[16:17], s[16:17], exec
	s_and_b64 s[52:53], s[52:53], exec
	s_or_b64 s[16:17], s[16:17], s[52:53]
	s_andn2_b64 exec, exec, s[4:5]
	s_cbranch_execz .LBB204_466
.LBB204_462:                            ;   Parent Loop BB204_6 Depth=1
                                        ; =>  This Inner Loop Header: Depth=2
	v_cmp_gt_u64_e32 vcc, s[28:29], v[8:9]
	s_and_saveexec_b64 s[58:59], vcc
	s_cbranch_execz .LBB204_459
; %bb.463:                              ;   in Loop: Header=BB204_462 Depth=2
	global_load_ushort v10, v[6:7], off
	s_waitcnt vmcnt(0)
	v_cmp_lt_i16_e32 vcc, -1, v10
	v_cndmask_b32_e32 v11, v41, v42, vcc
	v_xor_b32_sdwa v11, v11, v10 dst_sel:DWORD dst_unused:UNUSED_PAD src0_sel:DWORD src1_sel:WORD_0
	v_cmp_o_f16_e32 vcc, v10, v10
	v_cndmask_b32_e32 v11, v41, v11, vcc
	v_and_b32_e32 v11, v11, v46
	v_cmp_eq_u32_e32 vcc, v11, v38
	s_and_b64 exec, exec, vcc
	s_cbranch_execz .LBB204_459
; %bb.464:                              ;   in Loop: Header=BB204_462 Depth=2
	s_movk_i32 s52, 0x3c00
	v_perm_b32 v10, v10, s52, v45
	ds_write_b32 v3, v10 offset:3072
	s_branch .LBB204_459
.LBB204_465:                            ;   in Loop: Header=BB204_462 Depth=2
	s_mov_b64 s[58:59], -1
                                        ; implicit-def: $vgpr8_vgpr9
                                        ; implicit-def: $vgpr6_vgpr7
	s_mov_b64 s[52:53], -1
	s_branch .LBB204_461
.LBB204_466:                            ;   in Loop: Header=BB204_6 Depth=1
	s_or_b64 exec, exec, s[4:5]
	s_andn2_b64 s[4:5], s[94:95], exec
	s_and_b64 s[10:11], s[16:17], exec
	v_readlane_b32 s52, v52, 42
	v_lshrrev_b32_e32 v47, 16, v10
	s_or_b64 s[94:95], s[4:5], s[10:11]
	v_readlane_b32 s53, v52, 43
.LBB204_467:                            ;   in Loop: Header=BB204_6 Depth=1
	s_or_b64 exec, exec, s[8:9]
	s_mov_b64 s[4:5], 0
	v_writelane_b32 v52, s4, 52
	v_writelane_b32 v52, s5, 53
	s_mov_b64 s[66:67], -1
.LBB204_468:                            ;   in Loop: Header=BB204_6 Depth=1
	v_readlane_b32 s64, v52, 52
	s_orn2_b64 s[4:5], s[94:95], exec
	v_readlane_b32 s65, v52, 53
.LBB204_469:                            ;   in Loop: Header=BB204_6 Depth=1
	v_readlane_b32 s8, v52, 50
	v_readlane_b32 s9, v52, 51
	s_or_b64 exec, exec, s[8:9]
	s_mov_b64 s[8:9], 0
	s_and_saveexec_b64 s[58:59], s[4:5]
	s_cbranch_execz .LBB204_480
; %bb.470:                              ;   in Loop: Header=BB204_6 Depth=1
	v_readlane_b32 s4, v52, 48
	v_readlane_b32 s5, v52, 49
	v_mov_b32_e32 v6, 1
	s_xor_b64 s[8:9], s[4:5], -1
	v_mov_b32_e32 v7, 0
	v_mov_b32_e32 v2, 1
	s_and_saveexec_b64 s[4:5], s[8:9]
	s_cbranch_execz .LBB204_479
; %bb.471:                              ;   in Loop: Header=BB204_6 Depth=1
	v_cmp_ge_u64_e32 vcc, s[22:23], v[4:5]
	s_and_saveexec_b64 s[8:9], vcc
	s_xor_b64 s[8:9], exec, s[8:9]
	s_cbranch_execz .LBB204_476
; %bb.472:                              ;   in Loop: Header=BB204_6 Depth=1
	ds_read_b64 v[6:7], v3 offset:5120
	v_and_b32_e32 v38, s57, v38
	v_or_b32_e32 v46, s56, v46
	s_waitcnt lgkmcnt(0)
	v_cmp_ne_u64_e32 vcc, 0, v[6:7]
	s_cbranch_vccnz .LBB204_476
; %bb.473:                              ;   in Loop: Header=BB204_6 Depth=1
	s_mov_b64 s[10:11], exec
	v_readlane_b32 s16, v52, 8
	v_readlane_b32 s17, v52, 9
	s_and_b64 s[16:17], s[10:11], s[16:17]
	s_mov_b64 exec, s[16:17]
; %bb.474:                              ;   in Loop: Header=BB204_6 Depth=1
	v_mov_b32_e32 v6, s22
	v_mov_b32_e32 v7, s23
	ds_write_b64 v3, v[6:7] offset:5128
; %bb.475:                              ;   in Loop: Header=BB204_6 Depth=1
	s_or_b64 exec, exec, s[10:11]
	s_waitcnt lgkmcnt(0)
	s_barrier
.LBB204_476:                            ;   in Loop: Header=BB204_6 Depth=1
	s_andn2_saveexec_b64 s[8:9], s[8:9]
; %bb.477:                              ;   in Loop: Header=BB204_6 Depth=1
	v_mov_b32_e32 v2, s23
	v_subrev_co_u32_e32 v4, vcc, s22, v4
	v_subb_co_u32_e32 v5, vcc, v5, v2, vcc
; %bb.478:                              ;   in Loop: Header=BB204_6 Depth=1
	s_or_b64 exec, exec, s[8:9]
	v_mov_b32_e32 v7, v5
	v_mov_b32_e32 v2, 5
	;; [unrolled: 1-line block ×3, first 2 shown]
.LBB204_479:                            ;   in Loop: Header=BB204_6 Depth=1
	s_or_b64 exec, exec, s[4:5]
	v_mov_b32_e32 v4, v6
	s_mov_b64 s[8:9], exec
	v_mov_b32_e32 v5, v7
.LBB204_480:                            ;   in Loop: Header=BB204_6 Depth=1
	s_or_b64 exec, exec, s[58:59]
	s_orn2_b64 s[4:5], s[8:9], exec
.LBB204_481:                            ;   in Loop: Header=BB204_6 Depth=1
	s_or_b64 exec, exec, s[40:41]
	s_andn2_b64 s[8:9], s[42:43], exec
	s_and_b64 s[10:11], s[66:67], exec
	s_or_b64 s[42:43], s[8:9], s[10:11]
	s_andn2_b64 s[8:9], s[20:21], exec
	s_and_b64 s[10:11], s[64:65], exec
	v_mov_b32_e32 v7, v5
	s_or_b64 s[20:21], s[8:9], s[10:11]
	s_and_b64 s[10:11], s[4:5], exec
	v_mov_b32_e32 v6, v4
.LBB204_482:                            ;   in Loop: Header=BB204_6 Depth=1
	s_or_b64 exec, exec, s[44:45]
	s_orn2_b64 s[4:5], s[10:11], exec
.LBB204_483:                            ;   in Loop: Header=BB204_6 Depth=1
	s_or_b64 exec, exec, s[38:39]
	s_andn2_b64 s[8:9], s[14:15], exec
	s_and_b64 s[10:11], s[42:43], exec
	s_or_b64 s[14:15], s[8:9], s[10:11]
	s_andn2_b64 s[8:9], s[12:13], exec
	s_and_b64 s[10:11], s[20:21], exec
	v_mov_b32_e32 v4, v6
	s_or_b64 s[12:13], s[8:9], s[10:11]
	s_and_b64 s[10:11], s[4:5], exec
	v_mov_b32_e32 v5, v7
.LBB204_484:                            ;   in Loop: Header=BB204_6 Depth=1
	s_or_b64 exec, exec, s[36:37]
	s_orn2_b64 s[4:5], s[10:11], exec
.LBB204_485:                            ;   in Loop: Header=BB204_6 Depth=1
	s_or_b64 exec, exec, s[6:7]
	s_mov_b64 s[6:7], s[48:49]
	s_mov_b64 s[8:9], s[46:47]
	s_and_saveexec_b64 s[10:11], s[4:5]
; %bb.486:                              ;   in Loop: Header=BB204_6 Depth=1
	v_cmp_ne_u32_e64 s[6:7], 5, v2
	v_cmp_eq_u32_e32 vcc, 5, v2
	s_andn2_b64 s[4:5], s[46:47], exec
	s_and_b64 s[6:7], s[6:7], exec
	s_or_b64 s[8:9], s[4:5], s[6:7]
	s_andn2_b64 s[4:5], s[48:49], exec
	s_and_b64 s[6:7], vcc, exec
	s_or_b64 s[6:7], s[4:5], s[6:7]
; %bb.487:                              ;   in Loop: Header=BB204_6 Depth=1
	s_or_b64 exec, exec, s[10:11]
	s_andn2_b64 s[4:5], s[18:19], exec
	s_and_b64 s[10:11], s[14:15], exec
	s_or_b64 s[18:19], s[4:5], s[10:11]
	s_andn2_b64 s[4:5], s[24:25], exec
	s_and_b64 s[10:11], s[12:13], exec
	s_or_b64 s[24:25], s[4:5], s[10:11]
	;; [unrolled: 3-line block ×4, first 2 shown]
.LBB204_488:                            ;   in Loop: Header=BB204_6 Depth=1
	s_or_b64 exec, exec, s[2:3]
	s_mov_b64 s[14:15], 0
	s_mov_b64 s[2:3], 0
	s_and_saveexec_b64 s[4:5], s[48:49]
.LBB204_489:                            ;   in Loop: Header=BB204_6 Depth=1
	v_mov_b32_e32 v2, 0
	s_or_b64 s[46:47], s[46:47], exec
.LBB204_490:                            ;   in Loop: Header=BB204_6 Depth=1
	s_or_b64 exec, exec, s[4:5]
	s_andn2_b64 s[6:7], s[90:91], exec
	s_and_b64 s[8:9], s[18:19], exec
	s_or_b64 s[90:91], s[6:7], s[8:9]
	s_andn2_b64 s[6:7], s[88:89], exec
	s_and_b64 s[8:9], s[24:25], exec
	s_or_b64 s[88:89], s[6:7], s[8:9]
	s_andn2_b64 s[6:7], s[86:87], exec
	s_and_b64 s[2:3], s[2:3], exec
	s_or_b64 s[86:87], s[6:7], s[2:3]
	s_andn2_b64 s[2:3], s[84:85], exec
	s_and_b64 s[6:7], s[14:15], exec
	v_mov_b32_e32 v25, v5
	s_mov_b64 s[4:5], -1
	s_andn2_b64 s[92:93], s[92:93], exec
	s_or_b64 s[84:85], s[2:3], s[6:7]
	v_mov_b32_e32 v24, v4
	s_and_saveexec_b64 s[2:3], s[46:47]
	v_readlane_b32 s20, v52, 46
	s_xor_b64 s[2:3], exec, s[2:3]
	v_readlane_b32 s21, v52, 47
	s_cbranch_execz .LBB204_5
; %bb.491:                              ;   in Loop: Header=BB204_6 Depth=1
	v_cmp_eq_u32_e32 vcc, 0, v2
	s_mov_b64 s[6:7], -1
	s_and_saveexec_b64 s[8:9], vcc
	s_cbranch_execz .LBB204_4
; %bb.492:                              ;   in Loop: Header=BB204_6 Depth=1
	s_xor_b32 s68, s68, 1
	s_add_i32 s10, s69, -2
	s_cmp_eq_u32 s69, 0
	s_cselect_b64 s[4:5], -1, 0
	s_xor_b64 s[6:7], exec, -1
	s_orn2_b64 s[4:5], s[4:5], exec
	s_mov_b32 s69, s10
	s_branch .LBB204_4
.LBB204_493:
	s_or_b64 exec, exec, s[72:73]
	s_xor_b64 s[4:5], s[82:83], -1
	s_xor_b64 s[12:13], s[78:79], -1
	;; [unrolled: 1-line block ×5, first 2 shown]
	s_mov_b64 s[6:7], 0
	s_and_saveexec_b64 s[14:15], s[8:9]
	s_xor_b64 s[8:9], exec, s[14:15]
	s_cbranch_execnz .LBB204_498
; %bb.494:
	s_andn2_saveexec_b64 s[0:1], s[8:9]
	s_cbranch_execnz .LBB204_517
.LBB204_495:
	s_or_b64 exec, exec, s[0:1]
	s_and_saveexec_b64 s[0:1], s[6:7]
.LBB204_496:
	; divergent unreachable
.LBB204_497:
	s_endpgm
.LBB204_498:
	s_and_saveexec_b64 s[14:15], s[10:11]
	s_xor_b64 s[10:11], exec, s[14:15]
	s_cbranch_execz .LBB204_515
; %bb.499:
	s_and_saveexec_b64 s[14:15], s[12:13]
	s_xor_b64 s[12:13], exec, s[14:15]
	s_cbranch_execz .LBB204_513
; %bb.500:
	;; [unrolled: 4-line block ×3, first 2 shown]
	s_and_saveexec_b64 s[4:5], s[2:3]
	s_xor_b64 s[2:3], exec, s[4:5]
; %bb.502:
	v_and_b32_e32 v2, 0x8000, v38
	v_mov_b32_e32 v3, 0x8000
	v_mov_b32_e32 v4, 0xffff
	v_cmp_eq_u32_e32 vcc, 0, v2
	v_cndmask_b32_e32 v2, v3, v4, vcc
	v_xor_b32_e32 v47, v2, v38
; %bb.503:
	s_or_b64 exec, exec, s[2:3]
	s_mov_b64 s[2:3], exec
	v_readlane_b32 s6, v52, 10
	v_readlane_b32 s7, v52, 11
	s_load_dwordx2 s[52:53], s[6:7], 0x0
	v_readlane_b32 s4, v52, 8
	v_readlane_b32 s5, v52, 9
	;; [unrolled: 1-line block ×3, first 2 shown]
	s_and_b64 s[4:5], s[2:3], s[4:5]
	v_readlane_b32 s55, v52, 17
	s_mov_b64 exec, s[4:5]
; %bb.504:
	v_mov_b32_e32 v2, 0
	v_mov_b32_e32 v3, v2
	ds_write_b64 v2, v[2:3] offset:5136
; %bb.505:
	s_or_b64 exec, exec, s[2:3]
	v_mov_b32_e32 v19, 0
	s_waitcnt lgkmcnt(0)
	s_barrier
	s_mov_b64 s[2:3], exec
	v_readlane_b32 s4, v52, 22
	v_readlane_b32 s5, v52, 23
	s_and_b64 s[4:5], s[2:3], s[4:5]
	s_mov_b64 exec, s[4:5]
	s_cbranch_execz .LBB204_507
; %bb.506:
	global_load_ushort v19, v[12:13], off
.LBB204_507:
	s_or_b64 exec, exec, s[2:3]
	s_add_u32 s2, s28, 63
	s_addc_u32 s17, s29, 0
	s_and_b32 s16, s2, 0xffffffc0
	v_readlane_b32 s2, v52, 12
	v_readlane_b32 s4, v52, 4
	v_readlane_b32 s3, v52, 13
	s_mov_b32 s18, s2
	v_readlane_b32 s5, v52, 5
	v_readlane_b32 s20, v52, 0
	s_mul_i32 s2, s5, s2
	s_mul_hi_u32 s3, s4, s18
	v_readlane_b32 s21, v52, 1
	s_add_i32 s3, s3, s2
	s_mul_i32 s2, s4, s18
	s_mul_i32 s4, s21, s18
	s_mul_hi_u32 s5, s20, s18
	s_add_i32 s5, s5, s4
	s_mul_i32 s4, s20, s18
	s_lshl_b64 s[2:3], s[2:3], 1
	v_readlane_b32 s18, v52, 6
	v_readlane_b32 s19, v52, 7
	s_add_u32 s46, s18, s2
	v_mov_b32_e32 v17, 0xffff
	v_mov_b32_e32 v18, 0x8000
	v_cmp_lt_i16_e32 vcc, -1, v47
	s_addc_u32 s47, s19, s3
	s_load_dwordx2 s[18:19], s[6:7], 0x368
	s_load_dwordx2 s[20:21], s[6:7], 0x510
	v_cndmask_b32_e32 v2, v17, v18, vcc
	v_xor_b32_sdwa v2, v2, v47 dst_sel:DWORD dst_unused:UNUSED_PAD src0_sel:DWORD src1_sel:WORD_0
	v_cmp_o_f16_e32 vcc, v47, v47
	s_lshl_b64 s[2:3], s[4:5], 3
	v_readlane_b32 s4, v52, 2
	v_cndmask_b32_e32 v16, v17, v2, vcc
	v_readlane_b32 s5, v52, 3
	s_add_u32 s48, s4, s2
	v_cmp_gt_u64_e32 vcc, s[16:17], v[0:1]
	s_addc_u32 s49, s5, s3
	s_mov_b64 s[24:25], -1
	s_mov_b64 s[2:3], 0
	s_mov_b64 s[4:5], 0
	s_and_saveexec_b64 s[22:23], vcc
	s_cbranch_execnz .LBB204_518
; %bb.508:
	s_or_b64 exec, exec, s[22:23]
	s_and_saveexec_b64 s[6:7], s[24:25]
	s_cbranch_execnz .LBB204_535
.LBB204_509:
	s_or_b64 exec, exec, s[6:7]
	s_and_saveexec_b64 s[0:1], s[4:5]
	s_xor_b64 s[0:1], exec, s[0:1]
	s_cbranch_execnz .LBB204_558
.LBB204_510:
	s_or_b64 exec, exec, s[0:1]
	s_and_b64 s[6:7], s[2:3], exec
.LBB204_511:
	s_andn2_saveexec_b64 s[0:1], s[14:15]
	s_cbranch_execnz .LBB204_560
.LBB204_512:
	s_or_b64 exec, exec, s[0:1]
	s_and_b64 s[6:7], s[6:7], exec
.LBB204_513:
	s_andn2_saveexec_b64 s[0:1], s[12:13]
	s_cbranch_execnz .LBB204_559
.LBB204_514:
	s_or_b64 exec, exec, s[0:1]
	s_and_b64 s[6:7], s[6:7], exec
.LBB204_515:
	s_andn2_saveexec_b64 s[0:1], s[10:11]
	s_cbranch_execnz .LBB204_554
.LBB204_516:
	s_or_b64 exec, exec, s[0:1]
	s_and_b64 s[6:7], s[6:7], exec
	s_andn2_saveexec_b64 s[0:1], s[8:9]
	s_cbranch_execz .LBB204_495
.LBB204_517:
	s_or_b64 s[6:7], s[6:7], exec
	s_trap 2
	s_or_b64 exec, exec, s[0:1]
	s_and_saveexec_b64 s[0:1], s[6:7]
	s_cbranch_execnz .LBB204_496
	s_branch .LBB204_497
.LBB204_518:
	v_add_co_u32_e64 v2, s[4:5], s33, v0
	v_addc_co_u32_e64 v3, s[4:5], 0, 0, s[4:5]
	v_mul_lo_u32 v4, s27, v2
	v_mul_lo_u32 v5, s26, v3
	v_mad_u64_u32 v[2:3], s[4:5], s26, v2, 0
	v_readlane_b32 s4, v52, 14
	v_readlane_b32 s5, v52, 15
	v_add3_u32 v3, v3, v5, v4
	v_lshlrev_b64 v[2:3], 1, v[2:3]
	s_add_u32 s4, s52, s4
	s_addc_u32 s5, s53, s5
	v_mov_b32_e32 v4, s5
	v_add_co_u32_e64 v2, s[4:5], s4, v2
	v_mov_b32_e32 v11, v1
	v_addc_co_u32_e64 v3, s[4:5], v4, v3, s[4:5]
	s_mov_b64 s[24:25], 0
	v_mov_b32_e32 v5, 0
	v_mov_b32_e32 v10, v0
                                        ; implicit-def: $sgpr36_sgpr37
                                        ; implicit-def: $vgpr8_vgpr9
	s_branch .LBB204_520
.LBB204_519:                            ;   in Loop: Header=BB204_520 Depth=1
	s_or_b64 exec, exec, s[38:39]
	s_xor_b64 s[4:5], s[40:41], -1
	s_and_b64 s[6:7], exec, s[6:7]
	s_or_b64 s[24:25], s[6:7], s[24:25]
	s_andn2_b64 s[6:7], s[36:37], exec
	s_and_b64 s[4:5], s[4:5], exec
	v_mov_b32_e32 v11, v7
	s_or_b64 s[36:37], s[6:7], s[4:5]
	v_mov_b32_e32 v10, v6
	s_waitcnt vmcnt(0)
	v_mov_b32_e32 v19, v20
	s_andn2_b64 exec, exec, s[24:25]
	s_cbranch_execz .LBB204_534
.LBB204_520:                            ; =>This Inner Loop Header: Depth=1
	v_add_co_u32_e64 v6, s[4:5], s33, v10
	v_addc_co_u32_e64 v7, s[4:5], 0, v11, s[4:5]
	v_cmp_gt_u64_e64 s[4:5], s[28:29], v[6:7]
	v_mov_b32_e32 v20, 0
	s_and_saveexec_b64 s[6:7], s[4:5]
	s_cbranch_execz .LBB204_522
; %bb.521:                              ;   in Loop: Header=BB204_520 Depth=1
	global_load_ushort v20, v[2:3], off
.LBB204_522:                            ;   in Loop: Header=BB204_520 Depth=1
	s_or_b64 exec, exec, s[6:7]
	v_cmp_gt_u64_e64 s[4:5], s[28:29], v[10:11]
	s_mov_b64 s[38:39], 0
	s_and_saveexec_b64 s[6:7], s[4:5]
	s_cbranch_execz .LBB204_524
; %bb.523:                              ;   in Loop: Header=BB204_520 Depth=1
	s_waitcnt vmcnt(0)
	v_cmp_lt_i16_e64 s[4:5], -1, v19
	v_cndmask_b32_e64 v4, v17, v18, s[4:5]
	v_xor_b32_sdwa v4, v4, v19 dst_sel:DWORD dst_unused:UNUSED_PAD src0_sel:DWORD src1_sel:WORD_0
	v_cmp_o_f16_e64 s[4:5], v19, v19
	v_cndmask_b32_e64 v4, v17, v4, s[4:5]
	v_cmp_gt_u32_e64 s[4:5], v4, v16
	v_cndmask_b32_e64 v14, 0, 1, s[4:5]
	v_cmp_lt_u32_e64 s[4:5], v4, v16
	v_cndmask_b32_e64 v4, 0, 1, s[4:5]
	v_cndmask_b32_e64 v4, v4, v14, s[54:55]
	v_and_b32_e32 v4, 1, v4
	v_cmp_eq_u32_e64 s[4:5], 1, v4
	s_and_b64 s[38:39], s[4:5], exec
.LBB204_524:                            ;   in Loop: Header=BB204_520 Depth=1
	s_or_b64 exec, exec, s[6:7]
	v_cndmask_b32_e64 v4, 0, 1, s[38:39]
	v_cmp_ne_u32_e64 s[4:5], 0, v4
	s_cmp_lg_u64 s[4:5], 0
	s_cselect_b64 s[6:7], -1, 0
	s_and_b64 s[6:7], s[0:1], s[6:7]
	s_and_saveexec_b64 s[40:41], s[6:7]
	s_cbranch_execz .LBB204_528
; %bb.525:                              ;   in Loop: Header=BB204_520 Depth=1
	s_mov_b64 s[44:45], exec
	v_mbcnt_lo_u32_b32 v4, s44, 0
	v_mbcnt_hi_u32_b32 v14, s45, v4
	s_bcnt1_i32_b64 s50, s[4:5]
	v_cmp_eq_u32_e64 s[6:7], 0, v14
                                        ; implicit-def: $vgpr8_vgpr9
	s_and_saveexec_b64 s[42:43], s[6:7]
	s_cbranch_execz .LBB204_527
; %bb.526:                              ;   in Loop: Header=BB204_520 Depth=1
	s_bcnt1_i32_b64 s6, s[44:45]
	s_mul_i32 s6, s50, s6
	v_mov_b32_e32 v4, s6
	s_waitcnt lgkmcnt(0)
	ds_add_rtn_u64 v[8:9], v5, v[4:5] offset:5136
.LBB204_527:                            ;   in Loop: Header=BB204_520 Depth=1
	s_or_b64 exec, exec, s[42:43]
	s_waitcnt lgkmcnt(0)
	v_readfirstlane_b32 s6, v9
	v_readfirstlane_b32 s7, v8
	v_mov_b32_e32 v8, s7
	v_mov_b32_e32 v9, s6
	v_mad_u64_u32 v[8:9], s[6:7], s50, v14, v[8:9]
.LBB204_528:                            ;   in Loop: Header=BB204_520 Depth=1
	s_or_b64 exec, exec, s[40:41]
	s_waitcnt lgkmcnt(0)
	ds_bpermute_b32 v8, v30, v8
	ds_bpermute_b32 v9, v30, v9
	s_mov_b64 s[6:7], -1
	s_mov_b64 s[42:43], -1
	s_and_saveexec_b64 s[40:41], s[38:39]
	s_cbranch_execz .LBB204_532
; %bb.529:                              ;   in Loop: Header=BB204_520 Depth=1
	v_and_b32_e32 v14, s4, v29
	v_and_b32_e32 v4, s5, v28
	v_bcnt_u32_b32 v14, v14, 0
	v_bcnt_u32_b32 v4, v4, v14
	s_waitcnt lgkmcnt(0)
	v_add_co_u32_e64 v14, s[4:5], v8, v4
	v_addc_co_u32_e64 v15, s[4:5], 0, v9, s[4:5]
	v_cmp_gt_u64_e64 s[4:5], s[30:31], v[14:15]
	s_mov_b64 s[38:39], 0
	s_and_saveexec_b64 s[42:43], s[4:5]
	s_cbranch_execz .LBB204_531
; %bb.530:                              ;   in Loop: Header=BB204_520 Depth=1
	v_mul_lo_u32 v4, v15, s18
	v_mul_lo_u32 v23, v14, s19
	v_mad_u64_u32 v[21:22], s[4:5], v14, s18, 0
	v_mul_lo_u32 v24, v15, s20
	v_mul_lo_u32 v25, v14, s21
	v_mad_u64_u32 v[14:15], s[4:5], v14, s20, 0
	v_add3_u32 v22, v22, v23, v4
	v_lshlrev_b64 v[21:22], 1, v[21:22]
	v_add3_u32 v15, v15, v25, v24
	v_mov_b32_e32 v4, s47
	v_add_co_u32_e64 v21, s[4:5], s46, v21
	v_lshlrev_b64 v[14:15], 3, v[14:15]
	v_addc_co_u32_e64 v22, s[4:5], v4, v22, s[4:5]
	v_mov_b32_e32 v4, s49
	v_add_co_u32_e64 v14, s[4:5], s48, v14
	s_mov_b64 s[38:39], exec
	v_addc_co_u32_e64 v15, s[4:5], v4, v15, s[4:5]
	s_waitcnt vmcnt(0)
	global_store_short v[21:22], v19, off
	global_store_dwordx2 v[14:15], v[10:11], off
.LBB204_531:                            ;   in Loop: Header=BB204_520 Depth=1
	s_or_b64 exec, exec, s[42:43]
	s_orn2_b64 s[42:43], s[38:39], exec
.LBB204_532:                            ;   in Loop: Header=BB204_520 Depth=1
	s_or_b64 exec, exec, s[40:41]
	s_mov_b64 s[40:41], -1
	s_and_saveexec_b64 s[38:39], s[42:43]
	s_cbranch_execz .LBB204_519
; %bb.533:                              ;   in Loop: Header=BB204_520 Depth=1
	v_mov_b32_e32 v4, s35
	v_add_co_u32_e64 v2, s[4:5], s34, v2
	v_addc_co_u32_e64 v3, s[4:5], v3, v4, s[4:5]
	v_cmp_le_u64_e64 s[4:5], s[16:17], v[6:7]
	s_xor_b64 s[40:41], exec, -1
	s_orn2_b64 s[6:7], s[4:5], exec
	s_branch .LBB204_519
.LBB204_534:
	s_or_b64 exec, exec, s[24:25]
	s_mov_b64 s[4:5], exec
	s_orn2_b64 s[24:25], s[36:37], exec
	s_or_b64 exec, exec, s[22:23]
	s_and_saveexec_b64 s[6:7], s[24:25]
	s_cbranch_execz .LBB204_509
.LBB204_535:
	v_mov_b32_e32 v15, 0
	s_waitcnt vmcnt(0) lgkmcnt(0)
	s_barrier
	s_mov_b64 s[2:3], exec
	v_readlane_b32 s22, v52, 22
	v_readlane_b32 s23, v52, 23
	s_and_b64 s[22:23], s[2:3], s[22:23]
	s_mov_b64 exec, s[22:23]
	s_cbranch_execz .LBB204_537
; %bb.536:
	global_load_ushort v15, v[12:13], off
.LBB204_537:
	s_or_b64 exec, exec, s[2:3]
	s_mov_b64 s[2:3], 0
	s_and_saveexec_b64 s[22:23], vcc
	s_cbranch_execz .LBB204_557
; %bb.538:
	v_add_co_u32_e32 v2, vcc, s33, v0
	v_addc_co_u32_e64 v3, s[2:3], 0, 0, vcc
	v_mul_lo_u32 v4, s27, v2
	v_mul_lo_u32 v5, s26, v3
	v_mad_u64_u32 v[2:3], s[2:3], s26, v2, 0
	v_readlane_b32 s2, v52, 14
	v_readlane_b32 s3, v52, 15
	v_add3_u32 v3, v3, v5, v4
	v_lshlrev_b64 v[2:3], 1, v[2:3]
	s_add_u32 s2, s52, s2
	s_addc_u32 s3, s53, s3
	v_mov_b32_e32 v4, s3
	v_add_co_u32_e32 v2, vcc, s2, v2
	v_addc_co_u32_e32 v3, vcc, v4, v3, vcc
	s_mov_b64 s[24:25], 0
	v_mov_b32_e32 v12, 0xffff
	v_mov_b32_e32 v13, 0x8000
	;; [unrolled: 1-line block ×3, first 2 shown]
                                        ; implicit-def: $sgpr26_sgpr27
                                        ; implicit-def: $vgpr8_vgpr9
	s_branch .LBB204_541
.LBB204_539:                            ;   in Loop: Header=BB204_541 Depth=1
	s_or_b64 exec, exec, s[38:39]
	s_orn2_b64 s[40:41], s[42:43], exec
	s_orn2_b64 s[38:39], s[36:37], exec
.LBB204_540:                            ;   in Loop: Header=BB204_541 Depth=1
	s_or_b64 exec, exec, s[2:3]
	s_xor_b64 s[2:3], s[40:41], -1
	s_and_b64 s[36:37], exec, s[38:39]
	s_or_b64 s[24:25], s[36:37], s[24:25]
	s_andn2_b64 s[26:27], s[26:27], exec
	s_and_b64 s[2:3], s[2:3], exec
	v_mov_b32_e32 v0, v6
	s_or_b64 s[26:27], s[26:27], s[2:3]
	v_mov_b32_e32 v1, v7
	v_mov_b32_e32 v15, v14
	s_andn2_b64 exec, exec, s[24:25]
	s_cbranch_execz .LBB204_555
.LBB204_541:                            ; =>This Inner Loop Header: Depth=1
	v_add_co_u32_e32 v6, vcc, s33, v0
	v_addc_co_u32_e32 v7, vcc, 0, v1, vcc
	v_cmp_gt_u64_e32 vcc, s[28:29], v[6:7]
	v_mov_b32_e32 v14, 0
	s_and_saveexec_b64 s[2:3], vcc
	s_cbranch_execz .LBB204_543
; %bb.542:                              ;   in Loop: Header=BB204_541 Depth=1
	global_load_ushort v14, v[2:3], off
.LBB204_543:                            ;   in Loop: Header=BB204_541 Depth=1
	s_or_b64 exec, exec, s[2:3]
	s_waitcnt vmcnt(0)
	v_cmp_lt_i16_e64 s[2:3], -1, v15
	v_cndmask_b32_e64 v4, v12, v13, s[2:3]
	v_xor_b32_sdwa v4, v4, v15 dst_sel:DWORD dst_unused:UNUSED_PAD src0_sel:DWORD src1_sel:WORD_0
	v_cmp_o_f16_e64 s[2:3], v15, v15
	v_cmp_gt_u64_e32 vcc, s[28:29], v[0:1]
	v_cndmask_b32_e64 v4, v12, v4, s[2:3]
	v_cmp_eq_u32_e64 s[2:3], v4, v16
	s_and_b64 s[36:37], vcc, s[2:3]
	v_cndmask_b32_e64 v4, 0, 1, s[36:37]
	v_cmp_ne_u32_e32 vcc, 0, v4
	s_cmp_lg_u64 vcc, 0
	s_cselect_b64 s[2:3], -1, 0
	s_and_b64 s[2:3], s[0:1], s[2:3]
	s_and_saveexec_b64 s[38:39], s[2:3]
	s_cbranch_execz .LBB204_547
; %bb.544:                              ;   in Loop: Header=BB204_541 Depth=1
	s_mov_b64 s[42:43], exec
	v_mbcnt_lo_u32_b32 v4, s42, 0
	v_mbcnt_hi_u32_b32 v10, s43, v4
	s_bcnt1_i32_b64 s44, vcc
	v_cmp_eq_u32_e64 s[2:3], 0, v10
                                        ; implicit-def: $vgpr8_vgpr9
	s_and_saveexec_b64 s[40:41], s[2:3]
; %bb.545:                              ;   in Loop: Header=BB204_541 Depth=1
	s_bcnt1_i32_b64 s2, s[42:43]
	s_mul_i32 s2, s44, s2
	v_mov_b32_e32 v4, s2
	ds_add_rtn_u64 v[8:9], v5, v[4:5] offset:5136
; %bb.546:                              ;   in Loop: Header=BB204_541 Depth=1
	s_or_b64 exec, exec, s[40:41]
	s_waitcnt lgkmcnt(0)
	v_readfirstlane_b32 s2, v9
	v_readfirstlane_b32 s3, v8
	v_mov_b32_e32 v8, s3
	v_mov_b32_e32 v9, s2
	v_mad_u64_u32 v[8:9], s[2:3], s44, v10, v[8:9]
.LBB204_547:                            ;   in Loop: Header=BB204_541 Depth=1
	s_or_b64 exec, exec, s[38:39]
	ds_bpermute_b32 v8, v30, v8
	ds_bpermute_b32 v9, v30, v9
	s_cmp_eq_u64 vcc, 0
	s_cselect_b64 s[40:41], -1, 0
	s_mov_b64 s[38:39], -1
	s_waitcnt lgkmcnt(0)
	v_cmp_gt_u64_e64 s[2:3], s[30:31], v[8:9]
	s_or_b64 s[42:43], s[40:41], s[2:3]
	s_mov_b64 s[40:41], -1
	s_and_saveexec_b64 s[2:3], s[42:43]
	s_cbranch_execz .LBB204_540
; %bb.548:                              ;   in Loop: Header=BB204_541 Depth=1
	v_and_b32_e32 v10, vcc_lo, v29
	v_and_b32_e32 v4, vcc_hi, v28
	v_bcnt_u32_b32 v10, v10, 0
	v_bcnt_u32_b32 v4, v4, v10
	v_mov_b32_e32 v11, s31
	v_sub_co_u32_e32 v10, vcc, s30, v8
	v_subb_co_u32_e32 v11, vcc, v11, v9, vcc
	v_cmp_gt_u64_e32 vcc, v[10:11], v[4:5]
	s_mov_b64 s[42:43], -1
	s_and_b64 s[44:45], s[36:37], vcc
	s_mov_b64 s[36:37], -1
	s_and_saveexec_b64 s[38:39], s[44:45]
	s_cbranch_execz .LBB204_552
; %bb.549:                              ;   in Loop: Header=BB204_541 Depth=1
	v_add_co_u32_e32 v10, vcc, v8, v4
	v_addc_co_u32_e32 v11, vcc, 0, v9, vcc
	v_cmp_gt_u64_e32 vcc, s[30:31], v[10:11]
	s_mov_b64 s[40:41], 0
	s_and_saveexec_b64 s[42:43], vcc
; %bb.550:                              ;   in Loop: Header=BB204_541 Depth=1
	v_mul_lo_u32 v4, v11, s18
	v_mul_lo_u32 v19, v10, s19
	v_mad_u64_u32 v[17:18], s[44:45], v10, s18, 0
	v_mul_lo_u32 v20, v11, s20
	v_mul_lo_u32 v21, v10, s21
	v_mad_u64_u32 v[10:11], s[44:45], v10, s20, 0
	v_add3_u32 v18, v18, v19, v4
	v_lshlrev_b64 v[17:18], 1, v[17:18]
	v_add3_u32 v11, v11, v21, v20
	v_mov_b32_e32 v4, s47
	v_add_co_u32_e32 v17, vcc, s46, v17
	v_lshlrev_b64 v[10:11], 3, v[10:11]
	v_addc_co_u32_e32 v18, vcc, v4, v18, vcc
	v_mov_b32_e32 v4, s49
	v_add_co_u32_e32 v10, vcc, s48, v10
	s_mov_b64 s[40:41], exec
	v_addc_co_u32_e32 v11, vcc, v4, v11, vcc
	global_store_short v[17:18], v15, off
	global_store_dwordx2 v[10:11], v[0:1], off
; %bb.551:                              ;   in Loop: Header=BB204_541 Depth=1
	s_or_b64 exec, exec, s[42:43]
	s_xor_b64 s[42:43], exec, -1
	s_orn2_b64 s[40:41], s[40:41], exec
.LBB204_552:                            ;   in Loop: Header=BB204_541 Depth=1
	s_or_b64 exec, exec, s[38:39]
	s_and_saveexec_b64 s[38:39], s[40:41]
	s_cbranch_execz .LBB204_539
; %bb.553:                              ;   in Loop: Header=BB204_541 Depth=1
	v_mov_b32_e32 v0, s35
	v_add_co_u32_e32 v2, vcc, s34, v2
	v_addc_co_u32_e32 v3, vcc, v3, v0, vcc
	v_cmp_le_u64_e32 vcc, s[16:17], v[6:7]
	s_or_b64 s[42:43], s[42:43], exec
	s_orn2_b64 s[36:37], vcc, exec
	s_branch .LBB204_539
.LBB204_554:
	s_or_b64 s[6:7], s[6:7], exec
	s_trap 2
	s_branch .LBB204_516
.LBB204_555:
	s_or_b64 exec, exec, s[24:25]
	s_mov_b64 s[0:1], 0
	s_and_saveexec_b64 s[2:3], s[26:27]
	s_xor_b64 s[2:3], exec, s[2:3]
	s_cbranch_execnz .LBB204_561
.LBB204_556:
	s_or_b64 exec, exec, s[2:3]
	s_and_b64 s[2:3], s[0:1], exec
.LBB204_557:
	s_or_b64 exec, exec, s[22:23]
	s_and_b64 s[2:3], s[2:3], exec
	s_andn2_b64 s[4:5], s[4:5], exec
	s_or_b64 exec, exec, s[6:7]
	s_and_saveexec_b64 s[0:1], s[4:5]
	s_xor_b64 s[0:1], exec, s[0:1]
	s_cbranch_execz .LBB204_510
.LBB204_558:
	s_trap 2
	s_or_b64 s[2:3], s[2:3], exec
	s_branch .LBB204_510
.LBB204_559:
	s_or_b64 s[6:7], s[6:7], exec
	s_trap 2
	s_branch .LBB204_514
.LBB204_560:
	s_trap 2
	s_or_b64 s[6:7], s[6:7], exec
	s_branch .LBB204_512
.LBB204_561:
	s_mov_b64 s[0:1], exec
	s_trap 2
	s_branch .LBB204_556
	.section	.rodata,"a",@progbits
	.p2align	6, 0x0
	.amdhsa_kernel _ZN2at6native6sbtopk10gatherTopKIN3c104HalfEmLi1ELb0EEEvNS_4cuda6detail10TensorInfoIKT_T0_EESA_SA_bSA_SA_NS7_IS8_SA_EESA_NS7_IlSA_EESA_PS8_
		.amdhsa_group_segment_fixed_size 5152
		.amdhsa_private_segment_fixed_size 0
		.amdhsa_kernarg_size 1568
		.amdhsa_user_sgpr_count 6
		.amdhsa_user_sgpr_private_segment_buffer 1
		.amdhsa_user_sgpr_dispatch_ptr 0
		.amdhsa_user_sgpr_queue_ptr 0
		.amdhsa_user_sgpr_kernarg_segment_ptr 1
		.amdhsa_user_sgpr_dispatch_id 0
		.amdhsa_user_sgpr_flat_scratch_init 0
		.amdhsa_user_sgpr_private_segment_size 0
		.amdhsa_uses_dynamic_stack 0
		.amdhsa_system_sgpr_private_segment_wavefront_offset 0
		.amdhsa_system_sgpr_workgroup_id_x 1
		.amdhsa_system_sgpr_workgroup_id_y 1
		.amdhsa_system_sgpr_workgroup_id_z 1
		.amdhsa_system_sgpr_workgroup_info 0
		.amdhsa_system_vgpr_workitem_id 0
		.amdhsa_next_free_vgpr 53
		.amdhsa_next_free_sgpr 96
		.amdhsa_reserve_vcc 1
		.amdhsa_reserve_flat_scratch 0
		.amdhsa_float_round_mode_32 0
		.amdhsa_float_round_mode_16_64 0
		.amdhsa_float_denorm_mode_32 3
		.amdhsa_float_denorm_mode_16_64 3
		.amdhsa_dx10_clamp 1
		.amdhsa_ieee_mode 1
		.amdhsa_fp16_overflow 0
		.amdhsa_exception_fp_ieee_invalid_op 0
		.amdhsa_exception_fp_denorm_src 0
		.amdhsa_exception_fp_ieee_div_zero 0
		.amdhsa_exception_fp_ieee_overflow 0
		.amdhsa_exception_fp_ieee_underflow 0
		.amdhsa_exception_fp_ieee_inexact 0
		.amdhsa_exception_int_div_zero 0
	.end_amdhsa_kernel
	.section	.text._ZN2at6native6sbtopk10gatherTopKIN3c104HalfEmLi1ELb0EEEvNS_4cuda6detail10TensorInfoIKT_T0_EESA_SA_bSA_SA_NS7_IS8_SA_EESA_NS7_IlSA_EESA_PS8_,"axG",@progbits,_ZN2at6native6sbtopk10gatherTopKIN3c104HalfEmLi1ELb0EEEvNS_4cuda6detail10TensorInfoIKT_T0_EESA_SA_bSA_SA_NS7_IS8_SA_EESA_NS7_IlSA_EESA_PS8_,comdat
.Lfunc_end204:
	.size	_ZN2at6native6sbtopk10gatherTopKIN3c104HalfEmLi1ELb0EEEvNS_4cuda6detail10TensorInfoIKT_T0_EESA_SA_bSA_SA_NS7_IS8_SA_EESA_NS7_IlSA_EESA_PS8_, .Lfunc_end204-_ZN2at6native6sbtopk10gatherTopKIN3c104HalfEmLi1ELb0EEEvNS_4cuda6detail10TensorInfoIKT_T0_EESA_SA_bSA_SA_NS7_IS8_SA_EESA_NS7_IlSA_EESA_PS8_
                                        ; -- End function
	.set _ZN2at6native6sbtopk10gatherTopKIN3c104HalfEmLi1ELb0EEEvNS_4cuda6detail10TensorInfoIKT_T0_EESA_SA_bSA_SA_NS7_IS8_SA_EESA_NS7_IlSA_EESA_PS8_.num_vgpr, 53
	.set _ZN2at6native6sbtopk10gatherTopKIN3c104HalfEmLi1ELb0EEEvNS_4cuda6detail10TensorInfoIKT_T0_EESA_SA_bSA_SA_NS7_IS8_SA_EESA_NS7_IlSA_EESA_PS8_.num_agpr, 0
	.set _ZN2at6native6sbtopk10gatherTopKIN3c104HalfEmLi1ELb0EEEvNS_4cuda6detail10TensorInfoIKT_T0_EESA_SA_bSA_SA_NS7_IS8_SA_EESA_NS7_IlSA_EESA_PS8_.numbered_sgpr, 96
	.set _ZN2at6native6sbtopk10gatherTopKIN3c104HalfEmLi1ELb0EEEvNS_4cuda6detail10TensorInfoIKT_T0_EESA_SA_bSA_SA_NS7_IS8_SA_EESA_NS7_IlSA_EESA_PS8_.num_named_barrier, 0
	.set _ZN2at6native6sbtopk10gatherTopKIN3c104HalfEmLi1ELb0EEEvNS_4cuda6detail10TensorInfoIKT_T0_EESA_SA_bSA_SA_NS7_IS8_SA_EESA_NS7_IlSA_EESA_PS8_.private_seg_size, 0
	.set _ZN2at6native6sbtopk10gatherTopKIN3c104HalfEmLi1ELb0EEEvNS_4cuda6detail10TensorInfoIKT_T0_EESA_SA_bSA_SA_NS7_IS8_SA_EESA_NS7_IlSA_EESA_PS8_.uses_vcc, 1
	.set _ZN2at6native6sbtopk10gatherTopKIN3c104HalfEmLi1ELb0EEEvNS_4cuda6detail10TensorInfoIKT_T0_EESA_SA_bSA_SA_NS7_IS8_SA_EESA_NS7_IlSA_EESA_PS8_.uses_flat_scratch, 0
	.set _ZN2at6native6sbtopk10gatherTopKIN3c104HalfEmLi1ELb0EEEvNS_4cuda6detail10TensorInfoIKT_T0_EESA_SA_bSA_SA_NS7_IS8_SA_EESA_NS7_IlSA_EESA_PS8_.has_dyn_sized_stack, 0
	.set _ZN2at6native6sbtopk10gatherTopKIN3c104HalfEmLi1ELb0EEEvNS_4cuda6detail10TensorInfoIKT_T0_EESA_SA_bSA_SA_NS7_IS8_SA_EESA_NS7_IlSA_EESA_PS8_.has_recursion, 0
	.set _ZN2at6native6sbtopk10gatherTopKIN3c104HalfEmLi1ELb0EEEvNS_4cuda6detail10TensorInfoIKT_T0_EESA_SA_bSA_SA_NS7_IS8_SA_EESA_NS7_IlSA_EESA_PS8_.has_indirect_call, 0
	.section	.AMDGPU.csdata,"",@progbits
; Kernel info:
; codeLenInByte = 26644
; TotalNumSgprs: 100
; NumVgprs: 53
; ScratchSize: 0
; MemoryBound: 0
; FloatMode: 240
; IeeeMode: 1
; LDSByteSize: 5152 bytes/workgroup (compile time only)
; SGPRBlocks: 12
; VGPRBlocks: 13
; NumSGPRsForWavesPerEU: 100
; NumVGPRsForWavesPerEU: 53
; Occupancy: 4
; WaveLimiterHint : 1
; COMPUTE_PGM_RSRC2:SCRATCH_EN: 0
; COMPUTE_PGM_RSRC2:USER_SGPR: 6
; COMPUTE_PGM_RSRC2:TRAP_HANDLER: 0
; COMPUTE_PGM_RSRC2:TGID_X_EN: 1
; COMPUTE_PGM_RSRC2:TGID_Y_EN: 1
; COMPUTE_PGM_RSRC2:TGID_Z_EN: 1
; COMPUTE_PGM_RSRC2:TIDIG_COMP_CNT: 0
	.section	.text._ZN2at6native6mbtopk23computeBlockDigitCountsIN3c104HalfEmjLi2EEEvNS_4cuda6detail10TensorInfoIKT_T0_EEjPjjSA_iijT1_PSD_Ps,"axG",@progbits,_ZN2at6native6mbtopk23computeBlockDigitCountsIN3c104HalfEmjLi2EEEvNS_4cuda6detail10TensorInfoIKT_T0_EEjPjjSA_iijT1_PSD_Ps,comdat
	.protected	_ZN2at6native6mbtopk23computeBlockDigitCountsIN3c104HalfEmjLi2EEEvNS_4cuda6detail10TensorInfoIKT_T0_EEjPjjSA_iijT1_PSD_Ps ; -- Begin function _ZN2at6native6mbtopk23computeBlockDigitCountsIN3c104HalfEmjLi2EEEvNS_4cuda6detail10TensorInfoIKT_T0_EEjPjjSA_iijT1_PSD_Ps
	.globl	_ZN2at6native6mbtopk23computeBlockDigitCountsIN3c104HalfEmjLi2EEEvNS_4cuda6detail10TensorInfoIKT_T0_EEjPjjSA_iijT1_PSD_Ps
	.p2align	8
	.type	_ZN2at6native6mbtopk23computeBlockDigitCountsIN3c104HalfEmjLi2EEEvNS_4cuda6detail10TensorInfoIKT_T0_EEjPjjSA_iijT1_PSD_Ps,@function
_ZN2at6native6mbtopk23computeBlockDigitCountsIN3c104HalfEmjLi2EEEvNS_4cuda6detail10TensorInfoIKT_T0_EEjPjjSA_iijT1_PSD_Ps: ; @_ZN2at6native6mbtopk23computeBlockDigitCountsIN3c104HalfEmjLi2EEEvNS_4cuda6detail10TensorInfoIKT_T0_EEjPjjSA_iijT1_PSD_Ps
; %bb.0:
	s_load_dwordx4 s[0:3], s[4:5], 0x1c0
	s_load_dword s9, s[4:5], 0x1b0
	s_load_dwordx2 s[10:11], s[4:5], 0x1e0
	s_waitcnt lgkmcnt(0)
	v_cvt_f32_u32_e32 v1, s2
	s_mul_i32 s8, s11, s8
	s_add_i32 s7, s8, s7
	v_rcp_iflag_f32_e32 v1, v1
	s_mul_i32 s18, s7, s10
	s_sub_i32 s11, 0, s2
	s_add_i32 s18, s18, s6
	v_mul_f32_e32 v1, 0x4f7ffffe, v1
	v_cvt_u32_f32_e32 v1, v1
	v_readfirstlane_b32 s6, v1
	s_mul_i32 s11, s11, s6
	s_mul_hi_u32 s7, s6, s11
	s_add_i32 s6, s6, s7
	s_mul_hi_u32 s6, s18, s6
	s_mul_i32 s7, s6, s2
	s_sub_i32 s7, s18, s7
	s_add_i32 s8, s6, 1
	s_sub_i32 s10, s7, s2
	s_cmp_ge_u32 s7, s2
	s_cselect_b32 s6, s8, s6
	s_cselect_b32 s7, s10, s7
	s_add_i32 s8, s6, 1
	s_cmp_ge_u32 s7, s2
	s_cselect_b32 s6, s8, s6
	s_cmp_ge_u32 s6, s9
	s_mov_b32 s7, 0
	s_cbranch_scc1 .LBB205_23
; %bb.1:
	s_load_dwordx4 s[8:11], s[4:5], 0x1d0
	s_load_dwordx2 s[12:13], s[4:5], 0x10
	s_lshl_b64 s[14:15], s[6:7], 2
	s_waitcnt lgkmcnt(0)
	s_add_u32 s8, s8, s14
	v_mov_b32_e32 v1, s12
	v_mov_b32_e32 v2, s13
	v_cmp_lt_u64_e32 vcc, s[6:7], v[1:2]
	s_addc_u32 s9, s9, s15
	s_mov_b64 s[14:15], 0
	s_cbranch_vccnz .LBB205_3
; %bb.2:
	v_cvt_f32_u32_e32 v1, s12
	s_sub_i32 s7, 0, s12
	v_rcp_iflag_f32_e32 v1, v1
	v_mul_f32_e32 v1, 0x4f7ffffe, v1
	v_cvt_u32_f32_e32 v1, v1
	v_readfirstlane_b32 s14, v1
	s_mul_i32 s7, s7, s14
	s_mul_hi_u32 s7, s14, s7
	s_add_i32 s14, s14, s7
	s_mul_hi_u32 s7, s6, s14
	s_mul_i32 s15, s7, s12
	s_sub_i32 s15, s6, s15
	s_add_i32 s14, s7, 1
	s_sub_i32 s16, s15, s12
	s_cmp_ge_u32 s15, s12
	s_cselect_b32 s7, s14, s7
	s_cselect_b32 s15, s16, s15
	s_add_i32 s14, s7, 1
	s_cmp_ge_u32 s15, s12
	s_cselect_b32 s14, s14, s7
.LBB205_3:
	s_movk_i32 s7, 0x100
	v_cmp_gt_u32_e32 vcc, s7, v0
	v_lshlrev_b32_e32 v1, 2, v0
	s_and_saveexec_b64 s[16:17], vcc
; %bb.4:
	v_mov_b32_e32 v2, 0
	ds_write_b32 v1, v2
; %bb.5:
	s_or_b64 exec, exec, s[16:17]
	s_load_dword s15, s[4:5], 0x1a0
	s_mul_i32 s7, s6, s2
	s_sub_i32 s7, s18, s7
	s_add_i32 s19, s7, 1
	s_mul_i32 s7, s1, s7
	s_lshl_b32 s7, s7, 8
	s_waitcnt lgkmcnt(0)
	s_sub_i32 s16, s15, s7
	s_add_u32 s16, s16, 0xff
	s_addc_u32 s17, 0, 0
	s_lshr_b64 s[16:17], s[16:17], 8
	s_cmp_lt_u32 s19, s2
	s_cselect_b32 s16, s1, s16
	s_cmp_lt_i32 s16, 1
	s_mov_b32 s1, 0
	s_barrier
	s_cbranch_scc1 .LBB205_21
; %bb.6:
	s_load_dwordx2 s[24:25], s[4:5], 0x0
	s_load_dwordx4 s[20:23], s[4:5], 0xd0
	s_load_dword s2, s[8:9], 0x0
	s_mul_i32 s8, s14, s13
	s_mul_hi_u32 s9, s14, s12
	s_add_i32 s9, s9, s8
	s_mul_i32 s8, s14, s12
	s_sub_u32 s6, s6, s8
	s_subb_u32 s8, 0, s9
	s_waitcnt lgkmcnt(0)
	s_mul_i32 s9, s6, s23
	s_mul_hi_u32 s12, s6, s22
	s_add_i32 s9, s12, s9
	s_mul_i32 s8, s8, s22
	s_add_i32 s9, s9, s8
	s_mul_i32 s8, s6, s22
	s_mul_i32 s6, s14, s21
	s_mul_hi_u32 s12, s14, s20
	s_add_i32 s13, s12, s6
	s_mul_i32 s12, s14, s20
	s_lshl_b64 s[12:13], s[12:13], 1
	s_add_u32 s6, s24, s12
	s_load_dwordx2 s[4:5], s[4:5], 0x1b8
	s_addc_u32 s14, s25, s13
	s_lshl_b64 s[12:13], s[8:9], 1
	s_add_u32 s9, s6, s12
	s_addc_u32 s12, s14, s13
	s_and_b32 s8, s0, 0xff
	s_cmp_eq_u32 s16, 1
	v_add_u32_e32 v2, s7, v0
	s_cbranch_scc1 .LBB205_16
; %bb.7:
	s_and_b32 s13, s16, 0x7ffffffe
	s_mov_b32 s14, 0
	v_mov_b32_e32 v3, 1
	v_mov_b32_e32 v4, 0xffff
	;; [unrolled: 1-line block ×4, first 2 shown]
	s_branch .LBB205_9
.LBB205_8:                              ;   in Loop: Header=BB205_9 Depth=1
	s_or_b64 exec, exec, s[6:7]
	s_add_i32 s14, s14, 2
	s_cmp_eq_u32 s13, s14
	v_add_u32_e32 v6, 0x200, v6
	s_cbranch_scc1 .LBB205_15
.LBB205_9:                              ; =>This Inner Loop Header: Depth=1
	v_cmp_gt_u32_e64 s[0:1], s15, v6
	s_and_saveexec_b64 s[6:7], s[0:1]
	s_cbranch_execz .LBB205_12
; %bb.10:                               ;   in Loop: Header=BB205_9 Depth=1
	s_waitcnt lgkmcnt(0)
	v_mad_u64_u32 v[7:8], s[0:1], s4, v6, 0
	v_mad_u64_u32 v[8:9], s[0:1], s5, v6, v[8:9]
	v_mov_b32_e32 v9, s12
	v_lshlrev_b64 v[7:8], 1, v[7:8]
	v_add_co_u32_e64 v7, s[0:1], s9, v7
	v_addc_co_u32_e64 v8, s[0:1], v9, v8, s[0:1]
	global_load_ushort v7, v[7:8], off
	s_waitcnt vmcnt(0)
	v_cmp_lt_i16_e64 s[0:1], -1, v7
	v_cndmask_b32_e64 v8, v4, v5, s[0:1]
	v_xor_b32_sdwa v8, v8, v7 dst_sel:DWORD dst_unused:UNUSED_PAD src0_sel:DWORD src1_sel:WORD_0
	v_cmp_o_f16_e64 s[0:1], v7, v7
	v_cndmask_b32_e64 v7, v4, v8, s[0:1]
	v_xor_b32_e32 v8, s2, v7
	v_and_b32_e32 v8, s3, v8
	v_cmp_eq_u32_e64 s[0:1], 0, v8
	s_and_b64 exec, exec, s[0:1]
; %bb.11:                               ;   in Loop: Header=BB205_9 Depth=1
	v_bfe_u32 v7, v7, s8, 8
	v_lshlrev_b32_e32 v7, 2, v7
	ds_add_u32 v7, v3
.LBB205_12:                             ;   in Loop: Header=BB205_9 Depth=1
	s_or_b64 exec, exec, s[6:7]
	v_add_u32_e32 v7, 0x100, v6
	v_cmp_gt_u32_e64 s[0:1], s15, v7
	s_and_saveexec_b64 s[6:7], s[0:1]
	s_cbranch_execz .LBB205_8
; %bb.13:                               ;   in Loop: Header=BB205_9 Depth=1
	s_waitcnt lgkmcnt(0)
	v_mad_u64_u32 v[8:9], s[0:1], s4, v7, 0
	v_mad_u64_u32 v[9:10], s[0:1], s5, v7, v[9:10]
	v_mov_b32_e32 v10, s12
	v_lshlrev_b64 v[7:8], 1, v[8:9]
	v_add_co_u32_e64 v7, s[0:1], s9, v7
	v_addc_co_u32_e64 v8, s[0:1], v10, v8, s[0:1]
	global_load_ushort v7, v[7:8], off
	s_waitcnt vmcnt(0)
	v_cmp_lt_i16_e64 s[0:1], -1, v7
	v_cndmask_b32_e64 v8, v4, v5, s[0:1]
	v_xor_b32_sdwa v8, v8, v7 dst_sel:DWORD dst_unused:UNUSED_PAD src0_sel:DWORD src1_sel:WORD_0
	v_cmp_o_f16_e64 s[0:1], v7, v7
	v_cndmask_b32_e64 v7, v4, v8, s[0:1]
	v_xor_b32_e32 v8, s2, v7
	v_and_b32_e32 v8, s3, v8
	v_cmp_eq_u32_e64 s[0:1], 0, v8
	s_and_b64 exec, exec, s[0:1]
	s_cbranch_execz .LBB205_8
; %bb.14:                               ;   in Loop: Header=BB205_9 Depth=1
	v_bfe_u32 v7, v7, s8, 8
	v_lshlrev_b32_e32 v7, 2, v7
	ds_add_u32 v7, v3
	s_branch .LBB205_8
.LBB205_15:
	s_lshl_b32 s1, s13, 8
.LBB205_16:
	s_bitcmp0_b32 s16, 0
	s_cbranch_scc1 .LBB205_21
; %bb.17:
	v_add_u32_e32 v2, s1, v2
	v_cmp_gt_u32_e64 s[0:1], s15, v2
	s_and_saveexec_b64 s[6:7], s[0:1]
	s_cbranch_execz .LBB205_20
; %bb.18:
	s_waitcnt lgkmcnt(0)
	v_mad_u64_u32 v[3:4], s[0:1], s4, v2, 0
	v_mad_u64_u32 v[4:5], s[0:1], s5, v2, v[4:5]
	v_mov_b32_e32 v5, s12
	v_lshlrev_b64 v[2:3], 1, v[3:4]
	v_mov_b32_e32 v4, 0x8000
	v_add_co_u32_e64 v2, s[0:1], s9, v2
	v_addc_co_u32_e64 v3, s[0:1], v5, v3, s[0:1]
	global_load_ushort v2, v[2:3], off
	v_mov_b32_e32 v3, 0xffff
	s_waitcnt vmcnt(0)
	v_cmp_lt_i16_e64 s[0:1], -1, v2
	v_cndmask_b32_e64 v4, v3, v4, s[0:1]
	v_xor_b32_sdwa v4, v4, v2 dst_sel:DWORD dst_unused:UNUSED_PAD src0_sel:DWORD src1_sel:WORD_0
	v_cmp_o_f16_e64 s[0:1], v2, v2
	v_cndmask_b32_e64 v2, v3, v4, s[0:1]
	v_xor_b32_e32 v3, s2, v2
	v_and_b32_e32 v3, s3, v3
	v_cmp_eq_u32_e64 s[0:1], 0, v3
	s_and_b64 exec, exec, s[0:1]
; %bb.19:
	v_bfe_u32 v2, v2, s8, 8
	v_lshlrev_b32_e32 v2, 2, v2
	v_mov_b32_e32 v3, 1
	ds_add_u32 v2, v3
.LBB205_20:
	s_or_b64 exec, exec, s[6:7]
.LBB205_21:
	s_waitcnt lgkmcnt(0)
	s_barrier
	s_and_saveexec_b64 s[0:1], vcc
	s_cbranch_execz .LBB205_23
; %bb.22:
	v_lshl_or_b32 v2, s18, 8, v0
	v_mov_b32_e32 v3, 0
	ds_read_b32 v5, v1
	v_lshlrev_b64 v[2:3], 1, v[2:3]
	v_mov_b32_e32 v4, s11
	v_add_co_u32_e32 v0, vcc, s10, v2
	v_addc_co_u32_e32 v1, vcc, v4, v3, vcc
	s_waitcnt lgkmcnt(0)
	global_store_short v[0:1], v5, off
.LBB205_23:
	s_endpgm
	.section	.rodata,"a",@progbits
	.p2align	6, 0x0
	.amdhsa_kernel _ZN2at6native6mbtopk23computeBlockDigitCountsIN3c104HalfEmjLi2EEEvNS_4cuda6detail10TensorInfoIKT_T0_EEjPjjSA_iijT1_PSD_Ps
		.amdhsa_group_segment_fixed_size 1024
		.amdhsa_private_segment_fixed_size 0
		.amdhsa_kernarg_size 736
		.amdhsa_user_sgpr_count 6
		.amdhsa_user_sgpr_private_segment_buffer 1
		.amdhsa_user_sgpr_dispatch_ptr 0
		.amdhsa_user_sgpr_queue_ptr 0
		.amdhsa_user_sgpr_kernarg_segment_ptr 1
		.amdhsa_user_sgpr_dispatch_id 0
		.amdhsa_user_sgpr_flat_scratch_init 0
		.amdhsa_user_sgpr_private_segment_size 0
		.amdhsa_uses_dynamic_stack 0
		.amdhsa_system_sgpr_private_segment_wavefront_offset 0
		.amdhsa_system_sgpr_workgroup_id_x 1
		.amdhsa_system_sgpr_workgroup_id_y 1
		.amdhsa_system_sgpr_workgroup_id_z 1
		.amdhsa_system_sgpr_workgroup_info 0
		.amdhsa_system_vgpr_workitem_id 0
		.amdhsa_next_free_vgpr 11
		.amdhsa_next_free_sgpr 26
		.amdhsa_reserve_vcc 1
		.amdhsa_reserve_flat_scratch 0
		.amdhsa_float_round_mode_32 0
		.amdhsa_float_round_mode_16_64 0
		.amdhsa_float_denorm_mode_32 3
		.amdhsa_float_denorm_mode_16_64 3
		.amdhsa_dx10_clamp 1
		.amdhsa_ieee_mode 1
		.amdhsa_fp16_overflow 0
		.amdhsa_exception_fp_ieee_invalid_op 0
		.amdhsa_exception_fp_denorm_src 0
		.amdhsa_exception_fp_ieee_div_zero 0
		.amdhsa_exception_fp_ieee_overflow 0
		.amdhsa_exception_fp_ieee_underflow 0
		.amdhsa_exception_fp_ieee_inexact 0
		.amdhsa_exception_int_div_zero 0
	.end_amdhsa_kernel
	.section	.text._ZN2at6native6mbtopk23computeBlockDigitCountsIN3c104HalfEmjLi2EEEvNS_4cuda6detail10TensorInfoIKT_T0_EEjPjjSA_iijT1_PSD_Ps,"axG",@progbits,_ZN2at6native6mbtopk23computeBlockDigitCountsIN3c104HalfEmjLi2EEEvNS_4cuda6detail10TensorInfoIKT_T0_EEjPjjSA_iijT1_PSD_Ps,comdat
.Lfunc_end205:
	.size	_ZN2at6native6mbtopk23computeBlockDigitCountsIN3c104HalfEmjLi2EEEvNS_4cuda6detail10TensorInfoIKT_T0_EEjPjjSA_iijT1_PSD_Ps, .Lfunc_end205-_ZN2at6native6mbtopk23computeBlockDigitCountsIN3c104HalfEmjLi2EEEvNS_4cuda6detail10TensorInfoIKT_T0_EEjPjjSA_iijT1_PSD_Ps
                                        ; -- End function
	.set _ZN2at6native6mbtopk23computeBlockDigitCountsIN3c104HalfEmjLi2EEEvNS_4cuda6detail10TensorInfoIKT_T0_EEjPjjSA_iijT1_PSD_Ps.num_vgpr, 11
	.set _ZN2at6native6mbtopk23computeBlockDigitCountsIN3c104HalfEmjLi2EEEvNS_4cuda6detail10TensorInfoIKT_T0_EEjPjjSA_iijT1_PSD_Ps.num_agpr, 0
	.set _ZN2at6native6mbtopk23computeBlockDigitCountsIN3c104HalfEmjLi2EEEvNS_4cuda6detail10TensorInfoIKT_T0_EEjPjjSA_iijT1_PSD_Ps.numbered_sgpr, 26
	.set _ZN2at6native6mbtopk23computeBlockDigitCountsIN3c104HalfEmjLi2EEEvNS_4cuda6detail10TensorInfoIKT_T0_EEjPjjSA_iijT1_PSD_Ps.num_named_barrier, 0
	.set _ZN2at6native6mbtopk23computeBlockDigitCountsIN3c104HalfEmjLi2EEEvNS_4cuda6detail10TensorInfoIKT_T0_EEjPjjSA_iijT1_PSD_Ps.private_seg_size, 0
	.set _ZN2at6native6mbtopk23computeBlockDigitCountsIN3c104HalfEmjLi2EEEvNS_4cuda6detail10TensorInfoIKT_T0_EEjPjjSA_iijT1_PSD_Ps.uses_vcc, 1
	.set _ZN2at6native6mbtopk23computeBlockDigitCountsIN3c104HalfEmjLi2EEEvNS_4cuda6detail10TensorInfoIKT_T0_EEjPjjSA_iijT1_PSD_Ps.uses_flat_scratch, 0
	.set _ZN2at6native6mbtopk23computeBlockDigitCountsIN3c104HalfEmjLi2EEEvNS_4cuda6detail10TensorInfoIKT_T0_EEjPjjSA_iijT1_PSD_Ps.has_dyn_sized_stack, 0
	.set _ZN2at6native6mbtopk23computeBlockDigitCountsIN3c104HalfEmjLi2EEEvNS_4cuda6detail10TensorInfoIKT_T0_EEjPjjSA_iijT1_PSD_Ps.has_recursion, 0
	.set _ZN2at6native6mbtopk23computeBlockDigitCountsIN3c104HalfEmjLi2EEEvNS_4cuda6detail10TensorInfoIKT_T0_EEjPjjSA_iijT1_PSD_Ps.has_indirect_call, 0
	.section	.AMDGPU.csdata,"",@progbits
; Kernel info:
; codeLenInByte = 1192
; TotalNumSgprs: 30
; NumVgprs: 11
; ScratchSize: 0
; MemoryBound: 0
; FloatMode: 240
; IeeeMode: 1
; LDSByteSize: 1024 bytes/workgroup (compile time only)
; SGPRBlocks: 3
; VGPRBlocks: 2
; NumSGPRsForWavesPerEU: 30
; NumVGPRsForWavesPerEU: 11
; Occupancy: 10
; WaveLimiterHint : 1
; COMPUTE_PGM_RSRC2:SCRATCH_EN: 0
; COMPUTE_PGM_RSRC2:USER_SGPR: 6
; COMPUTE_PGM_RSRC2:TRAP_HANDLER: 0
; COMPUTE_PGM_RSRC2:TGID_X_EN: 1
; COMPUTE_PGM_RSRC2:TGID_Y_EN: 1
; COMPUTE_PGM_RSRC2:TGID_Z_EN: 1
; COMPUTE_PGM_RSRC2:TIDIG_COMP_CNT: 0
	.section	.text._ZN2at6native6mbtopk10gatherTopKIN3c104HalfEmLi2EEEvNS_4cuda6detail10TensorInfoIKT_T0_EESA_SA_bjSA_NS7_IS8_SA_EESA_NS7_IlSA_EESA_jjPS8_PjSF_j,"axG",@progbits,_ZN2at6native6mbtopk10gatherTopKIN3c104HalfEmLi2EEEvNS_4cuda6detail10TensorInfoIKT_T0_EESA_SA_bjSA_NS7_IS8_SA_EESA_NS7_IlSA_EESA_jjPS8_PjSF_j,comdat
	.protected	_ZN2at6native6mbtopk10gatherTopKIN3c104HalfEmLi2EEEvNS_4cuda6detail10TensorInfoIKT_T0_EESA_SA_bjSA_NS7_IS8_SA_EESA_NS7_IlSA_EESA_jjPS8_PjSF_j ; -- Begin function _ZN2at6native6mbtopk10gatherTopKIN3c104HalfEmLi2EEEvNS_4cuda6detail10TensorInfoIKT_T0_EESA_SA_bjSA_NS7_IS8_SA_EESA_NS7_IlSA_EESA_jjPS8_PjSF_j
	.globl	_ZN2at6native6mbtopk10gatherTopKIN3c104HalfEmLi2EEEvNS_4cuda6detail10TensorInfoIKT_T0_EESA_SA_bjSA_NS7_IS8_SA_EESA_NS7_IlSA_EESA_jjPS8_PjSF_j
	.p2align	8
	.type	_ZN2at6native6mbtopk10gatherTopKIN3c104HalfEmLi2EEEvNS_4cuda6detail10TensorInfoIKT_T0_EESA_SA_bjSA_NS7_IS8_SA_EESA_NS7_IlSA_EESA_jjPS8_PjSF_j,@function
_ZN2at6native6mbtopk10gatherTopKIN3c104HalfEmLi2EEEvNS_4cuda6detail10TensorInfoIKT_T0_EESA_SA_bjSA_NS7_IS8_SA_EESA_NS7_IlSA_EESA_jjPS8_PjSF_j: ; @_ZN2at6native6mbtopk10gatherTopKIN3c104HalfEmLi2EEEvNS_4cuda6detail10TensorInfoIKT_T0_EESA_SA_bjSA_NS7_IS8_SA_EESA_NS7_IlSA_EESA_jjPS8_PjSF_j
; %bb.0:
	s_load_dwordx2 s[0:1], s[4:5], 0x538
	s_load_dword s2, s[4:5], 0x530
	s_waitcnt lgkmcnt(0)
	s_mul_i32 s1, s1, s8
	s_add_i32 s1, s1, s7
	s_mul_i32 s0, s1, s0
	s_add_i32 s0, s0, s6
	s_cmp_ge_u32 s0, s2
	s_cbranch_scc1 .LBB206_48
; %bb.1:
	s_load_dwordx2 s[34:35], s[4:5], 0x510
	s_load_dwordx2 s[38:39], s[4:5], 0x1d0
	s_load_dwordx4 s[8:11], s[4:5], 0x1a0
	s_load_dwordx2 s[36:37], s[4:5], 0x10
	s_mov_b32 s7, 0
	s_waitcnt lgkmcnt(0)
	v_cvt_f32_u32_e32 v1, s35
	s_sub_i32 s2, 0, s35
	s_lshl_b32 s1, s34, 8
	v_rcp_iflag_f32_e32 v1, v1
	v_mul_f32_e32 v1, 0x4f7ffffe, v1
	v_cvt_u32_f32_e32 v1, v1
	v_readfirstlane_b32 s3, v1
	s_mul_i32 s2, s2, s3
	s_mul_hi_u32 s2, s3, s2
	s_add_i32 s3, s3, s2
	s_mul_hi_u32 s2, s0, s3
	s_mul_i32 s3, s2, s35
	s_sub_i32 s3, s0, s3
	s_add_i32 s6, s2, 1
	s_sub_i32 s12, s3, s35
	s_cmp_ge_u32 s3, s35
	s_cselect_b32 s2, s6, s2
	s_cselect_b32 s3, s12, s3
	s_add_i32 s6, s2, 1
	s_cmp_ge_u32 s3, s35
	s_cselect_b32 s6, s6, s2
	s_mul_i32 s20, s6, s35
	s_sub_i32 s28, s0, s20
	s_add_i32 s0, s28, 1
	s_cmp_lt_u32 s0, s35
	s_mul_i32 s33, s28, s1
	s_cbranch_scc1 .LBB206_3
; %bb.2:
	s_sub_u32 s0, s8, s33
	s_subb_u32 s1, s9, 0
	s_add_u32 s0, s0, 0xff
	s_addc_u32 s1, s1, 0
	s_ashr_i32 s2, s1, 31
	s_lshr_b32 s2, s2, 24
	s_add_u32 s0, s0, s2
	s_addc_u32 s1, s1, 0
	s_lshr_b64 s[0:1], s[0:1], 8
	s_mov_b32 s34, s0
.LBB206_3:
	s_load_dwordx2 s[40:41], s[4:5], 0x378
	v_mov_b32_e32 v1, s36
	v_mov_b32_e32 v2, s37
	v_cmp_lt_u64_e32 vcc, s[6:7], v[1:2]
	s_mov_b64 s[44:45], 0
	s_mov_b64 s[42:43], 0
	s_cbranch_vccnz .LBB206_5
; %bb.4:
	v_cvt_f32_u32_e32 v1, s36
	s_sub_i32 s0, 0, s36
	v_rcp_iflag_f32_e32 v1, v1
	v_mul_f32_e32 v1, 0x4f7ffffe, v1
	v_cvt_u32_f32_e32 v1, v1
	v_readfirstlane_b32 s1, v1
	s_mul_i32 s0, s0, s1
	s_mul_hi_u32 s0, s1, s0
	s_add_i32 s1, s1, s0
	s_mul_hi_u32 s0, s6, s1
	s_mul_i32 s2, s0, s36
	s_sub_i32 s2, s6, s2
	s_add_i32 s1, s0, 1
	s_sub_i32 s3, s2, s36
	s_cmp_ge_u32 s2, s36
	s_cselect_b32 s0, s1, s0
	s_cselect_b32 s2, s3, s2
	s_add_i32 s1, s0, 1
	s_cmp_ge_u32 s2, s36
	s_cselect_b32 s42, s1, s0
.LBB206_5:
	v_mov_b32_e32 v1, s38
	v_mov_b32_e32 v2, s39
	v_cmp_lt_u64_e32 vcc, s[6:7], v[1:2]
	s_cbranch_vccnz .LBB206_7
; %bb.6:
	v_cvt_f32_u32_e32 v1, s38
	s_sub_i32 s0, 0, s38
	v_rcp_iflag_f32_e32 v1, v1
	v_mul_f32_e32 v1, 0x4f7ffffe, v1
	v_cvt_u32_f32_e32 v1, v1
	v_readfirstlane_b32 s1, v1
	s_mul_i32 s0, s0, s1
	s_mul_hi_u32 s0, s1, s0
	s_add_i32 s1, s1, s0
	s_mul_hi_u32 s0, s6, s1
	s_mul_i32 s2, s0, s38
	s_sub_i32 s2, s6, s2
	s_add_i32 s1, s0, 1
	s_sub_i32 s3, s2, s38
	s_cmp_ge_u32 s2, s38
	s_cselect_b32 s0, s1, s0
	s_cselect_b32 s2, s3, s2
	s_add_i32 s1, s0, 1
	s_cmp_ge_u32 s2, s38
	s_cselect_b32 s44, s1, s0
.LBB206_7:
	s_waitcnt lgkmcnt(0)
	v_mov_b32_e32 v1, s40
	v_mov_b32_e32 v2, s41
	v_cmp_lt_u64_e32 vcc, s[6:7], v[1:2]
	s_mov_b64 s[46:47], 0
	s_cbranch_vccnz .LBB206_9
; %bb.8:
	v_cvt_f32_u32_e32 v1, s40
	s_sub_i32 s0, 0, s40
	v_rcp_iflag_f32_e32 v1, v1
	v_mul_f32_e32 v1, 0x4f7ffffe, v1
	v_cvt_u32_f32_e32 v1, v1
	v_readfirstlane_b32 s1, v1
	s_mul_i32 s0, s0, s1
	s_mul_hi_u32 s0, s1, s0
	s_add_i32 s1, s1, s0
	s_mul_hi_u32 s0, s6, s1
	s_mul_i32 s2, s0, s40
	s_sub_i32 s2, s6, s2
	s_add_i32 s1, s0, 1
	s_sub_i32 s3, s2, s40
	s_cmp_ge_u32 s2, s40
	s_cselect_b32 s0, s1, s0
	s_cselect_b32 s2, s3, s2
	s_add_i32 s1, s0, 1
	s_cmp_ge_u32 s2, s40
	s_cselect_b32 s46, s1, s0
.LBB206_9:
	s_load_dwordx4 s[12:15], s[4:5], 0x518
	s_load_dwordx2 s[48:49], s[4:5], 0x0
	s_lshl_b64 s[0:1], s[6:7], 1
	v_mov_b32_e32 v1, 0
	s_mov_b32 s21, 0
	s_waitcnt lgkmcnt(0)
	s_add_u32 s0, s12, s0
	s_addc_u32 s1, s13, s1
	global_load_ushort v1, v1, s[0:1]
	v_cmp_ne_u32_e64 s[0:1], 0, v0
	v_cmp_eq_u32_e64 s[2:3], 0, v0
	s_waitcnt vmcnt(0)
	v_readfirstlane_b32 s7, v1
	s_and_saveexec_b64 s[12:13], s[2:3]
	s_cbranch_execz .LBB206_25
; %bb.10:
	s_load_dwordx2 s[22:23], s[4:5], 0x528
	s_lshl_b64 s[24:25], s[20:21], 2
	s_add_u32 s16, s14, s24
	s_addc_u32 s17, s15, s25
	s_mov_b32 s20, 0
	s_waitcnt lgkmcnt(0)
	s_add_u32 s18, s22, s24
	s_addc_u32 s19, s23, s25
	s_mov_b32 s29, 0
	s_cmp_lt_u32 s35, 4
	s_cbranch_scc1 .LBB206_22
; %bb.11:
	s_mov_b32 s30, 0
.LBB206_12:                             ; =>This Inner Loop Header: Depth=1
	s_add_u32 s26, s14, s24
	s_addc_u32 s27, s15, s25
	s_load_dwordx4 s[16:19], s[26:27], 0x0
	s_add_u32 s26, s22, s24
	s_addc_u32 s27, s23, s25
	s_cmp_ge_u32 s30, s28
	s_cbranch_scc0 .LBB206_19
; %bb.13:                               ;   in Loop: Header=BB206_12 Depth=1
	s_add_i32 s31, s30, 1
	s_cmp_ge_u32 s31, s28
	s_cbranch_scc0 .LBB206_20
.LBB206_14:                             ;   in Loop: Header=BB206_12 Depth=1
	s_add_i32 s31, s31, 1
	s_cmp_ge_u32 s31, s28
	s_cbranch_scc0 .LBB206_21
.LBB206_15:                             ;   in Loop: Header=BB206_12 Depth=1
	s_add_i32 s31, s31, 1
	s_cmp_ge_u32 s31, s28
	s_cbranch_scc1 .LBB206_17
.LBB206_16:                             ;   in Loop: Header=BB206_12 Depth=1
	s_load_dword s26, s[26:27], 0xc
	s_waitcnt lgkmcnt(0)
	s_add_i32 s21, s21, s19
	s_add_i32 s20, s26, s20
.LBB206_17:                             ;   in Loop: Header=BB206_12 Depth=1
	s_waitcnt lgkmcnt(0)
	s_add_i32 s16, s16, s29
	s_add_i32 s16, s16, s17
	s_add_i32 s16, s16, s18
	s_add_i32 s29, s16, s19
	s_add_u32 s14, s14, 16
	s_addc_u32 s15, s15, 0
	s_add_u32 s22, s22, 16
	s_addc_u32 s23, s23, 0
	s_add_i32 s27, s31, 4
	s_add_u32 s18, s22, s24
	s_addc_u32 s19, s23, s25
	s_add_u32 s16, s14, s24
	s_addc_u32 s17, s15, s25
	s_add_i32 s26, s31, 1
	s_cmp_ge_u32 s27, s35
	s_cbranch_scc1 .LBB206_23
; %bb.18:                               ;   in Loop: Header=BB206_12 Depth=1
	s_mov_b32 s30, s26
	s_branch .LBB206_12
.LBB206_19:                             ;   in Loop: Header=BB206_12 Depth=1
	s_load_dword s31, s[26:27], 0x0
	s_waitcnt lgkmcnt(0)
	s_add_i32 s21, s16, s21
	s_add_i32 s20, s31, s20
	;; [unrolled: 1-line block ×3, first 2 shown]
	s_cmp_ge_u32 s31, s28
	s_cbranch_scc1 .LBB206_14
.LBB206_20:                             ;   in Loop: Header=BB206_12 Depth=1
	s_load_dword s43, s[26:27], 0x4
	s_waitcnt lgkmcnt(0)
	s_add_i32 s21, s21, s17
	s_add_i32 s20, s43, s20
	;; [unrolled: 1-line block ×3, first 2 shown]
	s_cmp_ge_u32 s31, s28
	s_cbranch_scc1 .LBB206_15
.LBB206_21:                             ;   in Loop: Header=BB206_12 Depth=1
	s_load_dword s43, s[26:27], 0x8
	s_waitcnt lgkmcnt(0)
	s_add_i32 s21, s21, s18
	s_add_i32 s20, s43, s20
	;; [unrolled: 1-line block ×3, first 2 shown]
	s_cmp_ge_u32 s31, s28
	s_cbranch_scc0 .LBB206_16
	s_branch .LBB206_17
.LBB206_22:
	s_mov_b32 s14, 0
	s_cmp_ge_u32 s14, s35
	s_cbranch_scc0 .LBB206_46
	s_branch .LBB206_24
.LBB206_23:
	s_add_i32 s14, s30, 4
	s_cmp_ge_u32 s14, s35
	s_cbranch_scc0 .LBB206_46
.LBB206_24:
	v_mov_b32_e32 v1, s20
	v_mov_b32_e32 v2, s29
	;; [unrolled: 1-line block ×4, first 2 shown]
	ds_write_b96 v4, v[1:3] offset:1056
.LBB206_25:
	s_or_b64 exec, exec, s[12:13]
	s_load_dwordx4 s[12:15], s[4:5], 0x1b8
	s_load_dwordx4 s[24:27], s[4:5], 0xd0
	;; [unrolled: 1-line block ×5, first 2 shown]
	s_cmp_eq_u32 s34, 0
	s_waitcnt lgkmcnt(0)
	s_barrier
	s_cbranch_scc1 .LBB206_48
; %bb.26:
	s_mul_i32 s35, s44, s39
	s_mul_hi_u32 s39, s44, s38
	s_add_i32 s39, s39, s35
	s_mul_i32 s35, s44, s38
	s_sub_u32 s35, s6, s35
	s_subb_u32 s38, 0, s39
	s_mul_i32 s31, s35, s31
	s_mul_hi_u32 s39, s35, s30
	s_mul_i32 s38, s38, s30
	s_mul_i32 s30, s35, s30
	;; [unrolled: 1-line block ×3, first 2 shown]
	s_mul_hi_u32 s35, s44, s28
	s_add_i32 s31, s39, s31
	s_add_i32 s29, s35, s29
	s_mul_i32 s35, s42, s37
	s_mul_hi_u32 s37, s42, s36
	s_add_i32 s31, s31, s38
	s_add_i32 s37, s37, s35
	s_mul_i32 s35, s42, s36
	s_sub_u32 s35, s6, s35
	s_subb_u32 s36, 0, s37
	s_mul_i32 s27, s35, s27
	s_mul_hi_u32 s37, s35, s26
	s_add_i32 s27, s37, s27
	s_mul_i32 s36, s36, s26
	s_mul_i32 s26, s35, s26
	;; [unrolled: 1-line block ×3, first 2 shown]
	s_mul_hi_u32 s35, s42, s24
	s_add_i32 s27, s27, s36
	s_add_i32 s25, s35, s25
	s_mul_i32 s35, s46, s41
	s_mul_hi_u32 s36, s46, s40
	s_add_i32 s36, s36, s35
	s_mul_i32 s35, s46, s40
	s_sub_u32 s6, s6, s35
	s_subb_u32 s35, 0, s36
	s_mul_i32 s23, s6, s23
	s_mul_hi_u32 s36, s6, s22
	s_mul_i32 s24, s42, s24
	s_add_i32 s23, s36, s23
	s_mul_i32 s35, s35, s22
	s_mul_i32 s36, s6, s22
	;; [unrolled: 1-line block ×3, first 2 shown]
	s_mul_hi_u32 s21, s46, s20
	s_add_i32 s37, s23, s35
	s_add_i32 s39, s21, s6
	s_mul_i32 s38, s46, s20
	s_lshl_b64 s[20:21], s[24:25], 1
	s_add_u32 s6, s48, s20
	s_addc_u32 s22, s49, s21
	s_lshl_b64 s[20:21], s[26:27], 1
	s_mul_i32 s28, s44, s28
	s_add_u32 s20, s6, s20
	s_addc_u32 s21, s22, s21
	s_lshl_b64 s[22:23], s[28:29], 1
	s_add_u32 s6, s14, s22
	s_addc_u32 s23, s15, s23
	s_lshl_b64 s[14:15], s[30:31], 1
	;; [unrolled: 3-line block ×4, first 2 shown]
	v_mov_b32_e32 v5, 0
	s_add_u32 s24, s6, s14
	ds_read_b96 v[1:3], v5 offset:1056
	s_addc_u32 s25, s18, s15
	s_and_b32 s14, 0xffff, s7
	s_sext_i32_i16 s6, s7
	s_cmp_gt_i32 s6, -1
	s_mov_b32 s6, 0x8000
	s_cselect_b32 s15, s6, 0xffff
	v_cmp_o_f16_e64 s[6:7], s7, s7
	s_xor_b32 s14, s15, s14
	s_and_b64 s[6:7], s[6:7], exec
	s_waitcnt lgkmcnt(0)
	v_add_u32_e32 v1, v1, v2
	v_lshrrev_b32_e32 v2, 3, v0
	s_load_dword s6, s[4:5], 0x1b0
	v_and_b32_e32 v2, 28, v2
	v_lshl_add_u32 v8, v0, 2, v2
	v_lshrrev_b32_e32 v2, 1, v0
	s_cselect_b32 s26, s14, 0xffff
	s_load_dwordx2 s[14:15], s[4:5], 0x508
	v_and_b32_e32 v9, 0x7c, v2
	v_add_u32_e32 v2, -1, v0
	v_lshrrev_b32_e32 v4, 3, v2
	v_and_b32_e32 v4, 0x1ffffffc, v4
	s_waitcnt lgkmcnt(0)
	s_bitcmp1_b32 s6, 0
	v_lshl_add_u32 v11, v2, 2, v4
	v_mbcnt_lo_u32_b32 v2, -1, 0
	s_cselect_b64 s[4:5], -1, 0
	v_cmp_gt_u32_e64 s[6:7], 64, v0
	v_lshlrev_b32_e32 v10, 4, v0
	v_add_u32_e32 v4, s33, v0
	v_mov_b32_e32 v0, 0xffff
	v_mov_b32_e32 v12, 0x8000
	v_mbcnt_hi_u32_b32 v13, -1, v2
                                        ; implicit-def: $vgpr14
	s_branch .LBB206_29
.LBB206_27:                             ;   in Loop: Header=BB206_29 Depth=1
	s_or_b64 exec, exec, s[18:19]
	v_add_u32_e32 v1, v2, v1
.LBB206_28:                             ;   in Loop: Header=BB206_29 Depth=1
	s_add_i32 s34, s34, -1
	v_add_u32_e32 v3, v15, v3
	s_cmp_lg_u32 s34, 0
	v_add_u32_e32 v4, 0x100, v4
	s_cbranch_scc0 .LBB206_48
.LBB206_29:                             ; =>This Inner Loop Header: Depth=1
	v_cmp_gt_u64_e32 vcc, s[8:9], v[4:5]
	v_mov_b32_e32 v2, v5
	v_mov_b32_e32 v6, v5
	s_and_saveexec_b64 s[18:19], vcc
	s_cbranch_execz .LBB206_31
; %bb.30:                               ;   in Loop: Header=BB206_29 Depth=1
	v_mad_u64_u32 v[6:7], s[28:29], s12, v4, 0
	v_mov_b32_e32 v2, v7
	v_mad_u64_u32 v[14:15], s[28:29], s13, v4, v[2:3]
	v_mov_b32_e32 v2, s21
	v_mov_b32_e32 v7, v14
	v_lshlrev_b64 v[6:7], 1, v[6:7]
	v_add_co_u32_e32 v6, vcc, s20, v6
	v_addc_co_u32_e32 v7, vcc, v2, v7, vcc
	global_load_ushort v14, v[6:7], off
	s_waitcnt vmcnt(0)
	v_cmp_lt_i16_e32 vcc, -1, v14
	v_cndmask_b32_e32 v2, v0, v12, vcc
	v_xor_b32_sdwa v2, v2, v14 dst_sel:DWORD dst_unused:UNUSED_PAD src0_sel:DWORD src1_sel:WORD_0
	v_cmp_o_f16_e32 vcc, v14, v14
	v_cndmask_b32_e32 v6, v0, v2, vcc
	v_cmp_lt_u32_e32 vcc, s26, v6
	v_cndmask_b32_e64 v2, 0, 1, vcc
	v_cmp_gt_u32_e32 vcc, s26, v6
	v_cndmask_b32_e64 v7, 0, 1, vcc
	v_cndmask_b32_e64 v2, v7, v2, s[4:5]
	v_cmp_eq_u32_e32 vcc, s26, v6
	v_and_b32_e32 v2, 1, v2
	v_cndmask_b32_e64 v6, 0, 1, vcc
.LBB206_31:                             ;   in Loop: Header=BB206_29 Depth=1
	s_or_b64 exec, exec, s[18:19]
	ds_write_b32 v8, v2
	s_waitcnt vmcnt(0) lgkmcnt(0)
	s_barrier
	s_and_saveexec_b64 s[18:19], s[6:7]
	s_cbranch_execz .LBB206_33
; %bb.32:                               ;   in Loop: Header=BB206_29 Depth=1
	v_add_u32_e32 v7, v9, v10
	ds_read2_b32 v[15:16], v7 offset1:1
	ds_read2_b32 v[17:18], v7 offset0:2 offset1:3
	v_and_b32_e32 v19, 15, v13
	v_cmp_ne_u32_e32 vcc, 0, v19
	s_waitcnt lgkmcnt(1)
	v_add_u32_e32 v16, v16, v15
	s_waitcnt lgkmcnt(0)
	v_add3_u32 v16, v16, v17, v18
	v_bfe_i32 v18, v13, 4, 1
	; wave barrier
	s_nop 0
	v_mov_b32_dpp v17, v16 row_shr:1 row_mask:0xf bank_mask:0xf
	v_cndmask_b32_e32 v17, 0, v17, vcc
	v_add_u32_e32 v16, v17, v16
	v_cmp_lt_u32_e32 vcc, 1, v19
	s_nop 0
	v_mov_b32_dpp v17, v16 row_shr:2 row_mask:0xf bank_mask:0xf
	v_cndmask_b32_e32 v17, 0, v17, vcc
	v_add_u32_e32 v16, v16, v17
	v_cmp_lt_u32_e32 vcc, 3, v19
	;; [unrolled: 5-line block ×4, first 2 shown]
	s_nop 0
	v_mov_b32_dpp v17, v16 row_bcast:15 row_mask:0xf bank_mask:0xf
	v_and_b32_e32 v17, v18, v17
	v_add_u32_e32 v16, v16, v17
	v_and_b32_e32 v18, 64, v13
	s_nop 0
	v_mov_b32_dpp v17, v16 row_bcast:31 row_mask:0xf bank_mask:0xf
	v_cndmask_b32_e32 v17, 0, v17, vcc
	v_add_u32_e32 v16, v16, v17
	v_add_u32_e32 v17, -1, v13
	v_cmp_lt_i32_e32 vcc, v17, v18
	v_cndmask_b32_e32 v17, v17, v13, vcc
	v_lshlrev_b32_e32 v17, 2, v17
	ds_bpermute_b32 v16, v17, v16
	s_waitcnt lgkmcnt(0)
	v_add_u32_e32 v15, v16, v15
	v_cndmask_b32_e64 v17, v15, v2, s[2:3]
	ds_write_b32 v7, v17
	; wave barrier
	ds_read2_b32 v[15:16], v7 offset0:1 offset1:2
	ds_read_b32 v18, v7 offset:12
	s_waitcnt lgkmcnt(1)
	v_add_u32_e32 v15, v15, v17
	v_add_u32_e32 v16, v16, v15
	ds_write2_b32 v7, v15, v16 offset0:1 offset1:2
	s_waitcnt lgkmcnt(1)
	v_add_u32_e32 v15, v18, v16
	ds_write_b32 v7, v15 offset:12
.LBB206_33:                             ;   in Loop: Header=BB206_29 Depth=1
	s_or_b64 exec, exec, s[18:19]
	v_mov_b32_e32 v7, 0
	s_waitcnt lgkmcnt(0)
	s_barrier
	s_and_saveexec_b64 s[18:19], s[0:1]
; %bb.34:                               ;   in Loop: Header=BB206_29 Depth=1
	ds_read_b32 v7, v11
; %bb.35:                               ;   in Loop: Header=BB206_29 Depth=1
	s_or_b64 exec, exec, s[18:19]
	ds_read_b32 v15, v5 offset:1048
	v_cmp_ne_u32_e32 vcc, 0, v2
	s_waitcnt lgkmcnt(0)
	s_barrier
	s_and_saveexec_b64 s[18:19], vcc
	s_cbranch_execz .LBB206_37
; %bb.36:                               ;   in Loop: Header=BB206_29 Depth=1
	v_add_u32_e32 v7, v7, v3
	v_mad_u64_u32 v[16:17], s[28:29], s16, v7, 0
	v_mad_u64_u32 v[18:19], s[28:29], s14, v7, 0
	v_mov_b32_e32 v2, v17
	v_mad_u64_u32 v[20:21], s[28:29], s17, v7, v[2:3]
	v_mov_b32_e32 v2, v19
	v_mov_b32_e32 v21, s23
	;; [unrolled: 1-line block ×3, first 2 shown]
	v_lshlrev_b64 v[16:17], 1, v[16:17]
	v_mad_u64_u32 v[19:20], s[28:29], s15, v7, v[2:3]
	v_add_co_u32_e32 v16, vcc, s22, v16
	v_addc_co_u32_e32 v17, vcc, v21, v17, vcc
	global_store_short v[16:17], v14, off
	v_lshlrev_b64 v[16:17], 3, v[18:19]
	v_mov_b32_e32 v2, s25
	v_add_co_u32_e32 v16, vcc, s24, v16
	v_addc_co_u32_e32 v17, vcc, v2, v17, vcc
	global_store_dwordx2 v[16:17], v[4:5], off
.LBB206_37:                             ;   in Loop: Header=BB206_29 Depth=1
	s_or_b64 exec, exec, s[18:19]
	v_mov_b32_e32 v2, v5
	v_cmp_le_u64_e32 vcc, s[10:11], v[1:2]
	s_cbranch_vccnz .LBB206_28
; %bb.38:                               ;   in Loop: Header=BB206_29 Depth=1
	ds_write_b32 v8, v6
	s_waitcnt vmcnt(0) lgkmcnt(0)
	s_barrier
	s_and_saveexec_b64 s[18:19], s[6:7]
	s_cbranch_execz .LBB206_40
; %bb.39:                               ;   in Loop: Header=BB206_29 Depth=1
	v_add_u32_e32 v2, v9, v10
	ds_read2_b32 v[16:17], v2 offset1:1
	ds_read2_b32 v[18:19], v2 offset0:2 offset1:3
	v_and_b32_e32 v7, 15, v13
	v_cmp_ne_u32_e32 vcc, 0, v7
	s_waitcnt lgkmcnt(1)
	v_add_u32_e32 v17, v17, v16
	s_waitcnt lgkmcnt(0)
	v_add3_u32 v17, v17, v18, v19
	; wave barrier
	s_nop 1
	v_mov_b32_dpp v18, v17 row_shr:1 row_mask:0xf bank_mask:0xf
	v_cndmask_b32_e32 v18, 0, v18, vcc
	v_add_u32_e32 v17, v18, v17
	v_cmp_lt_u32_e32 vcc, 1, v7
	s_nop 0
	v_mov_b32_dpp v18, v17 row_shr:2 row_mask:0xf bank_mask:0xf
	v_cndmask_b32_e32 v18, 0, v18, vcc
	v_add_u32_e32 v17, v17, v18
	v_cmp_lt_u32_e32 vcc, 3, v7
	;; [unrolled: 5-line block ×3, first 2 shown]
	s_nop 0
	v_mov_b32_dpp v18, v17 row_shr:8 row_mask:0xf bank_mask:0xf
	v_cndmask_b32_e32 v7, 0, v18, vcc
	v_add_u32_e32 v7, v17, v7
	v_bfe_i32 v18, v13, 4, 1
	v_cmp_lt_u32_e32 vcc, 31, v13
	v_mov_b32_dpp v17, v7 row_bcast:15 row_mask:0xf bank_mask:0xf
	v_and_b32_e32 v17, v18, v17
	v_add_u32_e32 v7, v7, v17
	v_and_b32_e32 v18, 64, v13
	s_nop 0
	v_mov_b32_dpp v17, v7 row_bcast:31 row_mask:0xf bank_mask:0xf
	v_cndmask_b32_e32 v17, 0, v17, vcc
	v_add_u32_e32 v7, v7, v17
	v_add_u32_e32 v17, -1, v13
	v_cmp_lt_i32_e32 vcc, v17, v18
	v_cndmask_b32_e32 v17, v17, v13, vcc
	v_lshlrev_b32_e32 v17, 2, v17
	ds_bpermute_b32 v7, v17, v7
	s_waitcnt lgkmcnt(0)
	v_add_u32_e32 v7, v7, v16
	v_cndmask_b32_e64 v7, v7, v6, s[2:3]
	ds_write_b32 v2, v7
	; wave barrier
	ds_read2_b32 v[16:17], v2 offset0:1 offset1:2
	ds_read_b32 v18, v2 offset:12
	s_waitcnt lgkmcnt(1)
	v_add_u32_e32 v7, v16, v7
	v_add_u32_e32 v16, v17, v7
	ds_write2_b32 v2, v7, v16 offset0:1 offset1:2
	s_waitcnt lgkmcnt(1)
	v_add_u32_e32 v7, v18, v16
	ds_write_b32 v2, v7 offset:12
.LBB206_40:                             ;   in Loop: Header=BB206_29 Depth=1
	s_or_b64 exec, exec, s[18:19]
	v_mov_b32_e32 v7, 0
	s_waitcnt lgkmcnt(0)
	s_barrier
	s_and_saveexec_b64 s[18:19], s[0:1]
; %bb.41:                               ;   in Loop: Header=BB206_29 Depth=1
	ds_read_b32 v7, v11
; %bb.42:                               ;   in Loop: Header=BB206_29 Depth=1
	s_or_b64 exec, exec, s[18:19]
	ds_read_b32 v2, v5 offset:1048
	v_cmp_ne_u32_e32 vcc, 0, v6
	s_waitcnt lgkmcnt(0)
	s_barrier
	s_and_saveexec_b64 s[18:19], vcc
	s_cbranch_execz .LBB206_27
; %bb.43:                               ;   in Loop: Header=BB206_29 Depth=1
	v_add_u32_e32 v6, v7, v1
	v_mov_b32_e32 v7, v5
	v_cmp_gt_u64_e32 vcc, s[10:11], v[6:7]
	s_and_b64 exec, exec, vcc
	s_cbranch_execz .LBB206_27
; %bb.44:                               ;   in Loop: Header=BB206_29 Depth=1
	v_mad_u64_u32 v[16:17], s[28:29], s16, v6, 0
	v_mad_u64_u32 v[18:19], s[28:29], s14, v6, 0
	v_mov_b32_e32 v7, v17
	v_mad_u64_u32 v[20:21], s[28:29], s17, v6, v[7:8]
	v_mov_b32_e32 v7, v19
	v_mad_u64_u32 v[6:7], s[28:29], s15, v6, v[7:8]
	v_mov_b32_e32 v17, v20
	v_lshlrev_b64 v[16:17], 1, v[16:17]
	v_mov_b32_e32 v19, v6
	v_mov_b32_e32 v21, s23
	v_add_co_u32_e32 v16, vcc, s22, v16
	v_lshlrev_b64 v[6:7], 3, v[18:19]
	v_addc_co_u32_e32 v17, vcc, v21, v17, vcc
	global_store_short v[16:17], v14, off
	v_mov_b32_e32 v16, s25
	v_add_co_u32_e32 v6, vcc, s24, v6
	v_addc_co_u32_e32 v7, vcc, v16, v7, vcc
	global_store_dwordx2 v[6:7], v[4:5], off
	s_branch .LBB206_27
.LBB206_45:                             ;   in Loop: Header=BB206_46 Depth=1
	s_add_u32 s16, s16, 4
	s_addc_u32 s17, s17, 0
	s_waitcnt lgkmcnt(0)
	s_add_i32 s29, s15, s29
	s_add_u32 s18, s18, 4
	s_addc_u32 s19, s19, 0
	s_add_i32 s14, s14, 1
	s_cmp_lt_u32 s14, s35
	s_cbranch_scc0 .LBB206_24
.LBB206_46:                             ; =>This Inner Loop Header: Depth=1
	s_load_dword s15, s[16:17], 0x0
	s_cmp_ge_u32 s14, s28
	s_cbranch_scc1 .LBB206_45
; %bb.47:                               ;   in Loop: Header=BB206_46 Depth=1
	s_load_dword s22, s[18:19], 0x0
	s_waitcnt lgkmcnt(0)
	s_add_i32 s21, s15, s21
	s_add_i32 s20, s22, s20
	s_branch .LBB206_45
.LBB206_48:
	s_endpgm
	.section	.rodata,"a",@progbits
	.p2align	6, 0x0
	.amdhsa_kernel _ZN2at6native6mbtopk10gatherTopKIN3c104HalfEmLi2EEEvNS_4cuda6detail10TensorInfoIKT_T0_EESA_SA_bjSA_NS7_IS8_SA_EESA_NS7_IlSA_EESA_jjPS8_PjSF_j
		.amdhsa_group_segment_fixed_size 1068
		.amdhsa_private_segment_fixed_size 0
		.amdhsa_kernarg_size 1592
		.amdhsa_user_sgpr_count 6
		.amdhsa_user_sgpr_private_segment_buffer 1
		.amdhsa_user_sgpr_dispatch_ptr 0
		.amdhsa_user_sgpr_queue_ptr 0
		.amdhsa_user_sgpr_kernarg_segment_ptr 1
		.amdhsa_user_sgpr_dispatch_id 0
		.amdhsa_user_sgpr_flat_scratch_init 0
		.amdhsa_user_sgpr_private_segment_size 0
		.amdhsa_uses_dynamic_stack 0
		.amdhsa_system_sgpr_private_segment_wavefront_offset 0
		.amdhsa_system_sgpr_workgroup_id_x 1
		.amdhsa_system_sgpr_workgroup_id_y 1
		.amdhsa_system_sgpr_workgroup_id_z 1
		.amdhsa_system_sgpr_workgroup_info 0
		.amdhsa_system_vgpr_workitem_id 0
		.amdhsa_next_free_vgpr 22
		.amdhsa_next_free_sgpr 50
		.amdhsa_reserve_vcc 1
		.amdhsa_reserve_flat_scratch 0
		.amdhsa_float_round_mode_32 0
		.amdhsa_float_round_mode_16_64 0
		.amdhsa_float_denorm_mode_32 3
		.amdhsa_float_denorm_mode_16_64 3
		.amdhsa_dx10_clamp 1
		.amdhsa_ieee_mode 1
		.amdhsa_fp16_overflow 0
		.amdhsa_exception_fp_ieee_invalid_op 0
		.amdhsa_exception_fp_denorm_src 0
		.amdhsa_exception_fp_ieee_div_zero 0
		.amdhsa_exception_fp_ieee_overflow 0
		.amdhsa_exception_fp_ieee_underflow 0
		.amdhsa_exception_fp_ieee_inexact 0
		.amdhsa_exception_int_div_zero 0
	.end_amdhsa_kernel
	.section	.text._ZN2at6native6mbtopk10gatherTopKIN3c104HalfEmLi2EEEvNS_4cuda6detail10TensorInfoIKT_T0_EESA_SA_bjSA_NS7_IS8_SA_EESA_NS7_IlSA_EESA_jjPS8_PjSF_j,"axG",@progbits,_ZN2at6native6mbtopk10gatherTopKIN3c104HalfEmLi2EEEvNS_4cuda6detail10TensorInfoIKT_T0_EESA_SA_bjSA_NS7_IS8_SA_EESA_NS7_IlSA_EESA_jjPS8_PjSF_j,comdat
.Lfunc_end206:
	.size	_ZN2at6native6mbtopk10gatherTopKIN3c104HalfEmLi2EEEvNS_4cuda6detail10TensorInfoIKT_T0_EESA_SA_bjSA_NS7_IS8_SA_EESA_NS7_IlSA_EESA_jjPS8_PjSF_j, .Lfunc_end206-_ZN2at6native6mbtopk10gatherTopKIN3c104HalfEmLi2EEEvNS_4cuda6detail10TensorInfoIKT_T0_EESA_SA_bjSA_NS7_IS8_SA_EESA_NS7_IlSA_EESA_jjPS8_PjSF_j
                                        ; -- End function
	.set _ZN2at6native6mbtopk10gatherTopKIN3c104HalfEmLi2EEEvNS_4cuda6detail10TensorInfoIKT_T0_EESA_SA_bjSA_NS7_IS8_SA_EESA_NS7_IlSA_EESA_jjPS8_PjSF_j.num_vgpr, 22
	.set _ZN2at6native6mbtopk10gatherTopKIN3c104HalfEmLi2EEEvNS_4cuda6detail10TensorInfoIKT_T0_EESA_SA_bjSA_NS7_IS8_SA_EESA_NS7_IlSA_EESA_jjPS8_PjSF_j.num_agpr, 0
	.set _ZN2at6native6mbtopk10gatherTopKIN3c104HalfEmLi2EEEvNS_4cuda6detail10TensorInfoIKT_T0_EESA_SA_bjSA_NS7_IS8_SA_EESA_NS7_IlSA_EESA_jjPS8_PjSF_j.numbered_sgpr, 50
	.set _ZN2at6native6mbtopk10gatherTopKIN3c104HalfEmLi2EEEvNS_4cuda6detail10TensorInfoIKT_T0_EESA_SA_bjSA_NS7_IS8_SA_EESA_NS7_IlSA_EESA_jjPS8_PjSF_j.num_named_barrier, 0
	.set _ZN2at6native6mbtopk10gatherTopKIN3c104HalfEmLi2EEEvNS_4cuda6detail10TensorInfoIKT_T0_EESA_SA_bjSA_NS7_IS8_SA_EESA_NS7_IlSA_EESA_jjPS8_PjSF_j.private_seg_size, 0
	.set _ZN2at6native6mbtopk10gatherTopKIN3c104HalfEmLi2EEEvNS_4cuda6detail10TensorInfoIKT_T0_EESA_SA_bjSA_NS7_IS8_SA_EESA_NS7_IlSA_EESA_jjPS8_PjSF_j.uses_vcc, 1
	.set _ZN2at6native6mbtopk10gatherTopKIN3c104HalfEmLi2EEEvNS_4cuda6detail10TensorInfoIKT_T0_EESA_SA_bjSA_NS7_IS8_SA_EESA_NS7_IlSA_EESA_jjPS8_PjSF_j.uses_flat_scratch, 0
	.set _ZN2at6native6mbtopk10gatherTopKIN3c104HalfEmLi2EEEvNS_4cuda6detail10TensorInfoIKT_T0_EESA_SA_bjSA_NS7_IS8_SA_EESA_NS7_IlSA_EESA_jjPS8_PjSF_j.has_dyn_sized_stack, 0
	.set _ZN2at6native6mbtopk10gatherTopKIN3c104HalfEmLi2EEEvNS_4cuda6detail10TensorInfoIKT_T0_EESA_SA_bjSA_NS7_IS8_SA_EESA_NS7_IlSA_EESA_jjPS8_PjSF_j.has_recursion, 0
	.set _ZN2at6native6mbtopk10gatherTopKIN3c104HalfEmLi2EEEvNS_4cuda6detail10TensorInfoIKT_T0_EESA_SA_bjSA_NS7_IS8_SA_EESA_NS7_IlSA_EESA_jjPS8_PjSF_j.has_indirect_call, 0
	.section	.AMDGPU.csdata,"",@progbits
; Kernel info:
; codeLenInByte = 2812
; TotalNumSgprs: 54
; NumVgprs: 22
; ScratchSize: 0
; MemoryBound: 0
; FloatMode: 240
; IeeeMode: 1
; LDSByteSize: 1068 bytes/workgroup (compile time only)
; SGPRBlocks: 6
; VGPRBlocks: 5
; NumSGPRsForWavesPerEU: 54
; NumVGPRsForWavesPerEU: 22
; Occupancy: 10
; WaveLimiterHint : 1
; COMPUTE_PGM_RSRC2:SCRATCH_EN: 0
; COMPUTE_PGM_RSRC2:USER_SGPR: 6
; COMPUTE_PGM_RSRC2:TRAP_HANDLER: 0
; COMPUTE_PGM_RSRC2:TGID_X_EN: 1
; COMPUTE_PGM_RSRC2:TGID_Y_EN: 1
; COMPUTE_PGM_RSRC2:TGID_Z_EN: 1
; COMPUTE_PGM_RSRC2:TIDIG_COMP_CNT: 0
	.section	.text._ZN2at6native6sbtopk10gatherTopKIN3c104HalfEmLi2ELb0EEEvNS_4cuda6detail10TensorInfoIKT_T0_EESA_SA_bSA_SA_NS7_IS8_SA_EESA_NS7_IlSA_EESA_PS8_,"axG",@progbits,_ZN2at6native6sbtopk10gatherTopKIN3c104HalfEmLi2ELb0EEEvNS_4cuda6detail10TensorInfoIKT_T0_EESA_SA_bSA_SA_NS7_IS8_SA_EESA_NS7_IlSA_EESA_PS8_,comdat
	.protected	_ZN2at6native6sbtopk10gatherTopKIN3c104HalfEmLi2ELb0EEEvNS_4cuda6detail10TensorInfoIKT_T0_EESA_SA_bSA_SA_NS7_IS8_SA_EESA_NS7_IlSA_EESA_PS8_ ; -- Begin function _ZN2at6native6sbtopk10gatherTopKIN3c104HalfEmLi2ELb0EEEvNS_4cuda6detail10TensorInfoIKT_T0_EESA_SA_bSA_SA_NS7_IS8_SA_EESA_NS7_IlSA_EESA_PS8_
	.globl	_ZN2at6native6sbtopk10gatherTopKIN3c104HalfEmLi2ELb0EEEvNS_4cuda6detail10TensorInfoIKT_T0_EESA_SA_bSA_SA_NS7_IS8_SA_EESA_NS7_IlSA_EESA_PS8_
	.p2align	8
	.type	_ZN2at6native6sbtopk10gatherTopKIN3c104HalfEmLi2ELb0EEEvNS_4cuda6detail10TensorInfoIKT_T0_EESA_SA_bSA_SA_NS7_IS8_SA_EESA_NS7_IlSA_EESA_PS8_,@function
_ZN2at6native6sbtopk10gatherTopKIN3c104HalfEmLi2ELb0EEEvNS_4cuda6detail10TensorInfoIKT_T0_EESA_SA_bSA_SA_NS7_IS8_SA_EESA_NS7_IlSA_EESA_PS8_: ; @_ZN2at6native6sbtopk10gatherTopKIN3c104HalfEmLi2ELb0EEEvNS_4cuda6detail10TensorInfoIKT_T0_EESA_SA_bSA_SA_NS7_IS8_SA_EESA_NS7_IlSA_EESA_PS8_
; %bb.0:
	s_load_dwordx2 s[12:13], s[4:5], 0x520
	s_load_dwordx4 s[60:63], s[4:5], 0x1b8
	s_add_u32 s20, s4, 0x520
	s_addc_u32 s21, s5, 0
	s_mov_b32 s23, 0
	s_waitcnt lgkmcnt(0)
	s_mul_i32 s0, s13, s8
	s_add_i32 s0, s0, s7
	s_mul_i32 s0, s0, s12
	s_add_i32 s22, s0, s6
	v_mov_b32_e32 v1, s22
	v_mov_b32_e32 v2, s23
	v_cmp_le_u64_e32 vcc, s[60:61], v[1:2]
	s_cbranch_vccnz .LBB207_495
; %bb.1:
	s_load_dwordx2 s[8:9], s[4:5], 0x10
	s_load_dwordx2 s[16:17], s[4:5], 0x380
	;; [unrolled: 1-line block ×3, first 2 shown]
	s_mov_b64 s[0:1], 0
                                        ; implicit-def: $vgpr47 : SGPR spill to VGPR lane
	s_mov_b64 s[10:11], 0
	s_waitcnt lgkmcnt(0)
	v_mov_b32_e32 v1, s8
	v_mov_b32_e32 v2, s9
	v_cmp_lt_u64_e32 vcc, s[22:23], v[1:2]
	v_writelane_b32 v47, s0, 0
	v_writelane_b32 v47, s1, 1
	s_cbranch_vccnz .LBB207_3
; %bb.2:
	v_cvt_f32_u32_e32 v1, s8
	s_sub_i32 s0, 0, s8
	v_rcp_iflag_f32_e32 v1, v1
	v_mul_f32_e32 v1, 0x4f7ffffe, v1
	v_cvt_u32_f32_e32 v1, v1
	v_readfirstlane_b32 s1, v1
	s_mul_i32 s0, s0, s1
	s_mul_hi_u32 s0, s1, s0
	s_add_i32 s1, s1, s0
	s_mul_hi_u32 s0, s22, s1
	s_mul_i32 s2, s0, s8
	s_sub_i32 s2, s22, s2
	s_add_i32 s1, s0, 1
	s_sub_i32 s3, s2, s8
	s_cmp_ge_u32 s2, s8
	s_cselect_b32 s0, s1, s0
	s_cselect_b32 s2, s3, s2
	s_add_i32 s1, s0, 1
	s_cmp_ge_u32 s2, s8
	s_cselect_b32 s10, s1, s0
.LBB207_3:
	v_mov_b32_e32 v1, s14
	v_mov_b32_e32 v2, s15
	v_cmp_lt_u64_e32 vcc, s[22:23], v[1:2]
	s_cbranch_vccnz .LBB207_5
; %bb.4:
	v_cvt_f32_u32_e32 v1, s14
	s_sub_i32 s0, 0, s14
	v_rcp_iflag_f32_e32 v1, v1
	v_mul_f32_e32 v1, 0x4f7ffffe, v1
	v_cvt_u32_f32_e32 v1, v1
	v_readfirstlane_b32 s1, v1
	s_mul_i32 s0, s0, s1
	s_mul_hi_u32 s0, s1, s0
	s_add_i32 s1, s1, s0
	s_mul_hi_u32 s0, s22, s1
	s_mul_i32 s2, s0, s14
	s_sub_i32 s2, s22, s2
	s_add_i32 s1, s0, 1
	s_sub_i32 s3, s2, s14
	s_cmp_ge_u32 s2, s14
	s_cselect_b32 s0, s1, s0
	s_cselect_b32 s2, s3, s2
	s_add_i32 s1, s0, 1
	s_cmp_ge_u32 s2, s14
	s_cselect_b32 s0, s1, s0
	v_writelane_b32 v47, s0, 0
	v_writelane_b32 v47, s1, 1
.LBB207_5:
	v_writelane_b32 v47, s14, 2
	v_writelane_b32 v47, s15, 3
	s_load_dwordx2 s[14:15], s[4:5], 0x0
	v_mov_b32_e32 v1, s16
	v_mov_b32_e32 v2, s17
	v_cmp_lt_u64_e32 vcc, s[22:23], v[1:2]
	s_mov_b64 s[0:1], 0
	v_writelane_b32 v47, s0, 4
	v_writelane_b32 v47, s1, 5
	s_cbranch_vccnz .LBB207_7
; %bb.6:
	v_cvt_f32_u32_e32 v1, s16
	s_sub_i32 s0, 0, s16
	v_rcp_iflag_f32_e32 v1, v1
	v_mul_f32_e32 v1, 0x4f7ffffe, v1
	v_cvt_u32_f32_e32 v1, v1
	v_readfirstlane_b32 s1, v1
	s_mul_i32 s0, s0, s1
	s_mul_hi_u32 s0, s1, s0
	s_add_i32 s1, s1, s0
	s_mul_hi_u32 s0, s22, s1
	s_mul_i32 s2, s0, s16
	s_sub_i32 s2, s22, s2
	s_add_i32 s1, s0, 1
	s_sub_i32 s3, s2, s16
	s_cmp_ge_u32 s2, s16
	s_cselect_b32 s0, s1, s0
	s_cselect_b32 s2, s3, s2
	s_add_i32 s1, s0, 1
	s_cmp_ge_u32 s2, s16
	s_cselect_b32 s0, s1, s0
	v_writelane_b32 v47, s0, 4
	v_writelane_b32 v47, s1, 5
.LBB207_7:
	s_load_dwordx2 s[0:1], s[4:5], 0x370
	v_writelane_b32 v47, s16, 6
	v_writelane_b32 v47, s17, 7
	s_mov_b32 s89, 0
	v_cmp_eq_u32_e64 s[18:19], 0, v0
	s_waitcnt lgkmcnt(0)
	v_writelane_b32 v47, s0, 8
	v_writelane_b32 v47, s1, 9
	s_load_dwordx2 s[0:1], s[4:5], 0x1c8
	s_waitcnt lgkmcnt(0)
	v_writelane_b32 v47, s0, 10
	v_writelane_b32 v47, s1, 11
	s_load_dwordx4 s[0:3], s[4:5], 0xd0
	s_load_dwordx4 s[64:67], s[4:5], 0x1a0
	s_mov_b64 s[16:17], exec
	v_writelane_b32 v47, s18, 12
	v_writelane_b32 v47, s19, 13
	s_and_b64 s[18:19], s[16:17], s[18:19]
	s_mov_b64 exec, s[18:19]
	s_cbranch_execz .LBB207_9
; %bb.8:
	v_mov_b32_e32 v1, 0
	s_waitcnt lgkmcnt(0)
	v_mov_b32_e32 v3, s64
	v_mov_b32_e32 v4, s65
	;; [unrolled: 1-line block ×3, first 2 shown]
	ds_write_b32 v1, v1 offset:5144
	ds_write_b128 v1, v[1:4] offset:5120
.LBB207_9:
	s_or_b64 exec, exec, s[16:17]
	s_mul_i32 s7, s10, s9
	s_mul_hi_u32 s9, s10, s8
	s_add_i32 s9, s9, s7
	s_mul_i32 s7, s10, s8
	s_mov_b32 s8, s22
	v_writelane_b32 v47, s8, 14
	s_sub_u32 s7, s22, s7
	v_writelane_b32 v47, s9, 15
	s_subb_u32 s8, 0, s9
	s_waitcnt lgkmcnt(0)
	s_mul_i32 s3, s7, s3
	s_mul_hi_u32 s9, s7, s2
	s_add_i32 s3, s9, s3
	s_mul_i32 s8, s8, s2
	s_add_i32 s3, s3, s8
	s_mul_i32 s2, s7, s2
	s_mul_i32 s1, s10, s1
	s_mul_hi_u32 s7, s10, s0
	s_mul_i32 s0, s10, s0
	s_load_dwordx4 s[8:11], s[4:5], 0x298
	s_add_i32 s1, s7, s1
	s_lshl_b64 s[0:1], s[0:1], 1
	s_add_u32 s7, s14, s0
	v_mbcnt_lo_u32_b32 v1, -1, 0
	s_waitcnt lgkmcnt(0)
	v_writelane_b32 v47, s8, 16
	v_writelane_b32 v47, s9, 17
	;; [unrolled: 1-line block ×4, first 2 shown]
	s_load_dword s8, s[4:5], 0x1b0
	s_addc_u32 s9, s15, s1
	s_lshl_b64 s[0:1], s[2:3], 1
	s_add_u32 s33, s7, s0
	s_addc_u32 s86, s9, s1
	s_waitcnt lgkmcnt(0)
	s_bitcmp1_b32 s8, 0
	s_cselect_b64 s[0:1], -1, 0
	v_writelane_b32 v47, s0, 20
	v_writelane_b32 v47, s1, 21
	s_xor_b64 s[0:1], s[0:1], -1
	v_writelane_b32 v47, s0, 22
	v_writelane_b32 v47, s1, 23
	v_mad_u64_u32 v[4:5], s[0:1], s62, v0, 0
	v_mbcnt_hi_u32_b32 v26, -1, v1
	v_cmp_gt_u32_e32 vcc, 64, v0
	v_cmp_gt_i32_e64 s[10:11], 4, v26
	s_and_b64 s[0:1], vcc, s[10:11]
	v_writelane_b32 v47, s0, 24
	v_mov_b32_e32 v1, 0x600
	v_mov_b32_e32 v3, v5
	v_writelane_b32 v47, s1, 25
	v_mov_b32_e32 v2, 0
	v_mad_u64_u32 v[5:6], s[0:1], s63, v0, v[3:4]
	v_cmp_gt_u64_e64 s[0:1], s[64:65], v[1:2]
	v_mov_b32_e32 v3, 0
	v_writelane_b32 v47, s0, 26
	v_mov_b32_e32 v1, v3
	v_writelane_b32 v47, s1, 27
	v_cmp_gt_u64_e64 s[0:1], s[64:65], v[0:1]
	v_writelane_b32 v47, s0, 28
	v_writelane_b32 v47, s1, 29
	v_cmp_gt_u32_e64 s[0:1], 2, v0
	v_writelane_b32 v47, s0, 30
	s_barrier
	v_writelane_b32 v47, s1, 31
	s_load_dword s0, s[20:21], 0xc
	v_lshlrev_b64 v[4:5], 1, v[4:5]
	v_mov_b32_e32 v2, s86
	v_add_co_u32_e32 v12, vcc, s33, v4
	s_waitcnt lgkmcnt(0)
	s_and_b32 s87, s0, 0xffff
	s_bfe_u32 s0, s0, 0xa0006
	s_cmp_gt_u32 s87, 63
	s_cselect_b64 s[2:3], -1, 0
	v_addc_co_u32_e32 v13, vcc, v2, v5, vcc
	v_lshlrev_b32_e32 v2, 2, v26
	v_writelane_b32 v47, s2, 32
	s_add_u32 s1, s87, -1
	v_and_b32_e32 v23, 0x100, v2
	v_writelane_b32 v47, s3, 33
	s_addc_u32 s2, 0, -1
	v_lshrrev_b32_e32 v2, 1, v0
	v_writelane_b32 v47, s1, 34
	s_add_u32 s1, s1, s64
	v_and_b32_e32 v2, 0x1e0, v2
	v_lshlrev_b64 v[4:5], v26, -1
	v_writelane_b32 v47, s1, 35
	v_or_b32_e32 v29, 0xc00, v2
	v_add_u32_e32 v2, 2, v0
	v_writelane_b32 v47, s2, 36
	s_addc_u32 s1, s2, s65
	v_cmp_gt_u64_e32 vcc, s[64:65], v[2:3]
	v_not_b32_e32 v25, v4
	v_writelane_b32 v47, s0, 37
	s_cmp_lt_u32 s6, s12
	v_mov_b32_e32 v4, s65
	v_not_b32_e32 v24, v5
	v_writelane_b32 v47, s1, 38
	s_cselect_b32 s1, 12, 18
	v_cndmask_b32_e32 v5, 0, v4, vcc
	v_mov_b32_e32 v4, s64
	s_add_u32 s2, s20, s1
	v_cndmask_b32_e32 v2, v2, v4, vcc
	v_not_b32_e32 v4, v0
	s_addc_u32 s3, s21, 0
	v_add_co_u32_e32 v4, vcc, v2, v4
	v_writelane_b32 v47, s2, 39
	v_addc_co_u32_e32 v5, vcc, -1, v5, vcc
	v_writelane_b32 v47, s3, 40
	v_cmp_lt_u64_e64 s[2:3], 1, v[4:5]
	v_and_b32_e32 v16, -2, v4
	v_writelane_b32 v47, s2, 41
	v_mov_b32_e32 v17, v5
	v_writelane_b32 v47, s3, 42
	v_cmp_ne_u64_e64 s[2:3], v[4:5], v[16:17]
	s_add_i32 s1, s0, -1
	v_writelane_b32 v47, s2, 43
	v_writelane_b32 v47, s3, 44
	s_bfe_u32 s2, s87, 0x30006
	s_and_b32 s1, s1, 0xffff
	s_cmp_gt_u32 s1, 6
	s_cselect_b64 s[6:7], -1, 0
	v_writelane_b32 v47, s6, 45
	s_and_b32 s84, s0, 0x3f8
	v_writelane_b32 v47, s7, 46
	s_cmp_lg_u32 s2, 0
	v_writelane_b32 v47, s2, 47
	s_cselect_b64 s[0:1], -1, 0
	v_writelane_b32 v47, s0, 48
	v_writelane_b32 v47, s1, 49
	;; [unrolled: 1-line block ×3, first 2 shown]
	s_load_dwordx4 s[8:11], s[4:5], 0x440
	v_writelane_b32 v47, s5, 51
	s_mov_b32 s1, 0
	v_lshlrev_b32_e32 v27, 1, v0
	s_mov_b32 s88, s62
	s_waitcnt lgkmcnt(0)
	v_writelane_b32 v47, s8, 52
	v_writelane_b32 v47, s9, 53
	;; [unrolled: 1-line block ×4, first 2 shown]
	v_mov_b32_e32 v2, 0xc00
	v_mov_b32_e32 v19, s66
	v_writelane_b32 v47, s1, 56
	v_cmp_eq_u32_e64 s[92:93], 0, v26
	v_lshlrev_b32_e32 v14, 2, v0
	v_mov_b32_e32 v15, v3
	v_add_u32_e32 v28, 0xc00, v27
	s_mov_b32 s14, s63
	v_lshlrev_b32_e32 v31, 3, v0
	v_lshl_or_b32 v32, v26, 3, v2
	s_lshl_b32 s85, s87, 1
	s_mov_b32 s0, 14
	s_mov_b64 s[72:73], 0
	v_mov_b32_e32 v33, 0xffff
	v_mov_b32_e32 v34, 0x8000
	;; [unrolled: 1-line block ×3, first 2 shown]
	v_mov_b32_e32 v36, -1
	v_mov_b32_e32 v37, 0x5040100
	v_mov_b32_e32 v39, 0
	;; [unrolled: 1-line block ×3, first 2 shown]
	v_add_co_u32_e32 v18, vcc, v16, v0
	v_mov_b32_e32 v20, s67
	v_mov_b32_e32 v38, 0
	v_writelane_b32 v47, s88, 57
                                        ; implicit-def: $sgpr74_sgpr75
                                        ; implicit-def: $sgpr16_sgpr17
                                        ; implicit-def: $sgpr82_sgpr83
                                        ; implicit-def: $sgpr2_sgpr3
                                        ; implicit-def: $sgpr80_sgpr81
                                        ; implicit-def: $sgpr22_sgpr23
                                        ; implicit-def: $sgpr60_sgpr61
                                        ; implicit-def: $sgpr78_sgpr79
                                        ; implicit-def: $sgpr42_sgpr43
                                        ; implicit-def: $sgpr68_sgpr69
	v_writelane_b32 v47, s14, 58
	s_branch .LBB207_12
.LBB207_10:                             ;   in Loop: Header=BB207_12 Depth=1
	s_or_b64 exec, exec, s[10:11]
	s_andn2_b64 s[10:11], s[68:69], exec
	s_and_b64 s[8:9], s[8:9], exec
	v_mov_b32_e32 v20, v5
	s_or_b64 s[68:69], s[10:11], s[8:9]
	s_andn2_b64 s[42:43], s[42:43], exec
	s_andn2_b64 s[78:79], s[78:79], exec
	;; [unrolled: 1-line block ×4, first 2 shown]
	s_orn2_b64 s[6:7], s[6:7], exec
	v_mov_b32_e32 v19, v4
.LBB207_11:                             ;   in Loop: Header=BB207_12 Depth=1
	s_or_b64 exec, exec, s[4:5]
	s_and_b64 s[4:5], exec, s[6:7]
	s_or_b64 s[72:73], s[4:5], s[72:73]
	s_andn2_b64 s[4:5], s[80:81], exec
	s_and_b64 s[6:7], s[68:69], exec
	s_or_b64 s[80:81], s[4:5], s[6:7]
	s_andn2_b64 s[2:3], s[2:3], exec
	s_and_b64 s[4:5], s[42:43], exec
	;; [unrolled: 3-line block ×5, first 2 shown]
	s_or_b64 s[74:75], s[4:5], s[6:7]
	s_andn2_b64 exec, exec, s[72:73]
	s_cbranch_execz .LBB207_491
.LBB207_12:                             ; =>This Loop Header: Depth=1
                                        ;     Child Loop BB207_17 Depth 2
                                        ;     Child Loop BB207_31 Depth 2
	;; [unrolled: 1-line block ×25, first 2 shown]
	ds_read_b128 v[4:7], v3 offset:5120
	s_waitcnt lgkmcnt(0)
	v_readfirstlane_b32 s71, v5
	v_readfirstlane_b32 s70, v4
	s_cmp_lg_u64 s[70:71], 0
	s_cbranch_scc1 .LBB207_44
; %bb.13:                               ;   in Loop: Header=BB207_12 Depth=1
	v_readlane_b32 s4, v47, 26
	v_readlane_b32 s5, v47, 27
	s_and_b64 vcc, exec, s[4:5]
	s_cbranch_vccz .LBB207_25
; %bb.14:                               ;   in Loop: Header=BB207_12 Depth=1
	s_mov_b64 s[4:5], 0x601
	v_cmp_gt_u64_e32 vcc, s[4:5], v[6:7]
	s_mov_b64 s[4:5], 0
	s_mov_b64 s[6:7], 0
	s_cbranch_vccz .LBB207_26
; %bb.15:                               ;   in Loop: Header=BB207_12 Depth=1
	v_readlane_b32 s6, v47, 39
	v_readlane_b32 s7, v47, 40
	global_load_ushort v6, v[12:13], off
	v_mov_b32_e32 v5, v1
	s_mov_b64 s[8:9], 0
	v_mov_b32_e32 v4, v0
	s_nop 0
	global_load_ushort v2, v3, s[6:7]
	s_branch .LBB207_17
.LBB207_16:                             ;   in Loop: Header=BB207_17 Depth=2
	s_or_b64 exec, exec, s[6:7]
	s_waitcnt vmcnt(0)
	v_mov_b32_e32 v6, v7
	s_andn2_b64 exec, exec, s[8:9]
	s_cbranch_execz .LBB207_100
.LBB207_17:                             ;   Parent Loop BB207_12 Depth=1
                                        ; =>  This Inner Loop Header: Depth=2
	s_waitcnt vmcnt(0)
	v_add_co_u32_sdwa v4, vcc, v4, v2 dst_sel:DWORD dst_unused:UNUSED_PAD src0_sel:DWORD src1_sel:WORD_0
	v_addc_co_u32_e32 v5, vcc, 0, v5, vcc
	v_cmp_gt_u64_e64 s[6:7], s[64:65], v[4:5]
	v_cmp_le_u64_e32 vcc, s[64:65], v[4:5]
	s_waitcnt lgkmcnt(0)
	v_mov_b32_e32 v8, 0
	v_mov_b32_e32 v7, 0
	s_and_saveexec_b64 s[10:11], s[6:7]
	s_cbranch_execz .LBB207_19
; %bb.18:                               ;   in Loop: Header=BB207_17 Depth=2
	v_mul_lo_u32 v7, v5, s62
	v_mul_lo_u32 v11, v4, s63
	v_mad_u64_u32 v[9:10], s[6:7], v4, s62, 0
	v_add3_u32 v10, v10, v11, v7
	v_lshlrev_b64 v[9:10], 1, v[9:10]
	v_mov_b32_e32 v7, s86
	v_add_co_u32_e64 v9, s[6:7], s33, v9
	v_addc_co_u32_e64 v10, s[6:7], v7, v10, s[6:7]
	global_load_ushort v7, v[9:10], off
.LBB207_19:                             ;   in Loop: Header=BB207_17 Depth=2
	s_or_b64 exec, exec, s[10:11]
	v_cmp_lt_i16_e64 s[6:7], -1, v6
	v_cndmask_b32_e64 v9, v33, v34, s[6:7]
	v_xor_b32_sdwa v9, v9, v6 dst_sel:DWORD dst_unused:UNUSED_PAD src0_sel:DWORD src1_sel:WORD_0
	v_cmp_o_f16_e64 s[6:7], v6, v6
	v_cndmask_b32_e64 v9, v33, v9, s[6:7]
	v_and_b32_e32 v9, v9, v38
	v_cmp_eq_u32_e64 s[18:19], v9, v30
	s_cmp_lg_u64 s[18:19], 0
	s_cselect_b64 s[6:7], -1, 0
	s_and_b64 s[6:7], s[92:93], s[6:7]
	s_and_saveexec_b64 s[10:11], s[6:7]
	s_cbranch_execz .LBB207_23
; %bb.20:                               ;   in Loop: Header=BB207_17 Depth=2
	s_mov_b64 s[20:21], exec
	v_mbcnt_lo_u32_b32 v8, s20, 0
	v_mbcnt_hi_u32_b32 v8, s21, v8
	s_bcnt1_i32_b64 s1, s[18:19]
	v_cmp_eq_u32_e64 s[6:7], 0, v8
                                        ; implicit-def: $vgpr9
	s_and_saveexec_b64 s[12:13], s[6:7]
; %bb.21:                               ;   in Loop: Header=BB207_17 Depth=2
	s_bcnt1_i32_b64 s6, s[20:21]
	s_mul_i32 s6, s1, s6
	v_mov_b32_e32 v9, s6
	ds_add_rtn_u32 v9, v3, v9 offset:5144
; %bb.22:                               ;   in Loop: Header=BB207_17 Depth=2
	s_or_b64 exec, exec, s[12:13]
	s_waitcnt lgkmcnt(0)
	v_readfirstlane_b32 s6, v9
	v_mov_b32_e32 v9, s6
	v_mad_u32_u24 v8, s1, v8, v9
.LBB207_23:                             ;   in Loop: Header=BB207_17 Depth=2
	s_or_b64 exec, exec, s[10:11]
	ds_bpermute_b32 v8, v23, v8
	s_and_b64 s[6:7], exec, vcc
	s_or_b64 s[8:9], s[6:7], s[8:9]
	s_and_saveexec_b64 s[6:7], s[18:19]
	s_cbranch_execz .LBB207_16
; %bb.24:                               ;   in Loop: Header=BB207_17 Depth=2
	v_and_b32_e32 v10, s18, v25
	v_and_b32_e32 v9, s19, v24
	v_bcnt_u32_b32 v10, v10, 0
	v_bcnt_u32_b32 v9, v9, v10
	v_lshlrev_b32_e32 v9, 1, v9
	s_waitcnt lgkmcnt(0)
	v_lshl_add_u32 v8, v8, 1, v9
	ds_write_b16 v8, v6
	s_branch .LBB207_16
.LBB207_25:                             ;   in Loop: Header=BB207_12 Depth=1
	s_mov_b64 s[4:5], -1
	s_mov_b64 s[6:7], 0
.LBB207_26:                             ;   in Loop: Header=BB207_12 Depth=1
	s_and_b64 vcc, exec, s[4:5]
	s_cbranch_vccz .LBB207_42
.LBB207_27:                             ;   in Loop: Header=BB207_12 Depth=1
	s_mov_b64 s[4:5], exec
	v_readlane_b32 s6, v47, 28
	v_readlane_b32 s7, v47, 29
	s_and_b64 s[6:7], s[4:5], s[6:7]
	s_mov_b64 exec, s[6:7]
	s_cbranch_execz .LBB207_39
; %bb.28:                               ;   in Loop: Header=BB207_12 Depth=1
	v_readlane_b32 s6, v47, 39
	v_readlane_b32 s7, v47, 40
	s_nop 4
	global_load_ushort v2, v3, s[6:7]
	global_load_ushort v10, v[12:13], off
	v_mov_b32_e32 v6, v0
	s_waitcnt vmcnt(1)
	v_readfirstlane_b32 s1, v2
	v_add_u32_sdwa v2, v2, v0 dst_sel:DWORD dst_unused:UNUSED_PAD src0_sel:WORD_0 src1_sel:DWORD
	v_cmp_gt_u64_e32 vcc, s[64:65], v[2:3]
	s_and_saveexec_b64 s[6:7], vcc
	s_cbranch_execz .LBB207_38
; %bb.29:                               ;   in Loop: Header=BB207_12 Depth=1
	s_and_b32 s1, s1, 0xffff
	s_cmp_eq_u32 s1, 1
	v_readlane_b32 s10, v47, 41
                                        ; implicit-def: $vgpr6_vgpr7
	s_cselect_b64 s[8:9], -1, 0
	v_readlane_b32 s11, v47, 42
	v_mov_b32_e32 v5, v1
	v_mov_b32_e32 v8, v3
	s_and_b64 s[12:13], s[10:11], s[8:9]
	s_mov_b64 s[10:11], -1
	v_mov_b32_e32 v4, v0
	v_mov_b32_e32 v7, v2
	s_and_saveexec_b64 s[8:9], s[12:13]
	s_cbranch_execz .LBB207_33
; %bb.30:                               ;   in Loop: Header=BB207_12 Depth=1
	v_add_co_u32_e32 v4, vcc, 1, v2
	v_addc_co_u32_e64 v5, s[10:11], 0, 0, vcc
	v_mov_b32_e32 v8, v16
	v_mov_b32_e32 v7, v5
	s_waitcnt vmcnt(0)
	v_lshlrev_b32_e32 v21, 16, v10
	s_mov_b64 s[10:11], 0
	v_mov_b32_e32 v9, v17
	v_mov_b32_e32 v11, v27
	;; [unrolled: 1-line block ×5, first 2 shown]
.LBB207_31:                             ;   Parent Loop BB207_12 Depth=1
                                        ; =>  This Inner Loop Header: Depth=2
	v_mul_lo_u32 v44, v5, s88
	v_mul_lo_u32 v45, v4, s14
	v_mad_u64_u32 v[42:43], s[12:13], v4, s88, 0
	v_mul_lo_u32 v10, v7, s62
	v_mul_lo_u32 v22, v6, s63
	v_mad_u64_u32 v[40:41], s[12:13], v6, s62, 0
	v_add3_u32 v43, v43, v45, v44
	v_lshlrev_b64 v[42:43], 1, v[42:43]
	v_add3_u32 v41, v41, v22, v10
	v_mov_b32_e32 v46, s86
	v_lshlrev_b64 v[40:41], 1, v[40:41]
	v_add_co_u32_e32 v42, vcc, s33, v42
	v_addc_co_u32_e32 v43, vcc, v46, v43, vcc
	v_add_co_u32_e32 v40, vcc, s33, v40
	v_addc_co_u32_e32 v41, vcc, v46, v41, vcc
	global_load_ushort v22, v[42:43], off
	global_load_ushort v10, v[40:41], off
	v_add_co_u32_e32 v6, vcc, 2, v6
	v_addc_co_u32_e32 v7, vcc, 0, v7, vcc
	v_add_co_u32_e32 v4, vcc, 2, v4
	v_addc_co_u32_e32 v5, vcc, 0, v5, vcc
	v_add_co_u32_e32 v8, vcc, -2, v8
	v_addc_co_u32_e32 v9, vcc, -1, v9, vcc
	s_mov_b32 s12, 0x5040100
	v_cmp_eq_u64_e32 vcc, 0, v[8:9]
	s_or_b64 s[10:11], vcc, s[10:11]
	s_waitcnt vmcnt(1)
	v_alignbit_b32 v21, v22, v21, 16
	s_waitcnt vmcnt(0)
	v_perm_b32 v40, v10, v22, s12
	ds_write_b32 v11, v21
	v_add_u32_e32 v11, 4, v11
	v_mov_b32_e32 v21, v40
	s_andn2_b64 exec, exec, s[10:11]
	s_cbranch_execnz .LBB207_31
; %bb.32:                               ;   in Loop: Header=BB207_12 Depth=1
	s_or_b64 exec, exec, s[10:11]
	v_readlane_b32 s10, v47, 43
	v_add_co_u32_e32 v7, vcc, v2, v16
	v_readlane_b32 s11, v47, 44
	v_addc_co_u32_e32 v8, vcc, 0, v17, vcc
	v_add_co_u32_e32 v6, vcc, -1, v7
	s_orn2_b64 s[10:11], s[10:11], exec
	v_mov_b32_e32 v4, v18
	v_mov_b32_e32 v5, v19
.LBB207_33:                             ;   in Loop: Header=BB207_12 Depth=1
	s_or_b64 exec, exec, s[8:9]
	s_and_saveexec_b64 s[8:9], s[10:11]
	s_cbranch_execz .LBB207_37
; %bb.34:                               ;   in Loop: Header=BB207_12 Depth=1
	s_mov_b64 s[10:11], 0
	s_sub_u32 s12, 0, s1
.LBB207_35:                             ;   Parent Loop BB207_12 Depth=1
                                        ; =>  This Inner Loop Header: Depth=2
	s_waitcnt vmcnt(0)
	v_mov_b32_e32 v2, v10
	v_mul_lo_u32 v9, v8, s62
	v_mul_lo_u32 v10, v7, s63
	v_mad_u64_u32 v[5:6], s[18:19], v7, s62, 0
	v_mov_b32_e32 v11, s86
	v_lshlrev_b32_e32 v4, 1, v4
	v_add3_u32 v6, v6, v10, v9
	v_lshlrev_b64 v[5:6], 1, v[5:6]
	ds_write_b16 v4, v2
	v_add_co_u32_e32 v5, vcc, s33, v5
	v_addc_co_u32_e32 v6, vcc, v11, v6, vcc
	global_load_ushort v10, v[5:6], off
	v_mov_b32_e32 v4, v7
	v_mov_b32_e32 v5, v8
	v_add_co_u32_e32 v7, vcc, s1, v7
	v_addc_co_u32_e32 v8, vcc, 0, v8, vcc
	v_cmp_le_u64_e32 vcc, s[64:65], v[7:8]
	s_or_b64 s[10:11], vcc, s[10:11]
	v_add_co_u32_e32 v6, vcc, s12, v7
	s_andn2_b64 exec, exec, s[10:11]
	s_cbranch_execnz .LBB207_35
; %bb.36:                               ;   in Loop: Header=BB207_12 Depth=1
	s_or_b64 exec, exec, s[10:11]
.LBB207_37:                             ;   in Loop: Header=BB207_12 Depth=1
	s_or_b64 exec, exec, s[8:9]
.LBB207_38:                             ;   in Loop: Header=BB207_12 Depth=1
	s_or_b64 exec, exec, s[6:7]
	v_lshlrev_b32_e32 v2, 1, v6
	s_waitcnt vmcnt(0)
	ds_write_b16 v2, v10
.LBB207_39:                             ;   in Loop: Header=BB207_12 Depth=1
	s_or_b64 exec, exec, s[4:5]
	s_waitcnt lgkmcnt(0)
	s_barrier
	s_mov_b64 s[4:5], exec
	v_readlane_b32 s6, v47, 12
	v_readlane_b32 s7, v47, 13
	s_and_b64 s[6:7], s[4:5], s[6:7]
	s_mov_b64 exec, s[6:7]
; %bb.40:                               ;   in Loop: Header=BB207_12 Depth=1
	v_mov_b32_e32 v4, s64
	v_mov_b32_e32 v5, s65
	ds_write_b64 v3, v[4:5] offset:5120
; %bb.41:                               ;   in Loop: Header=BB207_12 Depth=1
	s_or_b64 exec, exec, s[4:5]
	s_mov_b64 s[6:7], -1
	s_waitcnt lgkmcnt(0)
	s_barrier
.LBB207_42:                             ;   in Loop: Header=BB207_12 Depth=1
	s_mov_b64 s[70:71], 0
	s_and_b64 vcc, exec, s[6:7]
	s_cbranch_vccz .LBB207_44
; %bb.43:                               ;   in Loop: Header=BB207_12 Depth=1
	ds_read_b64 v[4:5], v3 offset:5120
	s_waitcnt lgkmcnt(0)
	v_readfirstlane_b32 s70, v4
.LBB207_44:                             ;   in Loop: Header=BB207_12 Depth=1
	s_cmp_lt_i32 s70, 1
	s_mov_b64 s[4:5], -1
	v_writelane_b32 v47, s22, 59
                                        ; implicit-def: $vgpr4_vgpr5
                                        ; implicit-def: $vgpr8_vgpr9
	v_writelane_b32 v47, s23, 60
	s_cbranch_scc0 .LBB207_59
; %bb.45:                               ;   in Loop: Header=BB207_12 Depth=1
	v_readlane_b32 s4, v47, 39
	v_readlane_b32 s5, v47, 40
	s_nop 4
	global_load_ushort v2, v3, s[4:5]
	s_mov_b32 s4, s89
	s_mov_b32 s5, s65
	s_waitcnt vmcnt(0)
	v_readfirstlane_b32 s1, v2
	s_and_b32 s1, 0xffff, s1
	s_lshl_b32 s1, s1, 2
	s_cmp_lg_u64 s[4:5], 0
	s_cbranch_scc0 .LBB207_77
; %bb.46:                               ;   in Loop: Header=BB207_12 Depth=1
	v_cvt_f32_u32_e32 v4, s1
	s_sub_u32 s6, 0, s1
	s_subb_u32 s7, 0, 0
	v_mac_f32_e32 v4, 0, v35
	v_rcp_f32_e32 v4, v4
	v_mul_f32_e32 v4, 0x5f7ffffc, v4
	v_mul_f32_e32 v5, 0x2f800000, v4
	v_trunc_f32_e32 v5, v5
	v_mac_f32_e32 v4, 0xcf800000, v5
	v_cvt_u32_f32_e32 v5, v5
	v_cvt_u32_f32_e32 v4, v4
	v_readfirstlane_b32 s8, v5
	v_readfirstlane_b32 s4, v4
	s_mul_i32 s5, s6, s8
	s_mul_hi_u32 s10, s6, s4
	s_mul_i32 s9, s7, s4
	s_add_i32 s5, s10, s5
	s_mul_i32 s11, s6, s4
	s_add_i32 s5, s5, s9
	s_mul_hi_u32 s10, s4, s11
	s_mul_i32 s12, s4, s5
	s_mul_hi_u32 s9, s4, s5
	s_add_u32 s10, s10, s12
	s_addc_u32 s9, 0, s9
	s_mul_hi_u32 s13, s8, s11
	s_mul_i32 s11, s8, s11
	s_add_u32 s10, s10, s11
	s_mul_hi_u32 s12, s8, s5
	s_addc_u32 s9, s9, s13
	s_addc_u32 s10, s12, 0
	s_mul_i32 s5, s8, s5
	s_add_u32 s5, s9, s5
	s_addc_u32 s9, 0, s10
	s_add_u32 s10, s4, s5
	s_cselect_b64 s[4:5], -1, 0
	s_cmp_lg_u64 s[4:5], 0
	s_addc_u32 s8, s8, s9
	s_mul_i32 s4, s6, s8
	s_mul_hi_u32 s5, s6, s10
	s_add_i32 s4, s5, s4
	s_mul_i32 s7, s7, s10
	s_add_i32 s4, s4, s7
	s_mul_i32 s6, s6, s10
	s_mul_hi_u32 s7, s8, s6
	s_mul_i32 s9, s8, s6
	s_mul_i32 s12, s10, s4
	s_mul_hi_u32 s6, s10, s6
	s_mul_hi_u32 s11, s10, s4
	s_add_u32 s6, s6, s12
	s_addc_u32 s11, 0, s11
	s_add_u32 s6, s6, s9
	s_mul_hi_u32 s5, s8, s4
	s_addc_u32 s6, s11, s7
	s_addc_u32 s5, s5, 0
	s_mul_i32 s4, s8, s4
	s_add_u32 s4, s6, s4
	s_addc_u32 s6, 0, s5
	s_add_u32 s7, s10, s4
	s_cselect_b64 s[4:5], -1, 0
	s_cmp_lg_u64 s[4:5], 0
	s_addc_u32 s4, s8, s6
	s_mul_i32 s6, s64, s4
	s_mul_hi_u32 s8, s64, s7
	s_mul_hi_u32 s5, s64, s4
	s_add_u32 s6, s8, s6
	s_addc_u32 s5, 0, s5
	s_mul_hi_u32 s9, s65, s7
	s_mul_i32 s7, s65, s7
	s_add_u32 s6, s6, s7
	s_mul_hi_u32 s8, s65, s4
	s_addc_u32 s5, s5, s9
	s_addc_u32 s6, s8, 0
	s_mul_i32 s4, s65, s4
	s_add_u32 s4, s5, s4
	s_addc_u32 s5, 0, s6
	s_mul_i32 s5, s1, s5
	s_mul_hi_u32 s6, s1, s4
	s_add_i32 s6, s6, s5
	s_mul_i32 s4, s1, s4
	s_sub_u32 s7, s64, s4
	s_cselect_b64 s[4:5], -1, 0
	s_cmp_lg_u64 s[4:5], 0
	s_subb_u32 s6, s65, s6
	s_sub_u32 s8, s7, s1
	s_cselect_b64 s[4:5], -1, 0
	s_cmp_lg_u64 s[4:5], 0
	s_subb_u32 s9, s6, 0
	;; [unrolled: 4-line block ×3, first 2 shown]
	s_cmp_ge_u32 s8, s1
	s_cselect_b32 s5, -1, 0
	s_cmp_eq_u32 s9, 0
	s_cselect_b32 s5, s5, -1
	s_cmp_lg_u32 s5, 0
	s_cselect_b32 s4, s4, s9
	s_cselect_b32 s8, s10, s8
	s_cmp_ge_u32 s7, s1
	s_cselect_b32 s5, -1, 0
	s_cmp_eq_u32 s6, 0
	s_cselect_b32 s5, s5, -1
	s_cmp_lg_u32 s5, 0
	s_cselect_b32 s5, s4, s6
	s_cselect_b32 s4, s8, s7
	s_cbranch_execnz .LBB207_48
.LBB207_47:                             ;   in Loop: Header=BB207_12 Depth=1
	v_cvt_f32_u32_e32 v4, s1
	s_sub_i32 s4, 0, s1
	v_rcp_iflag_f32_e32 v4, v4
	v_mul_f32_e32 v4, 0x4f7ffffe, v4
	v_cvt_u32_f32_e32 v4, v4
	v_readfirstlane_b32 s5, v4
	s_mul_i32 s4, s4, s5
	s_mul_hi_u32 s4, s5, s4
	s_add_i32 s5, s5, s4
	s_mul_hi_u32 s4, s64, s5
	s_mul_i32 s4, s4, s1
	s_sub_i32 s4, s64, s4
	s_sub_i32 s5, s4, s1
	s_cmp_ge_u32 s4, s1
	s_cselect_b32 s4, s5, s4
	s_sub_i32 s5, s4, s1
	s_cmp_ge_u32 s4, s1
	s_cselect_b32 s88, s5, s4
	s_mov_b64 s[4:5], s[88:89]
	v_readlane_b32 s88, v47, 57
.LBB207_48:                             ;   in Loop: Header=BB207_12 Depth=1
	s_sub_u32 s58, s64, s4
	s_subb_u32 s59, s65, s5
	v_cmp_gt_u64_e32 vcc, s[58:59], v[14:15]
	v_mov_b32_e32 v4, 0
	v_mov_b32_e32 v6, 0
	;; [unrolled: 1-line block ×8, first 2 shown]
	s_and_saveexec_b64 s[8:9], vcc
	s_cbranch_execz .LBB207_52
; %bb.49:                               ;   in Loop: Header=BB207_12 Depth=1
	v_mov_b32_e32 v22, v15
	s_mov_b64 s[10:11], 0
	s_mov_b64 s[76:77], 0
	s_mov_b64 s[94:95], 0
	s_mov_b64 s[12:13], 0
	s_mov_b64 s[4:5], 0
	v_mov_b32_e32 v21, v14
.LBB207_50:                             ;   Parent Loop BB207_12 Depth=1
                                        ; =>  This Inner Loop Header: Depth=2
	v_mul_lo_u32 v6, v22, s62
	v_mul_lo_u32 v7, v21, s63
	v_mad_u64_u32 v[4:5], s[6:7], v21, s62, 0
	v_mov_b32_e32 v8, s86
	s_lshl_b64 s[18:19], s[62:63], 1
	v_add3_u32 v5, v5, v7, v6
	v_lshlrev_b64 v[4:5], 1, v[4:5]
	v_mov_b32_e32 v9, s19
	v_add_co_u32_e64 v4, s[6:7], s33, v4
	v_addc_co_u32_e64 v5, s[6:7], v8, v5, s[6:7]
	global_load_ushort v6, v[4:5], off
	v_add_co_u32_e64 v4, s[6:7], s18, v4
	v_addc_co_u32_e64 v5, s[6:7], v5, v9, s[6:7]
	global_load_ushort v7, v[4:5], off
	v_add_co_u32_e64 v4, s[6:7], s18, v4
	v_addc_co_u32_e64 v5, s[6:7], v5, v9, s[6:7]
	global_load_ushort v8, v[4:5], off
	v_add_co_u32_e64 v4, s[6:7], s18, v4
	v_addc_co_u32_e64 v5, s[6:7], v5, v9, s[6:7]
	global_load_ushort v4, v[4:5], off
	v_add_co_u32_e32 v21, vcc, s1, v21
	v_addc_co_u32_e32 v22, vcc, 0, v22, vcc
	v_cmp_le_u64_e32 vcc, s[58:59], v[21:22]
	s_waitcnt vmcnt(3)
	v_cmp_lt_i16_e64 s[6:7], -1, v6
	v_cndmask_b32_e64 v5, v33, v34, s[6:7]
	v_xor_b32_sdwa v5, v5, v6 dst_sel:DWORD dst_unused:UNUSED_PAD src0_sel:DWORD src1_sel:WORD_0
	s_waitcnt vmcnt(2)
	v_cmp_lt_i16_e64 s[6:7], -1, v7
	v_cndmask_b32_e64 v9, v33, v34, s[6:7]
	v_cmp_o_f16_e64 s[6:7], v6, v6
	v_cndmask_b32_e64 v5, v33, v5, s[6:7]
	v_xor_b32_sdwa v6, v9, v7 dst_sel:DWORD dst_unused:UNUSED_PAD src0_sel:DWORD src1_sel:WORD_0
	s_waitcnt vmcnt(1)
	v_cmp_lt_i16_e64 s[6:7], -1, v8
	v_cndmask_b32_e64 v9, v33, v34, s[6:7]
	v_cmp_o_f16_e64 s[6:7], v7, v7
	v_cndmask_b32_e64 v6, v33, v6, s[6:7]
	v_xor_b32_sdwa v7, v9, v8 dst_sel:DWORD dst_unused:UNUSED_PAD src0_sel:DWORD src1_sel:WORD_0
	s_waitcnt vmcnt(0)
	v_cmp_lt_i16_e64 s[6:7], -1, v4
	v_cndmask_b32_e64 v9, v33, v34, s[6:7]
	v_and_b32_e32 v10, v5, v38
	v_bfe_u32 v5, v5, s0, 2
	v_cmp_o_f16_e64 s[6:7], v8, v8
	v_cndmask_b32_e64 v7, v33, v7, s[6:7]
	v_xor_b32_sdwa v8, v9, v4 dst_sel:DWORD dst_unused:UNUSED_PAD src0_sel:DWORD src1_sel:WORD_0
	v_cmp_eq_u32_e64 s[20:21], v10, v30
	v_and_b32_e32 v9, v6, v38
	v_bfe_u32 v6, v6, s0, 2
	v_cmp_eq_u32_e64 s[6:7], 0, v5
	v_cmp_o_f16_e64 s[18:19], v4, v4
	v_cndmask_b32_e64 v4, v33, v8, s[18:19]
	v_cmp_eq_u32_e64 s[18:19], v9, v30
	v_cmp_eq_u32_e64 s[30:31], 0, v6
	s_and_b64 s[6:7], s[20:21], s[6:7]
	v_cmp_eq_u32_e64 s[44:45], 1, v5
	v_cmp_eq_u32_e64 s[36:37], 2, v5
	;; [unrolled: 1-line block ×3, first 2 shown]
	v_and_b32_e32 v5, v7, v38
	v_bfe_u32 v7, v7, s0, 2
	v_cmp_eq_u32_e64 s[46:47], 1, v6
	v_cmp_eq_u32_e64 s[38:39], 2, v6
	v_cmp_eq_u32_e64 s[24:25], 3, v6
	v_cndmask_b32_e64 v6, 0, 1, s[6:7]
	s_and_b64 s[30:31], s[18:19], s[30:31]
	v_cmp_eq_u32_e64 s[26:27], v5, v30
	v_and_b32_e32 v5, v4, v38
	v_bfe_u32 v4, v4, s0, 2
	v_cmp_eq_u32_e64 s[6:7], 0, v7
	v_cmp_ne_u32_e64 s[50:51], 0, v6
	v_cndmask_b32_e64 v6, 0, 1, s[30:31]
	v_cmp_eq_u32_e64 s[30:31], v5, v30
	v_cmp_eq_u32_e64 s[52:53], 0, v4
	s_bcnt1_i32_b64 s71, s[50:51]
	v_cmp_ne_u32_e64 s[50:51], 0, v6
	s_and_b64 s[6:7], s[26:27], s[6:7]
	v_cmp_eq_u32_e64 s[54:55], 1, v4
	v_cmp_eq_u32_e64 s[56:57], 2, v4
	;; [unrolled: 1-line block ×3, first 2 shown]
	v_cndmask_b32_e64 v4, 0, 1, s[6:7]
	s_bcnt1_i32_b64 s88, s[50:51]
	s_and_b64 s[50:51], s[30:31], s[52:53]
	v_cmp_ne_u32_e64 s[6:7], 0, v4
	v_cndmask_b32_e64 v4, 0, 1, s[50:51]
	s_bcnt1_i32_b64 s50, s[6:7]
	v_cmp_ne_u32_e64 s[6:7], 0, v4
	s_bcnt1_i32_b64 s6, s[6:7]
	s_add_u32 s4, s71, s4
	s_addc_u32 s5, 0, s5
	s_add_u32 s4, s4, s88
	s_addc_u32 s5, s5, 0
	;; [unrolled: 2-line block ×4, first 2 shown]
	s_and_b64 s[6:7], s[20:21], s[44:45]
	v_cmp_eq_u32_e64 s[48:49], 1, v7
	v_cndmask_b32_e64 v6, 0, 1, s[6:7]
	s_and_b64 s[6:7], s[18:19], s[46:47]
	v_cmp_eq_u32_e64 s[40:41], 2, v7
	v_cmp_eq_u32_e64 s[28:29], 3, v7
	v_cndmask_b32_e64 v7, 0, 1, s[6:7]
	s_and_b64 s[6:7], s[26:27], s[48:49]
	v_cndmask_b32_e64 v8, 0, 1, s[6:7]
	s_and_b64 s[6:7], s[30:31], s[54:55]
	v_cndmask_b32_e64 v9, 0, 1, s[6:7]
	v_cmp_ne_u32_e64 s[6:7], 0, v6
	v_cmp_ne_u32_e64 s[44:45], 0, v7
	;; [unrolled: 1-line block ×4, first 2 shown]
	s_bcnt1_i32_b64 s6, s[6:7]
	s_bcnt1_i32_b64 s7, s[44:45]
	;; [unrolled: 1-line block ×4, first 2 shown]
	s_add_u32 s6, s6, s12
	s_addc_u32 s12, 0, s13
	s_add_u32 s6, s6, s7
	s_addc_u32 s7, s12, 0
	;; [unrolled: 2-line block ×4, first 2 shown]
	s_and_b64 s[6:7], s[20:21], s[36:37]
	v_cndmask_b32_e64 v8, 0, 1, s[6:7]
	s_and_b64 s[6:7], s[18:19], s[38:39]
	v_cndmask_b32_e64 v9, 0, 1, s[6:7]
	;; [unrolled: 2-line block ×4, first 2 shown]
	v_cmp_ne_u32_e64 s[6:7], 0, v8
	v_cmp_ne_u32_e64 s[36:37], 0, v9
	;; [unrolled: 1-line block ×4, first 2 shown]
	s_bcnt1_i32_b64 s6, s[6:7]
	s_bcnt1_i32_b64 s7, s[36:37]
	;; [unrolled: 1-line block ×4, first 2 shown]
	s_add_u32 s6, s6, s94
	s_addc_u32 s38, 0, s95
	s_add_u32 s6, s6, s7
	s_addc_u32 s7, s38, 0
	;; [unrolled: 2-line block ×4, first 2 shown]
	s_and_b64 s[6:7], s[20:21], s[22:23]
	v_cndmask_b32_e64 v10, 0, 1, s[6:7]
	s_and_b64 s[6:7], s[18:19], s[24:25]
	v_cndmask_b32_e64 v11, 0, 1, s[6:7]
	;; [unrolled: 2-line block ×4, first 2 shown]
	v_cmp_ne_u32_e64 s[6:7], 0, v10
	v_cmp_ne_u32_e64 s[18:19], 0, v11
	;; [unrolled: 1-line block ×4, first 2 shown]
	s_bcnt1_i32_b64 s6, s[6:7]
	s_bcnt1_i32_b64 s7, s[18:19]
	s_bcnt1_i32_b64 s18, s[20:21]
	s_bcnt1_i32_b64 s19, s[22:23]
	s_add_u32 s6, s6, s76
	s_addc_u32 s20, 0, s77
	s_add_u32 s6, s6, s7
	s_addc_u32 s7, s20, 0
	;; [unrolled: 2-line block ×3, first 2 shown]
	s_add_u32 s76, s6, s19
	v_mov_b32_e32 v4, s4
	v_mov_b32_e32 v6, s12
	;; [unrolled: 1-line block ×3, first 2 shown]
	s_addc_u32 s77, s7, 0
	v_mov_b32_e32 v10, s76
	v_mov_b32_e32 v5, s5
	;; [unrolled: 1-line block ×4, first 2 shown]
	s_or_b64 s[10:11], vcc, s[10:11]
	v_mov_b32_e32 v11, s77
	s_andn2_b64 exec, exec, s[10:11]
	s_cbranch_execnz .LBB207_50
; %bb.51:                               ;   in Loop: Header=BB207_12 Depth=1
	s_or_b64 exec, exec, s[10:11]
	v_readlane_b32 s88, v47, 57
.LBB207_52:                             ;   in Loop: Header=BB207_12 Depth=1
	s_or_b64 exec, exec, s[8:9]
	v_mov_b32_e32 v22, s59
	v_add_co_u32_e32 v21, vcc, s58, v0
	v_addc_co_u32_e32 v22, vcc, 0, v22, vcc
	v_cmp_gt_u64_e32 vcc, s[64:65], v[21:22]
	s_and_saveexec_b64 s[4:5], vcc
	s_cbranch_execz .LBB207_58
; %bb.53:                               ;   in Loop: Header=BB207_12 Depth=1
	v_mul_lo_u32 v42, v22, s62
	v_mul_lo_u32 v43, v21, s63
	v_mad_u64_u32 v[40:41], s[6:7], v21, s62, 0
	s_mov_b64 s[8:9], 0
	v_add3_u32 v41, v41, v43, v42
	v_lshlrev_b64 v[40:41], 1, v[40:41]
	v_mov_b32_e32 v42, s86
	v_add_co_u32_e32 v40, vcc, s33, v40
	v_addc_co_u32_e32 v41, vcc, v42, v41, vcc
	global_load_ushort v41, v[40:41], off
	s_branch .LBB207_55
.LBB207_54:                             ;   in Loop: Header=BB207_55 Depth=2
	s_or_b64 exec, exec, s[10:11]
	s_and_b64 s[6:7], exec, vcc
	s_waitcnt vmcnt(0)
	v_cmp_lt_i16_e32 vcc, -1, v41
	v_cndmask_b32_e32 v42, v33, v34, vcc
	v_xor_b32_sdwa v42, v42, v41 dst_sel:DWORD dst_unused:UNUSED_PAD src0_sel:DWORD src1_sel:WORD_0
	v_cmp_o_f16_e32 vcc, v41, v41
	v_cndmask_b32_e32 v41, v33, v42, vcc
	v_and_b32_e32 v42, v41, v38
	v_bfe_u32 v41, v41, s0, 2
	s_or_b64 s[8:9], s[6:7], s[8:9]
	v_cmp_eq_u32_e32 vcc, v42, v30
	v_cmp_eq_u32_e64 s[6:7], 0, v41
	s_and_b64 s[6:7], vcc, s[6:7]
	v_cndmask_b32_e64 v42, 0, 1, s[6:7]
	v_cmp_ne_u32_e64 s[6:7], 0, v42
	s_bcnt1_i32_b64 s1, s[6:7]
	v_add_co_u32_e64 v4, s[6:7], s1, v4
	v_addc_co_u32_e64 v5, s[6:7], 0, v5, s[6:7]
	v_cmp_eq_u32_e64 s[6:7], 1, v41
	s_and_b64 s[6:7], vcc, s[6:7]
	v_cndmask_b32_e64 v42, 0, 1, s[6:7]
	v_cmp_ne_u32_e64 s[6:7], 0, v42
	s_bcnt1_i32_b64 s1, s[6:7]
	v_add_co_u32_e64 v6, s[6:7], s1, v6
	v_addc_co_u32_e64 v7, s[6:7], 0, v7, s[6:7]
	;; [unrolled: 7-line block ×3, first 2 shown]
	v_cmp_eq_u32_e64 s[6:7], 3, v41
	s_and_b64 s[6:7], vcc, s[6:7]
	v_cndmask_b32_e64 v41, 0, 1, s[6:7]
	v_cmp_ne_u32_e32 vcc, 0, v41
	s_bcnt1_i32_b64 s1, vcc
	v_add_co_u32_e32 v10, vcc, s1, v10
	v_addc_co_u32_e32 v11, vcc, 0, v11, vcc
	v_mov_b32_e32 v41, v40
	s_andn2_b64 exec, exec, s[8:9]
	s_cbranch_execz .LBB207_57
.LBB207_55:                             ;   Parent Loop BB207_12 Depth=1
                                        ; =>  This Inner Loop Header: Depth=2
	v_add_co_u32_sdwa v21, vcc, v21, v2 dst_sel:DWORD dst_unused:UNUSED_PAD src0_sel:DWORD src1_sel:WORD_0
	v_addc_co_u32_e32 v22, vcc, 0, v22, vcc
	v_cmp_gt_u64_e64 s[6:7], s[64:65], v[21:22]
	v_cmp_le_u64_e32 vcc, s[64:65], v[21:22]
	v_mov_b32_e32 v40, 0
	s_and_saveexec_b64 s[10:11], s[6:7]
	s_cbranch_execz .LBB207_54
; %bb.56:                               ;   in Loop: Header=BB207_55 Depth=2
	v_mul_lo_u32 v40, v22, s62
	v_mul_lo_u32 v44, v21, s63
	v_mad_u64_u32 v[42:43], s[6:7], v21, s62, 0
	v_add3_u32 v43, v43, v44, v40
	v_lshlrev_b64 v[42:43], 1, v[42:43]
	v_mov_b32_e32 v40, s86
	v_add_co_u32_e64 v42, s[6:7], s33, v42
	v_addc_co_u32_e64 v43, s[6:7], v40, v43, s[6:7]
	global_load_ushort v40, v[42:43], off
	s_branch .LBB207_54
.LBB207_57:                             ;   in Loop: Header=BB207_12 Depth=1
	s_or_b64 exec, exec, s[8:9]
.LBB207_58:                             ;   in Loop: Header=BB207_12 Depth=1
	s_or_b64 exec, exec, s[4:5]
	s_mov_b64 s[4:5], 0
.LBB207_59:                             ;   in Loop: Header=BB207_12 Depth=1
	s_and_b64 vcc, exec, s[4:5]
	s_cbranch_vccz .LBB207_69
; %bb.60:                               ;   in Loop: Header=BB207_12 Depth=1
	v_readlane_b32 s4, v47, 39
	v_readlane_b32 s5, v47, 40
	v_mov_b32_e32 v8, 0
	v_mov_b32_e32 v9, 0
	s_nop 2
	global_load_ushort v2, v3, s[4:5]
	s_waitcnt vmcnt(0)
	v_readfirstlane_b32 s1, v2
	s_and_b32 s1, 0xffff, s1
	s_lshl_b32 s71, s1, 2
	v_cvt_f32_u32_e32 v4, s71
	s_sub_i32 s4, 0, s71
	v_rcp_iflag_f32_e32 v6, v4
	v_mov_b32_e32 v4, 0
	v_mov_b32_e32 v5, 0
	v_mul_f32_e32 v6, 0x4f7ffffe, v6
	v_cvt_u32_f32_e32 v10, v6
	v_mov_b32_e32 v6, 0
	v_mov_b32_e32 v7, 0
	v_readfirstlane_b32 s5, v10
	s_mul_i32 s4, s4, s5
	s_mul_hi_u32 s4, s5, s4
	s_add_i32 s5, s5, s4
	s_mul_hi_u32 s4, s70, s5
	s_mul_i32 s5, s4, s71
	s_sub_i32 s5, s70, s5
	s_add_i32 s6, s4, 1
	s_sub_i32 s7, s5, s71
	s_cmp_ge_u32 s5, s71
	s_cselect_b32 s4, s6, s4
	s_cselect_b32 s5, s7, s5
	s_add_i32 s6, s4, 1
	s_cmp_ge_u32 s5, s71
	s_cselect_b32 s4, s6, s4
	s_mul_hi_u32 s5, s1, s4
	s_mul_i32 s4, s1, s4
	s_lshl_b64 s[8:9], s[4:5], 2
	v_cmp_gt_u64_e32 vcc, s[8:9], v[14:15]
	v_mov_b32_e32 v10, 0
	v_mov_b32_e32 v11, 0
	s_and_saveexec_b64 s[10:11], vcc
	s_cbranch_execz .LBB207_64
; %bb.61:                               ;   in Loop: Header=BB207_12 Depth=1
	v_mov_b32_e32 v22, v15
	s_mov_b64 s[14:15], s[92:93]
	s_lshl_b32 s5, s1, 3
	s_mov_b64 s[12:13], 0
	v_mov_b32_e32 v40, v31
	s_mov_b64 s[76:77], 0
	s_mov_b64 s[94:95], 0
	;; [unrolled: 1-line block ×4, first 2 shown]
	v_mov_b32_e32 v21, v14
.LBB207_62:                             ;   Parent Loop BB207_12 Depth=1
                                        ; =>  This Inner Loop Header: Depth=2
	ds_read_b64 v[4:5], v40
	v_add_co_u32_e32 v21, vcc, s71, v21
	v_addc_co_u32_e32 v22, vcc, 0, v22, vcc
	s_waitcnt lgkmcnt(0)
	v_cmp_lt_i16_e64 s[6:7], -1, v4
	v_cndmask_b32_e64 v6, v33, v34, s[6:7]
	v_cmp_gt_i16_sdwa s[6:7], v4, v36 src0_sel:WORD_1 src1_sel:DWORD
	v_cndmask_b32_e64 v7, v33, v34, s[6:7]
	v_cmp_lt_i16_e64 s[6:7], -1, v5
	v_cndmask_b32_e64 v8, v33, v34, s[6:7]
	v_cmp_gt_i16_sdwa s[6:7], v5, v36 src0_sel:WORD_1 src1_sel:DWORD
	v_cndmask_b32_e64 v9, v33, v34, s[6:7]
	v_xor_b32_sdwa v8, v8, v5 dst_sel:DWORD dst_unused:UNUSED_PAD src0_sel:DWORD src1_sel:WORD_0
	v_cmp_o_f16_e64 s[18:19], v5, v5
	v_xor_b32_sdwa v9, v9, v5 dst_sel:DWORD dst_unused:UNUSED_PAD src0_sel:DWORD src1_sel:WORD_1
	v_cmp_o_f16_sdwa s[20:21], v5, v5 src0_sel:WORD_1 src1_sel:WORD_1
	v_xor_b32_sdwa v5, v6, v4 dst_sel:DWORD dst_unused:UNUSED_PAD src0_sel:DWORD src1_sel:WORD_0
	v_cmp_o_f16_e64 s[22:23], v4, v4
	v_xor_b32_sdwa v7, v7, v4 dst_sel:DWORD dst_unused:UNUSED_PAD src0_sel:DWORD src1_sel:WORD_1
	v_cmp_o_f16_sdwa s[6:7], v4, v4 src0_sel:WORD_1 src1_sel:WORD_1
	v_cndmask_b32_e64 v4, v33, v5, s[22:23]
	v_cndmask_b32_e64 v5, v33, v7, s[6:7]
	;; [unrolled: 1-line block ×3, first 2 shown]
	v_and_b32_e32 v8, v4, v38
	v_bfe_u32 v4, v4, s0, 2
	v_cndmask_b32_e64 v7, v33, v9, s[20:21]
	v_and_b32_e32 v9, v5, v38
	v_bfe_u32 v5, v5, s0, 2
	v_cmp_eq_u32_e64 s[24:25], v8, v30
	v_cmp_eq_u32_e64 s[6:7], 0, v4
	v_and_b32_e32 v10, v6, v38
	v_bfe_u32 v6, v6, s0, 2
	v_cmp_eq_u32_e64 s[22:23], v9, v30
	v_cmp_eq_u32_e64 s[36:37], 0, v5
	s_and_b64 s[6:7], s[24:25], s[6:7]
	v_and_b32_e32 v11, v7, v38
	v_bfe_u32 v7, v7, s0, 2
	v_cmp_eq_u32_e64 s[20:21], v10, v30
	v_cmp_eq_u32_e64 s[38:39], 0, v6
	v_cmp_eq_u32_e64 s[44:45], 1, v4
	v_cmp_eq_u32_e64 s[52:53], 2, v4
	v_cmp_eq_u32_e64 s[34:35], 3, v4
	v_cndmask_b32_e64 v4, 0, 1, s[6:7]
	s_and_b64 s[6:7], s[22:23], s[36:37]
	v_cmp_eq_u32_e64 s[18:19], v11, v30
	v_cmp_eq_u32_e64 s[40:41], 0, v7
	;; [unrolled: 1-line block ×5, first 2 shown]
	v_cndmask_b32_e64 v5, 0, 1, s[6:7]
	s_and_b64 s[6:7], s[20:21], s[38:39]
	v_cmp_eq_u32_e64 s[48:49], 1, v6
	v_cmp_eq_u32_e64 s[56:57], 2, v6
	;; [unrolled: 1-line block ×3, first 2 shown]
	v_cndmask_b32_e64 v6, 0, 1, s[6:7]
	s_and_b64 s[6:7], s[18:19], s[40:41]
	v_cmp_eq_u32_e64 s[50:51], 1, v7
	v_cmp_eq_u32_e64 s[58:59], 2, v7
	;; [unrolled: 1-line block ×3, first 2 shown]
	v_cndmask_b32_e64 v7, 0, 1, s[6:7]
	v_cmp_ne_u32_e64 s[6:7], 0, v4
	v_cmp_ne_u32_e64 s[36:37], 0, v5
	v_cmp_ne_u32_e64 s[38:39], 0, v6
	v_cmp_ne_u32_e64 s[40:41], 0, v7
	s_bcnt1_i32_b64 s6, s[6:7]
	s_bcnt1_i32_b64 s7, s[36:37]
	s_bcnt1_i32_b64 s36, s[38:39]
	s_bcnt1_i32_b64 s37, s[40:41]
	s_add_u32 s6, s6, s92
	s_addc_u32 s38, 0, s93
	s_add_u32 s6, s6, s7
	s_addc_u32 s7, s38, 0
	s_add_u32 s6, s6, s36
	s_addc_u32 s7, s7, 0
	s_add_u32 s92, s6, s37
	s_addc_u32 s93, s7, 0
	s_and_b64 s[6:7], s[24:25], s[44:45]
	v_cndmask_b32_e64 v6, 0, 1, s[6:7]
	s_and_b64 s[6:7], s[22:23], s[46:47]
	v_cndmask_b32_e64 v7, 0, 1, s[6:7]
	s_and_b64 s[6:7], s[20:21], s[48:49]
	v_cndmask_b32_e64 v8, 0, 1, s[6:7]
	s_and_b64 s[6:7], s[18:19], s[50:51]
	v_cndmask_b32_e64 v9, 0, 1, s[6:7]
	v_cmp_ne_u32_e64 s[6:7], 0, v6
	v_cmp_ne_u32_e64 s[36:37], 0, v7
	v_cmp_ne_u32_e64 s[38:39], 0, v8
	v_cmp_ne_u32_e64 s[40:41], 0, v9
	s_bcnt1_i32_b64 s6, s[6:7]
	s_bcnt1_i32_b64 s7, s[36:37]
	s_bcnt1_i32_b64 s36, s[38:39]
	s_bcnt1_i32_b64 s37, s[40:41]
	s_add_u32 s6, s6, s90
	s_addc_u32 s38, 0, s91
	s_add_u32 s6, s6, s7
	s_addc_u32 s7, s38, 0
	s_add_u32 s6, s6, s36
	s_addc_u32 s7, s7, 0
	s_add_u32 s90, s6, s37
	s_addc_u32 s91, s7, 0
	s_and_b64 s[6:7], s[24:25], s[52:53]
	v_cndmask_b32_e64 v8, 0, 1, s[6:7]
	s_and_b64 s[6:7], s[22:23], s[54:55]
	v_cndmask_b32_e64 v9, 0, 1, s[6:7]
	s_and_b64 s[6:7], s[20:21], s[56:57]
	v_cndmask_b32_e64 v10, 0, 1, s[6:7]
	s_and_b64 s[6:7], s[18:19], s[58:59]
	;; [unrolled: 24-line block ×3, first 2 shown]
	v_cndmask_b32_e64 v42, 0, 1, s[6:7]
	v_cmp_ne_u32_e64 s[6:7], 0, v10
	v_cmp_ne_u32_e64 s[18:19], 0, v11
	;; [unrolled: 1-line block ×4, first 2 shown]
	s_bcnt1_i32_b64 s6, s[6:7]
	s_bcnt1_i32_b64 s7, s[18:19]
	;; [unrolled: 1-line block ×4, first 2 shown]
	s_add_u32 s6, s6, s76
	s_addc_u32 s20, 0, s77
	s_add_u32 s6, s6, s7
	s_addc_u32 s7, s20, 0
	s_add_u32 s6, s6, s18
	s_addc_u32 s7, s7, 0
	v_cmp_le_u64_e32 vcc, s[8:9], v[21:22]
	s_add_u32 s76, s6, s19
	v_mov_b32_e32 v4, s92
	v_mov_b32_e32 v6, s90
	;; [unrolled: 1-line block ×3, first 2 shown]
	s_addc_u32 s77, s7, 0
	v_mov_b32_e32 v10, s76
	v_add_u32_e32 v40, s5, v40
	v_mov_b32_e32 v5, s93
	v_mov_b32_e32 v7, s91
	;; [unrolled: 1-line block ×3, first 2 shown]
	s_or_b64 s[12:13], vcc, s[12:13]
	v_mov_b32_e32 v11, s77
	s_andn2_b64 exec, exec, s[12:13]
	s_cbranch_execnz .LBB207_62
; %bb.63:                               ;   in Loop: Header=BB207_12 Depth=1
	s_or_b64 exec, exec, s[12:13]
	s_mov_b64 s[92:93], s[14:15]
.LBB207_64:                             ;   in Loop: Header=BB207_12 Depth=1
	s_or_b64 exec, exec, s[10:11]
	v_mov_b32_e32 v22, s9
	v_add_co_u32_e32 v21, vcc, s8, v0
	s_and_b32 s88, s70, 0x7fffffff
	v_addc_co_u32_e32 v22, vcc, 0, v22, vcc
	v_cmp_gt_u64_e32 vcc, s[88:89], v[21:22]
	s_and_saveexec_b64 s[8:9], vcc
	s_cbranch_execz .LBB207_68
; %bb.65:                               ;   in Loop: Header=BB207_12 Depth=1
	v_lshl_add_u32 v40, s4, 3, v27
	s_lshl_b32 s1, s1, 1
	s_mov_b64 s[4:5], 0
.LBB207_66:                             ;   Parent Loop BB207_12 Depth=1
                                        ; =>  This Inner Loop Header: Depth=2
	ds_read_u16 v41, v40
	v_add_co_u32_sdwa v21, vcc, v21, v2 dst_sel:DWORD dst_unused:UNUSED_PAD src0_sel:DWORD src1_sel:WORD_0
	v_addc_co_u32_e32 v22, vcc, 0, v22, vcc
	s_waitcnt lgkmcnt(0)
	v_cmp_lt_i16_e64 s[6:7], -1, v41
	v_cndmask_b32_e64 v42, v33, v34, s[6:7]
	v_xor_b32_sdwa v42, v42, v41 dst_sel:DWORD dst_unused:UNUSED_PAD src0_sel:DWORD src1_sel:WORD_0
	v_cmp_o_f16_e64 s[6:7], v41, v41
	v_cndmask_b32_e64 v41, v33, v42, s[6:7]
	v_and_b32_e32 v42, v41, v38
	v_bfe_u32 v41, v41, s0, 2
	v_cmp_eq_u32_e64 s[6:7], v42, v30
	v_cmp_eq_u32_e64 s[18:19], 0, v41
	;; [unrolled: 1-line block ×3, first 2 shown]
	s_and_b64 s[10:11], s[6:7], s[18:19]
	v_cmp_eq_u32_e64 s[22:23], 2, v41
	v_cmp_eq_u32_e64 s[24:25], 3, v41
	v_cndmask_b32_e64 v41, 0, 1, s[10:11]
	s_and_b64 s[10:11], s[6:7], s[20:21]
	v_cndmask_b32_e64 v42, 0, 1, s[10:11]
	s_and_b64 s[10:11], s[6:7], s[22:23]
	s_and_b64 s[6:7], s[6:7], s[24:25]
	v_cndmask_b32_e64 v43, 0, 1, s[10:11]
	v_cndmask_b32_e64 v44, 0, 1, s[6:7]
	v_cmp_le_u64_e32 vcc, s[88:89], v[21:22]
	v_cmp_ne_u32_e64 s[6:7], 0, v41
	v_cmp_ne_u32_e64 s[18:19], 0, v42
	;; [unrolled: 1-line block ×4, first 2 shown]
	s_bcnt1_i32_b64 s6, s[6:7]
	s_bcnt1_i32_b64 s7, s[18:19]
	s_bcnt1_i32_b64 s10, s[20:21]
	s_bcnt1_i32_b64 s11, s[22:23]
	s_or_b64 s[4:5], vcc, s[4:5]
	v_add_co_u32_e32 v4, vcc, s6, v4
	v_addc_co_u32_e32 v5, vcc, 0, v5, vcc
	v_add_co_u32_e32 v6, vcc, s7, v6
	v_addc_co_u32_e32 v7, vcc, 0, v7, vcc
	;; [unrolled: 2-line block ×3, first 2 shown]
	v_add_co_u32_e32 v10, vcc, s11, v10
	v_add_u32_e32 v40, s1, v40
	v_addc_co_u32_e32 v11, vcc, 0, v11, vcc
	s_andn2_b64 exec, exec, s[4:5]
	s_cbranch_execnz .LBB207_66
; %bb.67:                               ;   in Loop: Header=BB207_12 Depth=1
	s_or_b64 exec, exec, s[4:5]
.LBB207_68:                             ;   in Loop: Header=BB207_12 Depth=1
	s_or_b64 exec, exec, s[8:9]
	v_readlane_b32 s88, v47, 57
.LBB207_69:                             ;   in Loop: Header=BB207_12 Depth=1
	v_readlane_b32 s1, v47, 56
	s_lshl_b32 s1, s1, 6
	s_and_saveexec_b64 s[4:5], s[92:93]
	s_cbranch_execz .LBB207_71
; %bb.70:                               ;   in Loop: Header=BB207_12 Depth=1
	v_lshl_add_u32 v2, s1, 3, v29
	ds_write_b128 v2, v[4:7]
	ds_write_b128 v2, v[8:11] offset:16
.LBB207_71:                             ;   in Loop: Header=BB207_12 Depth=1
	s_or_b64 exec, exec, s[4:5]
	s_waitcnt lgkmcnt(0)
	s_barrier
	s_mov_b64 s[4:5], exec
	v_readlane_b32 s6, v47, 24
	v_readlane_b32 s7, v47, 25
	s_and_b64 s[6:7], s[4:5], s[6:7]
	s_mov_b64 exec, s[6:7]
	s_cbranch_execz .LBB207_83
; %bb.72:                               ;   in Loop: Header=BB207_12 Depth=1
	v_readlane_b32 s6, v47, 32
	v_mov_b32_e32 v4, 0
	v_readlane_b32 s7, v47, 33
	v_mov_b32_e32 v5, 0
	s_andn2_b64 vcc, exec, s[6:7]
	s_cbranch_vccnz .LBB207_82
; %bb.73:                               ;   in Loop: Header=BB207_12 Depth=1
	v_readlane_b32 s6, v47, 45
	v_readlane_b32 s7, v47, 46
	s_andn2_b64 vcc, exec, s[6:7]
	s_cbranch_vccnz .LBB207_78
; %bb.74:                               ;   in Loop: Header=BB207_12 Depth=1
	v_readlane_b32 s6, v47, 56
	v_mov_b32_e32 v4, 0
	v_lshl_add_u32 v2, s6, 9, v32
	v_mov_b32_e32 v5, 0
	s_mov_b32 s6, 0
.LBB207_75:                             ;   Parent Loop BB207_12 Depth=1
                                        ; =>  This Inner Loop Header: Depth=2
	ds_read2_b64 v[6:9], v2 offset1:4
	s_add_i32 s6, s6, 8
	s_cmp_eq_u32 s84, s6
	s_waitcnt lgkmcnt(0)
	v_add_co_u32_e32 v4, vcc, v6, v4
	v_addc_co_u32_e32 v5, vcc, v7, v5, vcc
	v_add_co_u32_e32 v8, vcc, v8, v4
	v_addc_co_u32_e32 v9, vcc, v9, v5, vcc
	ds_read2_b64 v[4:7], v2 offset0:8 offset1:12
	s_waitcnt lgkmcnt(0)
	v_add_co_u32_e32 v4, vcc, v4, v8
	v_addc_co_u32_e32 v5, vcc, v5, v9, vcc
	v_add_co_u32_e32 v8, vcc, v6, v4
	v_addc_co_u32_e32 v9, vcc, v7, v5, vcc
	ds_read2_b64 v[4:7], v2 offset0:16 offset1:20
	;; [unrolled: 6-line block ×3, first 2 shown]
	v_add_u32_e32 v2, 0x100, v2
	s_waitcnt lgkmcnt(0)
	v_add_co_u32_e32 v4, vcc, v4, v8
	v_addc_co_u32_e32 v5, vcc, v5, v9, vcc
	v_add_co_u32_e32 v4, vcc, v6, v4
	v_addc_co_u32_e32 v5, vcc, v7, v5, vcc
	s_cbranch_scc0 .LBB207_75
; %bb.76:                               ;   in Loop: Header=BB207_12 Depth=1
	s_mov_b32 s6, s84
	s_branch .LBB207_79
.LBB207_77:                             ;   in Loop: Header=BB207_12 Depth=1
                                        ; implicit-def: $sgpr4_sgpr5
	s_branch .LBB207_47
.LBB207_78:                             ;   in Loop: Header=BB207_12 Depth=1
	v_mov_b32_e32 v4, 0
	v_mov_b32_e32 v5, 0
	s_mov_b32 s6, 0
.LBB207_79:                             ;   in Loop: Header=BB207_12 Depth=1
	v_readlane_b32 s8, v47, 48
	v_readlane_b32 s9, v47, 49
	s_andn2_b64 vcc, exec, s[8:9]
	s_cbranch_vccnz .LBB207_82
; %bb.80:                               ;   in Loop: Header=BB207_12 Depth=1
	v_readlane_b32 s7, v47, 56
	s_lshl_b32 s7, s7, 9
	s_lshl_b32 s6, s6, 5
	s_add_i32 s7, s7, s6
	v_add_u32_e32 v2, s7, v32
	v_readlane_b32 s6, v47, 47
.LBB207_81:                             ;   Parent Loop BB207_12 Depth=1
                                        ; =>  This Inner Loop Header: Depth=2
	ds_read_b64 v[6:7], v2
	s_add_i32 s6, s6, -1
	v_add_u32_e32 v2, 32, v2
	s_cmp_lg_u32 s6, 0
	s_waitcnt lgkmcnt(0)
	v_add_co_u32_e32 v4, vcc, v6, v4
	v_addc_co_u32_e32 v5, vcc, v7, v5, vcc
	s_cbranch_scc1 .LBB207_81
.LBB207_82:                             ;   in Loop: Header=BB207_12 Depth=1
	v_add_lshl_u32 v2, s1, v26, 3
	ds_write_b64 v2, v[4:5] offset:3072
.LBB207_83:                             ;   in Loop: Header=BB207_12 Depth=1
	s_or_b64 exec, exec, s[4:5]
	s_lshl_b32 s1, s1, 3
	v_mov_b32_e32 v2, s1
	s_waitcnt lgkmcnt(0)
	s_barrier
	ds_read_b128 v[4:7], v2 offset:3072
	ds_read_b128 v[8:11], v2 offset:3088
	s_lshl_b32 s1, 3, s0
	s_not_b32 s4, s1
	v_writelane_b32 v47, s4, 61
	v_readlane_b32 s4, v47, 22
	v_cmp_eq_u64_e64 s[18:19], 1, v[19:20]
	v_readlane_b32 s5, v47, 23
	s_waitcnt lgkmcnt(1)
	v_readfirstlane_b32 s21, v5
	v_readfirstlane_b32 s20, v4
	;; [unrolled: 1-line block ×4, first 2 shown]
	s_waitcnt lgkmcnt(0)
	v_readfirstlane_b32 s27, v9
	v_readfirstlane_b32 s26, v8
	;; [unrolled: 1-line block ×4, first 2 shown]
	s_mov_b64 s[40:41], -1
	s_mov_b64 s[22:23], 0
	s_andn2_b64 vcc, exec, s[4:5]
	s_mov_b64 s[34:35], 0
	s_mov_b64 s[30:31], 0
                                        ; implicit-def: $sgpr36_sgpr37
                                        ; implicit-def: $sgpr38_sgpr39
                                        ; implicit-def: $vgpr4_vgpr5
                                        ; implicit-def: $vgpr2
                                        ; implicit-def: $vgpr9
                                        ; implicit-def: $vgpr8
                                        ; implicit-def: $vgpr10
	s_cbranch_vccnz .LBB207_286
; %bb.84:                               ;   in Loop: Header=BB207_12 Depth=1
	s_cmp_eq_u64 s[20:21], 1
	s_cselect_b64 s[4:5], -1, 0
	s_and_b64 s[6:7], s[4:5], s[18:19]
	s_mov_b64 s[4:5], -1
	v_mov_b32_e32 v9, v30
	v_mov_b32_e32 v8, v38
	;; [unrolled: 1-line block ×3, first 2 shown]
                                        ; implicit-def: $sgpr38_sgpr39
                                        ; implicit-def: $sgpr36_sgpr37
	s_and_saveexec_b64 s[30:31], s[6:7]
	s_cbranch_execz .LBB207_121
; %bb.85:                               ;   in Loop: Header=BB207_12 Depth=1
	ds_read_b64 v[4:5], v3 offset:5120
	s_waitcnt lgkmcnt(0)
	s_barrier
	v_readfirstlane_b32 s8, v4
	v_readfirstlane_b32 s9, v5
	s_mov_b64 s[4:5], exec
	v_readlane_b32 s10, v47, 30
	v_readlane_b32 s11, v47, 31
	s_and_b64 s[10:11], s[4:5], s[10:11]
	s_mov_b64 exec, s[10:11]
; %bb.86:                               ;   in Loop: Header=BB207_12 Depth=1
	ds_write_b16 v28, v3
; %bb.87:                               ;   in Loop: Header=BB207_12 Depth=1
	s_or_b64 exec, exec, s[4:5]
	v_readlane_b32 s4, v47, 61
	v_and_b32_e32 v9, s4, v30
	v_or_b32_e32 v8, s1, v38
	s_mov_b64 s[36:37], -1
	s_mov_b64 s[38:39], 0
	s_cmp_eq_u64 s[8:9], 0
	s_mov_b64 s[4:5], 0
	s_mov_b64 s[10:11], -1
	s_waitcnt lgkmcnt(0)
	s_barrier
                                        ; implicit-def: $vgpr10
	s_cbranch_scc1 .LBB207_105
; %bb.88:                               ;   in Loop: Header=BB207_12 Depth=1
	v_readlane_b32 s4, v47, 34
	s_add_u32 s34, s8, s4
	v_readlane_b32 s4, v47, 36
	s_addc_u32 s5, s9, s4
	s_mov_b32 s4, s89
	s_cmp_lg_u64 s[4:5], 0
	s_cbranch_scc0 .LBB207_148
; %bb.89:                               ;   in Loop: Header=BB207_12 Depth=1
	v_cvt_f32_u32_e32 v2, s87
	s_sub_u32 s4, 0, s87
	s_subb_u32 s12, 0, 0
	v_mac_f32_e32 v2, 0, v35
	v_rcp_f32_e32 v2, v2
	v_mul_f32_e32 v2, 0x5f7ffffc, v2
	v_mul_f32_e32 v4, 0x2f800000, v2
	v_trunc_f32_e32 v4, v4
	v_mac_f32_e32 v2, 0xcf800000, v4
	v_cvt_u32_f32_e32 v4, v4
	v_cvt_u32_f32_e32 v2, v2
	v_readfirstlane_b32 s13, v4
	v_readfirstlane_b32 s10, v2
	s_mul_i32 s11, s4, s13
	s_mul_hi_u32 s40, s4, s10
	s_mul_i32 s35, s12, s10
	s_add_i32 s11, s40, s11
	s_mul_i32 s41, s4, s10
	s_add_i32 s11, s11, s35
	s_mul_hi_u32 s40, s10, s41
	s_mul_i32 s44, s10, s11
	s_mul_hi_u32 s35, s10, s11
	s_add_u32 s40, s40, s44
	s_addc_u32 s35, 0, s35
	s_mul_hi_u32 s45, s13, s41
	s_mul_i32 s41, s13, s41
	s_add_u32 s40, s40, s41
	s_mul_hi_u32 s44, s13, s11
	s_addc_u32 s35, s35, s45
	s_addc_u32 s40, s44, 0
	s_mul_i32 s11, s13, s11
	s_add_u32 s11, s35, s11
	s_addc_u32 s35, 0, s40
	s_add_u32 s40, s10, s11
	s_cselect_b64 s[10:11], -1, 0
	s_cmp_lg_u64 s[10:11], 0
	s_addc_u32 s13, s13, s35
	s_mul_i32 s10, s4, s13
	s_mul_hi_u32 s11, s4, s40
	s_add_i32 s10, s11, s10
	s_mul_i32 s12, s12, s40
	s_add_i32 s10, s10, s12
	s_mul_i32 s4, s4, s40
	s_mul_hi_u32 s12, s13, s4
	s_mul_i32 s35, s13, s4
	s_mul_i32 s44, s40, s10
	s_mul_hi_u32 s4, s40, s4
	s_mul_hi_u32 s41, s40, s10
	s_add_u32 s4, s4, s44
	s_addc_u32 s41, 0, s41
	s_add_u32 s4, s4, s35
	s_mul_hi_u32 s11, s13, s10
	s_addc_u32 s4, s41, s12
	s_addc_u32 s11, s11, 0
	s_mul_i32 s10, s13, s10
	s_add_u32 s4, s4, s10
	s_addc_u32 s12, 0, s11
	s_add_u32 s4, s40, s4
	s_cselect_b64 s[10:11], -1, 0
	s_cmp_lg_u64 s[10:11], 0
	s_addc_u32 s10, s13, s12
	s_mul_i32 s12, s34, s10
	s_mul_hi_u32 s13, s34, s4
	s_mul_hi_u32 s11, s34, s10
	s_add_u32 s12, s13, s12
	s_addc_u32 s11, 0, s11
	s_mul_hi_u32 s35, s5, s4
	s_mul_i32 s4, s5, s4
	s_add_u32 s4, s12, s4
	s_mul_hi_u32 s13, s5, s10
	s_addc_u32 s4, s11, s35
	s_addc_u32 s11, s13, 0
	s_mul_i32 s10, s5, s10
	s_add_u32 s4, s4, s10
	s_addc_u32 s10, 0, s11
	s_mul_i32 s10, s87, s10
	s_mul_hi_u32 s11, s87, s4
	s_add_i32 s12, s11, s10
	s_mul_i32 s4, s87, s4
	s_sub_u32 s4, s34, s4
	s_cselect_b64 s[10:11], -1, 0
	s_cmp_lg_u64 s[10:11], 0
	s_subb_u32 s12, s5, s12
	s_sub_u32 s13, s4, s87
	s_cselect_b64 s[10:11], -1, 0
	s_cmp_lg_u64 s[10:11], 0
	s_subb_u32 s35, s12, 0
	;; [unrolled: 4-line block ×3, first 2 shown]
	s_cmp_ge_u32 s13, s87
	s_cselect_b32 s11, -1, 0
	s_cmp_eq_u32 s35, 0
	s_cselect_b32 s11, s11, -1
	s_cmp_lg_u32 s11, 0
	s_cselect_b32 s10, s10, s35
	s_cselect_b32 s13, s40, s13
	s_cmp_ge_u32 s4, s87
	s_cselect_b32 s11, -1, 0
	s_cmp_eq_u32 s12, 0
	s_cselect_b32 s11, s11, -1
	s_cmp_lg_u32 s11, 0
	s_cselect_b32 s11, s10, s12
	s_cselect_b32 s10, s13, s4
	s_cbranch_execnz .LBB207_91
.LBB207_90:                             ;   in Loop: Header=BB207_12 Depth=1
	v_cvt_f32_u32_e32 v2, s87
	s_sub_i32 s4, 0, s87
	v_rcp_iflag_f32_e32 v2, v2
	v_mul_f32_e32 v2, 0x4f7ffffe, v2
	v_cvt_u32_f32_e32 v2, v2
	v_readfirstlane_b32 s10, v2
	s_mul_i32 s4, s4, s10
	s_mul_hi_u32 s4, s10, s4
	s_add_i32 s10, s10, s4
	s_mul_hi_u32 s4, s34, s10
	s_mul_i32 s4, s4, s87
	s_sub_i32 s4, s34, s4
	s_sub_i32 s10, s4, s87
	s_cmp_ge_u32 s4, s87
	s_cselect_b32 s4, s10, s4
	s_sub_i32 s10, s4, s87
	s_cmp_ge_u32 s4, s87
	s_cselect_b32 s88, s10, s4
	s_mov_b64 s[10:11], s[88:89]
	v_readlane_b32 s88, v47, 57
.LBB207_91:                             ;   in Loop: Header=BB207_12 Depth=1
	s_sub_u32 s34, s34, s10
	s_subb_u32 s35, s5, s11
	v_cmp_gt_u64_e32 vcc, s[34:35], v[0:1]
	s_mov_b64 s[10:11], 0
	s_mov_b64 s[4:5], 0
                                        ; implicit-def: $vgpr10
	s_and_saveexec_b64 s[12:13], vcc
	s_cbranch_execz .LBB207_104
; %bb.92:                               ;   in Loop: Header=BB207_12 Depth=1
	v_mov_b32_e32 v5, v1
	v_mov_b32_e32 v2, v27
	v_mov_b32_e32 v4, v0
                                        ; implicit-def: $sgpr40_sgpr41
	s_branch .LBB207_96
.LBB207_93:                             ;   in Loop: Header=BB207_96 Depth=2
	s_or_b64 exec, exec, s[44:45]
	s_waitcnt lgkmcnt(0)
	s_barrier
	ds_read_b32 v6, v3 offset:3072
	s_waitcnt lgkmcnt(0)
	s_barrier
	v_cmp_neq_f16_e32 vcc, 0, v6
	s_cbranch_vccnz .LBB207_99
; %bb.94:                               ;   in Loop: Header=BB207_96 Depth=2
	v_add_co_u32_e32 v4, vcc, s87, v4
	v_addc_co_u32_e32 v5, vcc, 0, v5, vcc
	v_cmp_le_u64_e32 vcc, s[34:35], v[4:5]
	v_add_u32_e32 v2, s85, v2
	s_mov_b64 s[44:45], 0
	s_orn2_b64 s[46:47], vcc, exec
.LBB207_95:                             ;   in Loop: Header=BB207_96 Depth=2
	s_and_b64 s[46:47], exec, s[46:47]
	s_or_b64 s[4:5], s[46:47], s[4:5]
	s_andn2_b64 s[40:41], s[40:41], exec
	s_and_b64 s[44:45], s[44:45], exec
	s_or_b64 s[40:41], s[40:41], s[44:45]
	s_andn2_b64 exec, exec, s[4:5]
	s_cbranch_execz .LBB207_103
.LBB207_96:                             ;   Parent Loop BB207_12 Depth=1
                                        ; =>  This Inner Loop Header: Depth=2
	v_cmp_gt_u64_e32 vcc, s[8:9], v[4:5]
	s_and_saveexec_b64 s[44:45], vcc
	s_cbranch_execz .LBB207_93
; %bb.97:                               ;   in Loop: Header=BB207_96 Depth=2
	ds_read_u16 v6, v2
	s_waitcnt lgkmcnt(0)
	v_cmp_lt_i16_e32 vcc, -1, v6
	v_cndmask_b32_e32 v7, v33, v34, vcc
	v_xor_b32_sdwa v7, v7, v6 dst_sel:DWORD dst_unused:UNUSED_PAD src0_sel:DWORD src1_sel:WORD_0
	v_cmp_o_f16_e32 vcc, v6, v6
	v_cndmask_b32_e32 v7, v33, v7, vcc
	v_and_b32_e32 v7, v7, v8
	v_cmp_eq_u32_e32 vcc, v7, v9
	s_and_b64 exec, exec, vcc
	s_cbranch_execz .LBB207_93
; %bb.98:                               ;   in Loop: Header=BB207_96 Depth=2
	s_movk_i32 s14, 0x3c00
	v_perm_b32 v6, v6, s14, v37
	ds_write_b32 v3, v6 offset:3072
	s_branch .LBB207_93
.LBB207_99:                             ;   in Loop: Header=BB207_96 Depth=2
	s_mov_b64 s[46:47], -1
                                        ; implicit-def: $vgpr4_vgpr5
                                        ; implicit-def: $vgpr2
	s_mov_b64 s[44:45], -1
	s_branch .LBB207_95
.LBB207_100:                            ;   in Loop: Header=BB207_12 Depth=1
	s_or_b64 exec, exec, s[8:9]
	s_waitcnt lgkmcnt(0)
	s_barrier
	s_mov_b64 s[6:7], exec
	v_readlane_b32 s8, v47, 12
	v_readlane_b32 s9, v47, 13
	s_and_b64 s[8:9], s[6:7], s[8:9]
	s_mov_b64 exec, s[8:9]
	s_cbranch_execz .LBB207_102
; %bb.101:                              ;   in Loop: Header=BB207_12 Depth=1
	ds_read_b32 v4, v3 offset:5144
	s_waitcnt lgkmcnt(0)
	v_ashrrev_i32_e32 v5, 31, v4
	ds_write_b64 v3, v[4:5] offset:5120
.LBB207_102:                            ;   in Loop: Header=BB207_12 Depth=1
	s_or_b64 exec, exec, s[6:7]
	s_waitcnt lgkmcnt(0)
	s_barrier
	s_mov_b64 s[6:7], -1
	s_and_b64 vcc, exec, s[4:5]
	s_cbranch_vccnz .LBB207_27
	s_branch .LBB207_42
.LBB207_103:                            ;   in Loop: Header=BB207_12 Depth=1
	s_or_b64 exec, exec, s[4:5]
	v_lshrrev_b32_e32 v10, 16, v6
	s_and_b64 s[4:5], s[40:41], exec
.LBB207_104:                            ;   in Loop: Header=BB207_12 Depth=1
	s_or_b64 exec, exec, s[12:13]
.LBB207_105:                            ;   in Loop: Header=BB207_12 Depth=1
	s_and_b64 vcc, exec, s[10:11]
	s_cbranch_vccz .LBB207_120
; %bb.106:                              ;   in Loop: Header=BB207_12 Depth=1
	v_readlane_b32 s14, v47, 37
	v_readlane_b32 s15, v47, 38
	s_mov_b32 s14, s89
	s_cmp_lg_u64 s[14:15], 0
	v_writelane_b32 v47, s14, 37
	v_writelane_b32 v47, s15, 38
	s_cbranch_scc0 .LBB207_149
; %bb.107:                              ;   in Loop: Header=BB207_12 Depth=1
	v_cvt_f32_u32_e32 v2, s87
	s_sub_u32 s10, 0, s87
	s_subb_u32 s11, 0, 0
	v_readlane_b32 s14, v47, 35
	v_mac_f32_e32 v2, 0, v35
	v_rcp_f32_e32 v2, v2
	v_mul_f32_e32 v2, 0x5f7ffffc, v2
	v_mul_f32_e32 v4, 0x2f800000, v2
	v_trunc_f32_e32 v4, v4
	v_mac_f32_e32 v2, 0xcf800000, v4
	v_cvt_u32_f32_e32 v4, v4
	v_cvt_u32_f32_e32 v2, v2
	v_readfirstlane_b32 s12, v4
	v_readfirstlane_b32 s8, v2
	s_mul_i32 s9, s10, s12
	s_mul_hi_u32 s34, s10, s8
	s_mul_i32 s13, s11, s8
	s_add_i32 s9, s34, s9
	s_mul_i32 s35, s10, s8
	s_add_i32 s9, s9, s13
	s_mul_hi_u32 s34, s8, s35
	s_mul_i32 s36, s8, s9
	s_mul_hi_u32 s13, s8, s9
	s_add_u32 s34, s34, s36
	s_addc_u32 s13, 0, s13
	s_mul_hi_u32 s37, s12, s35
	s_mul_i32 s35, s12, s35
	s_add_u32 s34, s34, s35
	s_mul_hi_u32 s36, s12, s9
	s_addc_u32 s13, s13, s37
	s_addc_u32 s34, s36, 0
	s_mul_i32 s9, s12, s9
	s_add_u32 s9, s13, s9
	s_addc_u32 s13, 0, s34
	s_add_u32 s34, s8, s9
	s_cselect_b64 s[8:9], -1, 0
	s_cmp_lg_u64 s[8:9], 0
	s_addc_u32 s12, s12, s13
	s_mul_i32 s8, s10, s12
	s_mul_hi_u32 s9, s10, s34
	s_add_i32 s8, s9, s8
	s_mul_i32 s11, s11, s34
	s_add_i32 s8, s8, s11
	s_mul_i32 s10, s10, s34
	s_mul_hi_u32 s11, s12, s10
	s_mul_i32 s13, s12, s10
	s_mul_i32 s36, s34, s8
	s_mul_hi_u32 s10, s34, s10
	s_mul_hi_u32 s35, s34, s8
	s_add_u32 s10, s10, s36
	s_addc_u32 s35, 0, s35
	s_add_u32 s10, s10, s13
	s_mul_hi_u32 s9, s12, s8
	s_addc_u32 s10, s35, s11
	s_addc_u32 s9, s9, 0
	s_mul_i32 s8, s12, s8
	s_add_u32 s8, s10, s8
	s_addc_u32 s10, 0, s9
	s_add_u32 s11, s34, s8
	s_cselect_b64 s[8:9], -1, 0
	s_cmp_lg_u64 s[8:9], 0
	s_addc_u32 s8, s12, s10
	s_mul_i32 s10, s14, s8
	s_mul_hi_u32 s12, s14, s11
	s_mul_hi_u32 s9, s14, s8
	s_add_u32 s10, s12, s10
	s_addc_u32 s9, 0, s9
	s_mul_hi_u32 s13, s15, s11
	s_mul_i32 s11, s15, s11
	s_add_u32 s10, s10, s11
	s_mul_hi_u32 s12, s15, s8
	s_addc_u32 s9, s9, s13
	s_addc_u32 s10, s12, 0
	s_mul_i32 s8, s15, s8
	s_add_u32 s8, s9, s8
	s_addc_u32 s9, 0, s10
	s_mul_i32 s9, s87, s9
	s_mul_hi_u32 s10, s87, s8
	s_add_i32 s10, s10, s9
	s_mul_i32 s8, s87, s8
	s_sub_u32 s11, s14, s8
	s_cselect_b64 s[8:9], -1, 0
	s_cmp_lg_u64 s[8:9], 0
	s_subb_u32 s10, s15, s10
	s_sub_u32 s12, s11, s87
	s_cselect_b64 s[8:9], -1, 0
	s_cmp_lg_u64 s[8:9], 0
	s_subb_u32 s13, s10, 0
	;; [unrolled: 4-line block ×3, first 2 shown]
	s_cmp_ge_u32 s12, s87
	s_cselect_b32 s9, -1, 0
	s_cmp_eq_u32 s13, 0
	s_cselect_b32 s9, s9, -1
	s_cmp_lg_u32 s9, 0
	s_cselect_b32 s8, s8, s13
	s_cselect_b32 s12, s34, s12
	s_cmp_ge_u32 s11, s87
	s_cselect_b32 s9, -1, 0
	s_cmp_eq_u32 s10, 0
	s_cselect_b32 s9, s9, -1
	s_cmp_lg_u32 s9, 0
	s_cselect_b32 s9, s8, s10
	s_cselect_b32 s8, s12, s11
	s_cbranch_execnz .LBB207_109
.LBB207_108:                            ;   in Loop: Header=BB207_12 Depth=1
	v_cvt_f32_u32_e32 v2, s87
	s_sub_i32 s8, 0, s87
	v_readlane_b32 s10, v47, 35
	v_rcp_iflag_f32_e32 v2, v2
	v_mul_f32_e32 v2, 0x4f7ffffe, v2
	v_cvt_u32_f32_e32 v2, v2
	v_readfirstlane_b32 s9, v2
	s_mul_i32 s8, s8, s9
	s_mul_hi_u32 s8, s9, s8
	s_add_i32 s9, s9, s8
	s_mul_hi_u32 s8, s10, s9
	s_mul_i32 s8, s8, s87
	s_sub_i32 s8, s10, s8
	s_sub_i32 s9, s8, s87
	s_cmp_ge_u32 s8, s87
	s_cselect_b32 s8, s9, s8
	s_sub_i32 s9, s8, s87
	s_cmp_ge_u32 s8, s87
	s_cselect_b32 s88, s9, s8
	s_mov_b64 s[8:9], s[88:89]
	v_readlane_b32 s88, v47, 57
.LBB207_109:                            ;   in Loop: Header=BB207_12 Depth=1
	v_readlane_b32 s10, v47, 35
	v_readlane_b32 s12, v47, 37
	s_sub_u32 s10, s10, s8
	v_readlane_b32 s13, v47, 38
	s_subb_u32 s11, s13, s9
	v_cmp_gt_u64_e32 vcc, s[10:11], v[0:1]
                                        ; implicit-def: $vgpr10
	s_and_saveexec_b64 s[8:9], vcc
	s_cbranch_execz .LBB207_119
; %bb.110:                              ;   in Loop: Header=BB207_12 Depth=1
	v_mov_b32_e32 v5, v1
	s_mov_b64 s[12:13], 0
	v_mov_b32_e32 v4, v0
                                        ; implicit-def: $sgpr34_sgpr35
	s_branch .LBB207_114
.LBB207_111:                            ;   in Loop: Header=BB207_114 Depth=2
	s_or_b64 exec, exec, s[36:37]
	s_waitcnt lgkmcnt(0)
	s_barrier
	ds_read_b32 v2, v3 offset:3072
	s_waitcnt lgkmcnt(0)
	s_barrier
	v_cmp_neq_f16_e32 vcc, 0, v2
	s_cbranch_vccnz .LBB207_117
; %bb.112:                              ;   in Loop: Header=BB207_114 Depth=2
	v_add_co_u32_e32 v4, vcc, s87, v4
	v_addc_co_u32_e32 v5, vcc, 0, v5, vcc
	v_cmp_le_u64_e32 vcc, s[10:11], v[4:5]
	s_mov_b64 s[36:37], 0
	s_orn2_b64 s[38:39], vcc, exec
.LBB207_113:                            ;   in Loop: Header=BB207_114 Depth=2
	s_and_b64 s[38:39], exec, s[38:39]
	s_or_b64 s[12:13], s[38:39], s[12:13]
	s_andn2_b64 s[34:35], s[34:35], exec
	s_and_b64 s[36:37], s[36:37], exec
	s_or_b64 s[34:35], s[34:35], s[36:37]
	s_andn2_b64 exec, exec, s[12:13]
	s_cbranch_execz .LBB207_118
.LBB207_114:                            ;   Parent Loop BB207_12 Depth=1
                                        ; =>  This Inner Loop Header: Depth=2
	v_cmp_gt_u64_e32 vcc, s[64:65], v[4:5]
	s_and_saveexec_b64 s[36:37], vcc
	s_cbranch_execz .LBB207_111
; %bb.115:                              ;   in Loop: Header=BB207_114 Depth=2
	v_mul_lo_u32 v2, v5, s62
	v_mul_lo_u32 v10, v4, s63
	v_mad_u64_u32 v[6:7], s[38:39], v4, s62, 0
	v_add3_u32 v7, v7, v10, v2
	v_lshlrev_b64 v[6:7], 1, v[6:7]
	v_mov_b32_e32 v2, s86
	v_add_co_u32_e32 v6, vcc, s33, v6
	v_addc_co_u32_e32 v7, vcc, v2, v7, vcc
	global_load_ushort v2, v[6:7], off
	s_waitcnt vmcnt(0)
	v_cmp_lt_i16_e32 vcc, -1, v2
	v_cndmask_b32_e32 v6, v33, v34, vcc
	v_xor_b32_sdwa v6, v6, v2 dst_sel:DWORD dst_unused:UNUSED_PAD src0_sel:DWORD src1_sel:WORD_0
	v_cmp_o_f16_e32 vcc, v2, v2
	v_cndmask_b32_e32 v6, v33, v6, vcc
	v_and_b32_e32 v6, v6, v8
	v_cmp_eq_u32_e32 vcc, v6, v9
	s_and_b64 exec, exec, vcc
	s_cbranch_execz .LBB207_111
; %bb.116:                              ;   in Loop: Header=BB207_114 Depth=2
	s_movk_i32 s14, 0x3c00
	v_perm_b32 v2, v2, s14, v37
	ds_write_b32 v3, v2 offset:3072
	s_branch .LBB207_111
.LBB207_117:                            ;   in Loop: Header=BB207_114 Depth=2
	s_mov_b64 s[38:39], -1
                                        ; implicit-def: $vgpr4_vgpr5
	s_mov_b64 s[36:37], -1
	s_branch .LBB207_113
.LBB207_118:                            ;   in Loop: Header=BB207_12 Depth=1
	s_or_b64 exec, exec, s[12:13]
	s_andn2_b64 s[4:5], s[4:5], exec
	s_and_b64 s[10:11], s[34:35], exec
	v_lshrrev_b32_e32 v10, 16, v2
	s_or_b64 s[4:5], s[4:5], s[10:11]
.LBB207_119:                            ;   in Loop: Header=BB207_12 Depth=1
	s_or_b64 exec, exec, s[8:9]
	s_mov_b64 s[36:37], 0
	s_mov_b64 s[38:39], -1
.LBB207_120:                            ;   in Loop: Header=BB207_12 Depth=1
	s_orn2_b64 s[4:5], s[4:5], exec
.LBB207_121:                            ;   in Loop: Header=BB207_12 Depth=1
	s_or_b64 exec, exec, s[30:31]
	s_mov_b64 s[40:41], 0
	s_mov_b64 s[34:35], 0
	s_mov_b64 s[30:31], 0
                                        ; implicit-def: $vgpr4_vgpr5
                                        ; implicit-def: $vgpr2
	s_and_saveexec_b64 s[44:45], s[4:5]
	s_cbranch_execz .LBB207_285
; %bb.122:                              ;   in Loop: Header=BB207_12 Depth=1
	v_mov_b32_e32 v4, 1
	s_xor_b64 s[8:9], s[6:7], -1
	v_mov_b32_e32 v2, 1
	v_mov_b32_e32 v5, 0
	s_mov_b64 s[6:7], 0
	s_and_saveexec_b64 s[4:5], s[8:9]
	s_cbranch_execz .LBB207_131
; %bb.123:                              ;   in Loop: Header=BB207_12 Depth=1
	v_cmp_ge_u64_e32 vcc, s[20:21], v[19:20]
	s_and_saveexec_b64 s[6:7], vcc
	s_xor_b64 s[6:7], exec, s[6:7]
	s_cbranch_execz .LBB207_128
; %bb.124:                              ;   in Loop: Header=BB207_12 Depth=1
	ds_read_b64 v[4:5], v3 offset:5120
	v_readlane_b32 s8, v47, 61
	v_and_b32_e32 v9, s8, v9
	v_or_b32_e32 v8, s1, v8
	s_waitcnt lgkmcnt(0)
	v_cmp_ne_u64_e32 vcc, 0, v[4:5]
	s_cbranch_vccnz .LBB207_128
; %bb.125:                              ;   in Loop: Header=BB207_12 Depth=1
	s_mov_b64 s[8:9], exec
	v_readlane_b32 s10, v47, 12
	v_readlane_b32 s11, v47, 13
	s_and_b64 s[10:11], s[8:9], s[10:11]
	s_mov_b64 exec, s[10:11]
; %bb.126:                              ;   in Loop: Header=BB207_12 Depth=1
	v_mov_b32_e32 v4, s20
	v_mov_b32_e32 v5, s21
	ds_write_b64 v3, v[4:5] offset:5128
; %bb.127:                              ;   in Loop: Header=BB207_12 Depth=1
	s_or_b64 exec, exec, s[8:9]
	s_waitcnt lgkmcnt(0)
	s_barrier
.LBB207_128:                            ;   in Loop: Header=BB207_12 Depth=1
	s_or_saveexec_b64 s[6:7], s[6:7]
	v_mov_b32_e32 v4, v19
	s_mov_b64 s[8:9], 0
	v_mov_b32_e32 v2, 8
	v_mov_b32_e32 v5, v20
	s_xor_b64 exec, exec, s[6:7]
; %bb.129:                              ;   in Loop: Header=BB207_12 Depth=1
	v_subrev_co_u32_e32 v4, vcc, s20, v19
	v_mov_b32_e32 v2, s21
	v_subb_co_u32_e32 v5, vcc, v20, v2, vcc
	v_mov_b32_e32 v2, 0
	s_mov_b64 s[8:9], exec
; %bb.130:                              ;   in Loop: Header=BB207_12 Depth=1
	s_or_b64 exec, exec, s[6:7]
	s_and_b64 s[6:7], s[8:9], exec
.LBB207_131:                            ;   in Loop: Header=BB207_12 Depth=1
	s_or_b64 exec, exec, s[4:5]
	s_mov_b64 s[4:5], -1
                                        ; implicit-def: $sgpr30_sgpr31
                                        ; implicit-def: $sgpr34_sgpr35
	s_and_saveexec_b64 s[8:9], s[6:7]
	s_xor_b64 s[6:7], exec, s[8:9]
	s_cbranch_execz .LBB207_282
; %bb.132:                              ;   in Loop: Header=BB207_12 Depth=1
	s_cmp_eq_u64 s[24:25], 1
	v_cmp_eq_u64_e32 vcc, 1, v[4:5]
	s_cselect_b64 s[4:5], -1, 0
	s_and_b64 s[48:49], s[4:5], vcc
	s_mov_b64 s[4:5], -1
                                        ; implicit-def: $sgpr34_sgpr35
                                        ; implicit-def: $sgpr30_sgpr31
	s_and_saveexec_b64 s[46:47], s[48:49]
	s_cbranch_execz .LBB207_168
; %bb.133:                              ;   in Loop: Header=BB207_12 Depth=1
	ds_read_b64 v[6:7], v3 offset:5120
	s_waitcnt lgkmcnt(0)
	s_barrier
	v_readfirstlane_b32 s8, v6
	v_readfirstlane_b32 s9, v7
	s_mov_b64 s[4:5], exec
	v_readlane_b32 s10, v47, 30
	v_readlane_b32 s11, v47, 31
	s_and_b64 s[10:11], s[4:5], s[10:11]
	s_mov_b64 exec, s[10:11]
; %bb.134:                              ;   in Loop: Header=BB207_12 Depth=1
	ds_write_b16 v28, v3
; %bb.135:                              ;   in Loop: Header=BB207_12 Depth=1
	s_or_b64 exec, exec, s[4:5]
	v_readlane_b32 s4, v47, 61
	v_and_b32_e32 v6, s4, v9
	v_lshl_or_b32 v9, 1, s0, v6
	v_or_b32_e32 v8, s1, v8
	s_mov_b64 s[30:31], -1
	s_mov_b64 s[34:35], 0
	s_cmp_eq_u64 s[8:9], 0
	s_mov_b64 s[4:5], 0
	s_mov_b64 s[10:11], -1
	s_waitcnt lgkmcnt(0)
	s_barrier
                                        ; implicit-def: $vgpr10
	s_cbranch_scc1 .LBB207_152
; %bb.136:                              ;   in Loop: Header=BB207_12 Depth=1
	v_readlane_b32 s4, v47, 34
	s_add_u32 s50, s8, s4
	v_readlane_b32 s4, v47, 36
	s_addc_u32 s5, s9, s4
	s_mov_b32 s4, s89
	s_cmp_lg_u64 s[4:5], 0
	s_cbranch_scc0 .LBB207_195
; %bb.137:                              ;   in Loop: Header=BB207_12 Depth=1
	v_cvt_f32_u32_e32 v6, s87
	s_sub_u32 s4, 0, s87
	s_subb_u32 s12, 0, 0
	v_mac_f32_e32 v6, 0, v35
	v_rcp_f32_e32 v6, v6
	v_mul_f32_e32 v6, 0x5f7ffffc, v6
	v_mul_f32_e32 v7, 0x2f800000, v6
	v_trunc_f32_e32 v7, v7
	v_mac_f32_e32 v6, 0xcf800000, v7
	v_cvt_u32_f32_e32 v7, v7
	v_cvt_u32_f32_e32 v6, v6
	v_readfirstlane_b32 s13, v7
	v_readfirstlane_b32 s10, v6
	s_mul_i32 s11, s4, s13
	s_mul_hi_u32 s52, s4, s10
	s_mul_i32 s51, s12, s10
	s_add_i32 s11, s52, s11
	s_mul_i32 s53, s4, s10
	s_add_i32 s11, s11, s51
	s_mul_hi_u32 s52, s10, s53
	s_mul_i32 s54, s10, s11
	s_mul_hi_u32 s51, s10, s11
	s_add_u32 s52, s52, s54
	s_addc_u32 s51, 0, s51
	s_mul_hi_u32 s55, s13, s53
	s_mul_i32 s53, s13, s53
	s_add_u32 s52, s52, s53
	s_mul_hi_u32 s54, s13, s11
	s_addc_u32 s51, s51, s55
	s_addc_u32 s52, s54, 0
	s_mul_i32 s11, s13, s11
	s_add_u32 s11, s51, s11
	s_addc_u32 s51, 0, s52
	s_add_u32 s52, s10, s11
	s_cselect_b64 s[10:11], -1, 0
	s_cmp_lg_u64 s[10:11], 0
	s_addc_u32 s13, s13, s51
	s_mul_i32 s10, s4, s13
	s_mul_hi_u32 s11, s4, s52
	s_add_i32 s10, s11, s10
	s_mul_i32 s12, s12, s52
	s_add_i32 s10, s10, s12
	s_mul_i32 s4, s4, s52
	s_mul_hi_u32 s12, s13, s4
	s_mul_i32 s51, s13, s4
	s_mul_i32 s54, s52, s10
	s_mul_hi_u32 s4, s52, s4
	s_mul_hi_u32 s53, s52, s10
	s_add_u32 s4, s4, s54
	s_addc_u32 s53, 0, s53
	s_add_u32 s4, s4, s51
	s_mul_hi_u32 s11, s13, s10
	s_addc_u32 s4, s53, s12
	s_addc_u32 s11, s11, 0
	s_mul_i32 s10, s13, s10
	s_add_u32 s4, s4, s10
	s_addc_u32 s12, 0, s11
	s_add_u32 s4, s52, s4
	s_cselect_b64 s[10:11], -1, 0
	s_cmp_lg_u64 s[10:11], 0
	s_addc_u32 s10, s13, s12
	s_mul_i32 s12, s50, s10
	s_mul_hi_u32 s13, s50, s4
	s_mul_hi_u32 s11, s50, s10
	s_add_u32 s12, s13, s12
	s_addc_u32 s11, 0, s11
	s_mul_hi_u32 s51, s5, s4
	s_mul_i32 s4, s5, s4
	s_add_u32 s4, s12, s4
	s_mul_hi_u32 s13, s5, s10
	s_addc_u32 s4, s11, s51
	s_addc_u32 s11, s13, 0
	s_mul_i32 s10, s5, s10
	s_add_u32 s4, s4, s10
	s_addc_u32 s10, 0, s11
	s_mul_i32 s10, s87, s10
	s_mul_hi_u32 s11, s87, s4
	s_add_i32 s12, s11, s10
	s_mul_i32 s4, s87, s4
	s_sub_u32 s4, s50, s4
	s_cselect_b64 s[10:11], -1, 0
	s_cmp_lg_u64 s[10:11], 0
	s_subb_u32 s12, s5, s12
	s_sub_u32 s13, s4, s87
	s_cselect_b64 s[10:11], -1, 0
	s_cmp_lg_u64 s[10:11], 0
	s_subb_u32 s51, s12, 0
	s_sub_u32 s52, s13, s87
	s_cselect_b64 s[10:11], -1, 0
	s_cmp_lg_u64 s[10:11], 0
	s_subb_u32 s10, s51, 0
	s_cmp_ge_u32 s13, s87
	s_cselect_b32 s11, -1, 0
	s_cmp_eq_u32 s51, 0
	s_cselect_b32 s11, s11, -1
	s_cmp_lg_u32 s11, 0
	s_cselect_b32 s10, s10, s51
	s_cselect_b32 s13, s52, s13
	s_cmp_ge_u32 s4, s87
	s_cselect_b32 s11, -1, 0
	s_cmp_eq_u32 s12, 0
	s_cselect_b32 s11, s11, -1
	s_cmp_lg_u32 s11, 0
	s_cselect_b32 s11, s10, s12
	s_cselect_b32 s10, s13, s4
	s_cbranch_execnz .LBB207_139
.LBB207_138:                            ;   in Loop: Header=BB207_12 Depth=1
	v_cvt_f32_u32_e32 v6, s87
	s_sub_i32 s4, 0, s87
	v_rcp_iflag_f32_e32 v6, v6
	v_mul_f32_e32 v6, 0x4f7ffffe, v6
	v_cvt_u32_f32_e32 v6, v6
	v_readfirstlane_b32 s10, v6
	s_mul_i32 s4, s4, s10
	s_mul_hi_u32 s4, s10, s4
	s_add_i32 s10, s10, s4
	s_mul_hi_u32 s4, s50, s10
	s_mul_i32 s4, s4, s87
	s_sub_i32 s4, s50, s4
	s_sub_i32 s10, s4, s87
	s_cmp_ge_u32 s4, s87
	s_cselect_b32 s4, s10, s4
	s_sub_i32 s10, s4, s87
	s_cmp_ge_u32 s4, s87
	s_cselect_b32 s88, s10, s4
	s_mov_b64 s[10:11], s[88:89]
	v_readlane_b32 s88, v47, 57
.LBB207_139:                            ;   in Loop: Header=BB207_12 Depth=1
	s_sub_u32 s50, s50, s10
	s_subb_u32 s51, s5, s11
	v_cmp_gt_u64_e32 vcc, s[50:51], v[0:1]
	s_mov_b64 s[10:11], 0
	s_mov_b64 s[4:5], 0
                                        ; implicit-def: $vgpr10
	s_and_saveexec_b64 s[12:13], vcc
	s_cbranch_execz .LBB207_151
; %bb.140:                              ;   in Loop: Header=BB207_12 Depth=1
	v_mov_b32_e32 v7, v1
	v_mov_b32_e32 v10, v27
	;; [unrolled: 1-line block ×3, first 2 shown]
                                        ; implicit-def: $sgpr52_sgpr53
	s_branch .LBB207_144
.LBB207_141:                            ;   in Loop: Header=BB207_144 Depth=2
	s_or_b64 exec, exec, s[54:55]
	s_waitcnt lgkmcnt(0)
	s_barrier
	ds_read_b32 v11, v3 offset:3072
	s_waitcnt lgkmcnt(0)
	s_barrier
	v_cmp_neq_f16_e32 vcc, 0, v11
	s_cbranch_vccnz .LBB207_147
; %bb.142:                              ;   in Loop: Header=BB207_144 Depth=2
	v_add_co_u32_e32 v6, vcc, s87, v6
	v_addc_co_u32_e32 v7, vcc, 0, v7, vcc
	v_cmp_le_u64_e32 vcc, s[50:51], v[6:7]
	v_add_u32_e32 v10, s85, v10
	s_mov_b64 s[54:55], 0
	s_orn2_b64 s[56:57], vcc, exec
.LBB207_143:                            ;   in Loop: Header=BB207_144 Depth=2
	s_and_b64 s[56:57], exec, s[56:57]
	s_or_b64 s[4:5], s[56:57], s[4:5]
	s_andn2_b64 s[52:53], s[52:53], exec
	s_and_b64 s[54:55], s[54:55], exec
	s_or_b64 s[52:53], s[52:53], s[54:55]
	s_andn2_b64 exec, exec, s[4:5]
	s_cbranch_execz .LBB207_150
.LBB207_144:                            ;   Parent Loop BB207_12 Depth=1
                                        ; =>  This Inner Loop Header: Depth=2
	v_cmp_gt_u64_e32 vcc, s[8:9], v[6:7]
	s_and_saveexec_b64 s[54:55], vcc
	s_cbranch_execz .LBB207_141
; %bb.145:                              ;   in Loop: Header=BB207_144 Depth=2
	ds_read_u16 v11, v10
	s_waitcnt lgkmcnt(0)
	v_cmp_lt_i16_e32 vcc, -1, v11
	v_cndmask_b32_e32 v21, v33, v34, vcc
	v_xor_b32_sdwa v21, v21, v11 dst_sel:DWORD dst_unused:UNUSED_PAD src0_sel:DWORD src1_sel:WORD_0
	v_cmp_o_f16_e32 vcc, v11, v11
	v_cndmask_b32_e32 v21, v33, v21, vcc
	v_and_b32_e32 v21, v21, v8
	v_cmp_eq_u32_e32 vcc, v21, v9
	s_and_b64 exec, exec, vcc
	s_cbranch_execz .LBB207_141
; %bb.146:                              ;   in Loop: Header=BB207_144 Depth=2
	s_movk_i32 s14, 0x3c00
	v_perm_b32 v11, v11, s14, v37
	ds_write_b32 v3, v11 offset:3072
	s_branch .LBB207_141
.LBB207_147:                            ;   in Loop: Header=BB207_144 Depth=2
	s_mov_b64 s[56:57], -1
                                        ; implicit-def: $vgpr6_vgpr7
                                        ; implicit-def: $vgpr10
	s_mov_b64 s[54:55], -1
	s_branch .LBB207_143
.LBB207_148:                            ;   in Loop: Header=BB207_12 Depth=1
                                        ; implicit-def: $sgpr10_sgpr11
	s_branch .LBB207_90
.LBB207_149:                            ;   in Loop: Header=BB207_12 Depth=1
                                        ; implicit-def: $sgpr8_sgpr9
	s_branch .LBB207_108
.LBB207_150:                            ;   in Loop: Header=BB207_12 Depth=1
	s_or_b64 exec, exec, s[4:5]
	v_lshrrev_b32_e32 v10, 16, v11
	s_and_b64 s[4:5], s[52:53], exec
.LBB207_151:                            ;   in Loop: Header=BB207_12 Depth=1
	s_or_b64 exec, exec, s[12:13]
.LBB207_152:                            ;   in Loop: Header=BB207_12 Depth=1
	s_and_b64 vcc, exec, s[10:11]
	s_cbranch_vccz .LBB207_167
; %bb.153:                              ;   in Loop: Header=BB207_12 Depth=1
	v_readlane_b32 s14, v47, 37
	v_readlane_b32 s15, v47, 38
	s_mov_b32 s14, s89
	s_cmp_lg_u64 s[14:15], 0
	v_writelane_b32 v47, s14, 37
	v_writelane_b32 v47, s15, 38
	s_cbranch_scc0 .LBB207_196
; %bb.154:                              ;   in Loop: Header=BB207_12 Depth=1
	v_cvt_f32_u32_e32 v6, s87
	s_sub_u32 s10, 0, s87
	s_subb_u32 s11, 0, 0
	v_readlane_b32 s14, v47, 35
	v_mac_f32_e32 v6, 0, v35
	v_rcp_f32_e32 v6, v6
	v_mul_f32_e32 v6, 0x5f7ffffc, v6
	v_mul_f32_e32 v7, 0x2f800000, v6
	v_trunc_f32_e32 v7, v7
	v_mac_f32_e32 v6, 0xcf800000, v7
	v_cvt_u32_f32_e32 v7, v7
	v_cvt_u32_f32_e32 v6, v6
	v_readfirstlane_b32 s12, v7
	v_readfirstlane_b32 s8, v6
	s_mul_i32 s9, s10, s12
	s_mul_hi_u32 s30, s10, s8
	s_mul_i32 s13, s11, s8
	s_add_i32 s9, s30, s9
	s_mul_i32 s31, s10, s8
	s_add_i32 s9, s9, s13
	s_mul_hi_u32 s30, s8, s31
	s_mul_i32 s34, s8, s9
	s_mul_hi_u32 s13, s8, s9
	s_add_u32 s30, s30, s34
	s_addc_u32 s13, 0, s13
	s_mul_hi_u32 s35, s12, s31
	s_mul_i32 s31, s12, s31
	s_add_u32 s30, s30, s31
	s_mul_hi_u32 s34, s12, s9
	s_addc_u32 s13, s13, s35
	s_addc_u32 s30, s34, 0
	s_mul_i32 s9, s12, s9
	s_add_u32 s9, s13, s9
	s_addc_u32 s13, 0, s30
	s_add_u32 s30, s8, s9
	s_cselect_b64 s[8:9], -1, 0
	s_cmp_lg_u64 s[8:9], 0
	s_addc_u32 s12, s12, s13
	s_mul_i32 s8, s10, s12
	s_mul_hi_u32 s9, s10, s30
	s_add_i32 s8, s9, s8
	s_mul_i32 s11, s11, s30
	s_add_i32 s8, s8, s11
	s_mul_i32 s10, s10, s30
	s_mul_hi_u32 s11, s12, s10
	s_mul_i32 s13, s12, s10
	s_mul_i32 s34, s30, s8
	s_mul_hi_u32 s10, s30, s10
	s_mul_hi_u32 s31, s30, s8
	s_add_u32 s10, s10, s34
	s_addc_u32 s31, 0, s31
	s_add_u32 s10, s10, s13
	s_mul_hi_u32 s9, s12, s8
	s_addc_u32 s10, s31, s11
	s_addc_u32 s9, s9, 0
	s_mul_i32 s8, s12, s8
	s_add_u32 s8, s10, s8
	s_addc_u32 s10, 0, s9
	s_add_u32 s11, s30, s8
	s_cselect_b64 s[8:9], -1, 0
	s_cmp_lg_u64 s[8:9], 0
	s_addc_u32 s8, s12, s10
	s_mul_i32 s10, s14, s8
	s_mul_hi_u32 s12, s14, s11
	s_mul_hi_u32 s9, s14, s8
	s_add_u32 s10, s12, s10
	s_addc_u32 s9, 0, s9
	s_mul_hi_u32 s13, s15, s11
	s_mul_i32 s11, s15, s11
	s_add_u32 s10, s10, s11
	s_mul_hi_u32 s12, s15, s8
	s_addc_u32 s9, s9, s13
	s_addc_u32 s10, s12, 0
	s_mul_i32 s8, s15, s8
	s_add_u32 s8, s9, s8
	s_addc_u32 s9, 0, s10
	s_mul_i32 s9, s87, s9
	s_mul_hi_u32 s10, s87, s8
	s_add_i32 s10, s10, s9
	s_mul_i32 s8, s87, s8
	s_sub_u32 s11, s14, s8
	s_cselect_b64 s[8:9], -1, 0
	s_cmp_lg_u64 s[8:9], 0
	s_subb_u32 s10, s15, s10
	s_sub_u32 s12, s11, s87
	s_cselect_b64 s[8:9], -1, 0
	s_cmp_lg_u64 s[8:9], 0
	s_subb_u32 s13, s10, 0
	;; [unrolled: 4-line block ×3, first 2 shown]
	s_cmp_ge_u32 s12, s87
	s_cselect_b32 s9, -1, 0
	s_cmp_eq_u32 s13, 0
	s_cselect_b32 s9, s9, -1
	s_cmp_lg_u32 s9, 0
	s_cselect_b32 s8, s8, s13
	s_cselect_b32 s12, s30, s12
	s_cmp_ge_u32 s11, s87
	s_cselect_b32 s9, -1, 0
	s_cmp_eq_u32 s10, 0
	s_cselect_b32 s9, s9, -1
	s_cmp_lg_u32 s9, 0
	s_cselect_b32 s9, s8, s10
	s_cselect_b32 s8, s12, s11
	s_cbranch_execnz .LBB207_156
.LBB207_155:                            ;   in Loop: Header=BB207_12 Depth=1
	v_cvt_f32_u32_e32 v6, s87
	s_sub_i32 s8, 0, s87
	v_readlane_b32 s10, v47, 35
	v_rcp_iflag_f32_e32 v6, v6
	v_mul_f32_e32 v6, 0x4f7ffffe, v6
	v_cvt_u32_f32_e32 v6, v6
	v_readfirstlane_b32 s9, v6
	s_mul_i32 s8, s8, s9
	s_mul_hi_u32 s8, s9, s8
	s_add_i32 s9, s9, s8
	s_mul_hi_u32 s8, s10, s9
	s_mul_i32 s8, s8, s87
	s_sub_i32 s8, s10, s8
	s_sub_i32 s9, s8, s87
	s_cmp_ge_u32 s8, s87
	s_cselect_b32 s8, s9, s8
	s_sub_i32 s9, s8, s87
	s_cmp_ge_u32 s8, s87
	s_cselect_b32 s88, s9, s8
	s_mov_b64 s[8:9], s[88:89]
	v_readlane_b32 s88, v47, 57
.LBB207_156:                            ;   in Loop: Header=BB207_12 Depth=1
	v_readlane_b32 s10, v47, 35
	v_readlane_b32 s12, v47, 37
	s_sub_u32 s10, s10, s8
	v_readlane_b32 s13, v47, 38
	s_subb_u32 s11, s13, s9
	v_cmp_gt_u64_e32 vcc, s[10:11], v[0:1]
                                        ; implicit-def: $vgpr10
	s_and_saveexec_b64 s[8:9], vcc
	s_cbranch_execz .LBB207_166
; %bb.157:                              ;   in Loop: Header=BB207_12 Depth=1
	v_mov_b32_e32 v7, v1
	s_mov_b64 s[12:13], 0
	v_mov_b32_e32 v6, v0
                                        ; implicit-def: $sgpr30_sgpr31
	s_branch .LBB207_161
.LBB207_158:                            ;   in Loop: Header=BB207_161 Depth=2
	s_or_b64 exec, exec, s[34:35]
	s_waitcnt lgkmcnt(0)
	s_barrier
	ds_read_b32 v10, v3 offset:3072
	s_waitcnt lgkmcnt(0)
	s_barrier
	v_cmp_eq_f16_e32 vcc, 0, v10
	s_cbranch_vccz .LBB207_164
; %bb.159:                              ;   in Loop: Header=BB207_161 Depth=2
	v_add_co_u32_e32 v6, vcc, s87, v6
	v_addc_co_u32_e32 v7, vcc, 0, v7, vcc
	v_cmp_le_u64_e32 vcc, s[10:11], v[6:7]
	s_mov_b64 s[34:35], 0
	s_orn2_b64 s[50:51], vcc, exec
.LBB207_160:                            ;   in Loop: Header=BB207_161 Depth=2
	s_and_b64 s[50:51], exec, s[50:51]
	s_or_b64 s[12:13], s[50:51], s[12:13]
	s_andn2_b64 s[30:31], s[30:31], exec
	s_and_b64 s[34:35], s[34:35], exec
	s_or_b64 s[30:31], s[30:31], s[34:35]
	s_andn2_b64 exec, exec, s[12:13]
	s_cbranch_execz .LBB207_165
.LBB207_161:                            ;   Parent Loop BB207_12 Depth=1
                                        ; =>  This Inner Loop Header: Depth=2
	v_cmp_gt_u64_e32 vcc, s[64:65], v[6:7]
	s_and_saveexec_b64 s[34:35], vcc
	s_cbranch_execz .LBB207_158
; %bb.162:                              ;   in Loop: Header=BB207_161 Depth=2
	v_mul_lo_u32 v21, v7, s62
	v_mul_lo_u32 v22, v6, s63
	v_mad_u64_u32 v[10:11], s[50:51], v6, s62, 0
	v_add3_u32 v11, v11, v22, v21
	v_lshlrev_b64 v[10:11], 1, v[10:11]
	v_mov_b32_e32 v21, s86
	v_add_co_u32_e32 v10, vcc, s33, v10
	v_addc_co_u32_e32 v11, vcc, v21, v11, vcc
	global_load_ushort v10, v[10:11], off
	s_waitcnt vmcnt(0)
	v_cmp_lt_i16_e32 vcc, -1, v10
	v_cndmask_b32_e32 v11, v33, v34, vcc
	v_xor_b32_sdwa v11, v11, v10 dst_sel:DWORD dst_unused:UNUSED_PAD src0_sel:DWORD src1_sel:WORD_0
	v_cmp_o_f16_e32 vcc, v10, v10
	v_cndmask_b32_e32 v11, v33, v11, vcc
	v_and_b32_e32 v11, v11, v8
	v_cmp_eq_u32_e32 vcc, v11, v9
	s_and_b64 exec, exec, vcc
	s_cbranch_execz .LBB207_158
; %bb.163:                              ;   in Loop: Header=BB207_161 Depth=2
	s_movk_i32 s14, 0x3c00
	v_perm_b32 v10, v10, s14, v37
	ds_write_b32 v3, v10 offset:3072
	s_branch .LBB207_158
.LBB207_164:                            ;   in Loop: Header=BB207_161 Depth=2
	s_mov_b64 s[50:51], -1
                                        ; implicit-def: $vgpr6_vgpr7
	s_mov_b64 s[34:35], -1
	s_branch .LBB207_160
.LBB207_165:                            ;   in Loop: Header=BB207_12 Depth=1
	s_or_b64 exec, exec, s[12:13]
	s_andn2_b64 s[4:5], s[4:5], exec
	s_and_b64 s[10:11], s[30:31], exec
	v_lshrrev_b32_e32 v10, 16, v10
	s_or_b64 s[4:5], s[4:5], s[10:11]
.LBB207_166:                            ;   in Loop: Header=BB207_12 Depth=1
	s_or_b64 exec, exec, s[8:9]
	s_mov_b64 s[30:31], 0
	s_mov_b64 s[34:35], -1
.LBB207_167:                            ;   in Loop: Header=BB207_12 Depth=1
	s_orn2_b64 s[4:5], s[4:5], exec
.LBB207_168:                            ;   in Loop: Header=BB207_12 Depth=1
	s_or_b64 exec, exec, s[46:47]
	s_mov_b64 s[8:9], 0
	s_and_saveexec_b64 s[46:47], s[4:5]
	s_cbranch_execz .LBB207_281
; %bb.169:                              ;   in Loop: Header=BB207_12 Depth=1
	v_mov_b32_e32 v6, 1
	s_xor_b64 s[10:11], s[48:49], -1
	v_mov_b32_e32 v2, 1
	v_mov_b32_e32 v7, 0
	s_and_saveexec_b64 s[4:5], s[10:11]
	s_cbranch_execz .LBB207_178
; %bb.170:                              ;   in Loop: Header=BB207_12 Depth=1
	v_cmp_ge_u64_e32 vcc, s[24:25], v[4:5]
	s_and_saveexec_b64 s[8:9], vcc
	s_xor_b64 s[8:9], exec, s[8:9]
	s_cbranch_execz .LBB207_175
; %bb.171:                              ;   in Loop: Header=BB207_12 Depth=1
	ds_read_b64 v[6:7], v3 offset:5120
	v_readlane_b32 s10, v47, 61
	v_and_b32_e32 v2, s10, v9
	v_lshl_or_b32 v9, 1, s0, v2
	v_or_b32_e32 v8, s1, v8
	s_waitcnt lgkmcnt(0)
	v_cmp_ne_u64_e32 vcc, 0, v[6:7]
	s_cbranch_vccnz .LBB207_175
; %bb.172:                              ;   in Loop: Header=BB207_12 Depth=1
	s_mov_b64 s[10:11], exec
	v_readlane_b32 s12, v47, 12
	v_readlane_b32 s13, v47, 13
	s_and_b64 s[12:13], s[10:11], s[12:13]
	s_mov_b64 exec, s[12:13]
; %bb.173:                              ;   in Loop: Header=BB207_12 Depth=1
	v_mov_b32_e32 v6, s24
	v_mov_b32_e32 v7, s25
	ds_write_b64 v3, v[6:7] offset:5128
; %bb.174:                              ;   in Loop: Header=BB207_12 Depth=1
	s_or_b64 exec, exec, s[10:11]
	s_waitcnt lgkmcnt(0)
	s_barrier
.LBB207_175:                            ;   in Loop: Header=BB207_12 Depth=1
	s_or_saveexec_b64 s[8:9], s[8:9]
	s_mov_b64 s[10:11], 0
	v_mov_b32_e32 v2, 8
	s_xor_b64 exec, exec, s[8:9]
; %bb.176:                              ;   in Loop: Header=BB207_12 Depth=1
	v_subrev_co_u32_e32 v4, vcc, s24, v4
	v_mov_b32_e32 v2, s25
	v_subb_co_u32_e32 v5, vcc, v5, v2, vcc
	v_mov_b32_e32 v2, 0
	s_mov_b64 s[10:11], exec
; %bb.177:                              ;   in Loop: Header=BB207_12 Depth=1
	s_or_b64 exec, exec, s[8:9]
	v_mov_b32_e32 v7, v5
	s_and_b64 s[8:9], s[10:11], exec
	v_mov_b32_e32 v6, v4
.LBB207_178:                            ;   in Loop: Header=BB207_12 Depth=1
	s_or_b64 exec, exec, s[4:5]
	s_mov_b64 s[4:5], -1
                                        ; implicit-def: $sgpr50_sgpr51
                                        ; implicit-def: $sgpr52_sgpr53
	s_and_saveexec_b64 s[48:49], s[8:9]
	s_cbranch_execz .LBB207_280
; %bb.179:                              ;   in Loop: Header=BB207_12 Depth=1
	s_cmp_eq_u64 s[26:27], 1
	v_cmp_eq_u64_e32 vcc, 1, v[6:7]
	s_cselect_b64 s[4:5], -1, 0
	s_and_b64 s[56:57], s[4:5], vcc
	s_mov_b64 s[4:5], -1
                                        ; implicit-def: $sgpr52_sgpr53
                                        ; implicit-def: $sgpr50_sgpr51
	s_and_saveexec_b64 s[54:55], s[56:57]
	s_cbranch_execz .LBB207_215
; %bb.180:                              ;   in Loop: Header=BB207_12 Depth=1
	ds_read_b64 v[4:5], v3 offset:5120
	s_waitcnt lgkmcnt(0)
	s_barrier
	v_readfirstlane_b32 s8, v4
	v_readfirstlane_b32 s9, v5
	s_mov_b64 s[4:5], exec
	v_readlane_b32 s10, v47, 30
	v_readlane_b32 s11, v47, 31
	s_and_b64 s[10:11], s[4:5], s[10:11]
	s_mov_b64 exec, s[10:11]
; %bb.181:                              ;   in Loop: Header=BB207_12 Depth=1
	ds_write_b16 v28, v3
; %bb.182:                              ;   in Loop: Header=BB207_12 Depth=1
	s_or_b64 exec, exec, s[4:5]
	v_readlane_b32 s4, v47, 61
	v_and_b32_e32 v4, s4, v9
	v_lshl_or_b32 v9, 2, s0, v4
	v_or_b32_e32 v8, s1, v8
	s_mov_b64 s[50:51], -1
	s_mov_b64 s[52:53], 0
	s_cmp_eq_u64 s[8:9], 0
	s_mov_b64 s[4:5], 0
	s_mov_b64 s[10:11], -1
	s_waitcnt lgkmcnt(0)
	s_barrier
                                        ; implicit-def: $vgpr10
	s_cbranch_scc1 .LBB207_199
; %bb.183:                              ;   in Loop: Header=BB207_12 Depth=1
	v_readlane_b32 s4, v47, 34
	s_add_u32 s58, s8, s4
	v_readlane_b32 s4, v47, 36
	s_addc_u32 s5, s9, s4
	s_mov_b32 s4, s89
	s_cmp_lg_u64 s[4:5], 0
	s_cbranch_scc0 .LBB207_232
; %bb.184:                              ;   in Loop: Header=BB207_12 Depth=1
	v_cvt_f32_u32_e32 v4, s87
	s_sub_u32 s4, 0, s87
	s_subb_u32 s12, 0, 0
	v_mac_f32_e32 v4, 0, v35
	v_rcp_f32_e32 v4, v4
	v_mul_f32_e32 v4, 0x5f7ffffc, v4
	v_mul_f32_e32 v5, 0x2f800000, v4
	v_trunc_f32_e32 v5, v5
	v_mac_f32_e32 v4, 0xcf800000, v5
	v_cvt_u32_f32_e32 v5, v5
	v_cvt_u32_f32_e32 v4, v4
	v_readfirstlane_b32 s13, v5
	v_readfirstlane_b32 s10, v4
	s_mul_i32 s11, s4, s13
	s_mul_hi_u32 s70, s4, s10
	s_mul_i32 s59, s12, s10
	s_add_i32 s11, s70, s11
	s_mul_i32 s71, s4, s10
	s_add_i32 s11, s11, s59
	s_mul_hi_u32 s70, s10, s71
	s_mul_i32 s76, s10, s11
	s_mul_hi_u32 s59, s10, s11
	s_add_u32 s70, s70, s76
	s_addc_u32 s59, 0, s59
	s_mul_hi_u32 s77, s13, s71
	s_mul_i32 s71, s13, s71
	s_add_u32 s70, s70, s71
	s_mul_hi_u32 s76, s13, s11
	s_addc_u32 s59, s59, s77
	s_addc_u32 s70, s76, 0
	s_mul_i32 s11, s13, s11
	s_add_u32 s11, s59, s11
	s_addc_u32 s59, 0, s70
	s_add_u32 s70, s10, s11
	s_cselect_b64 s[10:11], -1, 0
	s_cmp_lg_u64 s[10:11], 0
	s_addc_u32 s13, s13, s59
	s_mul_i32 s10, s4, s13
	s_mul_hi_u32 s11, s4, s70
	s_add_i32 s10, s11, s10
	s_mul_i32 s12, s12, s70
	s_add_i32 s10, s10, s12
	s_mul_i32 s4, s4, s70
	s_mul_hi_u32 s12, s13, s4
	s_mul_i32 s59, s13, s4
	s_mul_i32 s76, s70, s10
	s_mul_hi_u32 s4, s70, s4
	s_mul_hi_u32 s71, s70, s10
	s_add_u32 s4, s4, s76
	s_addc_u32 s71, 0, s71
	s_add_u32 s4, s4, s59
	s_mul_hi_u32 s11, s13, s10
	s_addc_u32 s4, s71, s12
	s_addc_u32 s11, s11, 0
	s_mul_i32 s10, s13, s10
	s_add_u32 s4, s4, s10
	s_addc_u32 s12, 0, s11
	s_add_u32 s4, s70, s4
	s_cselect_b64 s[10:11], -1, 0
	s_cmp_lg_u64 s[10:11], 0
	s_addc_u32 s10, s13, s12
	s_mul_i32 s12, s58, s10
	s_mul_hi_u32 s13, s58, s4
	s_mul_hi_u32 s11, s58, s10
	s_add_u32 s12, s13, s12
	s_addc_u32 s11, 0, s11
	s_mul_hi_u32 s59, s5, s4
	s_mul_i32 s4, s5, s4
	s_add_u32 s4, s12, s4
	s_mul_hi_u32 s13, s5, s10
	s_addc_u32 s4, s11, s59
	s_addc_u32 s11, s13, 0
	s_mul_i32 s10, s5, s10
	s_add_u32 s4, s4, s10
	s_addc_u32 s10, 0, s11
	s_mul_i32 s10, s87, s10
	s_mul_hi_u32 s11, s87, s4
	s_add_i32 s12, s11, s10
	s_mul_i32 s4, s87, s4
	s_sub_u32 s4, s58, s4
	s_cselect_b64 s[10:11], -1, 0
	s_cmp_lg_u64 s[10:11], 0
	s_subb_u32 s12, s5, s12
	s_sub_u32 s13, s4, s87
	s_cselect_b64 s[10:11], -1, 0
	s_cmp_lg_u64 s[10:11], 0
	s_subb_u32 s59, s12, 0
	;; [unrolled: 4-line block ×3, first 2 shown]
	s_cmp_ge_u32 s13, s87
	s_cselect_b32 s11, -1, 0
	s_cmp_eq_u32 s59, 0
	s_cselect_b32 s11, s11, -1
	s_cmp_lg_u32 s11, 0
	s_cselect_b32 s10, s10, s59
	s_cselect_b32 s13, s70, s13
	s_cmp_ge_u32 s4, s87
	s_cselect_b32 s11, -1, 0
	s_cmp_eq_u32 s12, 0
	s_cselect_b32 s11, s11, -1
	s_cmp_lg_u32 s11, 0
	s_cselect_b32 s11, s10, s12
	s_cselect_b32 s10, s13, s4
	s_cbranch_execnz .LBB207_186
.LBB207_185:                            ;   in Loop: Header=BB207_12 Depth=1
	v_cvt_f32_u32_e32 v4, s87
	s_sub_i32 s4, 0, s87
	v_rcp_iflag_f32_e32 v4, v4
	v_mul_f32_e32 v4, 0x4f7ffffe, v4
	v_cvt_u32_f32_e32 v4, v4
	v_readfirstlane_b32 s10, v4
	s_mul_i32 s4, s4, s10
	s_mul_hi_u32 s4, s10, s4
	s_add_i32 s10, s10, s4
	s_mul_hi_u32 s4, s58, s10
	s_mul_i32 s4, s4, s87
	s_sub_i32 s4, s58, s4
	s_sub_i32 s10, s4, s87
	s_cmp_ge_u32 s4, s87
	s_cselect_b32 s4, s10, s4
	s_sub_i32 s10, s4, s87
	s_cmp_ge_u32 s4, s87
	s_cselect_b32 s88, s10, s4
	s_mov_b64 s[10:11], s[88:89]
	v_readlane_b32 s88, v47, 57
.LBB207_186:                            ;   in Loop: Header=BB207_12 Depth=1
	s_sub_u32 s58, s58, s10
	s_subb_u32 s59, s5, s11
	v_cmp_gt_u64_e32 vcc, s[58:59], v[0:1]
	s_mov_b64 s[10:11], 0
	s_mov_b64 s[4:5], 0
                                        ; implicit-def: $vgpr10
	s_and_saveexec_b64 s[12:13], vcc
	s_cbranch_execz .LBB207_198
; %bb.187:                              ;   in Loop: Header=BB207_12 Depth=1
	v_mov_b32_e32 v5, v1
	v_mov_b32_e32 v10, v27
	v_mov_b32_e32 v4, v0
                                        ; implicit-def: $sgpr70_sgpr71
	s_branch .LBB207_191
.LBB207_188:                            ;   in Loop: Header=BB207_191 Depth=2
	s_or_b64 exec, exec, s[76:77]
	s_waitcnt lgkmcnt(0)
	s_barrier
	ds_read_b32 v11, v3 offset:3072
	s_waitcnt lgkmcnt(0)
	s_barrier
	v_cmp_neq_f16_e32 vcc, 0, v11
	s_cbranch_vccnz .LBB207_194
; %bb.189:                              ;   in Loop: Header=BB207_191 Depth=2
	v_add_co_u32_e32 v4, vcc, s87, v4
	v_addc_co_u32_e32 v5, vcc, 0, v5, vcc
	v_cmp_le_u64_e32 vcc, s[58:59], v[4:5]
	v_add_u32_e32 v10, s85, v10
	s_mov_b64 s[76:77], 0
	s_orn2_b64 s[90:91], vcc, exec
.LBB207_190:                            ;   in Loop: Header=BB207_191 Depth=2
	s_and_b64 s[90:91], exec, s[90:91]
	s_or_b64 s[4:5], s[90:91], s[4:5]
	s_andn2_b64 s[70:71], s[70:71], exec
	s_and_b64 s[76:77], s[76:77], exec
	s_or_b64 s[70:71], s[70:71], s[76:77]
	s_andn2_b64 exec, exec, s[4:5]
	s_cbranch_execz .LBB207_197
.LBB207_191:                            ;   Parent Loop BB207_12 Depth=1
                                        ; =>  This Inner Loop Header: Depth=2
	v_cmp_gt_u64_e32 vcc, s[8:9], v[4:5]
	s_and_saveexec_b64 s[76:77], vcc
	s_cbranch_execz .LBB207_188
; %bb.192:                              ;   in Loop: Header=BB207_191 Depth=2
	ds_read_u16 v11, v10
	s_waitcnt lgkmcnt(0)
	v_cmp_lt_i16_e32 vcc, -1, v11
	v_cndmask_b32_e32 v21, v33, v34, vcc
	v_xor_b32_sdwa v21, v21, v11 dst_sel:DWORD dst_unused:UNUSED_PAD src0_sel:DWORD src1_sel:WORD_0
	v_cmp_o_f16_e32 vcc, v11, v11
	v_cndmask_b32_e32 v21, v33, v21, vcc
	v_and_b32_e32 v21, v21, v8
	v_cmp_eq_u32_e32 vcc, v21, v9
	s_and_b64 exec, exec, vcc
	s_cbranch_execz .LBB207_188
; %bb.193:                              ;   in Loop: Header=BB207_191 Depth=2
	s_movk_i32 s14, 0x3c00
	v_perm_b32 v11, v11, s14, v37
	ds_write_b32 v3, v11 offset:3072
	s_branch .LBB207_188
.LBB207_194:                            ;   in Loop: Header=BB207_191 Depth=2
	s_mov_b64 s[90:91], -1
                                        ; implicit-def: $vgpr4_vgpr5
                                        ; implicit-def: $vgpr10
	s_mov_b64 s[76:77], -1
	s_branch .LBB207_190
.LBB207_195:                            ;   in Loop: Header=BB207_12 Depth=1
                                        ; implicit-def: $sgpr10_sgpr11
	s_branch .LBB207_138
.LBB207_196:                            ;   in Loop: Header=BB207_12 Depth=1
                                        ; implicit-def: $sgpr8_sgpr9
	s_branch .LBB207_155
.LBB207_197:                            ;   in Loop: Header=BB207_12 Depth=1
	s_or_b64 exec, exec, s[4:5]
	v_lshrrev_b32_e32 v10, 16, v11
	s_and_b64 s[4:5], s[70:71], exec
.LBB207_198:                            ;   in Loop: Header=BB207_12 Depth=1
	s_or_b64 exec, exec, s[12:13]
.LBB207_199:                            ;   in Loop: Header=BB207_12 Depth=1
	s_and_b64 vcc, exec, s[10:11]
	s_cbranch_vccz .LBB207_214
; %bb.200:                              ;   in Loop: Header=BB207_12 Depth=1
	v_readlane_b32 s14, v47, 37
	v_readlane_b32 s15, v47, 38
	s_mov_b32 s14, s89
	s_cmp_lg_u64 s[14:15], 0
	v_writelane_b32 v47, s14, 37
	v_writelane_b32 v47, s15, 38
	s_cbranch_scc0 .LBB207_233
; %bb.201:                              ;   in Loop: Header=BB207_12 Depth=1
	v_cvt_f32_u32_e32 v4, s87
	s_sub_u32 s10, 0, s87
	s_subb_u32 s11, 0, 0
	v_readlane_b32 s14, v47, 35
	v_mac_f32_e32 v4, 0, v35
	v_rcp_f32_e32 v4, v4
	v_mul_f32_e32 v4, 0x5f7ffffc, v4
	v_mul_f32_e32 v5, 0x2f800000, v4
	v_trunc_f32_e32 v5, v5
	v_mac_f32_e32 v4, 0xcf800000, v5
	v_cvt_u32_f32_e32 v5, v5
	v_cvt_u32_f32_e32 v4, v4
	v_readfirstlane_b32 s12, v5
	v_readfirstlane_b32 s8, v4
	s_mul_i32 s9, s10, s12
	s_mul_hi_u32 s50, s10, s8
	s_mul_i32 s13, s11, s8
	s_add_i32 s9, s50, s9
	s_mul_i32 s51, s10, s8
	s_add_i32 s9, s9, s13
	s_mul_hi_u32 s50, s8, s51
	s_mul_i32 s52, s8, s9
	s_mul_hi_u32 s13, s8, s9
	s_add_u32 s50, s50, s52
	s_addc_u32 s13, 0, s13
	s_mul_hi_u32 s53, s12, s51
	s_mul_i32 s51, s12, s51
	s_add_u32 s50, s50, s51
	s_mul_hi_u32 s52, s12, s9
	s_addc_u32 s13, s13, s53
	s_addc_u32 s50, s52, 0
	s_mul_i32 s9, s12, s9
	s_add_u32 s9, s13, s9
	s_addc_u32 s13, 0, s50
	s_add_u32 s50, s8, s9
	s_cselect_b64 s[8:9], -1, 0
	s_cmp_lg_u64 s[8:9], 0
	s_addc_u32 s12, s12, s13
	s_mul_i32 s8, s10, s12
	s_mul_hi_u32 s9, s10, s50
	s_add_i32 s8, s9, s8
	s_mul_i32 s11, s11, s50
	s_add_i32 s8, s8, s11
	s_mul_i32 s10, s10, s50
	s_mul_hi_u32 s11, s12, s10
	s_mul_i32 s13, s12, s10
	s_mul_i32 s52, s50, s8
	s_mul_hi_u32 s10, s50, s10
	s_mul_hi_u32 s51, s50, s8
	s_add_u32 s10, s10, s52
	s_addc_u32 s51, 0, s51
	s_add_u32 s10, s10, s13
	s_mul_hi_u32 s9, s12, s8
	s_addc_u32 s10, s51, s11
	s_addc_u32 s9, s9, 0
	s_mul_i32 s8, s12, s8
	s_add_u32 s8, s10, s8
	s_addc_u32 s10, 0, s9
	s_add_u32 s11, s50, s8
	s_cselect_b64 s[8:9], -1, 0
	s_cmp_lg_u64 s[8:9], 0
	s_addc_u32 s8, s12, s10
	s_mul_i32 s10, s14, s8
	s_mul_hi_u32 s12, s14, s11
	s_mul_hi_u32 s9, s14, s8
	s_add_u32 s10, s12, s10
	s_addc_u32 s9, 0, s9
	s_mul_hi_u32 s13, s15, s11
	s_mul_i32 s11, s15, s11
	s_add_u32 s10, s10, s11
	s_mul_hi_u32 s12, s15, s8
	s_addc_u32 s9, s9, s13
	s_addc_u32 s10, s12, 0
	s_mul_i32 s8, s15, s8
	s_add_u32 s8, s9, s8
	s_addc_u32 s9, 0, s10
	s_mul_i32 s9, s87, s9
	s_mul_hi_u32 s10, s87, s8
	s_add_i32 s10, s10, s9
	s_mul_i32 s8, s87, s8
	s_sub_u32 s11, s14, s8
	s_cselect_b64 s[8:9], -1, 0
	s_cmp_lg_u64 s[8:9], 0
	s_subb_u32 s10, s15, s10
	s_sub_u32 s12, s11, s87
	s_cselect_b64 s[8:9], -1, 0
	s_cmp_lg_u64 s[8:9], 0
	s_subb_u32 s13, s10, 0
	;; [unrolled: 4-line block ×3, first 2 shown]
	s_cmp_ge_u32 s12, s87
	s_cselect_b32 s9, -1, 0
	s_cmp_eq_u32 s13, 0
	s_cselect_b32 s9, s9, -1
	s_cmp_lg_u32 s9, 0
	s_cselect_b32 s8, s8, s13
	s_cselect_b32 s12, s50, s12
	s_cmp_ge_u32 s11, s87
	s_cselect_b32 s9, -1, 0
	s_cmp_eq_u32 s10, 0
	s_cselect_b32 s9, s9, -1
	s_cmp_lg_u32 s9, 0
	s_cselect_b32 s9, s8, s10
	s_cselect_b32 s8, s12, s11
	s_cbranch_execnz .LBB207_203
.LBB207_202:                            ;   in Loop: Header=BB207_12 Depth=1
	v_cvt_f32_u32_e32 v4, s87
	s_sub_i32 s8, 0, s87
	v_readlane_b32 s10, v47, 35
	v_rcp_iflag_f32_e32 v4, v4
	v_mul_f32_e32 v4, 0x4f7ffffe, v4
	v_cvt_u32_f32_e32 v4, v4
	v_readfirstlane_b32 s9, v4
	s_mul_i32 s8, s8, s9
	s_mul_hi_u32 s8, s9, s8
	s_add_i32 s9, s9, s8
	s_mul_hi_u32 s8, s10, s9
	s_mul_i32 s8, s8, s87
	s_sub_i32 s8, s10, s8
	s_sub_i32 s9, s8, s87
	s_cmp_ge_u32 s8, s87
	s_cselect_b32 s8, s9, s8
	s_sub_i32 s9, s8, s87
	s_cmp_ge_u32 s8, s87
	s_cselect_b32 s88, s9, s8
	s_mov_b64 s[8:9], s[88:89]
	v_readlane_b32 s88, v47, 57
.LBB207_203:                            ;   in Loop: Header=BB207_12 Depth=1
	v_readlane_b32 s10, v47, 35
	v_readlane_b32 s12, v47, 37
	s_sub_u32 s10, s10, s8
	v_readlane_b32 s13, v47, 38
	s_subb_u32 s11, s13, s9
	v_cmp_gt_u64_e32 vcc, s[10:11], v[0:1]
                                        ; implicit-def: $vgpr10
	s_and_saveexec_b64 s[8:9], vcc
	s_cbranch_execz .LBB207_213
; %bb.204:                              ;   in Loop: Header=BB207_12 Depth=1
	v_mov_b32_e32 v5, v1
	s_mov_b64 s[12:13], 0
	v_mov_b32_e32 v4, v0
                                        ; implicit-def: $sgpr50_sgpr51
	s_branch .LBB207_208
.LBB207_205:                            ;   in Loop: Header=BB207_208 Depth=2
	s_or_b64 exec, exec, s[52:53]
	s_waitcnt lgkmcnt(0)
	s_barrier
	ds_read_b32 v10, v3 offset:3072
	s_waitcnt lgkmcnt(0)
	s_barrier
	v_cmp_eq_f16_e32 vcc, 0, v10
	s_cbranch_vccz .LBB207_211
; %bb.206:                              ;   in Loop: Header=BB207_208 Depth=2
	v_add_co_u32_e32 v4, vcc, s87, v4
	v_addc_co_u32_e32 v5, vcc, 0, v5, vcc
	v_cmp_le_u64_e32 vcc, s[10:11], v[4:5]
	s_mov_b64 s[52:53], 0
	s_orn2_b64 s[58:59], vcc, exec
.LBB207_207:                            ;   in Loop: Header=BB207_208 Depth=2
	s_and_b64 s[58:59], exec, s[58:59]
	s_or_b64 s[12:13], s[58:59], s[12:13]
	s_andn2_b64 s[50:51], s[50:51], exec
	s_and_b64 s[52:53], s[52:53], exec
	s_or_b64 s[50:51], s[50:51], s[52:53]
	s_andn2_b64 exec, exec, s[12:13]
	s_cbranch_execz .LBB207_212
.LBB207_208:                            ;   Parent Loop BB207_12 Depth=1
                                        ; =>  This Inner Loop Header: Depth=2
	v_cmp_gt_u64_e32 vcc, s[64:65], v[4:5]
	s_and_saveexec_b64 s[52:53], vcc
	s_cbranch_execz .LBB207_205
; %bb.209:                              ;   in Loop: Header=BB207_208 Depth=2
	v_mul_lo_u32 v21, v5, s62
	v_mul_lo_u32 v22, v4, s63
	v_mad_u64_u32 v[10:11], s[58:59], v4, s62, 0
	v_add3_u32 v11, v11, v22, v21
	v_lshlrev_b64 v[10:11], 1, v[10:11]
	v_mov_b32_e32 v21, s86
	v_add_co_u32_e32 v10, vcc, s33, v10
	v_addc_co_u32_e32 v11, vcc, v21, v11, vcc
	global_load_ushort v10, v[10:11], off
	s_waitcnt vmcnt(0)
	v_cmp_lt_i16_e32 vcc, -1, v10
	v_cndmask_b32_e32 v11, v33, v34, vcc
	v_xor_b32_sdwa v11, v11, v10 dst_sel:DWORD dst_unused:UNUSED_PAD src0_sel:DWORD src1_sel:WORD_0
	v_cmp_o_f16_e32 vcc, v10, v10
	v_cndmask_b32_e32 v11, v33, v11, vcc
	v_and_b32_e32 v11, v11, v8
	v_cmp_eq_u32_e32 vcc, v11, v9
	s_and_b64 exec, exec, vcc
	s_cbranch_execz .LBB207_205
; %bb.210:                              ;   in Loop: Header=BB207_208 Depth=2
	s_movk_i32 s14, 0x3c00
	v_perm_b32 v10, v10, s14, v37
	ds_write_b32 v3, v10 offset:3072
	s_branch .LBB207_205
.LBB207_211:                            ;   in Loop: Header=BB207_208 Depth=2
	s_mov_b64 s[58:59], -1
                                        ; implicit-def: $vgpr4_vgpr5
	s_mov_b64 s[52:53], -1
	s_branch .LBB207_207
.LBB207_212:                            ;   in Loop: Header=BB207_12 Depth=1
	s_or_b64 exec, exec, s[12:13]
	s_andn2_b64 s[4:5], s[4:5], exec
	s_and_b64 s[10:11], s[50:51], exec
	v_lshrrev_b32_e32 v10, 16, v10
	s_or_b64 s[4:5], s[4:5], s[10:11]
.LBB207_213:                            ;   in Loop: Header=BB207_12 Depth=1
	s_or_b64 exec, exec, s[8:9]
	s_mov_b64 s[50:51], 0
	s_mov_b64 s[52:53], -1
.LBB207_214:                            ;   in Loop: Header=BB207_12 Depth=1
	s_orn2_b64 s[4:5], s[4:5], exec
.LBB207_215:                            ;   in Loop: Header=BB207_12 Depth=1
	s_or_b64 exec, exec, s[54:55]
	s_mov_b64 s[8:9], 0
	s_and_saveexec_b64 s[54:55], s[4:5]
	s_cbranch_execz .LBB207_279
; %bb.216:                              ;   in Loop: Header=BB207_12 Depth=1
	v_mov_b32_e32 v4, 1
	s_xor_b64 s[8:9], s[56:57], -1
	v_mov_b32_e32 v2, 1
	v_mov_b32_e32 v5, 0
	s_mov_b64 s[12:13], 0
	s_and_saveexec_b64 s[4:5], s[8:9]
	s_cbranch_execz .LBB207_225
; %bb.217:                              ;   in Loop: Header=BB207_12 Depth=1
	v_cmp_ge_u64_e32 vcc, s[26:27], v[6:7]
	s_and_saveexec_b64 s[8:9], vcc
	s_xor_b64 s[8:9], exec, s[8:9]
	s_cbranch_execz .LBB207_222
; %bb.218:                              ;   in Loop: Header=BB207_12 Depth=1
	ds_read_b64 v[4:5], v3 offset:5120
	v_readlane_b32 s10, v47, 61
	v_and_b32_e32 v2, s10, v9
	v_lshl_or_b32 v9, 2, s0, v2
	v_or_b32_e32 v8, s1, v8
	s_waitcnt lgkmcnt(0)
	v_cmp_ne_u64_e32 vcc, 0, v[4:5]
	s_cbranch_vccnz .LBB207_222
; %bb.219:                              ;   in Loop: Header=BB207_12 Depth=1
	s_mov_b64 s[10:11], exec
	v_readlane_b32 s12, v47, 12
	v_readlane_b32 s13, v47, 13
	s_and_b64 s[12:13], s[10:11], s[12:13]
	s_mov_b64 exec, s[12:13]
; %bb.220:                              ;   in Loop: Header=BB207_12 Depth=1
	v_mov_b32_e32 v4, s26
	v_mov_b32_e32 v5, s27
	ds_write_b64 v3, v[4:5] offset:5128
; %bb.221:                              ;   in Loop: Header=BB207_12 Depth=1
	s_or_b64 exec, exec, s[10:11]
	s_waitcnt lgkmcnt(0)
	s_barrier
.LBB207_222:                            ;   in Loop: Header=BB207_12 Depth=1
	s_or_saveexec_b64 s[8:9], s[8:9]
	s_mov_b64 s[10:11], 0
	v_mov_b32_e32 v2, 8
	s_xor_b64 exec, exec, s[8:9]
; %bb.223:                              ;   in Loop: Header=BB207_12 Depth=1
	v_subrev_co_u32_e32 v6, vcc, s26, v6
	v_mov_b32_e32 v2, s27
	v_subb_co_u32_e32 v7, vcc, v7, v2, vcc
	v_mov_b32_e32 v2, 0
	s_mov_b64 s[10:11], exec
; %bb.224:                              ;   in Loop: Header=BB207_12 Depth=1
	s_or_b64 exec, exec, s[8:9]
	v_mov_b32_e32 v4, v6
	s_and_b64 s[12:13], s[10:11], exec
	v_mov_b32_e32 v5, v7
.LBB207_225:                            ;   in Loop: Header=BB207_12 Depth=1
	s_or_b64 exec, exec, s[4:5]
	s_mov_b64 s[4:5], -1
                                        ; implicit-def: $sgpr10_sgpr11
                                        ; implicit-def: $sgpr8_sgpr9
	s_and_saveexec_b64 s[56:57], s[12:13]
	s_cbranch_execz .LBB207_278
; %bb.226:                              ;   in Loop: Header=BB207_12 Depth=1
	s_cmp_eq_u64 s[28:29], 1
	v_cmp_eq_u64_e32 vcc, 1, v[4:5]
	s_cselect_b64 s[4:5], -1, 0
	s_mov_b64 s[12:13], -1
	s_and_b64 s[4:5], s[4:5], vcc
                                        ; implicit-def: $sgpr10_sgpr11
                                        ; implicit-def: $sgpr8_sgpr9
	s_mov_b64 s[70:71], exec
	v_writelane_b32 v47, s4, 62
	v_writelane_b32 v47, s5, 63
	s_and_b64 s[4:5], s[70:71], s[4:5]
	s_mov_b64 exec, s[4:5]
	s_cbranch_execz .LBB207_266
; %bb.227:                              ;   in Loop: Header=BB207_12 Depth=1
	ds_read_b64 v[6:7], v3 offset:5120
	s_waitcnt lgkmcnt(0)
	s_barrier
	v_readfirstlane_b32 s12, v6
	v_readfirstlane_b32 s13, v7
	s_mov_b64 s[4:5], exec
	v_readlane_b32 s8, v47, 30
	v_readlane_b32 s9, v47, 31
	s_and_b64 s[8:9], s[4:5], s[8:9]
	s_mov_b64 exec, s[8:9]
; %bb.228:                              ;   in Loop: Header=BB207_12 Depth=1
	ds_write_b16 v28, v3
; %bb.229:                              ;   in Loop: Header=BB207_12 Depth=1
	s_or_b64 exec, exec, s[4:5]
	v_or_b32_e32 v9, s1, v9
	v_or_b32_e32 v8, s1, v8
	s_mov_b64 s[8:9], -1
	s_mov_b64 s[10:11], 0
	s_cmp_eq_u64 s[12:13], 0
	s_mov_b64 s[4:5], 0
	s_mov_b64 s[76:77], -1
	s_waitcnt lgkmcnt(0)
	s_barrier
                                        ; implicit-def: $vgpr10
	s_cbranch_scc1 .LBB207_248
; %bb.230:                              ;   in Loop: Header=BB207_12 Depth=1
	v_readlane_b32 s4, v47, 34
	s_add_u32 s90, s12, s4
	v_readlane_b32 s4, v47, 36
	s_addc_u32 s5, s13, s4
	s_mov_b32 s4, s89
	s_mov_b64 s[14:15], s[92:93]
	s_cmp_lg_u64 s[4:5], 0
	s_cbranch_scc0 .LBB207_234
; %bb.231:                              ;   in Loop: Header=BB207_12 Depth=1
	v_cvt_f32_u32_e32 v6, s87
	s_sub_u32 s4, 0, s87
	s_subb_u32 s76, 0, 0
	v_mac_f32_e32 v6, 0, v35
	v_rcp_f32_e32 v6, v6
	v_mul_f32_e32 v6, 0x5f7ffffc, v6
	v_mul_f32_e32 v7, 0x2f800000, v6
	v_trunc_f32_e32 v7, v7
	v_mac_f32_e32 v6, 0xcf800000, v7
	v_cvt_u32_f32_e32 v7, v7
	v_cvt_u32_f32_e32 v6, v6
	v_readfirstlane_b32 s77, v7
	v_readfirstlane_b32 s58, v6
	s_mul_i32 s59, s4, s77
	s_mul_hi_u32 s91, s4, s58
	s_mul_i32 s88, s76, s58
	s_add_i32 s59, s91, s59
	s_mul_i32 s92, s4, s58
	s_add_i32 s59, s59, s88
	s_mul_hi_u32 s91, s58, s92
	s_mul_i32 s93, s58, s59
	s_mul_hi_u32 s88, s58, s59
	s_add_u32 s91, s91, s93
	s_addc_u32 s88, 0, s88
	s_mul_hi_u32 s94, s77, s92
	s_mul_i32 s92, s77, s92
	s_add_u32 s91, s91, s92
	s_mul_hi_u32 s93, s77, s59
	s_addc_u32 s88, s88, s94
	s_addc_u32 s91, s93, 0
	s_mul_i32 s59, s77, s59
	s_add_u32 s59, s88, s59
	s_addc_u32 s88, 0, s91
	s_add_u32 s91, s58, s59
	s_cselect_b64 s[58:59], -1, 0
	s_cmp_lg_u64 s[58:59], 0
	s_addc_u32 s77, s77, s88
	s_mul_i32 s58, s4, s77
	s_mul_hi_u32 s59, s4, s91
	s_add_i32 s58, s59, s58
	s_mul_i32 s76, s76, s91
	s_add_i32 s58, s58, s76
	s_mul_i32 s4, s4, s91
	s_mul_hi_u32 s76, s77, s4
	s_mul_i32 s88, s77, s4
	s_mul_i32 s93, s91, s58
	s_mul_hi_u32 s4, s91, s4
	s_mul_hi_u32 s92, s91, s58
	s_add_u32 s4, s4, s93
	s_addc_u32 s92, 0, s92
	s_add_u32 s4, s4, s88
	s_mul_hi_u32 s59, s77, s58
	s_addc_u32 s4, s92, s76
	s_addc_u32 s59, s59, 0
	s_mul_i32 s58, s77, s58
	s_add_u32 s4, s4, s58
	s_addc_u32 s76, 0, s59
	s_add_u32 s4, s91, s4
	s_cselect_b64 s[58:59], -1, 0
	s_cmp_lg_u64 s[58:59], 0
	s_addc_u32 s58, s77, s76
	s_mul_i32 s76, s90, s58
	s_mul_hi_u32 s77, s90, s4
	s_mul_hi_u32 s59, s90, s58
	s_add_u32 s76, s77, s76
	s_addc_u32 s59, 0, s59
	s_mul_hi_u32 s88, s5, s4
	s_mul_i32 s4, s5, s4
	s_add_u32 s4, s76, s4
	s_mul_hi_u32 s77, s5, s58
	s_addc_u32 s4, s59, s88
	s_addc_u32 s59, s77, 0
	s_mul_i32 s58, s5, s58
	s_add_u32 s4, s4, s58
	s_addc_u32 s58, 0, s59
	s_mul_i32 s58, s87, s58
	s_mul_hi_u32 s59, s87, s4
	s_add_i32 s76, s59, s58
	s_mul_i32 s4, s87, s4
	s_sub_u32 s4, s90, s4
	s_cselect_b64 s[58:59], -1, 0
	s_cmp_lg_u64 s[58:59], 0
	s_subb_u32 s76, s5, s76
	s_sub_u32 s77, s4, s87
	s_cselect_b64 s[58:59], -1, 0
	s_cmp_lg_u64 s[58:59], 0
	s_subb_u32 s88, s76, 0
	;; [unrolled: 4-line block ×3, first 2 shown]
	s_cmp_ge_u32 s77, s87
	s_cselect_b32 s59, -1, 0
	s_cmp_eq_u32 s88, 0
	s_cselect_b32 s59, s59, -1
	s_cmp_lg_u32 s59, 0
	s_cselect_b32 s58, s58, s88
	s_cselect_b32 s59, s91, s77
	s_cmp_ge_u32 s4, s87
	s_cselect_b32 s77, -1, 0
	s_cmp_eq_u32 s76, 0
	s_cselect_b32 s77, s77, -1
	s_cmp_lg_u32 s77, 0
	s_cselect_b32 s77, s58, s76
	s_cselect_b32 s76, s59, s4
	s_mov_b64 s[58:59], 0
	s_branch .LBB207_235
.LBB207_232:                            ;   in Loop: Header=BB207_12 Depth=1
                                        ; implicit-def: $sgpr10_sgpr11
	s_branch .LBB207_185
.LBB207_233:                            ;   in Loop: Header=BB207_12 Depth=1
                                        ; implicit-def: $sgpr8_sgpr9
	s_branch .LBB207_202
.LBB207_234:                            ;   in Loop: Header=BB207_12 Depth=1
	s_mov_b64 s[58:59], -1
                                        ; implicit-def: $sgpr76_sgpr77
.LBB207_235:                            ;   in Loop: Header=BB207_12 Depth=1
	s_andn2_b64 vcc, exec, s[58:59]
	s_cbranch_vccnz .LBB207_237
; %bb.236:                              ;   in Loop: Header=BB207_12 Depth=1
	v_cvt_f32_u32_e32 v6, s87
	s_sub_i32 s4, 0, s87
	v_rcp_iflag_f32_e32 v6, v6
	v_mul_f32_e32 v6, 0x4f7ffffe, v6
	v_cvt_u32_f32_e32 v6, v6
	v_readfirstlane_b32 s58, v6
	s_mul_i32 s4, s4, s58
	s_mul_hi_u32 s4, s58, s4
	s_add_i32 s58, s58, s4
	s_mul_hi_u32 s4, s90, s58
	s_mul_i32 s4, s4, s87
	s_sub_i32 s4, s90, s4
	s_sub_i32 s58, s4, s87
	s_cmp_ge_u32 s4, s87
	s_cselect_b32 s4, s58, s4
	s_sub_i32 s58, s4, s87
	s_cmp_ge_u32 s4, s87
	s_cselect_b32 s88, s58, s4
	s_mov_b64 s[76:77], s[88:89]
.LBB207_237:                            ;   in Loop: Header=BB207_12 Depth=1
	s_sub_u32 s92, s90, s76
	s_subb_u32 s93, s5, s77
	v_cmp_gt_u64_e32 vcc, s[92:93], v[0:1]
	s_mov_b64 s[76:77], 0
	s_mov_b64 s[4:5], 0
                                        ; implicit-def: $vgpr10
	s_and_saveexec_b64 s[90:91], vcc
	v_readlane_b32 s88, v47, 57
	s_cbranch_execz .LBB207_247
; %bb.238:                              ;   in Loop: Header=BB207_12 Depth=1
	v_mov_b32_e32 v7, v1
	v_mov_b32_e32 v10, v27
	;; [unrolled: 1-line block ×3, first 2 shown]
                                        ; implicit-def: $sgpr94_sgpr95
	s_branch .LBB207_242
.LBB207_239:                            ;   in Loop: Header=BB207_242 Depth=2
	s_or_b64 exec, exec, s[58:59]
	s_waitcnt lgkmcnt(0)
	s_barrier
	ds_read_b32 v11, v3 offset:3072
	s_waitcnt lgkmcnt(0)
	s_barrier
	v_cmp_neq_f16_e32 vcc, 0, v11
	s_cbranch_vccnz .LBB207_245
; %bb.240:                              ;   in Loop: Header=BB207_242 Depth=2
	v_add_co_u32_e32 v6, vcc, s87, v6
	v_addc_co_u32_e32 v7, vcc, 0, v7, vcc
	v_cmp_le_u64_e32 vcc, s[92:93], v[6:7]
	v_add_u32_e32 v10, s85, v10
	s_mov_b64 s[58:59], 0
	s_orn2_b64 vcc, vcc, exec
.LBB207_241:                            ;   in Loop: Header=BB207_242 Depth=2
	s_and_b64 vcc, exec, vcc
	s_or_b64 s[4:5], vcc, s[4:5]
	s_andn2_b64 s[94:95], s[94:95], exec
	s_and_b64 s[58:59], s[58:59], exec
	s_or_b64 s[94:95], s[94:95], s[58:59]
	s_andn2_b64 exec, exec, s[4:5]
	s_cbranch_execz .LBB207_246
.LBB207_242:                            ;   Parent Loop BB207_12 Depth=1
                                        ; =>  This Inner Loop Header: Depth=2
	v_cmp_gt_u64_e32 vcc, s[12:13], v[6:7]
	s_and_saveexec_b64 s[58:59], vcc
	s_cbranch_execz .LBB207_239
; %bb.243:                              ;   in Loop: Header=BB207_242 Depth=2
	ds_read_u16 v11, v10
	s_waitcnt lgkmcnt(0)
	v_cmp_lt_i16_e32 vcc, -1, v11
	v_cndmask_b32_e32 v21, v33, v34, vcc
	v_xor_b32_sdwa v21, v21, v11 dst_sel:DWORD dst_unused:UNUSED_PAD src0_sel:DWORD src1_sel:WORD_0
	v_cmp_o_f16_e32 vcc, v11, v11
	v_cndmask_b32_e32 v21, v33, v21, vcc
	v_and_b32_e32 v21, v21, v8
	v_cmp_eq_u32_e32 vcc, v21, v9
	s_and_b64 exec, exec, vcc
	s_cbranch_execz .LBB207_239
; %bb.244:                              ;   in Loop: Header=BB207_242 Depth=2
	s_movk_i32 vcc_lo, 0x3c00
	v_perm_b32 v11, v11, vcc_lo, v37
	ds_write_b32 v3, v11 offset:3072
	s_branch .LBB207_239
.LBB207_245:                            ;   in Loop: Header=BB207_242 Depth=2
	s_mov_b64 vcc, -1
                                        ; implicit-def: $vgpr6_vgpr7
                                        ; implicit-def: $vgpr10
	s_mov_b64 s[58:59], -1
	s_branch .LBB207_241
.LBB207_246:                            ;   in Loop: Header=BB207_12 Depth=1
	s_or_b64 exec, exec, s[4:5]
	v_lshrrev_b32_e32 v10, 16, v11
	s_and_b64 s[4:5], s[94:95], exec
.LBB207_247:                            ;   in Loop: Header=BB207_12 Depth=1
	s_or_b64 exec, exec, s[90:91]
	s_mov_b64 s[92:93], s[14:15]
.LBB207_248:                            ;   in Loop: Header=BB207_12 Depth=1
	s_and_b64 vcc, exec, s[76:77]
	s_cbranch_vccz .LBB207_265
; %bb.249:                              ;   in Loop: Header=BB207_12 Depth=1
	v_readlane_b32 s14, v47, 37
	v_readlane_b32 s15, v47, 38
	s_mov_b32 s14, s89
	s_cmp_lg_u64 s[14:15], 0
	v_writelane_b32 v47, s14, 37
	v_writelane_b32 v47, s15, 38
	s_cbranch_scc0 .LBB207_251
; %bb.250:                              ;   in Loop: Header=BB207_12 Depth=1
	v_cvt_f32_u32_e32 v6, s87
	s_sub_u32 s10, 0, s87
	s_subb_u32 s11, 0, 0
	v_readlane_b32 s14, v47, 35
	v_mac_f32_e32 v6, 0, v35
	v_rcp_f32_e32 v6, v6
	v_mul_f32_e32 v6, 0x5f7ffffc, v6
	v_mul_f32_e32 v7, 0x2f800000, v6
	v_trunc_f32_e32 v7, v7
	v_mac_f32_e32 v6, 0xcf800000, v7
	v_cvt_u32_f32_e32 v7, v7
	v_cvt_u32_f32_e32 v6, v6
	v_readfirstlane_b32 s12, v7
	v_readfirstlane_b32 s8, v6
	s_mul_i32 s9, s10, s12
	s_mul_hi_u32 s58, s10, s8
	s_mul_i32 s13, s11, s8
	s_add_i32 s9, s58, s9
	s_mul_i32 s59, s10, s8
	s_add_i32 s9, s9, s13
	s_mul_hi_u32 s58, s8, s59
	s_mul_i32 s76, s8, s9
	s_mul_hi_u32 s13, s8, s9
	s_add_u32 s58, s58, s76
	s_addc_u32 s13, 0, s13
	s_mul_hi_u32 s77, s12, s59
	s_mul_i32 s59, s12, s59
	s_add_u32 s58, s58, s59
	s_mul_hi_u32 s76, s12, s9
	s_addc_u32 s13, s13, s77
	s_addc_u32 s58, s76, 0
	s_mul_i32 s9, s12, s9
	s_add_u32 s9, s13, s9
	s_addc_u32 s13, 0, s58
	s_add_u32 s58, s8, s9
	s_cselect_b64 s[8:9], -1, 0
	s_cmp_lg_u64 s[8:9], 0
	s_addc_u32 s12, s12, s13
	s_mul_i32 s8, s10, s12
	s_mul_hi_u32 s9, s10, s58
	s_add_i32 s8, s9, s8
	s_mul_i32 s11, s11, s58
	s_add_i32 s8, s8, s11
	s_mul_i32 s10, s10, s58
	s_mul_hi_u32 s11, s12, s10
	s_mul_i32 s13, s12, s10
	s_mul_i32 s76, s58, s8
	s_mul_hi_u32 s10, s58, s10
	s_mul_hi_u32 s59, s58, s8
	s_add_u32 s10, s10, s76
	s_addc_u32 s59, 0, s59
	s_add_u32 s10, s10, s13
	s_mul_hi_u32 s9, s12, s8
	s_addc_u32 s10, s59, s11
	s_addc_u32 s9, s9, 0
	s_mul_i32 s8, s12, s8
	s_add_u32 s8, s10, s8
	s_addc_u32 s10, 0, s9
	s_add_u32 s11, s58, s8
	s_cselect_b64 s[8:9], -1, 0
	s_cmp_lg_u64 s[8:9], 0
	s_addc_u32 s8, s12, s10
	s_mul_i32 s10, s14, s8
	s_mul_hi_u32 s12, s14, s11
	s_mul_hi_u32 s9, s14, s8
	s_add_u32 s10, s12, s10
	s_addc_u32 s9, 0, s9
	s_mul_hi_u32 s13, s15, s11
	s_mul_i32 s11, s15, s11
	s_add_u32 s10, s10, s11
	s_mul_hi_u32 s12, s15, s8
	s_addc_u32 s9, s9, s13
	s_addc_u32 s10, s12, 0
	s_mul_i32 s8, s15, s8
	s_add_u32 s8, s9, s8
	s_addc_u32 s9, 0, s10
	s_mul_i32 s9, s87, s9
	s_mul_hi_u32 s10, s87, s8
	s_add_i32 s10, s10, s9
	s_mul_i32 s8, s87, s8
	s_sub_u32 s11, s14, s8
	s_cselect_b64 s[8:9], -1, 0
	s_cmp_lg_u64 s[8:9], 0
	s_subb_u32 s10, s15, s10
	s_sub_u32 s12, s11, s87
	s_cselect_b64 s[8:9], -1, 0
	s_cmp_lg_u64 s[8:9], 0
	s_subb_u32 s13, s10, 0
	;; [unrolled: 4-line block ×3, first 2 shown]
	s_cmp_ge_u32 s12, s87
	s_cselect_b32 s9, -1, 0
	s_cmp_eq_u32 s13, 0
	s_cselect_b32 s9, s9, -1
	s_cmp_lg_u32 s9, 0
	s_cselect_b32 s8, s8, s13
	s_cselect_b32 s12, s58, s12
	s_cmp_ge_u32 s11, s87
	s_cselect_b32 s9, -1, 0
	s_cmp_eq_u32 s10, 0
	s_cselect_b32 s9, s9, -1
	s_cmp_lg_u32 s9, 0
	s_cselect_b32 s9, s8, s10
	s_cselect_b32 s8, s12, s11
	s_mov_b64 s[10:11], 0
	s_branch .LBB207_252
.LBB207_251:                            ;   in Loop: Header=BB207_12 Depth=1
	s_mov_b64 s[10:11], -1
                                        ; implicit-def: $sgpr8_sgpr9
.LBB207_252:                            ;   in Loop: Header=BB207_12 Depth=1
	s_andn2_b64 vcc, exec, s[10:11]
	s_cbranch_vccnz .LBB207_254
; %bb.253:                              ;   in Loop: Header=BB207_12 Depth=1
	v_cvt_f32_u32_e32 v6, s87
	s_sub_i32 s8, 0, s87
	v_readlane_b32 s10, v47, 35
	v_rcp_iflag_f32_e32 v6, v6
	v_mul_f32_e32 v6, 0x4f7ffffe, v6
	v_cvt_u32_f32_e32 v6, v6
	v_readfirstlane_b32 s9, v6
	s_mul_i32 s8, s8, s9
	s_mul_hi_u32 s8, s9, s8
	s_add_i32 s9, s9, s8
	s_mul_hi_u32 s8, s10, s9
	s_mul_i32 s8, s8, s87
	s_sub_i32 s8, s10, s8
	s_sub_i32 s9, s8, s87
	s_cmp_ge_u32 s8, s87
	s_cselect_b32 s8, s9, s8
	s_sub_i32 s9, s8, s87
	s_cmp_ge_u32 s8, s87
	s_cselect_b32 s88, s9, s8
	s_mov_b64 s[8:9], s[88:89]
	v_readlane_b32 s88, v47, 57
.LBB207_254:                            ;   in Loop: Header=BB207_12 Depth=1
	v_readlane_b32 s10, v47, 35
	v_readlane_b32 s12, v47, 37
	s_sub_u32 s10, s10, s8
	v_readlane_b32 s13, v47, 38
	s_subb_u32 s11, s13, s9
	v_cmp_gt_u64_e32 vcc, s[10:11], v[0:1]
                                        ; implicit-def: $vgpr10
	s_and_saveexec_b64 s[8:9], vcc
	s_cbranch_execz .LBB207_264
; %bb.255:                              ;   in Loop: Header=BB207_12 Depth=1
	v_mov_b32_e32 v7, v1
	s_mov_b64 s[12:13], 0
	v_mov_b32_e32 v6, v0
                                        ; implicit-def: $sgpr76_sgpr77
	s_branch .LBB207_259
.LBB207_256:                            ;   in Loop: Header=BB207_259 Depth=2
	s_or_b64 exec, exec, s[90:91]
	s_waitcnt lgkmcnt(0)
	s_barrier
	ds_read_b32 v10, v3 offset:3072
	s_waitcnt lgkmcnt(0)
	s_barrier
	v_cmp_eq_f16_e32 vcc, 0, v10
	s_cbranch_vccz .LBB207_262
; %bb.257:                              ;   in Loop: Header=BB207_259 Depth=2
	v_add_co_u32_e32 v6, vcc, s87, v6
	v_addc_co_u32_e32 v7, vcc, 0, v7, vcc
	v_cmp_le_u64_e32 vcc, s[10:11], v[6:7]
	s_mov_b64 s[58:59], 0
	s_orn2_b64 s[90:91], vcc, exec
.LBB207_258:                            ;   in Loop: Header=BB207_259 Depth=2
	s_and_b64 s[90:91], exec, s[90:91]
	s_or_b64 s[12:13], s[90:91], s[12:13]
	s_andn2_b64 s[76:77], s[76:77], exec
	s_and_b64 s[58:59], s[58:59], exec
	s_or_b64 s[76:77], s[76:77], s[58:59]
	s_andn2_b64 exec, exec, s[12:13]
	s_cbranch_execz .LBB207_263
.LBB207_259:                            ;   Parent Loop BB207_12 Depth=1
                                        ; =>  This Inner Loop Header: Depth=2
	v_cmp_gt_u64_e32 vcc, s[64:65], v[6:7]
	s_and_saveexec_b64 s[90:91], vcc
	s_cbranch_execz .LBB207_256
; %bb.260:                              ;   in Loop: Header=BB207_259 Depth=2
	v_mul_lo_u32 v21, v7, s62
	v_mul_lo_u32 v22, v6, s63
	v_mad_u64_u32 v[10:11], s[58:59], v6, s62, 0
	v_add3_u32 v11, v11, v22, v21
	v_lshlrev_b64 v[10:11], 1, v[10:11]
	v_mov_b32_e32 v21, s86
	v_add_co_u32_e32 v10, vcc, s33, v10
	v_addc_co_u32_e32 v11, vcc, v21, v11, vcc
	global_load_ushort v10, v[10:11], off
	s_waitcnt vmcnt(0)
	v_cmp_lt_i16_e32 vcc, -1, v10
	v_cndmask_b32_e32 v11, v33, v34, vcc
	v_xor_b32_sdwa v11, v11, v10 dst_sel:DWORD dst_unused:UNUSED_PAD src0_sel:DWORD src1_sel:WORD_0
	v_cmp_o_f16_e32 vcc, v10, v10
	v_cndmask_b32_e32 v11, v33, v11, vcc
	v_and_b32_e32 v11, v11, v8
	v_cmp_eq_u32_e32 vcc, v11, v9
	s_and_b64 exec, exec, vcc
	s_cbranch_execz .LBB207_256
; %bb.261:                              ;   in Loop: Header=BB207_259 Depth=2
	s_movk_i32 s14, 0x3c00
	v_perm_b32 v10, v10, s14, v37
	ds_write_b32 v3, v10 offset:3072
	s_branch .LBB207_256
.LBB207_262:                            ;   in Loop: Header=BB207_259 Depth=2
	s_mov_b64 s[90:91], -1
                                        ; implicit-def: $vgpr6_vgpr7
	s_mov_b64 s[58:59], -1
	s_branch .LBB207_258
.LBB207_263:                            ;   in Loop: Header=BB207_12 Depth=1
	s_or_b64 exec, exec, s[12:13]
	s_andn2_b64 s[4:5], s[4:5], exec
	s_and_b64 s[10:11], s[76:77], exec
	v_lshrrev_b32_e32 v10, 16, v10
	s_or_b64 s[4:5], s[4:5], s[10:11]
.LBB207_264:                            ;   in Loop: Header=BB207_12 Depth=1
	s_or_b64 exec, exec, s[8:9]
	s_mov_b64 s[8:9], 0
	s_mov_b64 s[10:11], -1
.LBB207_265:                            ;   in Loop: Header=BB207_12 Depth=1
	s_orn2_b64 s[12:13], s[4:5], exec
.LBB207_266:                            ;   in Loop: Header=BB207_12 Depth=1
	s_or_b64 exec, exec, s[70:71]
	s_mov_b64 s[58:59], 0
	s_and_saveexec_b64 s[4:5], s[12:13]
	s_cbranch_execz .LBB207_277
; %bb.267:                              ;   in Loop: Header=BB207_12 Depth=1
	v_readlane_b32 s12, v47, 62
	v_readlane_b32 s13, v47, 63
	v_mov_b32_e32 v6, 1
	s_xor_b64 s[58:59], s[12:13], -1
	v_mov_b32_e32 v7, 0
	v_mov_b32_e32 v2, 1
	s_and_saveexec_b64 s[12:13], s[58:59]
	s_cbranch_execz .LBB207_276
; %bb.268:                              ;   in Loop: Header=BB207_12 Depth=1
	v_cmp_ge_u64_e32 vcc, s[28:29], v[4:5]
	s_and_saveexec_b64 s[58:59], vcc
	s_xor_b64 s[58:59], exec, s[58:59]
	s_cbranch_execz .LBB207_273
; %bb.269:                              ;   in Loop: Header=BB207_12 Depth=1
	ds_read_b64 v[6:7], v3 offset:5120
	v_or_b32_e32 v9, s1, v9
	v_or_b32_e32 v8, s1, v8
	s_waitcnt lgkmcnt(0)
	v_cmp_ne_u64_e32 vcc, 0, v[6:7]
	s_cbranch_vccnz .LBB207_273
; %bb.270:                              ;   in Loop: Header=BB207_12 Depth=1
	v_readlane_b32 s14, v47, 12
	v_readlane_b32 s15, v47, 13
	s_and_saveexec_b64 s[70:71], s[14:15]
; %bb.271:                              ;   in Loop: Header=BB207_12 Depth=1
	v_mov_b32_e32 v6, s28
	v_mov_b32_e32 v7, s29
	ds_write_b64 v3, v[6:7] offset:5128
; %bb.272:                              ;   in Loop: Header=BB207_12 Depth=1
	s_or_b64 exec, exec, s[70:71]
	s_waitcnt lgkmcnt(0)
	s_barrier
.LBB207_273:                            ;   in Loop: Header=BB207_12 Depth=1
	s_andn2_saveexec_b64 s[58:59], s[58:59]
; %bb.274:                              ;   in Loop: Header=BB207_12 Depth=1
	v_mov_b32_e32 v2, s29
	v_subrev_co_u32_e32 v4, vcc, s28, v4
	v_subb_co_u32_e32 v5, vcc, v5, v2, vcc
; %bb.275:                              ;   in Loop: Header=BB207_12 Depth=1
	s_or_b64 exec, exec, s[58:59]
	v_mov_b32_e32 v7, v5
	v_mov_b32_e32 v2, 8
	;; [unrolled: 1-line block ×3, first 2 shown]
.LBB207_276:                            ;   in Loop: Header=BB207_12 Depth=1
	s_or_b64 exec, exec, s[12:13]
	v_mov_b32_e32 v4, v6
	s_mov_b64 s[58:59], exec
	v_mov_b32_e32 v5, v7
.LBB207_277:                            ;   in Loop: Header=BB207_12 Depth=1
	s_or_b64 exec, exec, s[4:5]
	s_orn2_b64 s[4:5], s[58:59], exec
.LBB207_278:                            ;   in Loop: Header=BB207_12 Depth=1
	s_or_b64 exec, exec, s[56:57]
	s_andn2_b64 s[12:13], s[52:53], exec
	s_and_b64 s[10:11], s[10:11], exec
	s_or_b64 s[52:53], s[12:13], s[10:11]
	s_andn2_b64 s[10:11], s[50:51], exec
	s_and_b64 s[8:9], s[8:9], exec
	v_mov_b32_e32 v7, v5
	s_or_b64 s[50:51], s[10:11], s[8:9]
	s_and_b64 s[8:9], s[4:5], exec
	v_mov_b32_e32 v6, v4
.LBB207_279:                            ;   in Loop: Header=BB207_12 Depth=1
	s_or_b64 exec, exec, s[54:55]
	s_orn2_b64 s[4:5], s[8:9], exec
.LBB207_280:                            ;   in Loop: Header=BB207_12 Depth=1
	s_or_b64 exec, exec, s[48:49]
	s_andn2_b64 s[8:9], s[34:35], exec
	s_and_b64 s[10:11], s[52:53], exec
	s_or_b64 s[34:35], s[8:9], s[10:11]
	s_andn2_b64 s[8:9], s[30:31], exec
	s_and_b64 s[10:11], s[50:51], exec
	v_mov_b32_e32 v4, v6
	s_or_b64 s[30:31], s[8:9], s[10:11]
	s_and_b64 s[8:9], s[4:5], exec
	v_mov_b32_e32 v5, v7
.LBB207_281:                            ;   in Loop: Header=BB207_12 Depth=1
	s_or_b64 exec, exec, s[46:47]
	s_orn2_b64 s[4:5], s[8:9], exec
.LBB207_282:                            ;   in Loop: Header=BB207_12 Depth=1
	s_or_b64 exec, exec, s[6:7]
	s_mov_b64 s[6:7], 0
	s_mov_b64 s[8:9], 0
	s_and_saveexec_b64 s[10:11], s[4:5]
	s_xor_b64 s[4:5], exec, s[10:11]
; %bb.283:                              ;   in Loop: Header=BB207_12 Depth=1
	v_cmp_eq_u32_e32 vcc, 8, v2
	v_cmp_ne_u32_e64 s[6:7], 8, v2
	s_and_b64 s[8:9], s[6:7], exec
	s_and_b64 s[6:7], vcc, exec
; %bb.284:                              ;   in Loop: Header=BB207_12 Depth=1
	s_or_b64 exec, exec, s[4:5]
	s_andn2_b64 s[4:5], s[38:39], exec
	s_and_b64 s[10:11], s[34:35], exec
	s_or_b64 s[38:39], s[4:5], s[10:11]
	s_andn2_b64 s[4:5], s[36:37], exec
	s_and_b64 s[10:11], s[30:31], exec
	s_or_b64 s[36:37], s[4:5], s[10:11]
	s_and_b64 s[30:31], s[8:9], exec
	s_and_b64 s[34:35], s[6:7], exec
.LBB207_285:                            ;   in Loop: Header=BB207_12 Depth=1
	s_or_b64 exec, exec, s[44:45]
.LBB207_286:                            ;   in Loop: Header=BB207_12 Depth=1
	s_and_b64 vcc, exec, s[40:41]
	s_cbranch_vccz .LBB207_303
; %bb.287:                              ;   in Loop: Header=BB207_12 Depth=1
	s_cmp_eq_u64 s[28:29], 1
	s_cselect_b64 s[4:5], -1, 0
	s_and_b64 s[6:7], s[4:5], s[18:19]
	s_mov_b64 s[4:5], -1
                                        ; implicit-def: $sgpr18_sgpr19
                                        ; implicit-def: $sgpr22_sgpr23
	s_and_saveexec_b64 s[36:37], s[6:7]
	s_cbranch_execz .LBB207_322
; %bb.288:                              ;   in Loop: Header=BB207_12 Depth=1
	ds_read_b64 v[4:5], v3 offset:5120
	s_waitcnt lgkmcnt(0)
	s_barrier
	v_readfirstlane_b32 s8, v4
	v_readfirstlane_b32 s9, v5
	s_mov_b64 s[4:5], exec
	v_readlane_b32 s10, v47, 30
	v_readlane_b32 s11, v47, 31
	s_and_b64 s[10:11], s[4:5], s[10:11]
	s_mov_b64 exec, s[10:11]
; %bb.289:                              ;   in Loop: Header=BB207_12 Depth=1
	ds_write_b16 v28, v3
; %bb.290:                              ;   in Loop: Header=BB207_12 Depth=1
	s_or_b64 exec, exec, s[4:5]
	v_or_b32_e32 v30, s1, v30
	v_or_b32_e32 v38, s1, v38
	s_mov_b64 s[22:23], -1
	s_mov_b64 s[18:19], 0
	s_cmp_eq_u64 s[8:9], 0
	s_mov_b64 s[4:5], 0
	s_mov_b64 s[10:11], -1
	s_waitcnt lgkmcnt(0)
	s_barrier
                                        ; implicit-def: $vgpr39
	s_cbranch_scc1 .LBB207_306
; %bb.291:                              ;   in Loop: Header=BB207_12 Depth=1
	v_readlane_b32 s4, v47, 34
	s_add_u32 s38, s8, s4
	v_readlane_b32 s4, v47, 36
	s_addc_u32 s5, s9, s4
	s_mov_b32 s4, s89
	s_cmp_lg_u64 s[4:5], 0
	s_cbranch_scc0 .LBB207_349
; %bb.292:                              ;   in Loop: Header=BB207_12 Depth=1
	v_cvt_f32_u32_e32 v2, s87
	s_sub_u32 s4, 0, s87
	s_subb_u32 s12, 0, 0
	v_mac_f32_e32 v2, 0, v35
	v_rcp_f32_e32 v2, v2
	v_mul_f32_e32 v2, 0x5f7ffffc, v2
	v_mul_f32_e32 v4, 0x2f800000, v2
	v_trunc_f32_e32 v4, v4
	v_mac_f32_e32 v2, 0xcf800000, v4
	v_cvt_u32_f32_e32 v4, v4
	v_cvt_u32_f32_e32 v2, v2
	v_readfirstlane_b32 s13, v4
	v_readfirstlane_b32 s10, v2
	s_mul_i32 s11, s4, s13
	s_mul_hi_u32 s40, s4, s10
	s_mul_i32 s39, s12, s10
	s_add_i32 s11, s40, s11
	s_mul_i32 s41, s4, s10
	s_add_i32 s11, s11, s39
	s_mul_hi_u32 s40, s10, s41
	s_mul_i32 s44, s10, s11
	s_mul_hi_u32 s39, s10, s11
	s_add_u32 s40, s40, s44
	s_addc_u32 s39, 0, s39
	s_mul_hi_u32 s45, s13, s41
	s_mul_i32 s41, s13, s41
	s_add_u32 s40, s40, s41
	s_mul_hi_u32 s44, s13, s11
	s_addc_u32 s39, s39, s45
	s_addc_u32 s40, s44, 0
	s_mul_i32 s11, s13, s11
	s_add_u32 s11, s39, s11
	s_addc_u32 s39, 0, s40
	s_add_u32 s40, s10, s11
	s_cselect_b64 s[10:11], -1, 0
	s_cmp_lg_u64 s[10:11], 0
	s_addc_u32 s13, s13, s39
	s_mul_i32 s10, s4, s13
	s_mul_hi_u32 s11, s4, s40
	s_add_i32 s10, s11, s10
	s_mul_i32 s12, s12, s40
	s_add_i32 s10, s10, s12
	s_mul_i32 s4, s4, s40
	s_mul_hi_u32 s12, s13, s4
	s_mul_i32 s39, s13, s4
	s_mul_i32 s44, s40, s10
	s_mul_hi_u32 s4, s40, s4
	s_mul_hi_u32 s41, s40, s10
	s_add_u32 s4, s4, s44
	s_addc_u32 s41, 0, s41
	s_add_u32 s4, s4, s39
	s_mul_hi_u32 s11, s13, s10
	s_addc_u32 s4, s41, s12
	s_addc_u32 s11, s11, 0
	s_mul_i32 s10, s13, s10
	s_add_u32 s4, s4, s10
	s_addc_u32 s12, 0, s11
	s_add_u32 s4, s40, s4
	s_cselect_b64 s[10:11], -1, 0
	s_cmp_lg_u64 s[10:11], 0
	s_addc_u32 s10, s13, s12
	s_mul_i32 s12, s38, s10
	s_mul_hi_u32 s13, s38, s4
	s_mul_hi_u32 s11, s38, s10
	s_add_u32 s12, s13, s12
	s_addc_u32 s11, 0, s11
	s_mul_hi_u32 s39, s5, s4
	s_mul_i32 s4, s5, s4
	s_add_u32 s4, s12, s4
	s_mul_hi_u32 s13, s5, s10
	s_addc_u32 s4, s11, s39
	s_addc_u32 s11, s13, 0
	s_mul_i32 s10, s5, s10
	s_add_u32 s4, s4, s10
	s_addc_u32 s10, 0, s11
	s_mul_i32 s10, s87, s10
	s_mul_hi_u32 s11, s87, s4
	s_add_i32 s12, s11, s10
	s_mul_i32 s4, s87, s4
	s_sub_u32 s4, s38, s4
	s_cselect_b64 s[10:11], -1, 0
	s_cmp_lg_u64 s[10:11], 0
	s_subb_u32 s12, s5, s12
	s_sub_u32 s13, s4, s87
	s_cselect_b64 s[10:11], -1, 0
	s_cmp_lg_u64 s[10:11], 0
	s_subb_u32 s39, s12, 0
	;; [unrolled: 4-line block ×3, first 2 shown]
	s_cmp_ge_u32 s13, s87
	s_cselect_b32 s11, -1, 0
	s_cmp_eq_u32 s39, 0
	s_cselect_b32 s11, s11, -1
	s_cmp_lg_u32 s11, 0
	s_cselect_b32 s10, s10, s39
	s_cselect_b32 s13, s40, s13
	s_cmp_ge_u32 s4, s87
	s_cselect_b32 s11, -1, 0
	s_cmp_eq_u32 s12, 0
	s_cselect_b32 s11, s11, -1
	s_cmp_lg_u32 s11, 0
	s_cselect_b32 s11, s10, s12
	s_cselect_b32 s10, s13, s4
	s_cbranch_execnz .LBB207_294
.LBB207_293:                            ;   in Loop: Header=BB207_12 Depth=1
	v_cvt_f32_u32_e32 v2, s87
	s_sub_i32 s4, 0, s87
	v_rcp_iflag_f32_e32 v2, v2
	v_mul_f32_e32 v2, 0x4f7ffffe, v2
	v_cvt_u32_f32_e32 v2, v2
	v_readfirstlane_b32 s10, v2
	s_mul_i32 s4, s4, s10
	s_mul_hi_u32 s4, s10, s4
	s_add_i32 s10, s10, s4
	s_mul_hi_u32 s4, s38, s10
	s_mul_i32 s4, s4, s87
	s_sub_i32 s4, s38, s4
	s_sub_i32 s10, s4, s87
	s_cmp_ge_u32 s4, s87
	s_cselect_b32 s4, s10, s4
	s_sub_i32 s10, s4, s87
	s_cmp_ge_u32 s4, s87
	s_cselect_b32 s88, s10, s4
	s_mov_b64 s[10:11], s[88:89]
	v_readlane_b32 s88, v47, 57
.LBB207_294:                            ;   in Loop: Header=BB207_12 Depth=1
	s_sub_u32 s38, s38, s10
	s_subb_u32 s39, s5, s11
	v_cmp_gt_u64_e32 vcc, s[38:39], v[0:1]
	s_mov_b64 s[10:11], 0
	s_mov_b64 s[4:5], 0
                                        ; implicit-def: $vgpr39
	s_and_saveexec_b64 s[12:13], vcc
	s_cbranch_execz .LBB207_305
; %bb.295:                              ;   in Loop: Header=BB207_12 Depth=1
	v_mov_b32_e32 v5, v1
	v_mov_b32_e32 v2, v27
	v_mov_b32_e32 v4, v0
                                        ; implicit-def: $sgpr40_sgpr41
	s_branch .LBB207_299
.LBB207_296:                            ;   in Loop: Header=BB207_299 Depth=2
	s_or_b64 exec, exec, s[44:45]
	s_waitcnt lgkmcnt(0)
	s_barrier
	ds_read_b32 v6, v3 offset:3072
	s_waitcnt lgkmcnt(0)
	s_barrier
	v_cmp_neq_f16_e32 vcc, 0, v6
	s_cbranch_vccnz .LBB207_302
; %bb.297:                              ;   in Loop: Header=BB207_299 Depth=2
	v_add_co_u32_e32 v4, vcc, s87, v4
	v_addc_co_u32_e32 v5, vcc, 0, v5, vcc
	v_cmp_le_u64_e32 vcc, s[38:39], v[4:5]
	v_add_u32_e32 v2, s85, v2
	s_mov_b64 s[44:45], 0
	s_orn2_b64 s[46:47], vcc, exec
.LBB207_298:                            ;   in Loop: Header=BB207_299 Depth=2
	s_and_b64 s[46:47], exec, s[46:47]
	s_or_b64 s[4:5], s[46:47], s[4:5]
	s_andn2_b64 s[40:41], s[40:41], exec
	s_and_b64 s[44:45], s[44:45], exec
	s_or_b64 s[40:41], s[40:41], s[44:45]
	s_andn2_b64 exec, exec, s[4:5]
	s_cbranch_execz .LBB207_304
.LBB207_299:                            ;   Parent Loop BB207_12 Depth=1
                                        ; =>  This Inner Loop Header: Depth=2
	v_cmp_gt_u64_e32 vcc, s[8:9], v[4:5]
	s_and_saveexec_b64 s[44:45], vcc
	s_cbranch_execz .LBB207_296
; %bb.300:                              ;   in Loop: Header=BB207_299 Depth=2
	ds_read_u16 v6, v2
	s_waitcnt lgkmcnt(0)
	v_cmp_lt_i16_e32 vcc, -1, v6
	v_cndmask_b32_e32 v7, v33, v34, vcc
	v_xor_b32_sdwa v7, v7, v6 dst_sel:DWORD dst_unused:UNUSED_PAD src0_sel:DWORD src1_sel:WORD_0
	v_cmp_o_f16_e32 vcc, v6, v6
	v_cndmask_b32_e32 v7, v33, v7, vcc
	v_and_b32_e32 v7, v7, v38
	v_cmp_eq_u32_e32 vcc, v7, v30
	s_and_b64 exec, exec, vcc
	s_cbranch_execz .LBB207_296
; %bb.301:                              ;   in Loop: Header=BB207_299 Depth=2
	s_movk_i32 s14, 0x3c00
	v_perm_b32 v6, v6, s14, v37
	ds_write_b32 v3, v6 offset:3072
	s_branch .LBB207_296
.LBB207_302:                            ;   in Loop: Header=BB207_299 Depth=2
	s_mov_b64 s[46:47], -1
                                        ; implicit-def: $vgpr4_vgpr5
                                        ; implicit-def: $vgpr2
	s_mov_b64 s[44:45], -1
	s_branch .LBB207_298
.LBB207_303:                            ;   in Loop: Header=BB207_12 Depth=1
	s_mov_b64 s[18:19], 0
	v_mov_b32_e32 v30, v9
	v_mov_b32_e32 v38, v8
	;; [unrolled: 1-line block ×3, first 2 shown]
	s_and_saveexec_b64 s[4:5], s[34:35]
	s_cbranch_execnz .LBB207_487
	s_branch .LBB207_488
.LBB207_304:                            ;   in Loop: Header=BB207_12 Depth=1
	s_or_b64 exec, exec, s[4:5]
	v_lshrrev_b32_e32 v39, 16, v6
	s_and_b64 s[4:5], s[40:41], exec
.LBB207_305:                            ;   in Loop: Header=BB207_12 Depth=1
	s_or_b64 exec, exec, s[12:13]
.LBB207_306:                            ;   in Loop: Header=BB207_12 Depth=1
	s_and_b64 vcc, exec, s[10:11]
	s_cbranch_vccz .LBB207_321
; %bb.307:                              ;   in Loop: Header=BB207_12 Depth=1
	v_readlane_b32 s14, v47, 37
	v_readlane_b32 s15, v47, 38
	s_mov_b32 s14, s89
	s_cmp_lg_u64 s[14:15], 0
	v_writelane_b32 v47, s14, 37
	v_writelane_b32 v47, s15, 38
	s_cbranch_scc0 .LBB207_350
; %bb.308:                              ;   in Loop: Header=BB207_12 Depth=1
	v_cvt_f32_u32_e32 v2, s87
	s_sub_u32 s10, 0, s87
	s_subb_u32 s11, 0, 0
	v_readlane_b32 s14, v47, 35
	v_mac_f32_e32 v2, 0, v35
	v_rcp_f32_e32 v2, v2
	v_mul_f32_e32 v2, 0x5f7ffffc, v2
	v_mul_f32_e32 v4, 0x2f800000, v2
	v_trunc_f32_e32 v4, v4
	v_mac_f32_e32 v2, 0xcf800000, v4
	v_cvt_u32_f32_e32 v4, v4
	v_cvt_u32_f32_e32 v2, v2
	v_readfirstlane_b32 s12, v4
	v_readfirstlane_b32 s8, v2
	s_mul_i32 s9, s10, s12
	s_mul_hi_u32 s18, s10, s8
	s_mul_i32 s13, s11, s8
	s_add_i32 s9, s18, s9
	s_mul_i32 s19, s10, s8
	s_add_i32 s9, s9, s13
	s_mul_hi_u32 s18, s8, s19
	s_mul_i32 s22, s8, s9
	s_mul_hi_u32 s13, s8, s9
	s_add_u32 s18, s18, s22
	s_addc_u32 s13, 0, s13
	s_mul_hi_u32 s23, s12, s19
	s_mul_i32 s19, s12, s19
	s_add_u32 s18, s18, s19
	s_mul_hi_u32 s22, s12, s9
	s_addc_u32 s13, s13, s23
	s_addc_u32 s18, s22, 0
	s_mul_i32 s9, s12, s9
	s_add_u32 s9, s13, s9
	s_addc_u32 s13, 0, s18
	s_add_u32 s18, s8, s9
	s_cselect_b64 s[8:9], -1, 0
	s_cmp_lg_u64 s[8:9], 0
	s_addc_u32 s12, s12, s13
	s_mul_i32 s8, s10, s12
	s_mul_hi_u32 s9, s10, s18
	s_add_i32 s8, s9, s8
	s_mul_i32 s11, s11, s18
	s_add_i32 s8, s8, s11
	s_mul_i32 s10, s10, s18
	s_mul_hi_u32 s11, s12, s10
	s_mul_i32 s13, s12, s10
	s_mul_i32 s22, s18, s8
	s_mul_hi_u32 s10, s18, s10
	s_mul_hi_u32 s19, s18, s8
	s_add_u32 s10, s10, s22
	s_addc_u32 s19, 0, s19
	s_add_u32 s10, s10, s13
	s_mul_hi_u32 s9, s12, s8
	s_addc_u32 s10, s19, s11
	s_addc_u32 s9, s9, 0
	s_mul_i32 s8, s12, s8
	s_add_u32 s8, s10, s8
	s_addc_u32 s10, 0, s9
	s_add_u32 s11, s18, s8
	s_cselect_b64 s[8:9], -1, 0
	s_cmp_lg_u64 s[8:9], 0
	s_addc_u32 s8, s12, s10
	s_mul_i32 s10, s14, s8
	s_mul_hi_u32 s12, s14, s11
	s_mul_hi_u32 s9, s14, s8
	s_add_u32 s10, s12, s10
	s_addc_u32 s9, 0, s9
	s_mul_hi_u32 s13, s15, s11
	s_mul_i32 s11, s15, s11
	s_add_u32 s10, s10, s11
	s_mul_hi_u32 s12, s15, s8
	s_addc_u32 s9, s9, s13
	s_addc_u32 s10, s12, 0
	s_mul_i32 s8, s15, s8
	s_add_u32 s8, s9, s8
	s_addc_u32 s9, 0, s10
	s_mul_i32 s9, s87, s9
	s_mul_hi_u32 s10, s87, s8
	s_add_i32 s10, s10, s9
	s_mul_i32 s8, s87, s8
	s_sub_u32 s11, s14, s8
	s_cselect_b64 s[8:9], -1, 0
	s_cmp_lg_u64 s[8:9], 0
	s_subb_u32 s10, s15, s10
	s_sub_u32 s12, s11, s87
	s_cselect_b64 s[8:9], -1, 0
	s_cmp_lg_u64 s[8:9], 0
	s_subb_u32 s13, s10, 0
	s_sub_u32 s18, s12, s87
	s_cselect_b64 s[8:9], -1, 0
	s_cmp_lg_u64 s[8:9], 0
	s_subb_u32 s8, s13, 0
	s_cmp_ge_u32 s12, s87
	s_cselect_b32 s9, -1, 0
	s_cmp_eq_u32 s13, 0
	s_cselect_b32 s9, s9, -1
	s_cmp_lg_u32 s9, 0
	s_cselect_b32 s8, s8, s13
	s_cselect_b32 s12, s18, s12
	s_cmp_ge_u32 s11, s87
	s_cselect_b32 s9, -1, 0
	s_cmp_eq_u32 s10, 0
	s_cselect_b32 s9, s9, -1
	s_cmp_lg_u32 s9, 0
	s_cselect_b32 s9, s8, s10
	s_cselect_b32 s8, s12, s11
	s_cbranch_execnz .LBB207_310
.LBB207_309:                            ;   in Loop: Header=BB207_12 Depth=1
	v_cvt_f32_u32_e32 v2, s87
	s_sub_i32 s8, 0, s87
	v_readlane_b32 s10, v47, 35
	v_rcp_iflag_f32_e32 v2, v2
	v_mul_f32_e32 v2, 0x4f7ffffe, v2
	v_cvt_u32_f32_e32 v2, v2
	v_readfirstlane_b32 s9, v2
	s_mul_i32 s8, s8, s9
	s_mul_hi_u32 s8, s9, s8
	s_add_i32 s9, s9, s8
	s_mul_hi_u32 s8, s10, s9
	s_mul_i32 s8, s8, s87
	s_sub_i32 s8, s10, s8
	s_sub_i32 s9, s8, s87
	s_cmp_ge_u32 s8, s87
	s_cselect_b32 s8, s9, s8
	s_sub_i32 s9, s8, s87
	s_cmp_ge_u32 s8, s87
	s_cselect_b32 s88, s9, s8
	s_mov_b64 s[8:9], s[88:89]
	v_readlane_b32 s88, v47, 57
.LBB207_310:                            ;   in Loop: Header=BB207_12 Depth=1
	v_readlane_b32 s10, v47, 35
	v_readlane_b32 s12, v47, 37
	s_sub_u32 s10, s10, s8
	v_readlane_b32 s13, v47, 38
	s_subb_u32 s11, s13, s9
	v_cmp_gt_u64_e32 vcc, s[10:11], v[0:1]
                                        ; implicit-def: $vgpr39
	s_and_saveexec_b64 s[8:9], vcc
	s_cbranch_execz .LBB207_320
; %bb.311:                              ;   in Loop: Header=BB207_12 Depth=1
	v_mov_b32_e32 v5, v1
	s_mov_b64 s[12:13], 0
	v_mov_b32_e32 v4, v0
                                        ; implicit-def: $sgpr18_sgpr19
	s_branch .LBB207_315
.LBB207_312:                            ;   in Loop: Header=BB207_315 Depth=2
	s_or_b64 exec, exec, s[22:23]
	s_waitcnt lgkmcnt(0)
	s_barrier
	ds_read_b32 v2, v3 offset:3072
	s_waitcnt lgkmcnt(0)
	s_barrier
	v_cmp_neq_f16_e32 vcc, 0, v2
	s_cbranch_vccnz .LBB207_318
; %bb.313:                              ;   in Loop: Header=BB207_315 Depth=2
	v_add_co_u32_e32 v4, vcc, s87, v4
	v_addc_co_u32_e32 v5, vcc, 0, v5, vcc
	v_cmp_le_u64_e32 vcc, s[10:11], v[4:5]
	s_mov_b64 s[22:23], 0
	s_orn2_b64 s[38:39], vcc, exec
.LBB207_314:                            ;   in Loop: Header=BB207_315 Depth=2
	s_and_b64 s[38:39], exec, s[38:39]
	s_or_b64 s[12:13], s[38:39], s[12:13]
	s_andn2_b64 s[18:19], s[18:19], exec
	s_and_b64 s[22:23], s[22:23], exec
	s_or_b64 s[18:19], s[18:19], s[22:23]
	s_andn2_b64 exec, exec, s[12:13]
	s_cbranch_execz .LBB207_319
.LBB207_315:                            ;   Parent Loop BB207_12 Depth=1
                                        ; =>  This Inner Loop Header: Depth=2
	v_cmp_gt_u64_e32 vcc, s[64:65], v[4:5]
	s_and_saveexec_b64 s[22:23], vcc
	s_cbranch_execz .LBB207_312
; %bb.316:                              ;   in Loop: Header=BB207_315 Depth=2
	v_mul_lo_u32 v2, v5, s62
	v_mul_lo_u32 v8, v4, s63
	v_mad_u64_u32 v[6:7], s[38:39], v4, s62, 0
	v_add3_u32 v7, v7, v8, v2
	v_lshlrev_b64 v[6:7], 1, v[6:7]
	v_mov_b32_e32 v2, s86
	v_add_co_u32_e32 v6, vcc, s33, v6
	v_addc_co_u32_e32 v7, vcc, v2, v7, vcc
	global_load_ushort v2, v[6:7], off
	s_waitcnt vmcnt(0)
	v_cmp_lt_i16_e32 vcc, -1, v2
	v_cndmask_b32_e32 v6, v33, v34, vcc
	v_xor_b32_sdwa v6, v6, v2 dst_sel:DWORD dst_unused:UNUSED_PAD src0_sel:DWORD src1_sel:WORD_0
	v_cmp_o_f16_e32 vcc, v2, v2
	v_cndmask_b32_e32 v6, v33, v6, vcc
	v_and_b32_e32 v6, v6, v38
	v_cmp_eq_u32_e32 vcc, v6, v30
	s_and_b64 exec, exec, vcc
	s_cbranch_execz .LBB207_312
; %bb.317:                              ;   in Loop: Header=BB207_315 Depth=2
	s_movk_i32 s14, 0x3c00
	v_perm_b32 v2, v2, s14, v37
	ds_write_b32 v3, v2 offset:3072
	s_branch .LBB207_312
.LBB207_318:                            ;   in Loop: Header=BB207_315 Depth=2
	s_mov_b64 s[38:39], -1
                                        ; implicit-def: $vgpr4_vgpr5
	s_mov_b64 s[22:23], -1
	s_branch .LBB207_314
.LBB207_319:                            ;   in Loop: Header=BB207_12 Depth=1
	s_or_b64 exec, exec, s[12:13]
	s_andn2_b64 s[4:5], s[4:5], exec
	s_and_b64 s[10:11], s[18:19], exec
	v_lshrrev_b32_e32 v39, 16, v2
	s_or_b64 s[4:5], s[4:5], s[10:11]
.LBB207_320:                            ;   in Loop: Header=BB207_12 Depth=1
	s_or_b64 exec, exec, s[8:9]
	s_mov_b64 s[22:23], 0
	s_mov_b64 s[18:19], -1
.LBB207_321:                            ;   in Loop: Header=BB207_12 Depth=1
	s_orn2_b64 s[4:5], s[4:5], exec
.LBB207_322:                            ;   in Loop: Header=BB207_12 Depth=1
	s_or_b64 exec, exec, s[36:37]
                                        ; implicit-def: $vgpr4_vgpr5
                                        ; implicit-def: $vgpr2
	s_and_saveexec_b64 s[36:37], s[4:5]
	s_cbranch_execz .LBB207_486
; %bb.323:                              ;   in Loop: Header=BB207_12 Depth=1
	v_mov_b32_e32 v4, 1
	s_xor_b64 s[8:9], s[6:7], -1
	v_mov_b32_e32 v2, 1
	v_mov_b32_e32 v5, 0
	s_mov_b64 s[6:7], 0
	s_and_saveexec_b64 s[4:5], s[8:9]
	s_cbranch_execz .LBB207_332
; %bb.324:                              ;   in Loop: Header=BB207_12 Depth=1
	v_cmp_ge_u64_e32 vcc, s[28:29], v[19:20]
	s_and_saveexec_b64 s[6:7], vcc
	s_xor_b64 s[6:7], exec, s[6:7]
	s_cbranch_execz .LBB207_329
; %bb.325:                              ;   in Loop: Header=BB207_12 Depth=1
	ds_read_b64 v[4:5], v3 offset:5120
	v_or_b32_e32 v30, s1, v30
	v_or_b32_e32 v38, s1, v38
	s_waitcnt lgkmcnt(0)
	v_cmp_ne_u64_e32 vcc, 0, v[4:5]
	s_cbranch_vccnz .LBB207_329
; %bb.326:                              ;   in Loop: Header=BB207_12 Depth=1
	s_mov_b64 s[8:9], exec
	v_readlane_b32 s10, v47, 12
	v_readlane_b32 s11, v47, 13
	s_and_b64 s[10:11], s[8:9], s[10:11]
	s_mov_b64 exec, s[10:11]
; %bb.327:                              ;   in Loop: Header=BB207_12 Depth=1
	v_mov_b32_e32 v4, s28
	v_mov_b32_e32 v5, s29
	ds_write_b64 v3, v[4:5] offset:5128
; %bb.328:                              ;   in Loop: Header=BB207_12 Depth=1
	s_or_b64 exec, exec, s[8:9]
	s_waitcnt lgkmcnt(0)
	s_barrier
.LBB207_329:                            ;   in Loop: Header=BB207_12 Depth=1
	s_or_saveexec_b64 s[6:7], s[6:7]
	s_mov_b64 s[8:9], 0
	v_mov_b32_e32 v2, 5
	s_xor_b64 exec, exec, s[6:7]
; %bb.330:                              ;   in Loop: Header=BB207_12 Depth=1
	v_subrev_co_u32_e32 v19, vcc, s28, v19
	v_mov_b32_e32 v2, s29
	v_subb_co_u32_e32 v20, vcc, v20, v2, vcc
	v_mov_b32_e32 v2, 0
	s_mov_b64 s[8:9], exec
; %bb.331:                              ;   in Loop: Header=BB207_12 Depth=1
	s_or_b64 exec, exec, s[6:7]
	v_mov_b32_e32 v4, v19
	s_and_b64 s[6:7], s[8:9], exec
	v_mov_b32_e32 v5, v20
.LBB207_332:                            ;   in Loop: Header=BB207_12 Depth=1
	s_or_b64 exec, exec, s[4:5]
	s_mov_b64 s[4:5], -1
                                        ; implicit-def: $sgpr28_sgpr29
                                        ; implicit-def: $sgpr38_sgpr39
	s_and_saveexec_b64 s[8:9], s[6:7]
	s_xor_b64 s[6:7], exec, s[8:9]
	s_cbranch_execz .LBB207_483
; %bb.333:                              ;   in Loop: Header=BB207_12 Depth=1
	s_cmp_eq_u64 s[26:27], 1
	v_cmp_eq_u64_e32 vcc, 1, v[4:5]
	s_cselect_b64 s[4:5], -1, 0
	s_and_b64 s[44:45], s[4:5], vcc
	s_mov_b64 s[4:5], -1
                                        ; implicit-def: $sgpr38_sgpr39
                                        ; implicit-def: $sgpr28_sgpr29
	s_and_saveexec_b64 s[40:41], s[44:45]
	s_cbranch_execz .LBB207_369
; %bb.334:                              ;   in Loop: Header=BB207_12 Depth=1
	ds_read_b64 v[6:7], v3 offset:5120
	s_waitcnt lgkmcnt(0)
	s_barrier
	v_readfirstlane_b32 s8, v6
	v_readfirstlane_b32 s9, v7
	s_mov_b64 s[4:5], exec
	v_readlane_b32 s10, v47, 30
	v_readlane_b32 s11, v47, 31
	s_and_b64 s[10:11], s[4:5], s[10:11]
	s_mov_b64 exec, s[10:11]
; %bb.335:                              ;   in Loop: Header=BB207_12 Depth=1
	ds_write_b16 v28, v3
; %bb.336:                              ;   in Loop: Header=BB207_12 Depth=1
	s_or_b64 exec, exec, s[4:5]
	v_readlane_b32 s4, v47, 61
	v_and_b32_e32 v6, s4, v30
	v_lshl_or_b32 v30, 2, s0, v6
	v_or_b32_e32 v38, s1, v38
	s_mov_b64 s[28:29], -1
	s_mov_b64 s[38:39], 0
	s_cmp_eq_u64 s[8:9], 0
	s_mov_b64 s[4:5], 0
	s_mov_b64 s[10:11], -1
	s_waitcnt lgkmcnt(0)
	s_barrier
                                        ; implicit-def: $vgpr39
	s_cbranch_scc1 .LBB207_353
; %bb.337:                              ;   in Loop: Header=BB207_12 Depth=1
	v_readlane_b32 s4, v47, 34
	s_add_u32 s46, s8, s4
	v_readlane_b32 s4, v47, 36
	s_addc_u32 s5, s9, s4
	s_mov_b32 s4, s89
	s_cmp_lg_u64 s[4:5], 0
	s_cbranch_scc0 .LBB207_396
; %bb.338:                              ;   in Loop: Header=BB207_12 Depth=1
	v_cvt_f32_u32_e32 v6, s87
	s_sub_u32 s4, 0, s87
	s_subb_u32 s12, 0, 0
	v_mac_f32_e32 v6, 0, v35
	v_rcp_f32_e32 v6, v6
	v_mul_f32_e32 v6, 0x5f7ffffc, v6
	v_mul_f32_e32 v7, 0x2f800000, v6
	v_trunc_f32_e32 v7, v7
	v_mac_f32_e32 v6, 0xcf800000, v7
	v_cvt_u32_f32_e32 v7, v7
	v_cvt_u32_f32_e32 v6, v6
	v_readfirstlane_b32 s13, v7
	v_readfirstlane_b32 s10, v6
	s_mul_i32 s11, s4, s13
	s_mul_hi_u32 s48, s4, s10
	s_mul_i32 s47, s12, s10
	s_add_i32 s11, s48, s11
	s_mul_i32 s49, s4, s10
	s_add_i32 s11, s11, s47
	s_mul_hi_u32 s48, s10, s49
	s_mul_i32 s50, s10, s11
	s_mul_hi_u32 s47, s10, s11
	s_add_u32 s48, s48, s50
	s_addc_u32 s47, 0, s47
	s_mul_hi_u32 s51, s13, s49
	s_mul_i32 s49, s13, s49
	s_add_u32 s48, s48, s49
	s_mul_hi_u32 s50, s13, s11
	s_addc_u32 s47, s47, s51
	s_addc_u32 s48, s50, 0
	s_mul_i32 s11, s13, s11
	s_add_u32 s11, s47, s11
	s_addc_u32 s47, 0, s48
	s_add_u32 s48, s10, s11
	s_cselect_b64 s[10:11], -1, 0
	s_cmp_lg_u64 s[10:11], 0
	s_addc_u32 s13, s13, s47
	s_mul_i32 s10, s4, s13
	s_mul_hi_u32 s11, s4, s48
	s_add_i32 s10, s11, s10
	s_mul_i32 s12, s12, s48
	s_add_i32 s10, s10, s12
	s_mul_i32 s4, s4, s48
	s_mul_hi_u32 s12, s13, s4
	s_mul_i32 s47, s13, s4
	s_mul_i32 s50, s48, s10
	s_mul_hi_u32 s4, s48, s4
	s_mul_hi_u32 s49, s48, s10
	s_add_u32 s4, s4, s50
	s_addc_u32 s49, 0, s49
	s_add_u32 s4, s4, s47
	s_mul_hi_u32 s11, s13, s10
	s_addc_u32 s4, s49, s12
	s_addc_u32 s11, s11, 0
	s_mul_i32 s10, s13, s10
	s_add_u32 s4, s4, s10
	s_addc_u32 s12, 0, s11
	s_add_u32 s4, s48, s4
	s_cselect_b64 s[10:11], -1, 0
	s_cmp_lg_u64 s[10:11], 0
	s_addc_u32 s10, s13, s12
	s_mul_i32 s12, s46, s10
	s_mul_hi_u32 s13, s46, s4
	s_mul_hi_u32 s11, s46, s10
	s_add_u32 s12, s13, s12
	s_addc_u32 s11, 0, s11
	s_mul_hi_u32 s47, s5, s4
	s_mul_i32 s4, s5, s4
	s_add_u32 s4, s12, s4
	s_mul_hi_u32 s13, s5, s10
	s_addc_u32 s4, s11, s47
	s_addc_u32 s11, s13, 0
	s_mul_i32 s10, s5, s10
	s_add_u32 s4, s4, s10
	s_addc_u32 s10, 0, s11
	s_mul_i32 s10, s87, s10
	s_mul_hi_u32 s11, s87, s4
	s_add_i32 s12, s11, s10
	s_mul_i32 s4, s87, s4
	s_sub_u32 s4, s46, s4
	s_cselect_b64 s[10:11], -1, 0
	s_cmp_lg_u64 s[10:11], 0
	s_subb_u32 s12, s5, s12
	s_sub_u32 s13, s4, s87
	s_cselect_b64 s[10:11], -1, 0
	s_cmp_lg_u64 s[10:11], 0
	s_subb_u32 s47, s12, 0
	;; [unrolled: 4-line block ×3, first 2 shown]
	s_cmp_ge_u32 s13, s87
	s_cselect_b32 s11, -1, 0
	s_cmp_eq_u32 s47, 0
	s_cselect_b32 s11, s11, -1
	s_cmp_lg_u32 s11, 0
	s_cselect_b32 s10, s10, s47
	s_cselect_b32 s13, s48, s13
	s_cmp_ge_u32 s4, s87
	s_cselect_b32 s11, -1, 0
	s_cmp_eq_u32 s12, 0
	s_cselect_b32 s11, s11, -1
	s_cmp_lg_u32 s11, 0
	s_cselect_b32 s11, s10, s12
	s_cselect_b32 s10, s13, s4
	s_cbranch_execnz .LBB207_340
.LBB207_339:                            ;   in Loop: Header=BB207_12 Depth=1
	v_cvt_f32_u32_e32 v6, s87
	s_sub_i32 s4, 0, s87
	v_rcp_iflag_f32_e32 v6, v6
	v_mul_f32_e32 v6, 0x4f7ffffe, v6
	v_cvt_u32_f32_e32 v6, v6
	v_readfirstlane_b32 s10, v6
	s_mul_i32 s4, s4, s10
	s_mul_hi_u32 s4, s10, s4
	s_add_i32 s10, s10, s4
	s_mul_hi_u32 s4, s46, s10
	s_mul_i32 s4, s4, s87
	s_sub_i32 s4, s46, s4
	s_sub_i32 s10, s4, s87
	s_cmp_ge_u32 s4, s87
	s_cselect_b32 s4, s10, s4
	s_sub_i32 s10, s4, s87
	s_cmp_ge_u32 s4, s87
	s_cselect_b32 s88, s10, s4
	s_mov_b64 s[10:11], s[88:89]
	v_readlane_b32 s88, v47, 57
.LBB207_340:                            ;   in Loop: Header=BB207_12 Depth=1
	s_sub_u32 s46, s46, s10
	s_subb_u32 s47, s5, s11
	v_cmp_gt_u64_e32 vcc, s[46:47], v[0:1]
	s_mov_b64 s[10:11], 0
	s_mov_b64 s[4:5], 0
                                        ; implicit-def: $vgpr39
	s_and_saveexec_b64 s[12:13], vcc
	s_cbranch_execz .LBB207_352
; %bb.341:                              ;   in Loop: Header=BB207_12 Depth=1
	v_mov_b32_e32 v7, v1
	v_mov_b32_e32 v8, v27
	;; [unrolled: 1-line block ×3, first 2 shown]
                                        ; implicit-def: $sgpr48_sgpr49
	s_branch .LBB207_345
.LBB207_342:                            ;   in Loop: Header=BB207_345 Depth=2
	s_or_b64 exec, exec, s[50:51]
	s_waitcnt lgkmcnt(0)
	s_barrier
	ds_read_b32 v9, v3 offset:3072
	s_waitcnt lgkmcnt(0)
	s_barrier
	v_cmp_neq_f16_e32 vcc, 0, v9
	s_cbranch_vccnz .LBB207_348
; %bb.343:                              ;   in Loop: Header=BB207_345 Depth=2
	v_add_co_u32_e32 v6, vcc, s87, v6
	v_addc_co_u32_e32 v7, vcc, 0, v7, vcc
	v_cmp_le_u64_e32 vcc, s[46:47], v[6:7]
	v_add_u32_e32 v8, s85, v8
	s_mov_b64 s[50:51], 0
	s_orn2_b64 s[52:53], vcc, exec
.LBB207_344:                            ;   in Loop: Header=BB207_345 Depth=2
	s_and_b64 s[52:53], exec, s[52:53]
	s_or_b64 s[4:5], s[52:53], s[4:5]
	s_andn2_b64 s[48:49], s[48:49], exec
	s_and_b64 s[50:51], s[50:51], exec
	s_or_b64 s[48:49], s[48:49], s[50:51]
	s_andn2_b64 exec, exec, s[4:5]
	s_cbranch_execz .LBB207_351
.LBB207_345:                            ;   Parent Loop BB207_12 Depth=1
                                        ; =>  This Inner Loop Header: Depth=2
	v_cmp_gt_u64_e32 vcc, s[8:9], v[6:7]
	s_and_saveexec_b64 s[50:51], vcc
	s_cbranch_execz .LBB207_342
; %bb.346:                              ;   in Loop: Header=BB207_345 Depth=2
	ds_read_u16 v9, v8
	s_waitcnt lgkmcnt(0)
	v_cmp_lt_i16_e32 vcc, -1, v9
	v_cndmask_b32_e32 v10, v33, v34, vcc
	v_xor_b32_sdwa v10, v10, v9 dst_sel:DWORD dst_unused:UNUSED_PAD src0_sel:DWORD src1_sel:WORD_0
	v_cmp_o_f16_e32 vcc, v9, v9
	v_cndmask_b32_e32 v10, v33, v10, vcc
	v_and_b32_e32 v10, v10, v38
	v_cmp_eq_u32_e32 vcc, v10, v30
	s_and_b64 exec, exec, vcc
	s_cbranch_execz .LBB207_342
; %bb.347:                              ;   in Loop: Header=BB207_345 Depth=2
	s_movk_i32 s14, 0x3c00
	v_perm_b32 v9, v9, s14, v37
	ds_write_b32 v3, v9 offset:3072
	s_branch .LBB207_342
.LBB207_348:                            ;   in Loop: Header=BB207_345 Depth=2
	s_mov_b64 s[52:53], -1
                                        ; implicit-def: $vgpr6_vgpr7
                                        ; implicit-def: $vgpr8
	s_mov_b64 s[50:51], -1
	s_branch .LBB207_344
.LBB207_349:                            ;   in Loop: Header=BB207_12 Depth=1
                                        ; implicit-def: $sgpr10_sgpr11
	s_branch .LBB207_293
.LBB207_350:                            ;   in Loop: Header=BB207_12 Depth=1
                                        ; implicit-def: $sgpr8_sgpr9
	s_branch .LBB207_309
.LBB207_351:                            ;   in Loop: Header=BB207_12 Depth=1
	s_or_b64 exec, exec, s[4:5]
	v_lshrrev_b32_e32 v39, 16, v9
	s_and_b64 s[4:5], s[48:49], exec
.LBB207_352:                            ;   in Loop: Header=BB207_12 Depth=1
	s_or_b64 exec, exec, s[12:13]
.LBB207_353:                            ;   in Loop: Header=BB207_12 Depth=1
	s_and_b64 vcc, exec, s[10:11]
	s_cbranch_vccz .LBB207_368
; %bb.354:                              ;   in Loop: Header=BB207_12 Depth=1
	v_readlane_b32 s14, v47, 37
	v_readlane_b32 s15, v47, 38
	s_mov_b32 s14, s89
	s_cmp_lg_u64 s[14:15], 0
	v_writelane_b32 v47, s14, 37
	v_writelane_b32 v47, s15, 38
	s_cbranch_scc0 .LBB207_397
; %bb.355:                              ;   in Loop: Header=BB207_12 Depth=1
	v_cvt_f32_u32_e32 v6, s87
	s_sub_u32 s10, 0, s87
	s_subb_u32 s11, 0, 0
	v_readlane_b32 s14, v47, 35
	v_mac_f32_e32 v6, 0, v35
	v_rcp_f32_e32 v6, v6
	v_mul_f32_e32 v6, 0x5f7ffffc, v6
	v_mul_f32_e32 v7, 0x2f800000, v6
	v_trunc_f32_e32 v7, v7
	v_mac_f32_e32 v6, 0xcf800000, v7
	v_cvt_u32_f32_e32 v7, v7
	v_cvt_u32_f32_e32 v6, v6
	v_readfirstlane_b32 s12, v7
	v_readfirstlane_b32 s8, v6
	s_mul_i32 s9, s10, s12
	s_mul_hi_u32 s28, s10, s8
	s_mul_i32 s13, s11, s8
	s_add_i32 s9, s28, s9
	s_mul_i32 s29, s10, s8
	s_add_i32 s9, s9, s13
	s_mul_hi_u32 s28, s8, s29
	s_mul_i32 s38, s8, s9
	s_mul_hi_u32 s13, s8, s9
	s_add_u32 s28, s28, s38
	s_addc_u32 s13, 0, s13
	s_mul_hi_u32 s39, s12, s29
	s_mul_i32 s29, s12, s29
	s_add_u32 s28, s28, s29
	s_mul_hi_u32 s38, s12, s9
	s_addc_u32 s13, s13, s39
	s_addc_u32 s28, s38, 0
	s_mul_i32 s9, s12, s9
	s_add_u32 s9, s13, s9
	s_addc_u32 s13, 0, s28
	s_add_u32 s28, s8, s9
	s_cselect_b64 s[8:9], -1, 0
	s_cmp_lg_u64 s[8:9], 0
	s_addc_u32 s12, s12, s13
	s_mul_i32 s8, s10, s12
	s_mul_hi_u32 s9, s10, s28
	s_add_i32 s8, s9, s8
	s_mul_i32 s11, s11, s28
	s_add_i32 s8, s8, s11
	s_mul_i32 s10, s10, s28
	s_mul_hi_u32 s11, s12, s10
	s_mul_i32 s13, s12, s10
	s_mul_i32 s38, s28, s8
	s_mul_hi_u32 s10, s28, s10
	s_mul_hi_u32 s29, s28, s8
	s_add_u32 s10, s10, s38
	s_addc_u32 s29, 0, s29
	s_add_u32 s10, s10, s13
	s_mul_hi_u32 s9, s12, s8
	s_addc_u32 s10, s29, s11
	s_addc_u32 s9, s9, 0
	s_mul_i32 s8, s12, s8
	s_add_u32 s8, s10, s8
	s_addc_u32 s10, 0, s9
	s_add_u32 s11, s28, s8
	s_cselect_b64 s[8:9], -1, 0
	s_cmp_lg_u64 s[8:9], 0
	s_addc_u32 s8, s12, s10
	s_mul_i32 s10, s14, s8
	s_mul_hi_u32 s12, s14, s11
	s_mul_hi_u32 s9, s14, s8
	s_add_u32 s10, s12, s10
	s_addc_u32 s9, 0, s9
	s_mul_hi_u32 s13, s15, s11
	s_mul_i32 s11, s15, s11
	s_add_u32 s10, s10, s11
	s_mul_hi_u32 s12, s15, s8
	s_addc_u32 s9, s9, s13
	s_addc_u32 s10, s12, 0
	s_mul_i32 s8, s15, s8
	s_add_u32 s8, s9, s8
	s_addc_u32 s9, 0, s10
	s_mul_i32 s9, s87, s9
	s_mul_hi_u32 s10, s87, s8
	s_add_i32 s10, s10, s9
	s_mul_i32 s8, s87, s8
	s_sub_u32 s11, s14, s8
	s_cselect_b64 s[8:9], -1, 0
	s_cmp_lg_u64 s[8:9], 0
	s_subb_u32 s10, s15, s10
	s_sub_u32 s12, s11, s87
	s_cselect_b64 s[8:9], -1, 0
	s_cmp_lg_u64 s[8:9], 0
	s_subb_u32 s13, s10, 0
	;; [unrolled: 4-line block ×3, first 2 shown]
	s_cmp_ge_u32 s12, s87
	s_cselect_b32 s9, -1, 0
	s_cmp_eq_u32 s13, 0
	s_cselect_b32 s9, s9, -1
	s_cmp_lg_u32 s9, 0
	s_cselect_b32 s8, s8, s13
	s_cselect_b32 s12, s28, s12
	s_cmp_ge_u32 s11, s87
	s_cselect_b32 s9, -1, 0
	s_cmp_eq_u32 s10, 0
	s_cselect_b32 s9, s9, -1
	s_cmp_lg_u32 s9, 0
	s_cselect_b32 s9, s8, s10
	s_cselect_b32 s8, s12, s11
	s_cbranch_execnz .LBB207_357
.LBB207_356:                            ;   in Loop: Header=BB207_12 Depth=1
	v_cvt_f32_u32_e32 v6, s87
	s_sub_i32 s8, 0, s87
	v_readlane_b32 s10, v47, 35
	v_rcp_iflag_f32_e32 v6, v6
	v_mul_f32_e32 v6, 0x4f7ffffe, v6
	v_cvt_u32_f32_e32 v6, v6
	v_readfirstlane_b32 s9, v6
	s_mul_i32 s8, s8, s9
	s_mul_hi_u32 s8, s9, s8
	s_add_i32 s9, s9, s8
	s_mul_hi_u32 s8, s10, s9
	s_mul_i32 s8, s8, s87
	s_sub_i32 s8, s10, s8
	s_sub_i32 s9, s8, s87
	s_cmp_ge_u32 s8, s87
	s_cselect_b32 s8, s9, s8
	s_sub_i32 s9, s8, s87
	s_cmp_ge_u32 s8, s87
	s_cselect_b32 s88, s9, s8
	s_mov_b64 s[8:9], s[88:89]
	v_readlane_b32 s88, v47, 57
.LBB207_357:                            ;   in Loop: Header=BB207_12 Depth=1
	v_readlane_b32 s10, v47, 35
	v_readlane_b32 s12, v47, 37
	s_sub_u32 s10, s10, s8
	v_readlane_b32 s13, v47, 38
	s_subb_u32 s11, s13, s9
	v_cmp_gt_u64_e32 vcc, s[10:11], v[0:1]
                                        ; implicit-def: $vgpr39
	s_and_saveexec_b64 s[8:9], vcc
	s_cbranch_execz .LBB207_367
; %bb.358:                              ;   in Loop: Header=BB207_12 Depth=1
	v_mov_b32_e32 v7, v1
	s_mov_b64 s[12:13], 0
	v_mov_b32_e32 v6, v0
                                        ; implicit-def: $sgpr28_sgpr29
	s_branch .LBB207_362
.LBB207_359:                            ;   in Loop: Header=BB207_362 Depth=2
	s_or_b64 exec, exec, s[38:39]
	s_waitcnt lgkmcnt(0)
	s_barrier
	ds_read_b32 v8, v3 offset:3072
	s_waitcnt lgkmcnt(0)
	s_barrier
	v_cmp_eq_f16_e32 vcc, 0, v8
	s_cbranch_vccz .LBB207_365
; %bb.360:                              ;   in Loop: Header=BB207_362 Depth=2
	v_add_co_u32_e32 v6, vcc, s87, v6
	v_addc_co_u32_e32 v7, vcc, 0, v7, vcc
	v_cmp_le_u64_e32 vcc, s[10:11], v[6:7]
	s_mov_b64 s[38:39], 0
	s_orn2_b64 s[46:47], vcc, exec
.LBB207_361:                            ;   in Loop: Header=BB207_362 Depth=2
	s_and_b64 s[46:47], exec, s[46:47]
	s_or_b64 s[12:13], s[46:47], s[12:13]
	s_andn2_b64 s[28:29], s[28:29], exec
	s_and_b64 s[38:39], s[38:39], exec
	s_or_b64 s[28:29], s[28:29], s[38:39]
	s_andn2_b64 exec, exec, s[12:13]
	s_cbranch_execz .LBB207_366
.LBB207_362:                            ;   Parent Loop BB207_12 Depth=1
                                        ; =>  This Inner Loop Header: Depth=2
	v_cmp_gt_u64_e32 vcc, s[64:65], v[6:7]
	s_and_saveexec_b64 s[38:39], vcc
	s_cbranch_execz .LBB207_359
; %bb.363:                              ;   in Loop: Header=BB207_362 Depth=2
	v_mul_lo_u32 v10, v7, s62
	v_mul_lo_u32 v11, v6, s63
	v_mad_u64_u32 v[8:9], s[46:47], v6, s62, 0
	v_add3_u32 v9, v9, v11, v10
	v_lshlrev_b64 v[8:9], 1, v[8:9]
	v_mov_b32_e32 v10, s86
	v_add_co_u32_e32 v8, vcc, s33, v8
	v_addc_co_u32_e32 v9, vcc, v10, v9, vcc
	global_load_ushort v8, v[8:9], off
	s_waitcnt vmcnt(0)
	v_cmp_lt_i16_e32 vcc, -1, v8
	v_cndmask_b32_e32 v9, v33, v34, vcc
	v_xor_b32_sdwa v9, v9, v8 dst_sel:DWORD dst_unused:UNUSED_PAD src0_sel:DWORD src1_sel:WORD_0
	v_cmp_o_f16_e32 vcc, v8, v8
	v_cndmask_b32_e32 v9, v33, v9, vcc
	v_and_b32_e32 v9, v9, v38
	v_cmp_eq_u32_e32 vcc, v9, v30
	s_and_b64 exec, exec, vcc
	s_cbranch_execz .LBB207_359
; %bb.364:                              ;   in Loop: Header=BB207_362 Depth=2
	s_movk_i32 s14, 0x3c00
	v_perm_b32 v8, v8, s14, v37
	ds_write_b32 v3, v8 offset:3072
	s_branch .LBB207_359
.LBB207_365:                            ;   in Loop: Header=BB207_362 Depth=2
	s_mov_b64 s[46:47], -1
                                        ; implicit-def: $vgpr6_vgpr7
	s_mov_b64 s[38:39], -1
	s_branch .LBB207_361
.LBB207_366:                            ;   in Loop: Header=BB207_12 Depth=1
	s_or_b64 exec, exec, s[12:13]
	s_andn2_b64 s[4:5], s[4:5], exec
	s_and_b64 s[10:11], s[28:29], exec
	v_lshrrev_b32_e32 v39, 16, v8
	s_or_b64 s[4:5], s[4:5], s[10:11]
.LBB207_367:                            ;   in Loop: Header=BB207_12 Depth=1
	s_or_b64 exec, exec, s[8:9]
	s_mov_b64 s[28:29], 0
	s_mov_b64 s[38:39], -1
.LBB207_368:                            ;   in Loop: Header=BB207_12 Depth=1
	s_orn2_b64 s[4:5], s[4:5], exec
.LBB207_369:                            ;   in Loop: Header=BB207_12 Depth=1
	s_or_b64 exec, exec, s[40:41]
	s_mov_b64 s[8:9], 0
	s_and_saveexec_b64 s[40:41], s[4:5]
	s_cbranch_execz .LBB207_482
; %bb.370:                              ;   in Loop: Header=BB207_12 Depth=1
	v_mov_b32_e32 v6, 1
	s_xor_b64 s[10:11], s[44:45], -1
	v_mov_b32_e32 v2, 1
	v_mov_b32_e32 v7, 0
	s_and_saveexec_b64 s[4:5], s[10:11]
	s_cbranch_execz .LBB207_379
; %bb.371:                              ;   in Loop: Header=BB207_12 Depth=1
	v_cmp_ge_u64_e32 vcc, s[26:27], v[4:5]
	s_and_saveexec_b64 s[8:9], vcc
	s_xor_b64 s[8:9], exec, s[8:9]
	s_cbranch_execz .LBB207_376
; %bb.372:                              ;   in Loop: Header=BB207_12 Depth=1
	ds_read_b64 v[6:7], v3 offset:5120
	v_readlane_b32 s10, v47, 61
	v_and_b32_e32 v2, s10, v30
	v_lshl_or_b32 v30, 2, s0, v2
	v_or_b32_e32 v38, s1, v38
	s_waitcnt lgkmcnt(0)
	v_cmp_ne_u64_e32 vcc, 0, v[6:7]
	s_cbranch_vccnz .LBB207_376
; %bb.373:                              ;   in Loop: Header=BB207_12 Depth=1
	s_mov_b64 s[10:11], exec
	v_readlane_b32 s12, v47, 12
	v_readlane_b32 s13, v47, 13
	s_and_b64 s[12:13], s[10:11], s[12:13]
	s_mov_b64 exec, s[12:13]
; %bb.374:                              ;   in Loop: Header=BB207_12 Depth=1
	v_mov_b32_e32 v6, s26
	v_mov_b32_e32 v7, s27
	ds_write_b64 v3, v[6:7] offset:5128
; %bb.375:                              ;   in Loop: Header=BB207_12 Depth=1
	s_or_b64 exec, exec, s[10:11]
	s_waitcnt lgkmcnt(0)
	s_barrier
.LBB207_376:                            ;   in Loop: Header=BB207_12 Depth=1
	s_or_saveexec_b64 s[8:9], s[8:9]
	s_mov_b64 s[10:11], 0
	v_mov_b32_e32 v2, 5
	s_xor_b64 exec, exec, s[8:9]
; %bb.377:                              ;   in Loop: Header=BB207_12 Depth=1
	v_subrev_co_u32_e32 v4, vcc, s26, v4
	v_mov_b32_e32 v2, s27
	v_subb_co_u32_e32 v5, vcc, v5, v2, vcc
	v_mov_b32_e32 v2, 0
	s_mov_b64 s[10:11], exec
; %bb.378:                              ;   in Loop: Header=BB207_12 Depth=1
	s_or_b64 exec, exec, s[8:9]
	v_mov_b32_e32 v7, v5
	s_and_b64 s[8:9], s[10:11], exec
	v_mov_b32_e32 v6, v4
.LBB207_379:                            ;   in Loop: Header=BB207_12 Depth=1
	s_or_b64 exec, exec, s[4:5]
	s_mov_b64 s[4:5], -1
                                        ; implicit-def: $sgpr44_sgpr45
                                        ; implicit-def: $sgpr46_sgpr47
	s_and_saveexec_b64 s[26:27], s[8:9]
	s_cbranch_execz .LBB207_481
; %bb.380:                              ;   in Loop: Header=BB207_12 Depth=1
	s_cmp_eq_u64 s[24:25], 1
	v_cmp_eq_u64_e32 vcc, 1, v[6:7]
	s_cselect_b64 s[4:5], -1, 0
	s_and_b64 s[50:51], s[4:5], vcc
	s_mov_b64 s[4:5], -1
                                        ; implicit-def: $sgpr46_sgpr47
                                        ; implicit-def: $sgpr44_sgpr45
	s_and_saveexec_b64 s[48:49], s[50:51]
	s_cbranch_execz .LBB207_416
; %bb.381:                              ;   in Loop: Header=BB207_12 Depth=1
	ds_read_b64 v[4:5], v3 offset:5120
	s_waitcnt lgkmcnt(0)
	s_barrier
	v_readfirstlane_b32 s8, v4
	v_readfirstlane_b32 s9, v5
	s_mov_b64 s[4:5], exec
	v_readlane_b32 s10, v47, 30
	v_readlane_b32 s11, v47, 31
	s_and_b64 s[10:11], s[4:5], s[10:11]
	s_mov_b64 exec, s[10:11]
; %bb.382:                              ;   in Loop: Header=BB207_12 Depth=1
	ds_write_b16 v28, v3
; %bb.383:                              ;   in Loop: Header=BB207_12 Depth=1
	s_or_b64 exec, exec, s[4:5]
	v_readlane_b32 s4, v47, 61
	v_and_b32_e32 v4, s4, v30
	v_lshl_or_b32 v30, 1, s0, v4
	v_or_b32_e32 v38, s1, v38
	s_mov_b64 s[44:45], -1
	s_mov_b64 s[46:47], 0
	s_cmp_eq_u64 s[8:9], 0
	s_mov_b64 s[4:5], 0
	s_mov_b64 s[10:11], -1
	s_waitcnt lgkmcnt(0)
	s_barrier
                                        ; implicit-def: $vgpr39
	s_cbranch_scc1 .LBB207_400
; %bb.384:                              ;   in Loop: Header=BB207_12 Depth=1
	v_readlane_b32 s4, v47, 34
	s_add_u32 s52, s8, s4
	v_readlane_b32 s4, v47, 36
	s_addc_u32 s5, s9, s4
	s_mov_b32 s4, s89
	s_cmp_lg_u64 s[4:5], 0
	s_cbranch_scc0 .LBB207_433
; %bb.385:                              ;   in Loop: Header=BB207_12 Depth=1
	v_cvt_f32_u32_e32 v4, s87
	s_sub_u32 s4, 0, s87
	s_subb_u32 s12, 0, 0
	v_mac_f32_e32 v4, 0, v35
	v_rcp_f32_e32 v4, v4
	v_mul_f32_e32 v4, 0x5f7ffffc, v4
	v_mul_f32_e32 v5, 0x2f800000, v4
	v_trunc_f32_e32 v5, v5
	v_mac_f32_e32 v4, 0xcf800000, v5
	v_cvt_u32_f32_e32 v5, v5
	v_cvt_u32_f32_e32 v4, v4
	v_readfirstlane_b32 s13, v5
	v_readfirstlane_b32 s10, v4
	s_mul_i32 s11, s4, s13
	s_mul_hi_u32 s54, s4, s10
	s_mul_i32 s53, s12, s10
	s_add_i32 s11, s54, s11
	s_mul_i32 s55, s4, s10
	s_add_i32 s11, s11, s53
	s_mul_hi_u32 s54, s10, s55
	s_mul_i32 s56, s10, s11
	s_mul_hi_u32 s53, s10, s11
	s_add_u32 s54, s54, s56
	s_addc_u32 s53, 0, s53
	s_mul_hi_u32 s57, s13, s55
	s_mul_i32 s55, s13, s55
	s_add_u32 s54, s54, s55
	s_mul_hi_u32 s56, s13, s11
	s_addc_u32 s53, s53, s57
	s_addc_u32 s54, s56, 0
	s_mul_i32 s11, s13, s11
	s_add_u32 s11, s53, s11
	s_addc_u32 s53, 0, s54
	s_add_u32 s54, s10, s11
	s_cselect_b64 s[10:11], -1, 0
	s_cmp_lg_u64 s[10:11], 0
	s_addc_u32 s13, s13, s53
	s_mul_i32 s10, s4, s13
	s_mul_hi_u32 s11, s4, s54
	s_add_i32 s10, s11, s10
	s_mul_i32 s12, s12, s54
	s_add_i32 s10, s10, s12
	s_mul_i32 s4, s4, s54
	s_mul_hi_u32 s12, s13, s4
	s_mul_i32 s53, s13, s4
	s_mul_i32 s56, s54, s10
	s_mul_hi_u32 s4, s54, s4
	s_mul_hi_u32 s55, s54, s10
	s_add_u32 s4, s4, s56
	s_addc_u32 s55, 0, s55
	s_add_u32 s4, s4, s53
	s_mul_hi_u32 s11, s13, s10
	s_addc_u32 s4, s55, s12
	s_addc_u32 s11, s11, 0
	s_mul_i32 s10, s13, s10
	s_add_u32 s4, s4, s10
	s_addc_u32 s12, 0, s11
	s_add_u32 s4, s54, s4
	s_cselect_b64 s[10:11], -1, 0
	s_cmp_lg_u64 s[10:11], 0
	s_addc_u32 s10, s13, s12
	s_mul_i32 s12, s52, s10
	s_mul_hi_u32 s13, s52, s4
	s_mul_hi_u32 s11, s52, s10
	s_add_u32 s12, s13, s12
	s_addc_u32 s11, 0, s11
	s_mul_hi_u32 s53, s5, s4
	s_mul_i32 s4, s5, s4
	s_add_u32 s4, s12, s4
	s_mul_hi_u32 s13, s5, s10
	s_addc_u32 s4, s11, s53
	s_addc_u32 s11, s13, 0
	s_mul_i32 s10, s5, s10
	s_add_u32 s4, s4, s10
	s_addc_u32 s10, 0, s11
	s_mul_i32 s10, s87, s10
	s_mul_hi_u32 s11, s87, s4
	s_add_i32 s12, s11, s10
	s_mul_i32 s4, s87, s4
	s_sub_u32 s4, s52, s4
	s_cselect_b64 s[10:11], -1, 0
	s_cmp_lg_u64 s[10:11], 0
	s_subb_u32 s12, s5, s12
	s_sub_u32 s13, s4, s87
	s_cselect_b64 s[10:11], -1, 0
	s_cmp_lg_u64 s[10:11], 0
	s_subb_u32 s53, s12, 0
	;; [unrolled: 4-line block ×3, first 2 shown]
	s_cmp_ge_u32 s13, s87
	s_cselect_b32 s11, -1, 0
	s_cmp_eq_u32 s53, 0
	s_cselect_b32 s11, s11, -1
	s_cmp_lg_u32 s11, 0
	s_cselect_b32 s10, s10, s53
	s_cselect_b32 s13, s54, s13
	s_cmp_ge_u32 s4, s87
	s_cselect_b32 s11, -1, 0
	s_cmp_eq_u32 s12, 0
	s_cselect_b32 s11, s11, -1
	s_cmp_lg_u32 s11, 0
	s_cselect_b32 s11, s10, s12
	s_cselect_b32 s10, s13, s4
	s_cbranch_execnz .LBB207_387
.LBB207_386:                            ;   in Loop: Header=BB207_12 Depth=1
	v_cvt_f32_u32_e32 v4, s87
	s_sub_i32 s4, 0, s87
	v_rcp_iflag_f32_e32 v4, v4
	v_mul_f32_e32 v4, 0x4f7ffffe, v4
	v_cvt_u32_f32_e32 v4, v4
	v_readfirstlane_b32 s10, v4
	s_mul_i32 s4, s4, s10
	s_mul_hi_u32 s4, s10, s4
	s_add_i32 s10, s10, s4
	s_mul_hi_u32 s4, s52, s10
	s_mul_i32 s4, s4, s87
	s_sub_i32 s4, s52, s4
	s_sub_i32 s10, s4, s87
	s_cmp_ge_u32 s4, s87
	s_cselect_b32 s4, s10, s4
	s_sub_i32 s10, s4, s87
	s_cmp_ge_u32 s4, s87
	s_cselect_b32 s88, s10, s4
	s_mov_b64 s[10:11], s[88:89]
	v_readlane_b32 s88, v47, 57
.LBB207_387:                            ;   in Loop: Header=BB207_12 Depth=1
	s_sub_u32 s52, s52, s10
	s_subb_u32 s53, s5, s11
	v_cmp_gt_u64_e32 vcc, s[52:53], v[0:1]
	s_mov_b64 s[10:11], 0
	s_mov_b64 s[4:5], 0
                                        ; implicit-def: $vgpr39
	s_and_saveexec_b64 s[12:13], vcc
	s_cbranch_execz .LBB207_399
; %bb.388:                              ;   in Loop: Header=BB207_12 Depth=1
	v_mov_b32_e32 v5, v1
	v_mov_b32_e32 v8, v27
	;; [unrolled: 1-line block ×3, first 2 shown]
                                        ; implicit-def: $sgpr54_sgpr55
	s_branch .LBB207_392
.LBB207_389:                            ;   in Loop: Header=BB207_392 Depth=2
	s_or_b64 exec, exec, s[56:57]
	s_waitcnt lgkmcnt(0)
	s_barrier
	ds_read_b32 v9, v3 offset:3072
	s_waitcnt lgkmcnt(0)
	s_barrier
	v_cmp_neq_f16_e32 vcc, 0, v9
	s_cbranch_vccnz .LBB207_395
; %bb.390:                              ;   in Loop: Header=BB207_392 Depth=2
	v_add_co_u32_e32 v4, vcc, s87, v4
	v_addc_co_u32_e32 v5, vcc, 0, v5, vcc
	v_cmp_le_u64_e32 vcc, s[52:53], v[4:5]
	v_add_u32_e32 v8, s85, v8
	s_mov_b64 s[56:57], 0
	s_orn2_b64 s[58:59], vcc, exec
.LBB207_391:                            ;   in Loop: Header=BB207_392 Depth=2
	s_and_b64 s[58:59], exec, s[58:59]
	s_or_b64 s[4:5], s[58:59], s[4:5]
	s_andn2_b64 s[54:55], s[54:55], exec
	s_and_b64 s[56:57], s[56:57], exec
	s_or_b64 s[54:55], s[54:55], s[56:57]
	s_andn2_b64 exec, exec, s[4:5]
	s_cbranch_execz .LBB207_398
.LBB207_392:                            ;   Parent Loop BB207_12 Depth=1
                                        ; =>  This Inner Loop Header: Depth=2
	v_cmp_gt_u64_e32 vcc, s[8:9], v[4:5]
	s_and_saveexec_b64 s[56:57], vcc
	s_cbranch_execz .LBB207_389
; %bb.393:                              ;   in Loop: Header=BB207_392 Depth=2
	ds_read_u16 v9, v8
	s_waitcnt lgkmcnt(0)
	v_cmp_lt_i16_e32 vcc, -1, v9
	v_cndmask_b32_e32 v10, v33, v34, vcc
	v_xor_b32_sdwa v10, v10, v9 dst_sel:DWORD dst_unused:UNUSED_PAD src0_sel:DWORD src1_sel:WORD_0
	v_cmp_o_f16_e32 vcc, v9, v9
	v_cndmask_b32_e32 v10, v33, v10, vcc
	v_and_b32_e32 v10, v10, v38
	v_cmp_eq_u32_e32 vcc, v10, v30
	s_and_b64 exec, exec, vcc
	s_cbranch_execz .LBB207_389
; %bb.394:                              ;   in Loop: Header=BB207_392 Depth=2
	s_movk_i32 s14, 0x3c00
	v_perm_b32 v9, v9, s14, v37
	ds_write_b32 v3, v9 offset:3072
	s_branch .LBB207_389
.LBB207_395:                            ;   in Loop: Header=BB207_392 Depth=2
	s_mov_b64 s[58:59], -1
                                        ; implicit-def: $vgpr4_vgpr5
                                        ; implicit-def: $vgpr8
	s_mov_b64 s[56:57], -1
	s_branch .LBB207_391
.LBB207_396:                            ;   in Loop: Header=BB207_12 Depth=1
                                        ; implicit-def: $sgpr10_sgpr11
	s_branch .LBB207_339
.LBB207_397:                            ;   in Loop: Header=BB207_12 Depth=1
                                        ; implicit-def: $sgpr8_sgpr9
	s_branch .LBB207_356
.LBB207_398:                            ;   in Loop: Header=BB207_12 Depth=1
	s_or_b64 exec, exec, s[4:5]
	v_lshrrev_b32_e32 v39, 16, v9
	s_and_b64 s[4:5], s[54:55], exec
.LBB207_399:                            ;   in Loop: Header=BB207_12 Depth=1
	s_or_b64 exec, exec, s[12:13]
.LBB207_400:                            ;   in Loop: Header=BB207_12 Depth=1
	s_and_b64 vcc, exec, s[10:11]
	s_cbranch_vccz .LBB207_415
; %bb.401:                              ;   in Loop: Header=BB207_12 Depth=1
	v_readlane_b32 s14, v47, 37
	v_readlane_b32 s15, v47, 38
	s_mov_b32 s14, s89
	s_cmp_lg_u64 s[14:15], 0
	v_writelane_b32 v47, s14, 37
	v_writelane_b32 v47, s15, 38
	s_cbranch_scc0 .LBB207_434
; %bb.402:                              ;   in Loop: Header=BB207_12 Depth=1
	v_cvt_f32_u32_e32 v4, s87
	s_sub_u32 s10, 0, s87
	s_subb_u32 s11, 0, 0
	v_readlane_b32 s14, v47, 35
	v_mac_f32_e32 v4, 0, v35
	v_rcp_f32_e32 v4, v4
	v_mul_f32_e32 v4, 0x5f7ffffc, v4
	v_mul_f32_e32 v5, 0x2f800000, v4
	v_trunc_f32_e32 v5, v5
	v_mac_f32_e32 v4, 0xcf800000, v5
	v_cvt_u32_f32_e32 v5, v5
	v_cvt_u32_f32_e32 v4, v4
	v_readfirstlane_b32 s12, v5
	v_readfirstlane_b32 s8, v4
	s_mul_i32 s9, s10, s12
	s_mul_hi_u32 s44, s10, s8
	s_mul_i32 s13, s11, s8
	s_add_i32 s9, s44, s9
	s_mul_i32 s45, s10, s8
	s_add_i32 s9, s9, s13
	s_mul_hi_u32 s44, s8, s45
	s_mul_i32 s46, s8, s9
	s_mul_hi_u32 s13, s8, s9
	s_add_u32 s44, s44, s46
	s_addc_u32 s13, 0, s13
	s_mul_hi_u32 s47, s12, s45
	s_mul_i32 s45, s12, s45
	s_add_u32 s44, s44, s45
	s_mul_hi_u32 s46, s12, s9
	s_addc_u32 s13, s13, s47
	s_addc_u32 s44, s46, 0
	s_mul_i32 s9, s12, s9
	s_add_u32 s9, s13, s9
	s_addc_u32 s13, 0, s44
	s_add_u32 s44, s8, s9
	s_cselect_b64 s[8:9], -1, 0
	s_cmp_lg_u64 s[8:9], 0
	s_addc_u32 s12, s12, s13
	s_mul_i32 s8, s10, s12
	s_mul_hi_u32 s9, s10, s44
	s_add_i32 s8, s9, s8
	s_mul_i32 s11, s11, s44
	s_add_i32 s8, s8, s11
	s_mul_i32 s10, s10, s44
	s_mul_hi_u32 s11, s12, s10
	s_mul_i32 s13, s12, s10
	s_mul_i32 s46, s44, s8
	s_mul_hi_u32 s10, s44, s10
	s_mul_hi_u32 s45, s44, s8
	s_add_u32 s10, s10, s46
	s_addc_u32 s45, 0, s45
	s_add_u32 s10, s10, s13
	s_mul_hi_u32 s9, s12, s8
	s_addc_u32 s10, s45, s11
	s_addc_u32 s9, s9, 0
	s_mul_i32 s8, s12, s8
	s_add_u32 s8, s10, s8
	s_addc_u32 s10, 0, s9
	s_add_u32 s11, s44, s8
	s_cselect_b64 s[8:9], -1, 0
	s_cmp_lg_u64 s[8:9], 0
	s_addc_u32 s8, s12, s10
	s_mul_i32 s10, s14, s8
	s_mul_hi_u32 s12, s14, s11
	s_mul_hi_u32 s9, s14, s8
	s_add_u32 s10, s12, s10
	s_addc_u32 s9, 0, s9
	s_mul_hi_u32 s13, s15, s11
	s_mul_i32 s11, s15, s11
	s_add_u32 s10, s10, s11
	s_mul_hi_u32 s12, s15, s8
	s_addc_u32 s9, s9, s13
	s_addc_u32 s10, s12, 0
	s_mul_i32 s8, s15, s8
	s_add_u32 s8, s9, s8
	s_addc_u32 s9, 0, s10
	s_mul_i32 s9, s87, s9
	s_mul_hi_u32 s10, s87, s8
	s_add_i32 s10, s10, s9
	s_mul_i32 s8, s87, s8
	s_sub_u32 s11, s14, s8
	s_cselect_b64 s[8:9], -1, 0
	s_cmp_lg_u64 s[8:9], 0
	s_subb_u32 s10, s15, s10
	s_sub_u32 s12, s11, s87
	s_cselect_b64 s[8:9], -1, 0
	s_cmp_lg_u64 s[8:9], 0
	s_subb_u32 s13, s10, 0
	s_sub_u32 s44, s12, s87
	s_cselect_b64 s[8:9], -1, 0
	s_cmp_lg_u64 s[8:9], 0
	s_subb_u32 s8, s13, 0
	s_cmp_ge_u32 s12, s87
	s_cselect_b32 s9, -1, 0
	s_cmp_eq_u32 s13, 0
	s_cselect_b32 s9, s9, -1
	s_cmp_lg_u32 s9, 0
	s_cselect_b32 s8, s8, s13
	s_cselect_b32 s12, s44, s12
	s_cmp_ge_u32 s11, s87
	s_cselect_b32 s9, -1, 0
	s_cmp_eq_u32 s10, 0
	s_cselect_b32 s9, s9, -1
	s_cmp_lg_u32 s9, 0
	s_cselect_b32 s9, s8, s10
	s_cselect_b32 s8, s12, s11
	s_cbranch_execnz .LBB207_404
.LBB207_403:                            ;   in Loop: Header=BB207_12 Depth=1
	v_cvt_f32_u32_e32 v4, s87
	s_sub_i32 s8, 0, s87
	v_readlane_b32 s10, v47, 35
	v_rcp_iflag_f32_e32 v4, v4
	v_mul_f32_e32 v4, 0x4f7ffffe, v4
	v_cvt_u32_f32_e32 v4, v4
	v_readfirstlane_b32 s9, v4
	s_mul_i32 s8, s8, s9
	s_mul_hi_u32 s8, s9, s8
	s_add_i32 s9, s9, s8
	s_mul_hi_u32 s8, s10, s9
	s_mul_i32 s8, s8, s87
	s_sub_i32 s8, s10, s8
	s_sub_i32 s9, s8, s87
	s_cmp_ge_u32 s8, s87
	s_cselect_b32 s8, s9, s8
	s_sub_i32 s9, s8, s87
	s_cmp_ge_u32 s8, s87
	s_cselect_b32 s88, s9, s8
	s_mov_b64 s[8:9], s[88:89]
	v_readlane_b32 s88, v47, 57
.LBB207_404:                            ;   in Loop: Header=BB207_12 Depth=1
	v_readlane_b32 s10, v47, 35
	v_readlane_b32 s12, v47, 37
	s_sub_u32 s10, s10, s8
	v_readlane_b32 s13, v47, 38
	s_subb_u32 s11, s13, s9
	v_cmp_gt_u64_e32 vcc, s[10:11], v[0:1]
                                        ; implicit-def: $vgpr39
	s_and_saveexec_b64 s[8:9], vcc
	s_cbranch_execz .LBB207_414
; %bb.405:                              ;   in Loop: Header=BB207_12 Depth=1
	v_mov_b32_e32 v5, v1
	s_mov_b64 s[12:13], 0
	v_mov_b32_e32 v4, v0
                                        ; implicit-def: $sgpr44_sgpr45
	s_branch .LBB207_409
.LBB207_406:                            ;   in Loop: Header=BB207_409 Depth=2
	s_or_b64 exec, exec, s[46:47]
	s_waitcnt lgkmcnt(0)
	s_barrier
	ds_read_b32 v8, v3 offset:3072
	s_waitcnt lgkmcnt(0)
	s_barrier
	v_cmp_eq_f16_e32 vcc, 0, v8
	s_cbranch_vccz .LBB207_412
; %bb.407:                              ;   in Loop: Header=BB207_409 Depth=2
	v_add_co_u32_e32 v4, vcc, s87, v4
	v_addc_co_u32_e32 v5, vcc, 0, v5, vcc
	v_cmp_le_u64_e32 vcc, s[10:11], v[4:5]
	s_mov_b64 s[46:47], 0
	s_orn2_b64 s[52:53], vcc, exec
.LBB207_408:                            ;   in Loop: Header=BB207_409 Depth=2
	s_and_b64 s[52:53], exec, s[52:53]
	s_or_b64 s[12:13], s[52:53], s[12:13]
	s_andn2_b64 s[44:45], s[44:45], exec
	s_and_b64 s[46:47], s[46:47], exec
	s_or_b64 s[44:45], s[44:45], s[46:47]
	s_andn2_b64 exec, exec, s[12:13]
	s_cbranch_execz .LBB207_413
.LBB207_409:                            ;   Parent Loop BB207_12 Depth=1
                                        ; =>  This Inner Loop Header: Depth=2
	v_cmp_gt_u64_e32 vcc, s[64:65], v[4:5]
	s_and_saveexec_b64 s[46:47], vcc
	s_cbranch_execz .LBB207_406
; %bb.410:                              ;   in Loop: Header=BB207_409 Depth=2
	v_mul_lo_u32 v10, v5, s62
	v_mul_lo_u32 v11, v4, s63
	v_mad_u64_u32 v[8:9], s[52:53], v4, s62, 0
	v_add3_u32 v9, v9, v11, v10
	v_lshlrev_b64 v[8:9], 1, v[8:9]
	v_mov_b32_e32 v10, s86
	v_add_co_u32_e32 v8, vcc, s33, v8
	v_addc_co_u32_e32 v9, vcc, v10, v9, vcc
	global_load_ushort v8, v[8:9], off
	s_waitcnt vmcnt(0)
	v_cmp_lt_i16_e32 vcc, -1, v8
	v_cndmask_b32_e32 v9, v33, v34, vcc
	v_xor_b32_sdwa v9, v9, v8 dst_sel:DWORD dst_unused:UNUSED_PAD src0_sel:DWORD src1_sel:WORD_0
	v_cmp_o_f16_e32 vcc, v8, v8
	v_cndmask_b32_e32 v9, v33, v9, vcc
	v_and_b32_e32 v9, v9, v38
	v_cmp_eq_u32_e32 vcc, v9, v30
	s_and_b64 exec, exec, vcc
	s_cbranch_execz .LBB207_406
; %bb.411:                              ;   in Loop: Header=BB207_409 Depth=2
	s_movk_i32 s14, 0x3c00
	v_perm_b32 v8, v8, s14, v37
	ds_write_b32 v3, v8 offset:3072
	s_branch .LBB207_406
.LBB207_412:                            ;   in Loop: Header=BB207_409 Depth=2
	s_mov_b64 s[52:53], -1
                                        ; implicit-def: $vgpr4_vgpr5
	s_mov_b64 s[46:47], -1
	s_branch .LBB207_408
.LBB207_413:                            ;   in Loop: Header=BB207_12 Depth=1
	s_or_b64 exec, exec, s[12:13]
	s_andn2_b64 s[4:5], s[4:5], exec
	s_and_b64 s[10:11], s[44:45], exec
	v_lshrrev_b32_e32 v39, 16, v8
	s_or_b64 s[4:5], s[4:5], s[10:11]
.LBB207_414:                            ;   in Loop: Header=BB207_12 Depth=1
	s_or_b64 exec, exec, s[8:9]
	s_mov_b64 s[44:45], 0
	s_mov_b64 s[46:47], -1
.LBB207_415:                            ;   in Loop: Header=BB207_12 Depth=1
	s_orn2_b64 s[4:5], s[4:5], exec
.LBB207_416:                            ;   in Loop: Header=BB207_12 Depth=1
	s_or_b64 exec, exec, s[48:49]
	s_mov_b64 s[8:9], 0
	s_and_saveexec_b64 s[48:49], s[4:5]
	s_cbranch_execz .LBB207_480
; %bb.417:                              ;   in Loop: Header=BB207_12 Depth=1
	v_mov_b32_e32 v4, 1
	s_xor_b64 s[10:11], s[50:51], -1
	v_mov_b32_e32 v2, 1
	v_mov_b32_e32 v5, 0
	s_and_saveexec_b64 s[4:5], s[10:11]
	s_cbranch_execz .LBB207_426
; %bb.418:                              ;   in Loop: Header=BB207_12 Depth=1
	v_cmp_ge_u64_e32 vcc, s[24:25], v[6:7]
	s_and_saveexec_b64 s[8:9], vcc
	s_xor_b64 s[8:9], exec, s[8:9]
	s_cbranch_execz .LBB207_423
; %bb.419:                              ;   in Loop: Header=BB207_12 Depth=1
	ds_read_b64 v[4:5], v3 offset:5120
	v_readlane_b32 s10, v47, 61
	v_and_b32_e32 v2, s10, v30
	v_lshl_or_b32 v30, 1, s0, v2
	v_or_b32_e32 v38, s1, v38
	s_waitcnt lgkmcnt(0)
	v_cmp_ne_u64_e32 vcc, 0, v[4:5]
	s_cbranch_vccnz .LBB207_423
; %bb.420:                              ;   in Loop: Header=BB207_12 Depth=1
	s_mov_b64 s[10:11], exec
	v_readlane_b32 s12, v47, 12
	v_readlane_b32 s13, v47, 13
	s_and_b64 s[12:13], s[10:11], s[12:13]
	s_mov_b64 exec, s[12:13]
; %bb.421:                              ;   in Loop: Header=BB207_12 Depth=1
	v_mov_b32_e32 v4, s24
	v_mov_b32_e32 v5, s25
	ds_write_b64 v3, v[4:5] offset:5128
; %bb.422:                              ;   in Loop: Header=BB207_12 Depth=1
	s_or_b64 exec, exec, s[10:11]
	s_waitcnt lgkmcnt(0)
	s_barrier
.LBB207_423:                            ;   in Loop: Header=BB207_12 Depth=1
	s_or_saveexec_b64 s[8:9], s[8:9]
	s_mov_b64 s[10:11], 0
	v_mov_b32_e32 v2, 5
	s_xor_b64 exec, exec, s[8:9]
; %bb.424:                              ;   in Loop: Header=BB207_12 Depth=1
	v_subrev_co_u32_e32 v6, vcc, s24, v6
	v_mov_b32_e32 v2, s25
	v_subb_co_u32_e32 v7, vcc, v7, v2, vcc
	v_mov_b32_e32 v2, 0
	s_mov_b64 s[10:11], exec
; %bb.425:                              ;   in Loop: Header=BB207_12 Depth=1
	s_or_b64 exec, exec, s[8:9]
	v_mov_b32_e32 v4, v6
	s_and_b64 s[8:9], s[10:11], exec
	v_mov_b32_e32 v5, v7
.LBB207_426:                            ;   in Loop: Header=BB207_12 Depth=1
	s_or_b64 exec, exec, s[4:5]
	s_mov_b64 s[4:5], -1
                                        ; implicit-def: $sgpr56_sgpr57
                                        ; implicit-def: $sgpr54_sgpr55
	s_and_saveexec_b64 s[24:25], s[8:9]
	s_cbranch_execz .LBB207_479
; %bb.427:                              ;   in Loop: Header=BB207_12 Depth=1
	s_cmp_eq_u64 s[20:21], 1
	v_cmp_eq_u64_e32 vcc, 1, v[4:5]
	s_cselect_b64 s[4:5], -1, 0
	s_and_b64 s[50:51], s[4:5], vcc
	s_mov_b64 s[8:9], -1
                                        ; implicit-def: $sgpr56_sgpr57
                                        ; implicit-def: $sgpr54_sgpr55
	s_and_saveexec_b64 s[52:53], s[50:51]
	s_cbranch_execz .LBB207_467
; %bb.428:                              ;   in Loop: Header=BB207_12 Depth=1
	ds_read_b64 v[6:7], v3 offset:5120
	s_waitcnt lgkmcnt(0)
	s_barrier
	v_readfirstlane_b32 s8, v6
	v_readfirstlane_b32 s9, v7
	s_mov_b64 s[4:5], exec
	v_readlane_b32 s10, v47, 30
	v_readlane_b32 s11, v47, 31
	s_and_b64 s[10:11], s[4:5], s[10:11]
	s_mov_b64 exec, s[10:11]
; %bb.429:                              ;   in Loop: Header=BB207_12 Depth=1
	ds_write_b16 v28, v3
; %bb.430:                              ;   in Loop: Header=BB207_12 Depth=1
	s_or_b64 exec, exec, s[4:5]
	v_readlane_b32 s4, v47, 61
	v_and_b32_e32 v30, s4, v30
	v_or_b32_e32 v38, s1, v38
	s_mov_b64 s[54:55], -1
	s_mov_b64 s[56:57], 0
	s_cmp_eq_u64 s[8:9], 0
	s_mov_b64 s[4:5], 0
	s_mov_b64 s[10:11], -1
	s_waitcnt lgkmcnt(0)
	s_barrier
                                        ; implicit-def: $vgpr39
	s_cbranch_scc1 .LBB207_449
; %bb.431:                              ;   in Loop: Header=BB207_12 Depth=1
	v_readlane_b32 s4, v47, 34
	s_add_u32 s58, s8, s4
	v_readlane_b32 s4, v47, 36
	s_addc_u32 s5, s9, s4
	s_mov_b32 s4, s89
	s_cmp_lg_u64 s[4:5], 0
	s_cbranch_scc0 .LBB207_435
; %bb.432:                              ;   in Loop: Header=BB207_12 Depth=1
	v_cvt_f32_u32_e32 v6, s87
	s_sub_u32 s4, 0, s87
	s_subb_u32 s12, 0, 0
	v_mac_f32_e32 v6, 0, v35
	v_rcp_f32_e32 v6, v6
	v_mul_f32_e32 v6, 0x5f7ffffc, v6
	v_mul_f32_e32 v7, 0x2f800000, v6
	v_trunc_f32_e32 v7, v7
	v_mac_f32_e32 v6, 0xcf800000, v7
	v_cvt_u32_f32_e32 v7, v7
	v_cvt_u32_f32_e32 v6, v6
	v_readfirstlane_b32 s13, v7
	v_readfirstlane_b32 s10, v6
	s_mul_i32 s11, s4, s13
	s_mul_hi_u32 s70, s4, s10
	s_mul_i32 s59, s12, s10
	s_add_i32 s11, s70, s11
	s_mul_i32 s71, s4, s10
	s_add_i32 s11, s11, s59
	s_mul_hi_u32 s70, s10, s71
	s_mul_i32 s76, s10, s11
	s_mul_hi_u32 s59, s10, s11
	s_add_u32 s70, s70, s76
	s_addc_u32 s59, 0, s59
	s_mul_hi_u32 s77, s13, s71
	s_mul_i32 s71, s13, s71
	s_add_u32 s70, s70, s71
	s_mul_hi_u32 s76, s13, s11
	s_addc_u32 s59, s59, s77
	s_addc_u32 s70, s76, 0
	s_mul_i32 s11, s13, s11
	s_add_u32 s11, s59, s11
	s_addc_u32 s59, 0, s70
	s_add_u32 s70, s10, s11
	s_cselect_b64 s[10:11], -1, 0
	s_cmp_lg_u64 s[10:11], 0
	s_addc_u32 s13, s13, s59
	s_mul_i32 s10, s4, s13
	s_mul_hi_u32 s11, s4, s70
	s_add_i32 s10, s11, s10
	s_mul_i32 s12, s12, s70
	s_add_i32 s10, s10, s12
	s_mul_i32 s4, s4, s70
	s_mul_hi_u32 s12, s13, s4
	s_mul_i32 s59, s13, s4
	s_mul_i32 s76, s70, s10
	s_mul_hi_u32 s4, s70, s4
	s_mul_hi_u32 s71, s70, s10
	s_add_u32 s4, s4, s76
	s_addc_u32 s71, 0, s71
	s_add_u32 s4, s4, s59
	s_mul_hi_u32 s11, s13, s10
	s_addc_u32 s4, s71, s12
	s_addc_u32 s11, s11, 0
	s_mul_i32 s10, s13, s10
	s_add_u32 s4, s4, s10
	s_addc_u32 s12, 0, s11
	s_add_u32 s4, s70, s4
	s_cselect_b64 s[10:11], -1, 0
	s_cmp_lg_u64 s[10:11], 0
	s_addc_u32 s10, s13, s12
	s_mul_i32 s12, s58, s10
	s_mul_hi_u32 s13, s58, s4
	s_mul_hi_u32 s11, s58, s10
	s_add_u32 s12, s13, s12
	s_addc_u32 s11, 0, s11
	s_mul_hi_u32 s59, s5, s4
	s_mul_i32 s4, s5, s4
	s_add_u32 s4, s12, s4
	s_mul_hi_u32 s13, s5, s10
	s_addc_u32 s4, s11, s59
	s_addc_u32 s11, s13, 0
	s_mul_i32 s10, s5, s10
	s_add_u32 s4, s4, s10
	s_addc_u32 s10, 0, s11
	s_mul_i32 s10, s87, s10
	s_mul_hi_u32 s11, s87, s4
	s_add_i32 s12, s11, s10
	s_mul_i32 s4, s87, s4
	s_sub_u32 s4, s58, s4
	s_cselect_b64 s[10:11], -1, 0
	s_cmp_lg_u64 s[10:11], 0
	s_subb_u32 s12, s5, s12
	s_sub_u32 s13, s4, s87
	s_cselect_b64 s[10:11], -1, 0
	s_cmp_lg_u64 s[10:11], 0
	s_subb_u32 s59, s12, 0
	s_sub_u32 s70, s13, s87
	s_cselect_b64 s[10:11], -1, 0
	s_cmp_lg_u64 s[10:11], 0
	s_subb_u32 s10, s59, 0
	s_cmp_ge_u32 s13, s87
	s_cselect_b32 s11, -1, 0
	s_cmp_eq_u32 s59, 0
	s_cselect_b32 s11, s11, -1
	s_cmp_lg_u32 s11, 0
	s_cselect_b32 s10, s10, s59
	s_cselect_b32 s13, s70, s13
	s_cmp_ge_u32 s4, s87
	s_cselect_b32 s11, -1, 0
	s_cmp_eq_u32 s12, 0
	s_cselect_b32 s11, s11, -1
	s_cmp_lg_u32 s11, 0
	s_cselect_b32 s11, s10, s12
	s_cselect_b32 s10, s13, s4
	s_mov_b64 s[12:13], 0
	s_branch .LBB207_436
.LBB207_433:                            ;   in Loop: Header=BB207_12 Depth=1
                                        ; implicit-def: $sgpr10_sgpr11
	s_branch .LBB207_386
.LBB207_434:                            ;   in Loop: Header=BB207_12 Depth=1
                                        ; implicit-def: $sgpr8_sgpr9
	s_branch .LBB207_403
.LBB207_435:                            ;   in Loop: Header=BB207_12 Depth=1
	s_mov_b64 s[12:13], -1
                                        ; implicit-def: $sgpr10_sgpr11
.LBB207_436:                            ;   in Loop: Header=BB207_12 Depth=1
	s_andn2_b64 vcc, exec, s[12:13]
	s_cbranch_vccnz .LBB207_438
; %bb.437:                              ;   in Loop: Header=BB207_12 Depth=1
	v_cvt_f32_u32_e32 v6, s87
	s_sub_i32 s4, 0, s87
	v_rcp_iflag_f32_e32 v6, v6
	v_mul_f32_e32 v6, 0x4f7ffffe, v6
	v_cvt_u32_f32_e32 v6, v6
	v_readfirstlane_b32 s10, v6
	s_mul_i32 s4, s4, s10
	s_mul_hi_u32 s4, s10, s4
	s_add_i32 s10, s10, s4
	s_mul_hi_u32 s4, s58, s10
	s_mul_i32 s4, s4, s87
	s_sub_i32 s4, s58, s4
	s_sub_i32 s10, s4, s87
	s_cmp_ge_u32 s4, s87
	s_cselect_b32 s4, s10, s4
	s_sub_i32 s10, s4, s87
	s_cmp_ge_u32 s4, s87
	s_cselect_b32 s88, s10, s4
	s_mov_b64 s[10:11], s[88:89]
	v_readlane_b32 s88, v47, 57
.LBB207_438:                            ;   in Loop: Header=BB207_12 Depth=1
	s_sub_u32 s58, s58, s10
	s_subb_u32 s59, s5, s11
	v_cmp_gt_u64_e32 vcc, s[58:59], v[0:1]
	s_mov_b64 s[10:11], 0
	s_mov_b64 s[4:5], 0
                                        ; implicit-def: $vgpr39
	s_and_saveexec_b64 s[12:13], vcc
	s_cbranch_execz .LBB207_448
; %bb.439:                              ;   in Loop: Header=BB207_12 Depth=1
	v_mov_b32_e32 v7, v1
	v_mov_b32_e32 v8, v27
	;; [unrolled: 1-line block ×3, first 2 shown]
                                        ; implicit-def: $sgpr70_sgpr71
	s_branch .LBB207_443
.LBB207_440:                            ;   in Loop: Header=BB207_443 Depth=2
	s_or_b64 exec, exec, s[76:77]
	s_waitcnt lgkmcnt(0)
	s_barrier
	ds_read_b32 v9, v3 offset:3072
	s_waitcnt lgkmcnt(0)
	s_barrier
	v_cmp_neq_f16_e32 vcc, 0, v9
	s_cbranch_vccnz .LBB207_446
; %bb.441:                              ;   in Loop: Header=BB207_443 Depth=2
	v_add_co_u32_e32 v6, vcc, s87, v6
	v_addc_co_u32_e32 v7, vcc, 0, v7, vcc
	v_cmp_le_u64_e32 vcc, s[58:59], v[6:7]
	v_add_u32_e32 v8, s85, v8
	s_mov_b64 s[76:77], 0
	s_orn2_b64 s[90:91], vcc, exec
.LBB207_442:                            ;   in Loop: Header=BB207_443 Depth=2
	s_and_b64 s[90:91], exec, s[90:91]
	s_or_b64 s[4:5], s[90:91], s[4:5]
	s_andn2_b64 s[70:71], s[70:71], exec
	s_and_b64 s[76:77], s[76:77], exec
	s_or_b64 s[70:71], s[70:71], s[76:77]
	s_andn2_b64 exec, exec, s[4:5]
	s_cbranch_execz .LBB207_447
.LBB207_443:                            ;   Parent Loop BB207_12 Depth=1
                                        ; =>  This Inner Loop Header: Depth=2
	v_cmp_gt_u64_e32 vcc, s[8:9], v[6:7]
	s_and_saveexec_b64 s[76:77], vcc
	s_cbranch_execz .LBB207_440
; %bb.444:                              ;   in Loop: Header=BB207_443 Depth=2
	ds_read_u16 v9, v8
	s_waitcnt lgkmcnt(0)
	v_cmp_lt_i16_e32 vcc, -1, v9
	v_cndmask_b32_e32 v10, v33, v34, vcc
	v_xor_b32_sdwa v10, v10, v9 dst_sel:DWORD dst_unused:UNUSED_PAD src0_sel:DWORD src1_sel:WORD_0
	v_cmp_o_f16_e32 vcc, v9, v9
	v_cndmask_b32_e32 v10, v33, v10, vcc
	v_and_b32_e32 v10, v10, v38
	v_cmp_eq_u32_e32 vcc, v10, v30
	s_and_b64 exec, exec, vcc
	s_cbranch_execz .LBB207_440
; %bb.445:                              ;   in Loop: Header=BB207_443 Depth=2
	s_movk_i32 s14, 0x3c00
	v_perm_b32 v9, v9, s14, v37
	ds_write_b32 v3, v9 offset:3072
	s_branch .LBB207_440
.LBB207_446:                            ;   in Loop: Header=BB207_443 Depth=2
	s_mov_b64 s[90:91], -1
                                        ; implicit-def: $vgpr6_vgpr7
                                        ; implicit-def: $vgpr8
	s_mov_b64 s[76:77], -1
	s_branch .LBB207_442
.LBB207_447:                            ;   in Loop: Header=BB207_12 Depth=1
	s_or_b64 exec, exec, s[4:5]
	v_lshrrev_b32_e32 v39, 16, v9
	s_and_b64 s[4:5], s[70:71], exec
.LBB207_448:                            ;   in Loop: Header=BB207_12 Depth=1
	s_or_b64 exec, exec, s[12:13]
.LBB207_449:                            ;   in Loop: Header=BB207_12 Depth=1
	s_and_b64 vcc, exec, s[10:11]
	s_cbranch_vccz .LBB207_466
; %bb.450:                              ;   in Loop: Header=BB207_12 Depth=1
	v_readlane_b32 s14, v47, 37
	v_readlane_b32 s15, v47, 38
	s_mov_b32 s14, s89
	s_cmp_lg_u64 s[14:15], 0
	v_writelane_b32 v47, s14, 37
	v_writelane_b32 v47, s15, 38
	s_cbranch_scc0 .LBB207_452
; %bb.451:                              ;   in Loop: Header=BB207_12 Depth=1
	v_cvt_f32_u32_e32 v6, s87
	s_sub_u32 s10, 0, s87
	s_subb_u32 s11, 0, 0
	v_readlane_b32 s14, v47, 35
	v_mac_f32_e32 v6, 0, v35
	v_rcp_f32_e32 v6, v6
	v_mul_f32_e32 v6, 0x5f7ffffc, v6
	v_mul_f32_e32 v7, 0x2f800000, v6
	v_trunc_f32_e32 v7, v7
	v_mac_f32_e32 v6, 0xcf800000, v7
	v_cvt_u32_f32_e32 v7, v7
	v_cvt_u32_f32_e32 v6, v6
	v_readfirstlane_b32 s12, v7
	v_readfirstlane_b32 s8, v6
	s_mul_i32 s9, s10, s12
	s_mul_hi_u32 s54, s10, s8
	s_mul_i32 s13, s11, s8
	s_add_i32 s9, s54, s9
	s_mul_i32 s55, s10, s8
	s_add_i32 s9, s9, s13
	s_mul_hi_u32 s54, s8, s55
	s_mul_i32 s56, s8, s9
	s_mul_hi_u32 s13, s8, s9
	s_add_u32 s54, s54, s56
	s_addc_u32 s13, 0, s13
	s_mul_hi_u32 s57, s12, s55
	s_mul_i32 s55, s12, s55
	s_add_u32 s54, s54, s55
	s_mul_hi_u32 s56, s12, s9
	s_addc_u32 s13, s13, s57
	s_addc_u32 s54, s56, 0
	s_mul_i32 s9, s12, s9
	s_add_u32 s9, s13, s9
	s_addc_u32 s13, 0, s54
	s_add_u32 s54, s8, s9
	s_cselect_b64 s[8:9], -1, 0
	s_cmp_lg_u64 s[8:9], 0
	s_addc_u32 s12, s12, s13
	s_mul_i32 s8, s10, s12
	s_mul_hi_u32 s9, s10, s54
	s_add_i32 s8, s9, s8
	s_mul_i32 s11, s11, s54
	s_add_i32 s8, s8, s11
	s_mul_i32 s10, s10, s54
	s_mul_hi_u32 s11, s12, s10
	s_mul_i32 s13, s12, s10
	s_mul_i32 s56, s54, s8
	s_mul_hi_u32 s10, s54, s10
	s_mul_hi_u32 s55, s54, s8
	s_add_u32 s10, s10, s56
	s_addc_u32 s55, 0, s55
	s_add_u32 s10, s10, s13
	s_mul_hi_u32 s9, s12, s8
	s_addc_u32 s10, s55, s11
	s_addc_u32 s9, s9, 0
	s_mul_i32 s8, s12, s8
	s_add_u32 s8, s10, s8
	s_addc_u32 s10, 0, s9
	s_add_u32 s11, s54, s8
	s_cselect_b64 s[8:9], -1, 0
	s_cmp_lg_u64 s[8:9], 0
	s_addc_u32 s8, s12, s10
	s_mul_i32 s10, s14, s8
	s_mul_hi_u32 s12, s14, s11
	s_mul_hi_u32 s9, s14, s8
	s_add_u32 s10, s12, s10
	s_addc_u32 s9, 0, s9
	s_mul_hi_u32 s13, s15, s11
	s_mul_i32 s11, s15, s11
	s_add_u32 s10, s10, s11
	s_mul_hi_u32 s12, s15, s8
	s_addc_u32 s9, s9, s13
	s_addc_u32 s10, s12, 0
	s_mul_i32 s8, s15, s8
	s_add_u32 s8, s9, s8
	s_addc_u32 s9, 0, s10
	s_mul_i32 s9, s87, s9
	s_mul_hi_u32 s10, s87, s8
	s_add_i32 s10, s10, s9
	s_mul_i32 s8, s87, s8
	s_sub_u32 s11, s14, s8
	s_cselect_b64 s[8:9], -1, 0
	s_cmp_lg_u64 s[8:9], 0
	s_subb_u32 s10, s15, s10
	s_sub_u32 s12, s11, s87
	s_cselect_b64 s[8:9], -1, 0
	s_cmp_lg_u64 s[8:9], 0
	s_subb_u32 s13, s10, 0
	;; [unrolled: 4-line block ×3, first 2 shown]
	s_cmp_ge_u32 s12, s87
	s_cselect_b32 s9, -1, 0
	s_cmp_eq_u32 s13, 0
	s_cselect_b32 s9, s9, -1
	s_cmp_lg_u32 s9, 0
	s_cselect_b32 s8, s8, s13
	s_cselect_b32 s12, s54, s12
	s_cmp_ge_u32 s11, s87
	s_cselect_b32 s9, -1, 0
	s_cmp_eq_u32 s10, 0
	s_cselect_b32 s9, s9, -1
	s_cmp_lg_u32 s9, 0
	s_cselect_b32 s9, s8, s10
	s_cselect_b32 s8, s12, s11
	s_mov_b64 s[10:11], 0
	s_branch .LBB207_453
.LBB207_452:                            ;   in Loop: Header=BB207_12 Depth=1
	s_mov_b64 s[10:11], -1
                                        ; implicit-def: $sgpr8_sgpr9
.LBB207_453:                            ;   in Loop: Header=BB207_12 Depth=1
	s_andn2_b64 vcc, exec, s[10:11]
	s_cbranch_vccnz .LBB207_455
; %bb.454:                              ;   in Loop: Header=BB207_12 Depth=1
	v_cvt_f32_u32_e32 v6, s87
	s_sub_i32 s8, 0, s87
	v_readlane_b32 s10, v47, 35
	v_rcp_iflag_f32_e32 v6, v6
	v_mul_f32_e32 v6, 0x4f7ffffe, v6
	v_cvt_u32_f32_e32 v6, v6
	v_readfirstlane_b32 s9, v6
	s_mul_i32 s8, s8, s9
	s_mul_hi_u32 s8, s9, s8
	s_add_i32 s9, s9, s8
	s_mul_hi_u32 s8, s10, s9
	s_mul_i32 s8, s8, s87
	s_sub_i32 s8, s10, s8
	s_sub_i32 s9, s8, s87
	s_cmp_ge_u32 s8, s87
	s_cselect_b32 s8, s9, s8
	s_sub_i32 s9, s8, s87
	s_cmp_ge_u32 s8, s87
	s_cselect_b32 s88, s9, s8
	s_mov_b64 s[8:9], s[88:89]
	v_readlane_b32 s88, v47, 57
.LBB207_455:                            ;   in Loop: Header=BB207_12 Depth=1
	v_readlane_b32 s10, v47, 35
	v_readlane_b32 s12, v47, 37
	s_sub_u32 s10, s10, s8
	v_readlane_b32 s13, v47, 38
	s_subb_u32 s11, s13, s9
	v_cmp_gt_u64_e32 vcc, s[10:11], v[0:1]
                                        ; implicit-def: $vgpr39
	s_and_saveexec_b64 s[8:9], vcc
	s_cbranch_execz .LBB207_465
; %bb.456:                              ;   in Loop: Header=BB207_12 Depth=1
	v_mov_b32_e32 v7, v1
	s_mov_b64 s[12:13], 0
	v_mov_b32_e32 v6, v0
                                        ; implicit-def: $sgpr54_sgpr55
	s_branch .LBB207_460
.LBB207_457:                            ;   in Loop: Header=BB207_460 Depth=2
	s_or_b64 exec, exec, s[56:57]
	s_waitcnt lgkmcnt(0)
	s_barrier
	ds_read_b32 v8, v3 offset:3072
	s_waitcnt lgkmcnt(0)
	s_barrier
	v_cmp_eq_f16_e32 vcc, 0, v8
	s_cbranch_vccz .LBB207_463
; %bb.458:                              ;   in Loop: Header=BB207_460 Depth=2
	v_add_co_u32_e32 v6, vcc, s87, v6
	v_addc_co_u32_e32 v7, vcc, 0, v7, vcc
	v_cmp_le_u64_e32 vcc, s[10:11], v[6:7]
	s_mov_b64 s[56:57], 0
	s_orn2_b64 s[58:59], vcc, exec
.LBB207_459:                            ;   in Loop: Header=BB207_460 Depth=2
	s_and_b64 s[58:59], exec, s[58:59]
	s_or_b64 s[12:13], s[58:59], s[12:13]
	s_andn2_b64 s[54:55], s[54:55], exec
	s_and_b64 s[56:57], s[56:57], exec
	s_or_b64 s[54:55], s[54:55], s[56:57]
	s_andn2_b64 exec, exec, s[12:13]
	s_cbranch_execz .LBB207_464
.LBB207_460:                            ;   Parent Loop BB207_12 Depth=1
                                        ; =>  This Inner Loop Header: Depth=2
	v_cmp_gt_u64_e32 vcc, s[64:65], v[6:7]
	s_and_saveexec_b64 s[56:57], vcc
	s_cbranch_execz .LBB207_457
; %bb.461:                              ;   in Loop: Header=BB207_460 Depth=2
	v_mul_lo_u32 v10, v7, s62
	v_mul_lo_u32 v11, v6, s63
	v_mad_u64_u32 v[8:9], s[58:59], v6, s62, 0
	v_add3_u32 v9, v9, v11, v10
	v_lshlrev_b64 v[8:9], 1, v[8:9]
	v_mov_b32_e32 v10, s86
	v_add_co_u32_e32 v8, vcc, s33, v8
	v_addc_co_u32_e32 v9, vcc, v10, v9, vcc
	global_load_ushort v8, v[8:9], off
	s_waitcnt vmcnt(0)
	v_cmp_lt_i16_e32 vcc, -1, v8
	v_cndmask_b32_e32 v9, v33, v34, vcc
	v_xor_b32_sdwa v9, v9, v8 dst_sel:DWORD dst_unused:UNUSED_PAD src0_sel:DWORD src1_sel:WORD_0
	v_cmp_o_f16_e32 vcc, v8, v8
	v_cndmask_b32_e32 v9, v33, v9, vcc
	v_and_b32_e32 v9, v9, v38
	v_cmp_eq_u32_e32 vcc, v9, v30
	s_and_b64 exec, exec, vcc
	s_cbranch_execz .LBB207_457
; %bb.462:                              ;   in Loop: Header=BB207_460 Depth=2
	s_movk_i32 s14, 0x3c00
	v_perm_b32 v8, v8, s14, v37
	ds_write_b32 v3, v8 offset:3072
	s_branch .LBB207_457
.LBB207_463:                            ;   in Loop: Header=BB207_460 Depth=2
	s_mov_b64 s[58:59], -1
                                        ; implicit-def: $vgpr6_vgpr7
	s_mov_b64 s[56:57], -1
	s_branch .LBB207_459
.LBB207_464:                            ;   in Loop: Header=BB207_12 Depth=1
	s_or_b64 exec, exec, s[12:13]
	s_andn2_b64 s[4:5], s[4:5], exec
	s_and_b64 s[10:11], s[54:55], exec
	v_lshrrev_b32_e32 v39, 16, v8
	s_or_b64 s[4:5], s[4:5], s[10:11]
.LBB207_465:                            ;   in Loop: Header=BB207_12 Depth=1
	s_or_b64 exec, exec, s[8:9]
	s_mov_b64 s[54:55], 0
	s_mov_b64 s[56:57], -1
.LBB207_466:                            ;   in Loop: Header=BB207_12 Depth=1
	s_orn2_b64 s[8:9], s[4:5], exec
.LBB207_467:                            ;   in Loop: Header=BB207_12 Depth=1
	s_or_b64 exec, exec, s[52:53]
	s_mov_b64 s[10:11], 0
	s_and_saveexec_b64 s[4:5], s[8:9]
	s_cbranch_execz .LBB207_478
; %bb.468:                              ;   in Loop: Header=BB207_12 Depth=1
	v_mov_b32_e32 v6, 1
	s_xor_b64 s[10:11], s[50:51], -1
	v_mov_b32_e32 v7, 0
	v_mov_b32_e32 v2, 1
	s_and_saveexec_b64 s[8:9], s[10:11]
	s_cbranch_execz .LBB207_477
; %bb.469:                              ;   in Loop: Header=BB207_12 Depth=1
	v_cmp_ge_u64_e32 vcc, s[20:21], v[4:5]
	s_and_saveexec_b64 s[10:11], vcc
	s_xor_b64 s[10:11], exec, s[10:11]
	s_cbranch_execz .LBB207_474
; %bb.470:                              ;   in Loop: Header=BB207_12 Depth=1
	ds_read_b64 v[6:7], v3 offset:5120
	v_readlane_b32 s12, v47, 61
	v_and_b32_e32 v30, s12, v30
	v_or_b32_e32 v38, s1, v38
	s_waitcnt lgkmcnt(0)
	v_cmp_ne_u64_e32 vcc, 0, v[6:7]
	s_cbranch_vccnz .LBB207_474
; %bb.471:                              ;   in Loop: Header=BB207_12 Depth=1
	v_readlane_b32 s14, v47, 12
	v_readlane_b32 s15, v47, 13
	s_and_saveexec_b64 s[12:13], s[14:15]
; %bb.472:                              ;   in Loop: Header=BB207_12 Depth=1
	v_mov_b32_e32 v6, s20
	v_mov_b32_e32 v7, s21
	ds_write_b64 v3, v[6:7] offset:5128
; %bb.473:                              ;   in Loop: Header=BB207_12 Depth=1
	s_or_b64 exec, exec, s[12:13]
	s_waitcnt lgkmcnt(0)
	s_barrier
.LBB207_474:                            ;   in Loop: Header=BB207_12 Depth=1
	s_andn2_saveexec_b64 s[10:11], s[10:11]
; %bb.475:                              ;   in Loop: Header=BB207_12 Depth=1
	v_mov_b32_e32 v2, s21
	v_subrev_co_u32_e32 v4, vcc, s20, v4
	v_subb_co_u32_e32 v5, vcc, v5, v2, vcc
; %bb.476:                              ;   in Loop: Header=BB207_12 Depth=1
	s_or_b64 exec, exec, s[10:11]
	v_mov_b32_e32 v7, v5
	v_mov_b32_e32 v2, 5
	;; [unrolled: 1-line block ×3, first 2 shown]
.LBB207_477:                            ;   in Loop: Header=BB207_12 Depth=1
	s_or_b64 exec, exec, s[8:9]
	v_mov_b32_e32 v4, v6
	s_mov_b64 s[10:11], exec
	v_mov_b32_e32 v5, v7
.LBB207_478:                            ;   in Loop: Header=BB207_12 Depth=1
	s_or_b64 exec, exec, s[4:5]
	s_orn2_b64 s[4:5], s[10:11], exec
.LBB207_479:                            ;   in Loop: Header=BB207_12 Depth=1
	s_or_b64 exec, exec, s[24:25]
	s_andn2_b64 s[8:9], s[46:47], exec
	s_and_b64 s[10:11], s[56:57], exec
	s_or_b64 s[46:47], s[8:9], s[10:11]
	s_andn2_b64 s[8:9], s[44:45], exec
	s_and_b64 s[10:11], s[54:55], exec
	v_mov_b32_e32 v7, v5
	s_or_b64 s[44:45], s[8:9], s[10:11]
	s_and_b64 s[8:9], s[4:5], exec
	v_mov_b32_e32 v6, v4
.LBB207_480:                            ;   in Loop: Header=BB207_12 Depth=1
	s_or_b64 exec, exec, s[48:49]
	s_orn2_b64 s[4:5], s[8:9], exec
.LBB207_481:                            ;   in Loop: Header=BB207_12 Depth=1
	s_or_b64 exec, exec, s[26:27]
	s_andn2_b64 s[8:9], s[38:39], exec
	s_and_b64 s[10:11], s[46:47], exec
	s_or_b64 s[38:39], s[8:9], s[10:11]
	s_andn2_b64 s[8:9], s[28:29], exec
	s_and_b64 s[10:11], s[44:45], exec
	v_mov_b32_e32 v4, v6
	s_or_b64 s[28:29], s[8:9], s[10:11]
	s_and_b64 s[8:9], s[4:5], exec
	v_mov_b32_e32 v5, v7
.LBB207_482:                            ;   in Loop: Header=BB207_12 Depth=1
	s_or_b64 exec, exec, s[40:41]
	s_orn2_b64 s[4:5], s[8:9], exec
.LBB207_483:                            ;   in Loop: Header=BB207_12 Depth=1
	s_or_b64 exec, exec, s[6:7]
	s_mov_b64 s[6:7], s[34:35]
	s_mov_b64 s[8:9], s[30:31]
	s_and_saveexec_b64 s[10:11], s[4:5]
; %bb.484:                              ;   in Loop: Header=BB207_12 Depth=1
	v_cmp_ne_u32_e64 s[6:7], 5, v2
	v_cmp_eq_u32_e32 vcc, 5, v2
	s_andn2_b64 s[4:5], s[30:31], exec
	s_and_b64 s[6:7], s[6:7], exec
	s_or_b64 s[8:9], s[4:5], s[6:7]
	s_andn2_b64 s[4:5], s[34:35], exec
	s_and_b64 s[6:7], vcc, exec
	s_or_b64 s[6:7], s[4:5], s[6:7]
; %bb.485:                              ;   in Loop: Header=BB207_12 Depth=1
	s_or_b64 exec, exec, s[10:11]
	s_andn2_b64 s[4:5], s[18:19], exec
	s_and_b64 s[10:11], s[38:39], exec
	s_or_b64 s[18:19], s[4:5], s[10:11]
	s_andn2_b64 s[4:5], s[22:23], exec
	s_and_b64 s[10:11], s[28:29], exec
	s_or_b64 s[22:23], s[4:5], s[10:11]
	;; [unrolled: 3-line block ×4, first 2 shown]
.LBB207_486:                            ;   in Loop: Header=BB207_12 Depth=1
	s_or_b64 exec, exec, s[36:37]
	s_mov_b64 s[36:37], 0
	s_mov_b64 s[38:39], 0
	s_and_saveexec_b64 s[4:5], s[34:35]
.LBB207_487:                            ;   in Loop: Header=BB207_12 Depth=1
	v_mov_b32_e32 v2, 0
	s_or_b64 s[30:31], s[30:31], exec
.LBB207_488:                            ;   in Loop: Header=BB207_12 Depth=1
	s_or_b64 exec, exec, s[4:5]
	s_andn2_b64 s[4:5], s[42:43], exec
	s_and_b64 s[8:9], s[18:19], exec
	s_or_b64 s[42:43], s[4:5], s[8:9]
	s_andn2_b64 s[4:5], s[78:79], exec
	s_and_b64 s[8:9], s[22:23], exec
	s_or_b64 s[78:79], s[4:5], s[8:9]
	;; [unrolled: 3-line block ×3, first 2 shown]
	v_readlane_b32 s4, v47, 59
	v_readlane_b32 s5, v47, 60
	s_andn2_b64 s[4:5], s[4:5], exec
	s_and_b64 s[8:9], s[36:37], exec
	v_mov_b32_e32 v20, v5
	s_mov_b64 s[6:7], -1
	s_andn2_b64 s[68:69], s[68:69], exec
	s_or_b64 s[22:23], s[4:5], s[8:9]
	v_mov_b32_e32 v19, v4
	s_and_saveexec_b64 s[4:5], s[30:31]
	s_xor_b64 s[4:5], exec, s[4:5]
	v_readlane_b32 s14, v47, 58
	s_cbranch_execz .LBB207_11
; %bb.489:                              ;   in Loop: Header=BB207_12 Depth=1
	v_cmp_eq_u32_e32 vcc, 0, v2
	s_mov_b64 s[8:9], -1
	s_and_saveexec_b64 s[10:11], vcc
	s_cbranch_execz .LBB207_10
; %bb.490:                              ;   in Loop: Header=BB207_12 Depth=1
	v_readlane_b32 s1, v47, 56
	s_xor_b32 s1, s1, 1
	s_add_i32 s12, s0, -2
	s_cmp_eq_u32 s0, 0
	v_writelane_b32 v47, s1, 56
	s_cselect_b64 s[0:1], -1, 0
	s_xor_b64 s[8:9], exec, -1
	s_orn2_b64 s[6:7], s[0:1], exec
	s_mov_b32 s0, s12
	s_branch .LBB207_10
.LBB207_491:
	s_or_b64 exec, exec, s[72:73]
	s_xor_b64 s[4:5], s[2:3], -1
	s_xor_b64 s[8:9], s[82:83], -1
	;; [unrolled: 1-line block ×5, first 2 shown]
	s_mov_b64 s[6:7], 0
	s_and_saveexec_b64 s[10:11], s[0:1]
	s_xor_b64 s[10:11], exec, s[10:11]
	s_cbranch_execnz .LBB207_496
; %bb.492:
	s_andn2_saveexec_b64 s[0:1], s[10:11]
	s_cbranch_execnz .LBB207_515
.LBB207_493:
	s_or_b64 exec, exec, s[0:1]
	s_and_saveexec_b64 s[0:1], s[6:7]
.LBB207_494:
	; divergent unreachable
.LBB207_495:
	s_endpgm
.LBB207_496:
	s_and_saveexec_b64 s[0:1], s[12:13]
	s_xor_b64 s[12:13], exec, s[0:1]
	s_cbranch_execz .LBB207_513
; %bb.497:
	s_and_saveexec_b64 s[0:1], s[8:9]
	s_xor_b64 s[14:15], exec, s[0:1]
	s_cbranch_execz .LBB207_511
; %bb.498:
	;; [unrolled: 4-line block ×3, first 2 shown]
	s_and_saveexec_b64 s[0:1], s[2:3]
	s_xor_b64 s[2:3], exec, s[0:1]
; %bb.500:
	v_and_b32_e32 v2, 0x8000, v30
	v_mov_b32_e32 v3, 0x8000
	v_mov_b32_e32 v4, 0xffff
	v_cmp_eq_u32_e32 vcc, 0, v2
	v_cndmask_b32_e32 v2, v3, v4, vcc
	v_xor_b32_e32 v39, v2, v30
; %bb.501:
	s_or_b64 exec, exec, s[2:3]
	s_mov_b64 s[2:3], exec
	v_readlane_b32 s0, v47, 12
	v_readlane_b32 s1, v47, 13
	;; [unrolled: 1-line block ×3, first 2 shown]
	s_and_b64 s[0:1], s[2:3], s[0:1]
	v_readlane_b32 s43, v47, 21
	s_mov_b64 exec, s[0:1]
; %bb.502:
	v_mov_b32_e32 v2, 0
	v_mov_b32_e32 v3, v2
	ds_write_b64 v2, v[2:3] offset:5136
; %bb.503:
	s_or_b64 exec, exec, s[2:3]
	v_mov_b32_e32 v17, 0
	s_waitcnt lgkmcnt(0)
	s_barrier
	s_mov_b64 s[2:3], exec
	v_readlane_b32 s0, v47, 28
	v_readlane_b32 s1, v47, 29
	s_and_b64 s[0:1], s[2:3], s[0:1]
	s_mov_b64 exec, s[0:1]
	s_cbranch_execz .LBB207_505
; %bb.504:
	global_load_ushort v17, v[12:13], off
.LBB207_505:
	s_or_b64 exec, exec, s[2:3]
	s_add_u32 s0, s64, 63
	s_addc_u32 s9, s65, 0
	s_and_b32 s8, s0, 0xffffffc0
	v_readlane_b32 s2, v47, 2
	v_readlane_b32 s0, v47, 0
	;; [unrolled: 1-line block ×4, first 2 shown]
	s_mov_b32 s4, s0
	s_mul_i32 s0, s0, s3
	s_mul_hi_u32 s1, s4, s2
	s_add_i32 s1, s1, s0
	s_mul_i32 s0, s4, s2
	v_readlane_b32 s2, v47, 14
	v_readlane_b32 s20, v47, 16
	;; [unrolled: 1-line block ×3, first 2 shown]
	s_sub_u32 s0, s2, s0
	v_readlane_b32 s22, v47, 18
	v_readlane_b32 s23, v47, 19
	s_mov_b32 s6, s2
	s_subb_u32 s1, 0, s1
	s_mul_i32 s2, s0, s23
	s_mul_hi_u32 s3, s0, s22
	v_readlane_b32 s21, v47, 17
	s_add_i32 s2, s3, s2
	s_mul_i32 s1, s1, s22
	s_add_i32 s1, s2, s1
	s_mul_i32 s2, s4, s21
	s_mul_hi_u32 s3, s4, s20
	s_add_i32 s3, s3, s2
	s_mul_i32 s2, s4, s20
	v_readlane_b32 s18, v47, 6
	v_readlane_b32 s4, v47, 4
	;; [unrolled: 1-line block ×4, first 2 shown]
	s_mov_b32 s20, s4
	s_mul_i32 s4, s4, s19
	s_mul_hi_u32 s5, s20, s18
	s_add_i32 s5, s5, s4
	s_mul_i32 s4, s20, s18
	v_readlane_b32 s24, v47, 52
	s_sub_u32 s4, s6, s4
	v_readlane_b32 s26, v47, 54
	v_readlane_b32 s27, v47, 55
	s_subb_u32 s5, 0, s5
	s_mul_i32 s6, s4, s27
	s_mul_hi_u32 s7, s4, s26
	v_readlane_b32 s25, v47, 53
	s_add_i32 s6, s7, s6
	s_mul_i32 s5, s5, s26
	s_add_i32 s5, s6, s5
	s_mul_i32 s6, s20, s25
	s_mul_hi_u32 s7, s20, s24
	s_add_i32 s7, s7, s6
	s_lshl_b64 s[2:3], s[2:3], 1
	v_readlane_b32 s18, v47, 10
	s_mul_i32 s0, s0, s22
	v_readlane_b32 s19, v47, 11
	s_add_u32 s2, s18, s2
	s_addc_u32 s3, s19, s3
	s_lshl_b64 s[0:1], s[0:1], 1
	s_mul_i32 s6, s20, s24
	s_add_u32 s0, s2, s0
	s_addc_u32 s1, s3, s1
	s_lshl_b64 s[2:3], s[6:7], 3
	v_readlane_b32 s6, v47, 8
	s_mul_i32 s4, s4, s26
	v_readlane_b32 s7, v47, 9
	s_add_u32 s6, s6, s2
	s_addc_u32 s7, s7, s3
	s_lshl_b64 s[2:3], s[4:5], 3
	s_add_u32 s38, s6, s2
	s_addc_u32 s39, s7, s3
	v_readlane_b32 s2, v47, 50
	v_readlane_b32 s3, v47, 51
	v_mov_b32_e32 v15, 0xffff
	v_mov_b32_e32 v16, 0x8000
	v_cmp_lt_i16_e32 vcc, -1, v39
	s_load_dwordx2 s[18:19], s[2:3], 0x368
	s_load_dwordx2 s[20:21], s[2:3], 0x510
	v_cndmask_b32_e32 v2, v15, v16, vcc
	v_xor_b32_sdwa v2, v2, v39 dst_sel:DWORD dst_unused:UNUSED_PAD src0_sel:DWORD src1_sel:WORD_0
	v_cmp_o_f16_e32 vcc, v39, v39
	v_cndmask_b32_e32 v14, v15, v2, vcc
	v_cmp_gt_u64_e32 vcc, s[8:9], v[0:1]
	s_mov_b64 s[24:25], -1
	s_mov_b64 s[2:3], 0
	s_mov_b64 s[4:5], 0
	s_and_saveexec_b64 s[22:23], vcc
	s_cbranch_execnz .LBB207_516
; %bb.506:
	s_or_b64 exec, exec, s[22:23]
	s_and_saveexec_b64 s[6:7], s[24:25]
	s_cbranch_execnz .LBB207_533
.LBB207_507:
	s_or_b64 exec, exec, s[6:7]
	s_and_saveexec_b64 s[0:1], s[4:5]
	s_xor_b64 s[0:1], exec, s[0:1]
	s_cbranch_execnz .LBB207_556
.LBB207_508:
	s_or_b64 exec, exec, s[0:1]
	s_and_b64 s[6:7], s[2:3], exec
.LBB207_509:
	s_andn2_saveexec_b64 s[0:1], s[16:17]
	s_cbranch_execnz .LBB207_558
.LBB207_510:
	s_or_b64 exec, exec, s[0:1]
	s_and_b64 s[6:7], s[6:7], exec
.LBB207_511:
	s_andn2_saveexec_b64 s[0:1], s[14:15]
	s_cbranch_execnz .LBB207_557
.LBB207_512:
	s_or_b64 exec, exec, s[0:1]
	s_and_b64 s[6:7], s[6:7], exec
.LBB207_513:
	s_andn2_saveexec_b64 s[0:1], s[12:13]
	s_cbranch_execnz .LBB207_552
.LBB207_514:
	s_or_b64 exec, exec, s[0:1]
	s_and_b64 s[6:7], s[6:7], exec
	s_andn2_saveexec_b64 s[0:1], s[10:11]
	s_cbranch_execz .LBB207_493
.LBB207_515:
	s_or_b64 s[6:7], s[6:7], exec
	s_trap 2
	s_or_b64 exec, exec, s[0:1]
	s_and_saveexec_b64 s[0:1], s[6:7]
	s_cbranch_execnz .LBB207_494
	s_branch .LBB207_495
.LBB207_516:
	v_mov_b32_e32 v9, v1
	s_mov_b64 s[24:25], 0
	v_mov_b32_e32 v3, 0
	v_mov_b32_e32 v8, v0
                                        ; implicit-def: $sgpr26_sgpr27
                                        ; implicit-def: $vgpr6_vgpr7
	s_branch .LBB207_518
.LBB207_517:                            ;   in Loop: Header=BB207_518 Depth=1
	s_or_b64 exec, exec, s[30:31]
	s_xor_b64 s[4:5], s[28:29], -1
	s_and_b64 s[6:7], exec, s[6:7]
	s_or_b64 s[24:25], s[6:7], s[24:25]
	s_andn2_b64 s[6:7], s[26:27], exec
	s_and_b64 s[4:5], s[4:5], exec
	v_mov_b32_e32 v9, v5
	s_or_b64 s[26:27], s[6:7], s[4:5]
	v_mov_b32_e32 v8, v4
	s_waitcnt vmcnt(0)
	v_mov_b32_e32 v17, v18
	s_andn2_b64 exec, exec, s[24:25]
	s_cbranch_execz .LBB207_532
.LBB207_518:                            ; =>This Inner Loop Header: Depth=1
	v_add_co_u32_e64 v4, s[4:5], s87, v8
	v_addc_co_u32_e64 v5, s[4:5], 0, v9, s[4:5]
	v_cmp_gt_u64_e64 s[4:5], s[64:65], v[4:5]
	v_mov_b32_e32 v18, 0
	s_and_saveexec_b64 s[6:7], s[4:5]
	s_cbranch_execz .LBB207_520
; %bb.519:                              ;   in Loop: Header=BB207_518 Depth=1
	v_mul_lo_u32 v2, v5, s62
	v_mul_lo_u32 v18, v4, s63
	v_mad_u64_u32 v[10:11], s[4:5], v4, s62, 0
	v_add3_u32 v11, v11, v18, v2
	v_lshlrev_b64 v[10:11], 1, v[10:11]
	v_mov_b32_e32 v2, s86
	v_add_co_u32_e64 v10, s[4:5], s33, v10
	v_addc_co_u32_e64 v11, s[4:5], v2, v11, s[4:5]
	global_load_ushort v18, v[10:11], off
.LBB207_520:                            ;   in Loop: Header=BB207_518 Depth=1
	s_or_b64 exec, exec, s[6:7]
	v_cmp_gt_u64_e64 s[4:5], s[64:65], v[8:9]
	s_mov_b64 s[28:29], 0
	s_and_saveexec_b64 s[6:7], s[4:5]
	s_cbranch_execz .LBB207_522
; %bb.521:                              ;   in Loop: Header=BB207_518 Depth=1
	s_waitcnt vmcnt(0)
	v_cmp_lt_i16_e64 s[4:5], -1, v17
	v_cndmask_b32_e64 v2, v15, v16, s[4:5]
	v_xor_b32_sdwa v2, v2, v17 dst_sel:DWORD dst_unused:UNUSED_PAD src0_sel:DWORD src1_sel:WORD_0
	v_cmp_o_f16_e64 s[4:5], v17, v17
	v_cndmask_b32_e64 v2, v15, v2, s[4:5]
	v_cmp_gt_u32_e64 s[4:5], v2, v14
	v_cndmask_b32_e64 v10, 0, 1, s[4:5]
	v_cmp_lt_u32_e64 s[4:5], v2, v14
	v_cndmask_b32_e64 v2, 0, 1, s[4:5]
	v_cndmask_b32_e64 v2, v2, v10, s[42:43]
	v_and_b32_e32 v2, 1, v2
	v_cmp_eq_u32_e64 s[4:5], 1, v2
	s_and_b64 s[28:29], s[4:5], exec
.LBB207_522:                            ;   in Loop: Header=BB207_518 Depth=1
	s_or_b64 exec, exec, s[6:7]
	v_cndmask_b32_e64 v2, 0, 1, s[28:29]
	v_cmp_ne_u32_e64 s[4:5], 0, v2
	s_cmp_lg_u64 s[4:5], 0
	s_cselect_b64 s[6:7], -1, 0
	s_and_b64 s[6:7], s[92:93], s[6:7]
	s_and_saveexec_b64 s[30:31], s[6:7]
	s_cbranch_execz .LBB207_526
; %bb.523:                              ;   in Loop: Header=BB207_518 Depth=1
	s_mov_b64 s[36:37], exec
	v_mbcnt_lo_u32_b32 v2, s36, 0
	v_mbcnt_hi_u32_b32 v10, s37, v2
	s_bcnt1_i32_b64 s40, s[4:5]
	v_cmp_eq_u32_e64 s[6:7], 0, v10
                                        ; implicit-def: $vgpr6_vgpr7
	s_and_saveexec_b64 s[34:35], s[6:7]
	s_cbranch_execz .LBB207_525
; %bb.524:                              ;   in Loop: Header=BB207_518 Depth=1
	s_bcnt1_i32_b64 s6, s[36:37]
	s_mul_i32 s6, s40, s6
	v_mov_b32_e32 v2, s6
	s_waitcnt lgkmcnt(0)
	ds_add_rtn_u64 v[6:7], v3, v[2:3] offset:5136
.LBB207_525:                            ;   in Loop: Header=BB207_518 Depth=1
	s_or_b64 exec, exec, s[34:35]
	s_waitcnt lgkmcnt(0)
	v_readfirstlane_b32 s6, v7
	v_readfirstlane_b32 s7, v6
	v_mov_b32_e32 v6, s7
	v_mov_b32_e32 v7, s6
	v_mad_u64_u32 v[6:7], s[6:7], s40, v10, v[6:7]
.LBB207_526:                            ;   in Loop: Header=BB207_518 Depth=1
	s_or_b64 exec, exec, s[30:31]
	s_waitcnt lgkmcnt(0)
	ds_bpermute_b32 v6, v23, v6
	ds_bpermute_b32 v7, v23, v7
	s_mov_b64 s[6:7], -1
	s_mov_b64 s[34:35], -1
	s_and_saveexec_b64 s[30:31], s[28:29]
	s_cbranch_execz .LBB207_530
; %bb.527:                              ;   in Loop: Header=BB207_518 Depth=1
	v_and_b32_e32 v10, s4, v25
	v_and_b32_e32 v2, s5, v24
	v_bcnt_u32_b32 v10, v10, 0
	v_bcnt_u32_b32 v2, v2, v10
	s_waitcnt lgkmcnt(0)
	v_add_co_u32_e64 v10, s[4:5], v6, v2
	v_addc_co_u32_e64 v11, s[4:5], 0, v7, s[4:5]
	v_cmp_gt_u64_e64 s[4:5], s[66:67], v[10:11]
	s_mov_b64 s[28:29], 0
	s_and_saveexec_b64 s[34:35], s[4:5]
	s_cbranch_execz .LBB207_529
; %bb.528:                              ;   in Loop: Header=BB207_518 Depth=1
	v_mul_lo_u32 v2, v11, s18
	v_mul_lo_u32 v21, v10, s19
	v_mad_u64_u32 v[19:20], s[4:5], v10, s18, 0
	v_mul_lo_u32 v22, v11, s20
	v_mul_lo_u32 v26, v10, s21
	v_mad_u64_u32 v[10:11], s[4:5], v10, s20, 0
	v_add3_u32 v20, v20, v21, v2
	v_lshlrev_b64 v[19:20], 1, v[19:20]
	v_add3_u32 v11, v11, v26, v22
	v_mov_b32_e32 v2, s1
	v_add_co_u32_e64 v19, s[4:5], s0, v19
	v_lshlrev_b64 v[10:11], 3, v[10:11]
	v_addc_co_u32_e64 v20, s[4:5], v2, v20, s[4:5]
	v_mov_b32_e32 v2, s39
	v_add_co_u32_e64 v10, s[4:5], s38, v10
	s_mov_b64 s[28:29], exec
	v_addc_co_u32_e64 v11, s[4:5], v2, v11, s[4:5]
	s_waitcnt vmcnt(0)
	global_store_short v[19:20], v17, off
	global_store_dwordx2 v[10:11], v[8:9], off
.LBB207_529:                            ;   in Loop: Header=BB207_518 Depth=1
	s_or_b64 exec, exec, s[34:35]
	s_orn2_b64 s[34:35], s[28:29], exec
.LBB207_530:                            ;   in Loop: Header=BB207_518 Depth=1
	s_or_b64 exec, exec, s[30:31]
	s_mov_b64 s[28:29], -1
	s_and_saveexec_b64 s[30:31], s[34:35]
	s_cbranch_execz .LBB207_517
; %bb.531:                              ;   in Loop: Header=BB207_518 Depth=1
	v_cmp_le_u64_e64 s[4:5], s[8:9], v[4:5]
	s_xor_b64 s[28:29], exec, -1
	s_orn2_b64 s[6:7], s[4:5], exec
	s_branch .LBB207_517
.LBB207_532:
	s_or_b64 exec, exec, s[24:25]
	s_mov_b64 s[4:5], exec
	s_orn2_b64 s[24:25], s[26:27], exec
	s_or_b64 exec, exec, s[22:23]
	s_and_saveexec_b64 s[6:7], s[24:25]
	s_cbranch_execz .LBB207_507
.LBB207_533:
	v_mov_b32_e32 v15, 0
	s_waitcnt vmcnt(0) lgkmcnt(0)
	s_barrier
	s_mov_b64 s[2:3], exec
	v_readlane_b32 s22, v47, 28
	v_readlane_b32 s23, v47, 29
	s_and_b64 s[22:23], s[2:3], s[22:23]
	s_mov_b64 exec, s[22:23]
	s_cbranch_execz .LBB207_535
; %bb.534:
	global_load_ushort v15, v[12:13], off
.LBB207_535:
	s_or_b64 exec, exec, s[2:3]
	s_mov_b64 s[2:3], 0
	s_and_saveexec_b64 s[22:23], vcc
	s_cbranch_execz .LBB207_555
; %bb.536:
	s_mov_b64 s[24:25], 0
	v_mov_b32_e32 v10, 0xffff
	v_mov_b32_e32 v11, 0x8000
	;; [unrolled: 1-line block ×3, first 2 shown]
                                        ; implicit-def: $sgpr26_sgpr27
                                        ; implicit-def: $vgpr6_vgpr7
	s_branch .LBB207_539
.LBB207_537:                            ;   in Loop: Header=BB207_539 Depth=1
	s_or_b64 exec, exec, s[30:31]
	s_orn2_b64 s[34:35], s[36:37], exec
	s_orn2_b64 s[30:31], s[28:29], exec
.LBB207_538:                            ;   in Loop: Header=BB207_539 Depth=1
	s_or_b64 exec, exec, s[2:3]
	s_xor_b64 s[2:3], s[34:35], -1
	s_and_b64 s[28:29], exec, s[30:31]
	s_or_b64 s[24:25], s[28:29], s[24:25]
	s_andn2_b64 s[26:27], s[26:27], exec
	s_and_b64 s[2:3], s[2:3], exec
	v_mov_b32_e32 v0, v4
	s_or_b64 s[26:27], s[26:27], s[2:3]
	v_mov_b32_e32 v1, v5
	v_mov_b32_e32 v15, v12
	s_andn2_b64 exec, exec, s[24:25]
	s_cbranch_execz .LBB207_553
.LBB207_539:                            ; =>This Inner Loop Header: Depth=1
	v_add_co_u32_e32 v4, vcc, s87, v0
	v_addc_co_u32_e32 v5, vcc, 0, v1, vcc
	v_cmp_gt_u64_e32 vcc, s[64:65], v[4:5]
	v_mov_b32_e32 v12, 0
	s_and_saveexec_b64 s[2:3], vcc
	s_cbranch_execz .LBB207_541
; %bb.540:                              ;   in Loop: Header=BB207_539 Depth=1
	v_mul_lo_u32 v2, v5, s62
	v_mul_lo_u32 v12, v4, s63
	v_mad_u64_u32 v[8:9], s[28:29], v4, s62, 0
	v_add3_u32 v9, v9, v12, v2
	v_lshlrev_b64 v[8:9], 1, v[8:9]
	v_mov_b32_e32 v2, s86
	v_add_co_u32_e32 v8, vcc, s33, v8
	v_addc_co_u32_e32 v9, vcc, v2, v9, vcc
	global_load_ushort v12, v[8:9], off
.LBB207_541:                            ;   in Loop: Header=BB207_539 Depth=1
	s_or_b64 exec, exec, s[2:3]
	s_waitcnt vmcnt(0)
	v_cmp_lt_i16_e64 s[2:3], -1, v15
	v_cndmask_b32_e64 v2, v10, v11, s[2:3]
	v_xor_b32_sdwa v2, v2, v15 dst_sel:DWORD dst_unused:UNUSED_PAD src0_sel:DWORD src1_sel:WORD_0
	v_cmp_o_f16_e64 s[2:3], v15, v15
	v_cmp_gt_u64_e32 vcc, s[64:65], v[0:1]
	v_cndmask_b32_e64 v2, v10, v2, s[2:3]
	v_cmp_eq_u32_e64 s[2:3], v2, v14
	s_and_b64 s[28:29], vcc, s[2:3]
	v_cndmask_b32_e64 v2, 0, 1, s[28:29]
	v_cmp_ne_u32_e32 vcc, 0, v2
	s_cmp_lg_u64 vcc, 0
	s_cselect_b64 s[2:3], -1, 0
	s_and_b64 s[2:3], s[92:93], s[2:3]
	s_and_saveexec_b64 s[30:31], s[2:3]
	s_cbranch_execz .LBB207_545
; %bb.542:                              ;   in Loop: Header=BB207_539 Depth=1
	s_mov_b64 s[36:37], exec
	v_mbcnt_lo_u32_b32 v2, s36, 0
	v_mbcnt_hi_u32_b32 v8, s37, v2
	s_bcnt1_i32_b64 s40, vcc
	v_cmp_eq_u32_e64 s[2:3], 0, v8
                                        ; implicit-def: $vgpr6_vgpr7
	s_and_saveexec_b64 s[34:35], s[2:3]
; %bb.543:                              ;   in Loop: Header=BB207_539 Depth=1
	s_bcnt1_i32_b64 s2, s[36:37]
	s_mul_i32 s2, s40, s2
	v_mov_b32_e32 v2, s2
	ds_add_rtn_u64 v[6:7], v3, v[2:3] offset:5136
; %bb.544:                              ;   in Loop: Header=BB207_539 Depth=1
	s_or_b64 exec, exec, s[34:35]
	s_waitcnt lgkmcnt(0)
	v_readfirstlane_b32 s2, v7
	v_readfirstlane_b32 s3, v6
	v_mov_b32_e32 v6, s3
	v_mov_b32_e32 v7, s2
	v_mad_u64_u32 v[6:7], s[2:3], s40, v8, v[6:7]
.LBB207_545:                            ;   in Loop: Header=BB207_539 Depth=1
	s_or_b64 exec, exec, s[30:31]
	ds_bpermute_b32 v6, v23, v6
	ds_bpermute_b32 v7, v23, v7
	s_cmp_eq_u64 vcc, 0
	s_cselect_b64 s[34:35], -1, 0
	s_mov_b64 s[30:31], -1
	s_waitcnt lgkmcnt(0)
	v_cmp_gt_u64_e64 s[2:3], s[66:67], v[6:7]
	s_or_b64 s[36:37], s[34:35], s[2:3]
	s_mov_b64 s[34:35], -1
	s_and_saveexec_b64 s[2:3], s[36:37]
	s_cbranch_execz .LBB207_538
; %bb.546:                              ;   in Loop: Header=BB207_539 Depth=1
	v_and_b32_e32 v8, vcc_lo, v25
	v_and_b32_e32 v2, vcc_hi, v24
	v_bcnt_u32_b32 v8, v8, 0
	v_bcnt_u32_b32 v2, v2, v8
	v_mov_b32_e32 v9, s67
	v_sub_co_u32_e32 v8, vcc, s66, v6
	v_subb_co_u32_e32 v9, vcc, v9, v7, vcc
	v_cmp_gt_u64_e32 vcc, v[8:9], v[2:3]
	s_mov_b64 s[36:37], -1
	s_and_b64 s[40:41], s[28:29], vcc
	s_mov_b64 s[28:29], -1
	s_and_saveexec_b64 s[30:31], s[40:41]
	s_cbranch_execz .LBB207_550
; %bb.547:                              ;   in Loop: Header=BB207_539 Depth=1
	v_add_co_u32_e32 v8, vcc, v6, v2
	v_addc_co_u32_e32 v9, vcc, 0, v7, vcc
	v_cmp_gt_u64_e32 vcc, s[66:67], v[8:9]
	s_mov_b64 s[34:35], 0
	s_and_saveexec_b64 s[36:37], vcc
; %bb.548:                              ;   in Loop: Header=BB207_539 Depth=1
	v_mul_lo_u32 v2, v9, s18
	v_mul_lo_u32 v13, v8, s19
	v_mad_u64_u32 v[16:17], s[40:41], v8, s18, 0
	v_mul_lo_u32 v18, v9, s20
	v_mul_lo_u32 v19, v8, s21
	v_mad_u64_u32 v[8:9], s[40:41], v8, s20, 0
	v_add3_u32 v17, v17, v13, v2
	v_lshlrev_b64 v[16:17], 1, v[16:17]
	v_add3_u32 v9, v9, v19, v18
	v_mov_b32_e32 v2, s1
	v_add_co_u32_e32 v16, vcc, s0, v16
	v_lshlrev_b64 v[8:9], 3, v[8:9]
	v_addc_co_u32_e32 v17, vcc, v2, v17, vcc
	v_mov_b32_e32 v2, s39
	v_add_co_u32_e32 v8, vcc, s38, v8
	s_mov_b64 s[34:35], exec
	v_addc_co_u32_e32 v9, vcc, v2, v9, vcc
	global_store_short v[16:17], v15, off
	global_store_dwordx2 v[8:9], v[0:1], off
; %bb.549:                              ;   in Loop: Header=BB207_539 Depth=1
	s_or_b64 exec, exec, s[36:37]
	s_xor_b64 s[36:37], exec, -1
	s_orn2_b64 s[34:35], s[34:35], exec
.LBB207_550:                            ;   in Loop: Header=BB207_539 Depth=1
	s_or_b64 exec, exec, s[30:31]
	s_and_saveexec_b64 s[30:31], s[34:35]
	s_cbranch_execz .LBB207_537
; %bb.551:                              ;   in Loop: Header=BB207_539 Depth=1
	v_cmp_le_u64_e32 vcc, s[8:9], v[4:5]
	s_or_b64 s[36:37], s[36:37], exec
	s_orn2_b64 s[28:29], vcc, exec
	s_branch .LBB207_537
.LBB207_552:
	s_or_b64 s[6:7], s[6:7], exec
	s_trap 2
	s_branch .LBB207_514
.LBB207_553:
	s_or_b64 exec, exec, s[24:25]
	s_mov_b64 s[0:1], 0
	s_and_saveexec_b64 s[2:3], s[26:27]
	s_xor_b64 s[2:3], exec, s[2:3]
	s_cbranch_execnz .LBB207_559
.LBB207_554:
	s_or_b64 exec, exec, s[2:3]
	s_and_b64 s[2:3], s[0:1], exec
.LBB207_555:
	s_or_b64 exec, exec, s[22:23]
	s_and_b64 s[2:3], s[2:3], exec
	s_andn2_b64 s[4:5], s[4:5], exec
	s_or_b64 exec, exec, s[6:7]
	s_and_saveexec_b64 s[0:1], s[4:5]
	s_xor_b64 s[0:1], exec, s[0:1]
	s_cbranch_execz .LBB207_508
.LBB207_556:
	s_trap 2
	s_or_b64 s[2:3], s[2:3], exec
	s_branch .LBB207_508
.LBB207_557:
	s_or_b64 s[6:7], s[6:7], exec
	s_trap 2
	s_branch .LBB207_512
.LBB207_558:
	s_trap 2
	s_or_b64 s[6:7], s[6:7], exec
	s_branch .LBB207_510
.LBB207_559:
	s_mov_b64 s[0:1], exec
	s_trap 2
	s_branch .LBB207_554
	.section	.rodata,"a",@progbits
	.p2align	6, 0x0
	.amdhsa_kernel _ZN2at6native6sbtopk10gatherTopKIN3c104HalfEmLi2ELb0EEEvNS_4cuda6detail10TensorInfoIKT_T0_EESA_SA_bSA_SA_NS7_IS8_SA_EESA_NS7_IlSA_EESA_PS8_
		.amdhsa_group_segment_fixed_size 5152
		.amdhsa_private_segment_fixed_size 0
		.amdhsa_kernarg_size 1568
		.amdhsa_user_sgpr_count 6
		.amdhsa_user_sgpr_private_segment_buffer 1
		.amdhsa_user_sgpr_dispatch_ptr 0
		.amdhsa_user_sgpr_queue_ptr 0
		.amdhsa_user_sgpr_kernarg_segment_ptr 1
		.amdhsa_user_sgpr_dispatch_id 0
		.amdhsa_user_sgpr_flat_scratch_init 0
		.amdhsa_user_sgpr_private_segment_size 0
		.amdhsa_uses_dynamic_stack 0
		.amdhsa_system_sgpr_private_segment_wavefront_offset 0
		.amdhsa_system_sgpr_workgroup_id_x 1
		.amdhsa_system_sgpr_workgroup_id_y 1
		.amdhsa_system_sgpr_workgroup_id_z 1
		.amdhsa_system_sgpr_workgroup_info 0
		.amdhsa_system_vgpr_workitem_id 0
		.amdhsa_next_free_vgpr 48
		.amdhsa_next_free_sgpr 96
		.amdhsa_reserve_vcc 1
		.amdhsa_reserve_flat_scratch 0
		.amdhsa_float_round_mode_32 0
		.amdhsa_float_round_mode_16_64 0
		.amdhsa_float_denorm_mode_32 3
		.amdhsa_float_denorm_mode_16_64 3
		.amdhsa_dx10_clamp 1
		.amdhsa_ieee_mode 1
		.amdhsa_fp16_overflow 0
		.amdhsa_exception_fp_ieee_invalid_op 0
		.amdhsa_exception_fp_denorm_src 0
		.amdhsa_exception_fp_ieee_div_zero 0
		.amdhsa_exception_fp_ieee_overflow 0
		.amdhsa_exception_fp_ieee_underflow 0
		.amdhsa_exception_fp_ieee_inexact 0
		.amdhsa_exception_int_div_zero 0
	.end_amdhsa_kernel
	.section	.text._ZN2at6native6sbtopk10gatherTopKIN3c104HalfEmLi2ELb0EEEvNS_4cuda6detail10TensorInfoIKT_T0_EESA_SA_bSA_SA_NS7_IS8_SA_EESA_NS7_IlSA_EESA_PS8_,"axG",@progbits,_ZN2at6native6sbtopk10gatherTopKIN3c104HalfEmLi2ELb0EEEvNS_4cuda6detail10TensorInfoIKT_T0_EESA_SA_bSA_SA_NS7_IS8_SA_EESA_NS7_IlSA_EESA_PS8_,comdat
.Lfunc_end207:
	.size	_ZN2at6native6sbtopk10gatherTopKIN3c104HalfEmLi2ELb0EEEvNS_4cuda6detail10TensorInfoIKT_T0_EESA_SA_bSA_SA_NS7_IS8_SA_EESA_NS7_IlSA_EESA_PS8_, .Lfunc_end207-_ZN2at6native6sbtopk10gatherTopKIN3c104HalfEmLi2ELb0EEEvNS_4cuda6detail10TensorInfoIKT_T0_EESA_SA_bSA_SA_NS7_IS8_SA_EESA_NS7_IlSA_EESA_PS8_
                                        ; -- End function
	.set _ZN2at6native6sbtopk10gatherTopKIN3c104HalfEmLi2ELb0EEEvNS_4cuda6detail10TensorInfoIKT_T0_EESA_SA_bSA_SA_NS7_IS8_SA_EESA_NS7_IlSA_EESA_PS8_.num_vgpr, 48
	.set _ZN2at6native6sbtopk10gatherTopKIN3c104HalfEmLi2ELb0EEEvNS_4cuda6detail10TensorInfoIKT_T0_EESA_SA_bSA_SA_NS7_IS8_SA_EESA_NS7_IlSA_EESA_PS8_.num_agpr, 0
	.set _ZN2at6native6sbtopk10gatherTopKIN3c104HalfEmLi2ELb0EEEvNS_4cuda6detail10TensorInfoIKT_T0_EESA_SA_bSA_SA_NS7_IS8_SA_EESA_NS7_IlSA_EESA_PS8_.numbered_sgpr, 96
	.set _ZN2at6native6sbtopk10gatherTopKIN3c104HalfEmLi2ELb0EEEvNS_4cuda6detail10TensorInfoIKT_T0_EESA_SA_bSA_SA_NS7_IS8_SA_EESA_NS7_IlSA_EESA_PS8_.num_named_barrier, 0
	.set _ZN2at6native6sbtopk10gatherTopKIN3c104HalfEmLi2ELb0EEEvNS_4cuda6detail10TensorInfoIKT_T0_EESA_SA_bSA_SA_NS7_IS8_SA_EESA_NS7_IlSA_EESA_PS8_.private_seg_size, 0
	.set _ZN2at6native6sbtopk10gatherTopKIN3c104HalfEmLi2ELb0EEEvNS_4cuda6detail10TensorInfoIKT_T0_EESA_SA_bSA_SA_NS7_IS8_SA_EESA_NS7_IlSA_EESA_PS8_.uses_vcc, 1
	.set _ZN2at6native6sbtopk10gatherTopKIN3c104HalfEmLi2ELb0EEEvNS_4cuda6detail10TensorInfoIKT_T0_EESA_SA_bSA_SA_NS7_IS8_SA_EESA_NS7_IlSA_EESA_PS8_.uses_flat_scratch, 0
	.set _ZN2at6native6sbtopk10gatherTopKIN3c104HalfEmLi2ELb0EEEvNS_4cuda6detail10TensorInfoIKT_T0_EESA_SA_bSA_SA_NS7_IS8_SA_EESA_NS7_IlSA_EESA_PS8_.has_dyn_sized_stack, 0
	.set _ZN2at6native6sbtopk10gatherTopKIN3c104HalfEmLi2ELb0EEEvNS_4cuda6detail10TensorInfoIKT_T0_EESA_SA_bSA_SA_NS7_IS8_SA_EESA_NS7_IlSA_EESA_PS8_.has_recursion, 0
	.set _ZN2at6native6sbtopk10gatherTopKIN3c104HalfEmLi2ELb0EEEvNS_4cuda6detail10TensorInfoIKT_T0_EESA_SA_bSA_SA_NS7_IS8_SA_EESA_NS7_IlSA_EESA_PS8_.has_indirect_call, 0
	.section	.AMDGPU.csdata,"",@progbits
; Kernel info:
; codeLenInByte = 27428
; TotalNumSgprs: 100
; NumVgprs: 48
; ScratchSize: 0
; MemoryBound: 0
; FloatMode: 240
; IeeeMode: 1
; LDSByteSize: 5152 bytes/workgroup (compile time only)
; SGPRBlocks: 12
; VGPRBlocks: 11
; NumSGPRsForWavesPerEU: 100
; NumVGPRsForWavesPerEU: 48
; Occupancy: 5
; WaveLimiterHint : 1
; COMPUTE_PGM_RSRC2:SCRATCH_EN: 0
; COMPUTE_PGM_RSRC2:USER_SGPR: 6
; COMPUTE_PGM_RSRC2:TRAP_HANDLER: 0
; COMPUTE_PGM_RSRC2:TGID_X_EN: 1
; COMPUTE_PGM_RSRC2:TGID_Y_EN: 1
; COMPUTE_PGM_RSRC2:TGID_Z_EN: 1
; COMPUTE_PGM_RSRC2:TIDIG_COMP_CNT: 0
	.section	.text._ZN2at6native6mbtopk23computeBlockDigitCountsIN3c104HalfEmjLi3EEEvNS_4cuda6detail10TensorInfoIKT_T0_EEjPjjSA_iijT1_PSD_Ps,"axG",@progbits,_ZN2at6native6mbtopk23computeBlockDigitCountsIN3c104HalfEmjLi3EEEvNS_4cuda6detail10TensorInfoIKT_T0_EEjPjjSA_iijT1_PSD_Ps,comdat
	.protected	_ZN2at6native6mbtopk23computeBlockDigitCountsIN3c104HalfEmjLi3EEEvNS_4cuda6detail10TensorInfoIKT_T0_EEjPjjSA_iijT1_PSD_Ps ; -- Begin function _ZN2at6native6mbtopk23computeBlockDigitCountsIN3c104HalfEmjLi3EEEvNS_4cuda6detail10TensorInfoIKT_T0_EEjPjjSA_iijT1_PSD_Ps
	.globl	_ZN2at6native6mbtopk23computeBlockDigitCountsIN3c104HalfEmjLi3EEEvNS_4cuda6detail10TensorInfoIKT_T0_EEjPjjSA_iijT1_PSD_Ps
	.p2align	8
	.type	_ZN2at6native6mbtopk23computeBlockDigitCountsIN3c104HalfEmjLi3EEEvNS_4cuda6detail10TensorInfoIKT_T0_EEjPjjSA_iijT1_PSD_Ps,@function
_ZN2at6native6mbtopk23computeBlockDigitCountsIN3c104HalfEmjLi3EEEvNS_4cuda6detail10TensorInfoIKT_T0_EEjPjjSA_iijT1_PSD_Ps: ; @_ZN2at6native6mbtopk23computeBlockDigitCountsIN3c104HalfEmjLi3EEEvNS_4cuda6detail10TensorInfoIKT_T0_EEjPjjSA_iijT1_PSD_Ps
; %bb.0:
	s_load_dwordx4 s[0:3], s[4:5], 0x1c0
	s_load_dword s9, s[4:5], 0x1b0
	s_load_dwordx2 s[10:11], s[4:5], 0x1e0
	s_mov_b32 s21, 0
	s_waitcnt lgkmcnt(0)
	v_cvt_f32_u32_e32 v1, s2
	s_mul_i32 s8, s11, s8
	s_add_i32 s7, s8, s7
	v_rcp_iflag_f32_e32 v1, v1
	s_mul_i32 s24, s7, s10
	s_sub_i32 s11, 0, s2
	s_add_i32 s24, s24, s6
	v_mul_f32_e32 v1, 0x4f7ffffe, v1
	v_cvt_u32_f32_e32 v1, v1
	v_readfirstlane_b32 s6, v1
	s_mul_i32 s11, s11, s6
	s_mul_hi_u32 s7, s6, s11
	s_add_i32 s6, s6, s7
	s_mul_hi_u32 s6, s24, s6
	s_mul_i32 s7, s6, s2
	s_sub_i32 s7, s24, s7
	s_add_i32 s8, s6, 1
	s_sub_i32 s10, s7, s2
	s_cmp_ge_u32 s7, s2
	s_cselect_b32 s6, s8, s6
	s_cselect_b32 s7, s10, s7
	s_add_i32 s8, s6, 1
	s_cmp_ge_u32 s7, s2
	s_cselect_b32 s20, s8, s6
	s_cmp_ge_u32 s20, s9
	s_cbranch_scc1 .LBB208_25
; %bb.1:
	s_load_dwordx4 s[8:11], s[4:5], 0x1d0
	s_load_dwordx4 s[12:15], s[4:5], 0x10
	s_lshl_b64 s[16:17], s[20:21], 2
	s_mov_b64 s[6:7], 0
	s_waitcnt lgkmcnt(0)
	s_add_u32 s22, s8, s16
	v_mov_b32_e32 v1, s14
	v_mov_b32_e32 v2, s15
	v_cmp_lt_u64_e32 vcc, s[20:21], v[1:2]
	s_addc_u32 s23, s9, s17
	s_mov_b64 s[8:9], 0
	s_cbranch_vccnz .LBB208_3
; %bb.2:
	v_cvt_f32_u32_e32 v1, s14
	s_sub_i32 s7, 0, s14
	s_mov_b32 s9, 0
	v_rcp_iflag_f32_e32 v1, v1
	v_mul_f32_e32 v1, 0x4f7ffffe, v1
	v_cvt_u32_f32_e32 v1, v1
	v_readfirstlane_b32 s8, v1
	s_mul_i32 s7, s7, s8
	s_mul_hi_u32 s7, s8, s7
	s_add_i32 s8, s8, s7
	s_mul_hi_u32 s7, s20, s8
	s_mul_i32 s16, s7, s14
	s_sub_i32 s16, s20, s16
	s_add_i32 s8, s7, 1
	s_sub_i32 s17, s16, s14
	s_cmp_ge_u32 s16, s14
	s_cselect_b32 s7, s8, s7
	s_cselect_b32 s16, s17, s16
	s_add_i32 s8, s7, 1
	s_cmp_ge_u32 s16, s14
	s_cselect_b32 s8, s8, s7
.LBB208_3:
	v_mov_b32_e32 v1, s12
	v_mov_b32_e32 v2, s13
	v_cmp_lt_u64_e32 vcc, s[8:9], v[1:2]
	s_cbranch_vccnz .LBB208_5
; %bb.4:
	v_cvt_f32_u32_e32 v1, s12
	s_sub_i32 s6, 0, s12
	v_rcp_iflag_f32_e32 v1, v1
	v_mul_f32_e32 v1, 0x4f7ffffe, v1
	v_cvt_u32_f32_e32 v1, v1
	v_readfirstlane_b32 s7, v1
	s_mul_i32 s6, s6, s7
	s_mul_hi_u32 s6, s7, s6
	s_add_i32 s7, s7, s6
	s_mul_hi_u32 s6, s8, s7
	s_mul_i32 s16, s6, s12
	s_sub_i32 s16, s8, s16
	s_add_i32 s7, s6, 1
	s_sub_i32 s17, s16, s12
	s_cmp_ge_u32 s16, s12
	s_cselect_b32 s6, s7, s6
	s_cselect_b32 s16, s17, s16
	s_add_i32 s7, s6, 1
	s_cmp_ge_u32 s16, s12
	s_cselect_b32 s6, s7, s6
.LBB208_5:
	s_movk_i32 s7, 0x100
	v_cmp_gt_u32_e32 vcc, s7, v0
	v_lshlrev_b32_e32 v1, 2, v0
	s_and_saveexec_b64 s[16:17], vcc
; %bb.6:
	v_mov_b32_e32 v2, 0
	ds_write_b32 v1, v2
; %bb.7:
	s_or_b64 exec, exec, s[16:17]
	s_load_dword s21, s[4:5], 0x1a0
	s_mul_i32 s7, s20, s2
	s_sub_i32 s7, s24, s7
	s_add_i32 s18, s7, 1
	s_mul_i32 s7, s1, s7
	s_lshl_b32 s7, s7, 8
	s_waitcnt lgkmcnt(0)
	s_sub_i32 s16, s21, s7
	s_add_u32 s16, s16, 0xff
	s_addc_u32 s17, 0, 0
	s_lshr_b64 s[16:17], s[16:17], 8
	s_cmp_lt_u32 s18, s2
	s_cselect_b32 s25, s1, s16
	s_cmp_lt_i32 s25, 1
	s_mov_b32 s1, 0
	s_barrier
	s_cbranch_scc1 .LBB208_23
; %bb.8:
	s_load_dwordx2 s[26:27], s[4:5], 0xe0
	s_load_dwordx4 s[16:19], s[4:5], 0xd0
	s_load_dwordx2 s[28:29], s[4:5], 0x0
	s_load_dword s2, s[22:23], 0x0
	s_mul_i32 s15, s8, s15
	s_mul_hi_u32 s22, s8, s14
	s_add_i32 s22, s22, s15
	s_mul_i32 s14, s8, s14
	s_sub_u32 s14, s20, s14
	s_subb_u32 s15, 0, s22
	s_waitcnt lgkmcnt(0)
	s_mul_i32 s20, s14, s27
	s_mul_hi_u32 s22, s14, s26
	s_add_i32 s20, s22, s20
	s_mul_i32 s15, s15, s26
	s_add_i32 s15, s20, s15
	s_mul_i32 s13, s6, s13
	s_mul_hi_u32 s20, s6, s12
	s_add_i32 s20, s20, s13
	s_mul_i32 s12, s6, s12
	s_sub_u32 s8, s8, s12
	s_subb_u32 s9, s9, s20
	s_mul_i32 s12, s8, s19
	s_mul_hi_u32 s13, s8, s18
	s_add_i32 s12, s13, s12
	s_mul_i32 s9, s9, s18
	s_add_i32 s9, s12, s9
	s_mul_i32 s12, s6, s17
	s_mul_hi_u32 s13, s6, s16
	s_add_i32 s13, s13, s12
	s_mul_i32 s12, s6, s16
	s_lshl_b64 s[12:13], s[12:13], 1
	s_mul_i32 s8, s8, s18
	s_add_u32 s6, s28, s12
	s_addc_u32 s12, s29, s13
	s_lshl_b64 s[8:9], s[8:9], 1
	s_load_dwordx2 s[4:5], s[4:5], 0x1b8
	s_mul_i32 s14, s14, s26
	s_add_u32 s6, s6, s8
	s_addc_u32 s8, s12, s9
	s_lshl_b64 s[12:13], s[14:15], 1
	s_add_u32 s9, s6, s12
	s_addc_u32 s12, s8, s13
	s_and_b32 s8, s0, 0xff
	s_cmp_eq_u32 s25, 1
	v_add_u32_e32 v2, s7, v0
	s_cbranch_scc1 .LBB208_18
; %bb.9:
	s_and_b32 s13, s25, 0x7ffffffe
	s_mov_b32 s14, 0
	v_mov_b32_e32 v3, 1
	v_mov_b32_e32 v4, 0xffff
	;; [unrolled: 1-line block ×4, first 2 shown]
	s_branch .LBB208_11
.LBB208_10:                             ;   in Loop: Header=BB208_11 Depth=1
	s_or_b64 exec, exec, s[6:7]
	s_add_i32 s14, s14, 2
	s_cmp_eq_u32 s13, s14
	v_add_u32_e32 v6, 0x200, v6
	s_cbranch_scc1 .LBB208_17
.LBB208_11:                             ; =>This Inner Loop Header: Depth=1
	v_cmp_gt_u32_e64 s[0:1], s21, v6
	s_and_saveexec_b64 s[6:7], s[0:1]
	s_cbranch_execz .LBB208_14
; %bb.12:                               ;   in Loop: Header=BB208_11 Depth=1
	s_waitcnt lgkmcnt(0)
	v_mad_u64_u32 v[7:8], s[0:1], s4, v6, 0
	v_mad_u64_u32 v[8:9], s[0:1], s5, v6, v[8:9]
	v_mov_b32_e32 v9, s12
	v_lshlrev_b64 v[7:8], 1, v[7:8]
	v_add_co_u32_e64 v7, s[0:1], s9, v7
	v_addc_co_u32_e64 v8, s[0:1], v9, v8, s[0:1]
	global_load_ushort v7, v[7:8], off
	s_waitcnt vmcnt(0)
	v_cmp_lt_i16_e64 s[0:1], -1, v7
	v_cndmask_b32_e64 v8, v4, v5, s[0:1]
	v_xor_b32_sdwa v8, v8, v7 dst_sel:DWORD dst_unused:UNUSED_PAD src0_sel:DWORD src1_sel:WORD_0
	v_cmp_o_f16_e64 s[0:1], v7, v7
	v_cndmask_b32_e64 v7, v4, v8, s[0:1]
	v_xor_b32_e32 v8, s2, v7
	v_and_b32_e32 v8, s3, v8
	v_cmp_eq_u32_e64 s[0:1], 0, v8
	s_and_b64 exec, exec, s[0:1]
; %bb.13:                               ;   in Loop: Header=BB208_11 Depth=1
	v_bfe_u32 v7, v7, s8, 8
	v_lshlrev_b32_e32 v7, 2, v7
	ds_add_u32 v7, v3
.LBB208_14:                             ;   in Loop: Header=BB208_11 Depth=1
	s_or_b64 exec, exec, s[6:7]
	v_add_u32_e32 v7, 0x100, v6
	v_cmp_gt_u32_e64 s[0:1], s21, v7
	s_and_saveexec_b64 s[6:7], s[0:1]
	s_cbranch_execz .LBB208_10
; %bb.15:                               ;   in Loop: Header=BB208_11 Depth=1
	s_waitcnt lgkmcnt(0)
	v_mad_u64_u32 v[8:9], s[0:1], s4, v7, 0
	v_mad_u64_u32 v[9:10], s[0:1], s5, v7, v[9:10]
	v_mov_b32_e32 v10, s12
	v_lshlrev_b64 v[7:8], 1, v[8:9]
	v_add_co_u32_e64 v7, s[0:1], s9, v7
	v_addc_co_u32_e64 v8, s[0:1], v10, v8, s[0:1]
	global_load_ushort v7, v[7:8], off
	s_waitcnt vmcnt(0)
	v_cmp_lt_i16_e64 s[0:1], -1, v7
	v_cndmask_b32_e64 v8, v4, v5, s[0:1]
	v_xor_b32_sdwa v8, v8, v7 dst_sel:DWORD dst_unused:UNUSED_PAD src0_sel:DWORD src1_sel:WORD_0
	v_cmp_o_f16_e64 s[0:1], v7, v7
	v_cndmask_b32_e64 v7, v4, v8, s[0:1]
	v_xor_b32_e32 v8, s2, v7
	v_and_b32_e32 v8, s3, v8
	v_cmp_eq_u32_e64 s[0:1], 0, v8
	s_and_b64 exec, exec, s[0:1]
	s_cbranch_execz .LBB208_10
; %bb.16:                               ;   in Loop: Header=BB208_11 Depth=1
	v_bfe_u32 v7, v7, s8, 8
	v_lshlrev_b32_e32 v7, 2, v7
	ds_add_u32 v7, v3
	s_branch .LBB208_10
.LBB208_17:
	s_lshl_b32 s1, s13, 8
.LBB208_18:
	s_bitcmp0_b32 s25, 0
	s_cbranch_scc1 .LBB208_23
; %bb.19:
	v_add_u32_e32 v2, s1, v2
	v_cmp_gt_u32_e64 s[0:1], s21, v2
	s_and_saveexec_b64 s[6:7], s[0:1]
	s_cbranch_execz .LBB208_22
; %bb.20:
	s_waitcnt lgkmcnt(0)
	v_mad_u64_u32 v[3:4], s[0:1], s4, v2, 0
	v_mad_u64_u32 v[4:5], s[0:1], s5, v2, v[4:5]
	v_mov_b32_e32 v5, s12
	v_lshlrev_b64 v[2:3], 1, v[3:4]
	v_mov_b32_e32 v4, 0x8000
	v_add_co_u32_e64 v2, s[0:1], s9, v2
	v_addc_co_u32_e64 v3, s[0:1], v5, v3, s[0:1]
	global_load_ushort v2, v[2:3], off
	v_mov_b32_e32 v3, 0xffff
	s_waitcnt vmcnt(0)
	v_cmp_lt_i16_e64 s[0:1], -1, v2
	v_cndmask_b32_e64 v4, v3, v4, s[0:1]
	v_xor_b32_sdwa v4, v4, v2 dst_sel:DWORD dst_unused:UNUSED_PAD src0_sel:DWORD src1_sel:WORD_0
	v_cmp_o_f16_e64 s[0:1], v2, v2
	v_cndmask_b32_e64 v2, v3, v4, s[0:1]
	v_xor_b32_e32 v3, s2, v2
	v_and_b32_e32 v3, s3, v3
	v_cmp_eq_u32_e64 s[0:1], 0, v3
	s_and_b64 exec, exec, s[0:1]
; %bb.21:
	v_bfe_u32 v2, v2, s8, 8
	v_lshlrev_b32_e32 v2, 2, v2
	v_mov_b32_e32 v3, 1
	ds_add_u32 v2, v3
.LBB208_22:
	s_or_b64 exec, exec, s[6:7]
.LBB208_23:
	s_waitcnt lgkmcnt(0)
	s_barrier
	s_and_saveexec_b64 s[0:1], vcc
	s_cbranch_execz .LBB208_25
; %bb.24:
	v_lshl_or_b32 v2, s24, 8, v0
	v_mov_b32_e32 v3, 0
	ds_read_b32 v5, v1
	v_lshlrev_b64 v[2:3], 1, v[2:3]
	v_mov_b32_e32 v4, s11
	v_add_co_u32_e32 v0, vcc, s10, v2
	v_addc_co_u32_e32 v1, vcc, v4, v3, vcc
	s_waitcnt lgkmcnt(0)
	global_store_short v[0:1], v5, off
.LBB208_25:
	s_endpgm
	.section	.rodata,"a",@progbits
	.p2align	6, 0x0
	.amdhsa_kernel _ZN2at6native6mbtopk23computeBlockDigitCountsIN3c104HalfEmjLi3EEEvNS_4cuda6detail10TensorInfoIKT_T0_EEjPjjSA_iijT1_PSD_Ps
		.amdhsa_group_segment_fixed_size 1024
		.amdhsa_private_segment_fixed_size 0
		.amdhsa_kernarg_size 736
		.amdhsa_user_sgpr_count 6
		.amdhsa_user_sgpr_private_segment_buffer 1
		.amdhsa_user_sgpr_dispatch_ptr 0
		.amdhsa_user_sgpr_queue_ptr 0
		.amdhsa_user_sgpr_kernarg_segment_ptr 1
		.amdhsa_user_sgpr_dispatch_id 0
		.amdhsa_user_sgpr_flat_scratch_init 0
		.amdhsa_user_sgpr_private_segment_size 0
		.amdhsa_uses_dynamic_stack 0
		.amdhsa_system_sgpr_private_segment_wavefront_offset 0
		.amdhsa_system_sgpr_workgroup_id_x 1
		.amdhsa_system_sgpr_workgroup_id_y 1
		.amdhsa_system_sgpr_workgroup_id_z 1
		.amdhsa_system_sgpr_workgroup_info 0
		.amdhsa_system_vgpr_workitem_id 0
		.amdhsa_next_free_vgpr 11
		.amdhsa_next_free_sgpr 30
		.amdhsa_reserve_vcc 1
		.amdhsa_reserve_flat_scratch 0
		.amdhsa_float_round_mode_32 0
		.amdhsa_float_round_mode_16_64 0
		.amdhsa_float_denorm_mode_32 3
		.amdhsa_float_denorm_mode_16_64 3
		.amdhsa_dx10_clamp 1
		.amdhsa_ieee_mode 1
		.amdhsa_fp16_overflow 0
		.amdhsa_exception_fp_ieee_invalid_op 0
		.amdhsa_exception_fp_denorm_src 0
		.amdhsa_exception_fp_ieee_div_zero 0
		.amdhsa_exception_fp_ieee_overflow 0
		.amdhsa_exception_fp_ieee_underflow 0
		.amdhsa_exception_fp_ieee_inexact 0
		.amdhsa_exception_int_div_zero 0
	.end_amdhsa_kernel
	.section	.text._ZN2at6native6mbtopk23computeBlockDigitCountsIN3c104HalfEmjLi3EEEvNS_4cuda6detail10TensorInfoIKT_T0_EEjPjjSA_iijT1_PSD_Ps,"axG",@progbits,_ZN2at6native6mbtopk23computeBlockDigitCountsIN3c104HalfEmjLi3EEEvNS_4cuda6detail10TensorInfoIKT_T0_EEjPjjSA_iijT1_PSD_Ps,comdat
.Lfunc_end208:
	.size	_ZN2at6native6mbtopk23computeBlockDigitCountsIN3c104HalfEmjLi3EEEvNS_4cuda6detail10TensorInfoIKT_T0_EEjPjjSA_iijT1_PSD_Ps, .Lfunc_end208-_ZN2at6native6mbtopk23computeBlockDigitCountsIN3c104HalfEmjLi3EEEvNS_4cuda6detail10TensorInfoIKT_T0_EEjPjjSA_iijT1_PSD_Ps
                                        ; -- End function
	.set _ZN2at6native6mbtopk23computeBlockDigitCountsIN3c104HalfEmjLi3EEEvNS_4cuda6detail10TensorInfoIKT_T0_EEjPjjSA_iijT1_PSD_Ps.num_vgpr, 11
	.set _ZN2at6native6mbtopk23computeBlockDigitCountsIN3c104HalfEmjLi3EEEvNS_4cuda6detail10TensorInfoIKT_T0_EEjPjjSA_iijT1_PSD_Ps.num_agpr, 0
	.set _ZN2at6native6mbtopk23computeBlockDigitCountsIN3c104HalfEmjLi3EEEvNS_4cuda6detail10TensorInfoIKT_T0_EEjPjjSA_iijT1_PSD_Ps.numbered_sgpr, 30
	.set _ZN2at6native6mbtopk23computeBlockDigitCountsIN3c104HalfEmjLi3EEEvNS_4cuda6detail10TensorInfoIKT_T0_EEjPjjSA_iijT1_PSD_Ps.num_named_barrier, 0
	.set _ZN2at6native6mbtopk23computeBlockDigitCountsIN3c104HalfEmjLi3EEEvNS_4cuda6detail10TensorInfoIKT_T0_EEjPjjSA_iijT1_PSD_Ps.private_seg_size, 0
	.set _ZN2at6native6mbtopk23computeBlockDigitCountsIN3c104HalfEmjLi3EEEvNS_4cuda6detail10TensorInfoIKT_T0_EEjPjjSA_iijT1_PSD_Ps.uses_vcc, 1
	.set _ZN2at6native6mbtopk23computeBlockDigitCountsIN3c104HalfEmjLi3EEEvNS_4cuda6detail10TensorInfoIKT_T0_EEjPjjSA_iijT1_PSD_Ps.uses_flat_scratch, 0
	.set _ZN2at6native6mbtopk23computeBlockDigitCountsIN3c104HalfEmjLi3EEEvNS_4cuda6detail10TensorInfoIKT_T0_EEjPjjSA_iijT1_PSD_Ps.has_dyn_sized_stack, 0
	.set _ZN2at6native6mbtopk23computeBlockDigitCountsIN3c104HalfEmjLi3EEEvNS_4cuda6detail10TensorInfoIKT_T0_EEjPjjSA_iijT1_PSD_Ps.has_recursion, 0
	.set _ZN2at6native6mbtopk23computeBlockDigitCountsIN3c104HalfEmjLi3EEEvNS_4cuda6detail10TensorInfoIKT_T0_EEjPjjSA_iijT1_PSD_Ps.has_indirect_call, 0
	.section	.AMDGPU.csdata,"",@progbits
; Kernel info:
; codeLenInByte = 1368
; TotalNumSgprs: 34
; NumVgprs: 11
; ScratchSize: 0
; MemoryBound: 0
; FloatMode: 240
; IeeeMode: 1
; LDSByteSize: 1024 bytes/workgroup (compile time only)
; SGPRBlocks: 4
; VGPRBlocks: 2
; NumSGPRsForWavesPerEU: 34
; NumVGPRsForWavesPerEU: 11
; Occupancy: 10
; WaveLimiterHint : 1
; COMPUTE_PGM_RSRC2:SCRATCH_EN: 0
; COMPUTE_PGM_RSRC2:USER_SGPR: 6
; COMPUTE_PGM_RSRC2:TRAP_HANDLER: 0
; COMPUTE_PGM_RSRC2:TGID_X_EN: 1
; COMPUTE_PGM_RSRC2:TGID_Y_EN: 1
; COMPUTE_PGM_RSRC2:TGID_Z_EN: 1
; COMPUTE_PGM_RSRC2:TIDIG_COMP_CNT: 0
	.section	.text._ZN2at6native6mbtopk10gatherTopKIN3c104HalfEmLi3EEEvNS_4cuda6detail10TensorInfoIKT_T0_EESA_SA_bjSA_NS7_IS8_SA_EESA_NS7_IlSA_EESA_jjPS8_PjSF_j,"axG",@progbits,_ZN2at6native6mbtopk10gatherTopKIN3c104HalfEmLi3EEEvNS_4cuda6detail10TensorInfoIKT_T0_EESA_SA_bjSA_NS7_IS8_SA_EESA_NS7_IlSA_EESA_jjPS8_PjSF_j,comdat
	.protected	_ZN2at6native6mbtopk10gatherTopKIN3c104HalfEmLi3EEEvNS_4cuda6detail10TensorInfoIKT_T0_EESA_SA_bjSA_NS7_IS8_SA_EESA_NS7_IlSA_EESA_jjPS8_PjSF_j ; -- Begin function _ZN2at6native6mbtopk10gatherTopKIN3c104HalfEmLi3EEEvNS_4cuda6detail10TensorInfoIKT_T0_EESA_SA_bjSA_NS7_IS8_SA_EESA_NS7_IlSA_EESA_jjPS8_PjSF_j
	.globl	_ZN2at6native6mbtopk10gatherTopKIN3c104HalfEmLi3EEEvNS_4cuda6detail10TensorInfoIKT_T0_EESA_SA_bjSA_NS7_IS8_SA_EESA_NS7_IlSA_EESA_jjPS8_PjSF_j
	.p2align	8
	.type	_ZN2at6native6mbtopk10gatherTopKIN3c104HalfEmLi3EEEvNS_4cuda6detail10TensorInfoIKT_T0_EESA_SA_bjSA_NS7_IS8_SA_EESA_NS7_IlSA_EESA_jjPS8_PjSF_j,@function
_ZN2at6native6mbtopk10gatherTopKIN3c104HalfEmLi3EEEvNS_4cuda6detail10TensorInfoIKT_T0_EESA_SA_bjSA_NS7_IS8_SA_EESA_NS7_IlSA_EESA_jjPS8_PjSF_j: ; @_ZN2at6native6mbtopk10gatherTopKIN3c104HalfEmLi3EEEvNS_4cuda6detail10TensorInfoIKT_T0_EESA_SA_bjSA_NS7_IS8_SA_EESA_NS7_IlSA_EESA_jjPS8_PjSF_j
; %bb.0:
	s_load_dwordx2 s[0:1], s[4:5], 0x538
	s_load_dword s2, s[4:5], 0x530
	s_waitcnt lgkmcnt(0)
	s_mul_i32 s1, s1, s8
	s_add_i32 s1, s1, s7
	s_mul_i32 s0, s1, s0
	s_add_i32 s0, s0, s6
	s_cmp_ge_u32 s0, s2
	s_cbranch_scc1 .LBB209_54
; %bb.1:
	s_load_dwordx2 s[34:35], s[4:5], 0x510
	s_load_dwordx4 s[8:11], s[4:5], 0x1a0
	s_load_dwordx4 s[12:15], s[4:5], 0x10
	s_mov_b32 s7, 0
	s_waitcnt lgkmcnt(0)
	v_cvt_f32_u32_e32 v1, s35
	s_sub_i32 s2, 0, s35
	s_lshl_b32 s1, s34, 8
	v_rcp_iflag_f32_e32 v1, v1
	v_mul_f32_e32 v1, 0x4f7ffffe, v1
	v_cvt_u32_f32_e32 v1, v1
	v_readfirstlane_b32 s3, v1
	s_mul_i32 s2, s2, s3
	s_mul_hi_u32 s2, s3, s2
	s_add_i32 s3, s3, s2
	s_mul_hi_u32 s2, s0, s3
	s_mul_i32 s3, s2, s35
	s_sub_i32 s3, s0, s3
	s_add_i32 s6, s2, 1
	s_sub_i32 s16, s3, s35
	s_cmp_ge_u32 s3, s35
	s_cselect_b32 s2, s6, s2
	s_cselect_b32 s3, s16, s3
	s_add_i32 s6, s2, 1
	s_cmp_ge_u32 s3, s35
	s_cselect_b32 s6, s6, s2
	s_mul_i32 s52, s6, s35
	s_sub_i32 s76, s0, s52
	s_add_i32 s0, s76, 1
	s_cmp_lt_u32 s0, s35
	s_mul_i32 s33, s76, s1
	s_cbranch_scc1 .LBB209_3
; %bb.2:
	s_sub_u32 s0, s8, s33
	s_subb_u32 s1, s9, 0
	s_add_u32 s0, s0, 0xff
	s_addc_u32 s1, s1, 0
	s_ashr_i32 s2, s1, 31
	s_lshr_b32 s2, s2, 24
	s_add_u32 s0, s0, s2
	s_addc_u32 s1, s1, 0
	s_lshr_b64 s[0:1], s[0:1], 8
	s_mov_b32 s34, s0
.LBB209_3:
	v_mov_b32_e32 v1, s14
	v_mov_b32_e32 v2, s15
	v_cmp_lt_u64_e32 vcc, s[6:7], v[1:2]
	s_mov_b64 s[50:51], 0
	s_mov_b64 s[48:49], 0
	s_cbranch_vccnz .LBB209_5
; %bb.4:
	v_cvt_f32_u32_e32 v1, s14
	s_sub_i32 s0, 0, s14
	s_mov_b32 s49, 0
	v_rcp_iflag_f32_e32 v1, v1
	v_mul_f32_e32 v1, 0x4f7ffffe, v1
	v_cvt_u32_f32_e32 v1, v1
	v_readfirstlane_b32 s1, v1
	s_mul_i32 s0, s0, s1
	s_mul_hi_u32 s0, s1, s0
	s_add_i32 s1, s1, s0
	s_mul_hi_u32 s0, s6, s1
	s_mul_i32 s2, s0, s14
	s_sub_i32 s2, s6, s2
	s_add_i32 s1, s0, 1
	s_sub_i32 s3, s2, s14
	s_cmp_ge_u32 s2, s14
	s_cselect_b32 s0, s1, s0
	s_cselect_b32 s2, s3, s2
	s_add_i32 s1, s0, 1
	s_cmp_ge_u32 s2, s14
	s_cselect_b32 s48, s1, s0
.LBB209_5:
	s_load_dwordx4 s[24:27], s[4:5], 0x1d0
	v_mov_b32_e32 v1, s12
	v_mov_b32_e32 v2, s13
	v_cmp_lt_u64_e32 vcc, s[48:49], v[1:2]
	s_cbranch_vccnz .LBB209_7
; %bb.6:
	v_cvt_f32_u32_e32 v1, s12
	s_sub_i32 s0, 0, s12
	v_rcp_iflag_f32_e32 v1, v1
	v_mul_f32_e32 v1, 0x4f7ffffe, v1
	v_cvt_u32_f32_e32 v1, v1
	v_readfirstlane_b32 s1, v1
	s_mul_i32 s0, s0, s1
	s_mul_hi_u32 s0, s1, s0
	s_add_i32 s1, s1, s0
	s_mul_hi_u32 s0, s48, s1
	s_mul_i32 s2, s0, s12
	s_sub_i32 s2, s48, s2
	s_add_i32 s1, s0, 1
	s_sub_i32 s3, s2, s12
	s_cmp_ge_u32 s2, s12
	s_cselect_b32 s0, s1, s0
	s_cselect_b32 s2, s3, s2
	s_add_i32 s1, s0, 1
	s_cmp_ge_u32 s2, s12
	s_cselect_b32 s50, s1, s0
.LBB209_7:
	s_waitcnt lgkmcnt(0)
	v_mov_b32_e32 v1, s26
	v_mov_b32_e32 v2, s27
	v_cmp_lt_u64_e32 vcc, s[6:7], v[1:2]
	s_mov_b64 s[56:57], 0
	s_mov_b64 s[54:55], 0
	s_cbranch_vccnz .LBB209_9
; %bb.8:
	v_cvt_f32_u32_e32 v1, s26
	s_sub_i32 s0, 0, s26
	s_mov_b32 s55, 0
	v_rcp_iflag_f32_e32 v1, v1
	v_mul_f32_e32 v1, 0x4f7ffffe, v1
	v_cvt_u32_f32_e32 v1, v1
	v_readfirstlane_b32 s1, v1
	s_mul_i32 s0, s0, s1
	s_mul_hi_u32 s0, s1, s0
	s_add_i32 s1, s1, s0
	s_mul_hi_u32 s0, s6, s1
	s_mul_i32 s2, s0, s26
	s_sub_i32 s2, s6, s2
	s_add_i32 s1, s0, 1
	s_sub_i32 s3, s2, s26
	s_cmp_ge_u32 s2, s26
	s_cselect_b32 s0, s1, s0
	s_cselect_b32 s2, s3, s2
	s_add_i32 s1, s0, 1
	s_cmp_ge_u32 s2, s26
	s_cselect_b32 s54, s1, s0
.LBB209_9:
	s_load_dwordx4 s[28:31], s[4:5], 0x378
	v_mov_b32_e32 v1, s24
	v_mov_b32_e32 v2, s25
	v_cmp_lt_u64_e32 vcc, s[54:55], v[1:2]
	s_cbranch_vccnz .LBB209_11
; %bb.10:
	v_cvt_f32_u32_e32 v1, s24
	s_sub_i32 s0, 0, s24
	v_rcp_iflag_f32_e32 v1, v1
	v_mul_f32_e32 v1, 0x4f7ffffe, v1
	v_cvt_u32_f32_e32 v1, v1
	v_readfirstlane_b32 s1, v1
	s_mul_i32 s0, s0, s1
	s_mul_hi_u32 s0, s1, s0
	s_add_i32 s1, s1, s0
	s_mul_hi_u32 s0, s54, s1
	s_mul_i32 s2, s0, s24
	s_sub_i32 s2, s54, s2
	s_add_i32 s1, s0, 1
	s_sub_i32 s3, s2, s24
	s_cmp_ge_u32 s2, s24
	s_cselect_b32 s0, s1, s0
	s_cselect_b32 s2, s3, s2
	s_add_i32 s1, s0, 1
	s_cmp_ge_u32 s2, s24
	s_cselect_b32 s56, s1, s0
.LBB209_11:
	s_waitcnt lgkmcnt(0)
	v_mov_b32_e32 v1, s30
	v_mov_b32_e32 v2, s31
	v_cmp_lt_u64_e32 vcc, s[6:7], v[1:2]
	s_mov_b64 s[58:59], 0
	s_mov_b64 s[60:61], 0
	s_cbranch_vccnz .LBB209_13
; %bb.12:
	v_cvt_f32_u32_e32 v1, s30
	s_sub_i32 s0, 0, s30
	s_mov_b32 s61, 0
	v_rcp_iflag_f32_e32 v1, v1
	v_mul_f32_e32 v1, 0x4f7ffffe, v1
	v_cvt_u32_f32_e32 v1, v1
	v_readfirstlane_b32 s1, v1
	s_mul_i32 s0, s0, s1
	s_mul_hi_u32 s0, s1, s0
	s_add_i32 s1, s1, s0
	s_mul_hi_u32 s0, s6, s1
	s_mul_i32 s2, s0, s30
	s_sub_i32 s2, s6, s2
	s_add_i32 s1, s0, 1
	s_sub_i32 s3, s2, s30
	s_cmp_ge_u32 s2, s30
	s_cselect_b32 s0, s1, s0
	s_cselect_b32 s2, s3, s2
	s_add_i32 s1, s0, 1
	s_cmp_ge_u32 s2, s30
	s_cselect_b32 s60, s1, s0
.LBB209_13:
	s_load_dwordx2 s[62:63], s[4:5], 0xe0
	s_load_dwordx4 s[40:43], s[4:5], 0xd0
	s_load_dwordx2 s[66:67], s[4:5], 0x2a0
	s_load_dwordx4 s[44:47], s[4:5], 0x290
	;; [unrolled: 2-line block ×3, first 2 shown]
	v_mov_b32_e32 v1, s28
	v_mov_b32_e32 v2, s29
	v_cmp_lt_u64_e32 vcc, s[60:61], v[1:2]
	s_cbranch_vccnz .LBB209_15
; %bb.14:
	v_cvt_f32_u32_e32 v1, s28
	s_sub_i32 s0, 0, s28
	v_rcp_iflag_f32_e32 v1, v1
	v_mul_f32_e32 v1, 0x4f7ffffe, v1
	v_cvt_u32_f32_e32 v1, v1
	v_readfirstlane_b32 s1, v1
	s_mul_i32 s0, s0, s1
	s_mul_hi_u32 s0, s1, s0
	s_add_i32 s1, s1, s0
	s_mul_hi_u32 s0, s60, s1
	s_mul_i32 s2, s0, s28
	s_sub_i32 s2, s60, s2
	s_add_i32 s1, s0, 1
	s_sub_i32 s3, s2, s28
	s_cmp_ge_u32 s2, s28
	s_cselect_b32 s0, s1, s0
	s_cselect_b32 s2, s3, s2
	s_add_i32 s1, s0, 1
	s_cmp_ge_u32 s2, s28
	s_cselect_b32 s58, s1, s0
.LBB209_15:
	s_load_dwordx4 s[16:19], s[4:5], 0x518
	s_load_dwordx2 s[64:65], s[4:5], 0x0
	s_lshl_b64 s[0:1], s[6:7], 1
	v_mov_b32_e32 v1, 0
	s_mov_b32 s53, 0
	s_waitcnt lgkmcnt(0)
	s_add_u32 s0, s16, s0
	s_addc_u32 s1, s17, s1
	global_load_ushort v1, v1, s[0:1]
	v_cmp_ne_u32_e64 s[0:1], 0, v0
	v_cmp_eq_u32_e64 s[2:3], 0, v0
	s_waitcnt vmcnt(0)
	v_readfirstlane_b32 s7, v1
	s_and_saveexec_b64 s[16:17], s[2:3]
	s_cbranch_execz .LBB209_31
; %bb.16:
	s_load_dwordx2 s[70:71], s[4:5], 0x528
	s_lshl_b64 s[72:73], s[52:53], 2
	s_add_u32 s20, s18, s72
	s_addc_u32 s21, s19, s73
	s_mov_b32 s51, 0
	s_waitcnt lgkmcnt(0)
	s_add_u32 s22, s70, s72
	s_addc_u32 s23, s71, s73
	s_mov_b32 s52, 0
	s_cmp_lt_u32 s35, 4
	s_cbranch_scc1 .LBB209_28
; %bb.17:
	s_mov_b32 s57, 0
.LBB209_18:                             ; =>This Inner Loop Header: Depth=1
	s_add_u32 s74, s18, s72
	s_addc_u32 s75, s19, s73
	s_load_dwordx4 s[20:23], s[74:75], 0x0
	s_add_u32 s74, s70, s72
	s_addc_u32 s75, s71, s73
	s_cmp_ge_u32 s57, s76
	s_cbranch_scc0 .LBB209_25
; %bb.19:                               ;   in Loop: Header=BB209_18 Depth=1
	s_add_i32 s59, s57, 1
	s_cmp_ge_u32 s59, s76
	s_cbranch_scc0 .LBB209_26
.LBB209_20:                             ;   in Loop: Header=BB209_18 Depth=1
	s_add_i32 s59, s59, 1
	s_cmp_ge_u32 s59, s76
	s_cbranch_scc0 .LBB209_27
.LBB209_21:                             ;   in Loop: Header=BB209_18 Depth=1
	s_add_i32 s59, s59, 1
	s_cmp_ge_u32 s59, s76
	s_cbranch_scc1 .LBB209_23
.LBB209_22:                             ;   in Loop: Header=BB209_18 Depth=1
	s_load_dword s74, s[74:75], 0xc
	s_waitcnt lgkmcnt(0)
	s_add_i32 s53, s53, s23
	s_add_i32 s51, s74, s51
.LBB209_23:                             ;   in Loop: Header=BB209_18 Depth=1
	s_waitcnt lgkmcnt(0)
	s_add_i32 s20, s20, s52
	s_add_i32 s20, s20, s21
	;; [unrolled: 1-line block ×4, first 2 shown]
	s_add_u32 s18, s18, 16
	s_addc_u32 s19, s19, 0
	s_add_u32 s70, s70, 16
	s_addc_u32 s71, s71, 0
	s_add_i32 s74, s59, 4
	s_add_u32 s22, s70, s72
	s_addc_u32 s23, s71, s73
	s_add_u32 s20, s18, s72
	s_addc_u32 s21, s19, s73
	s_add_i32 s59, s59, 1
	s_cmp_ge_u32 s74, s35
	s_cbranch_scc1 .LBB209_29
; %bb.24:                               ;   in Loop: Header=BB209_18 Depth=1
	s_mov_b32 s57, s59
	s_branch .LBB209_18
.LBB209_25:                             ;   in Loop: Header=BB209_18 Depth=1
	s_load_dword s59, s[74:75], 0x0
	s_waitcnt lgkmcnt(0)
	s_add_i32 s53, s20, s53
	s_add_i32 s51, s59, s51
	s_add_i32 s59, s57, 1
	s_cmp_ge_u32 s59, s76
	s_cbranch_scc1 .LBB209_20
.LBB209_26:                             ;   in Loop: Header=BB209_18 Depth=1
	s_load_dword s77, s[74:75], 0x4
	s_waitcnt lgkmcnt(0)
	s_add_i32 s53, s53, s21
	s_add_i32 s51, s77, s51
	;; [unrolled: 1-line block ×3, first 2 shown]
	s_cmp_ge_u32 s59, s76
	s_cbranch_scc1 .LBB209_21
.LBB209_27:                             ;   in Loop: Header=BB209_18 Depth=1
	s_load_dword s77, s[74:75], 0x8
	s_waitcnt lgkmcnt(0)
	s_add_i32 s53, s53, s22
	s_add_i32 s51, s77, s51
	s_add_i32 s59, s59, 1
	s_cmp_ge_u32 s59, s76
	s_cbranch_scc0 .LBB209_22
	s_branch .LBB209_23
.LBB209_28:
	s_mov_b32 s18, 0
	s_cmp_ge_u32 s18, s35
	s_cbranch_scc0 .LBB209_52
	s_branch .LBB209_30
.LBB209_29:
	s_add_i32 s18, s57, 4
	s_cmp_ge_u32 s18, s35
	s_cbranch_scc0 .LBB209_52
.LBB209_30:
	v_mov_b32_e32 v1, s51
	v_mov_b32_e32 v2, s52
	;; [unrolled: 1-line block ×4, first 2 shown]
	ds_write_b96 v4, v[1:3] offset:1056
.LBB209_31:
	s_or_b64 exec, exec, s[16:17]
	s_load_dwordx4 s[16:19], s[4:5], 0x1b8
	s_load_dwordx4 s[20:23], s[4:5], 0x360
	s_cmp_eq_u32 s34, 0
	s_waitcnt lgkmcnt(0)
	s_barrier
	s_cbranch_scc1 .LBB209_54
; %bb.32:
	s_mul_i32 s31, s60, s31
	s_mul_hi_u32 s35, s60, s30
	s_add_i32 s35, s35, s31
	s_mul_i32 s30, s60, s30
	s_sub_u32 s30, s6, s30
	s_subb_u32 s31, 0, s35
	s_mul_i32 s35, s30, s69
	s_mul_hi_u32 s51, s30, s68
	s_add_i32 s35, s51, s35
	s_mul_i32 s31, s31, s68
	s_add_i32 s31, s35, s31
	s_mul_i32 s25, s56, s25
	s_mul_hi_u32 s35, s56, s24
	s_add_i32 s35, s35, s25
	s_mul_i32 s24, s56, s24
	s_sub_u32 s24, s54, s24
	s_subb_u32 s25, s55, s35
	s_mul_i32 s47, s24, s47
	s_mul_hi_u32 s51, s24, s46
	s_mul_i32 s25, s25, s46
	s_mul_i32 s46, s24, s46
	s_add_i32 s24, s51, s47
	s_mul_i32 s35, s56, s45
	s_mul_hi_u32 s45, s56, s44
	s_add_i32 s47, s24, s25
	s_mul_i32 s24, s54, s27
	s_mul_hi_u32 s25, s54, s26
	s_add_i32 s45, s45, s35
	s_add_i32 s25, s25, s24
	s_mul_i32 s24, s54, s26
	s_sub_u32 s24, s6, s24
	s_subb_u32 s25, 0, s25
	s_mul_i32 s26, s24, s67
	s_mul_hi_u32 s27, s24, s66
	s_add_i32 s26, s27, s26
	s_mul_i32 s25, s25, s66
	s_add_i32 s27, s26, s25
	s_mul_i32 s26, s24, s66
	s_mul_i32 s13, s50, s13
	s_mul_hi_u32 s24, s50, s12
	s_add_i32 s24, s24, s13
	s_mul_i32 s12, s50, s12
	s_sub_u32 s12, s48, s12
	s_subb_u32 s13, s49, s24
	s_mul_i32 s24, s12, s43
	s_mul_hi_u32 s25, s12, s42
	s_add_i32 s24, s25, s24
	s_mul_i32 s13, s13, s42
	s_add_i32 s13, s24, s13
	s_mul_i32 s24, s50, s41
	s_mul_hi_u32 s25, s50, s40
	s_mul_i32 s15, s48, s15
	s_mul_hi_u32 s35, s48, s14
	s_add_i32 s25, s25, s24
	s_add_i32 s35, s35, s15
	s_mul_i32 s14, s48, s14
	s_sub_u32 s6, s6, s14
	s_subb_u32 s14, 0, s35
	s_mul_i32 s15, s6, s63
	s_mul_hi_u32 s35, s6, s62
	s_add_i32 s15, s35, s15
	s_mul_i32 s14, s14, s62
	s_add_i32 s15, s15, s14
	s_mul_i32 s14, s6, s62
	s_mul_i32 s6, s58, s29
	s_mul_hi_u32 s29, s58, s28
	s_add_i32 s29, s29, s6
	s_mul_i32 s6, s58, s28
	s_sub_u32 s6, s60, s6
	s_subb_u32 s28, s61, s29
	s_mul_i32 s29, s6, s39
	s_mul_hi_u32 s35, s6, s38
	s_add_i32 s29, s35, s29
	s_mul_i32 s28, s28, s38
	s_mul_i32 s24, s50, s40
	s_add_i32 s29, s29, s28
	s_mul_i32 s28, s6, s38
	s_mul_i32 s6, s58, s37
	s_mul_hi_u32 s35, s58, s36
	s_add_i32 s37, s35, s6
	s_lshl_b64 s[24:25], s[24:25], 1
	s_mul_i32 s12, s12, s42
	s_add_u32 s6, s64, s24
	s_addc_u32 s24, s65, s25
	s_lshl_b64 s[12:13], s[12:13], 1
	s_add_u32 s6, s6, s12
	s_addc_u32 s25, s24, s13
	s_lshl_b64 s[12:13], s[14:15], 1
	s_mul_i32 s44, s56, s44
	s_add_u32 s24, s6, s12
	s_addc_u32 s25, s25, s13
	s_lshl_b64 s[12:13], s[44:45], 1
	s_add_u32 s6, s18, s12
	s_addc_u32 s14, s19, s13
	s_lshl_b64 s[12:13], s[46:47], 1
	;; [unrolled: 3-line block ×3, first 2 shown]
	s_mul_i32 s36, s58, s36
	s_add_u32 s18, s6, s12
	s_addc_u32 s19, s14, s13
	s_lshl_b64 s[12:13], s[36:37], 3
	s_add_u32 s6, s22, s12
	s_addc_u32 s14, s23, s13
	s_lshl_b64 s[12:13], s[28:29], 3
	s_mul_i32 s30, s30, s68
	s_add_u32 s6, s6, s12
	s_addc_u32 s14, s14, s13
	s_lshl_b64 s[12:13], s[30:31], 3
	v_mov_b32_e32 v5, 0
	s_add_u32 s22, s6, s12
	ds_read_b96 v[1:3], v5 offset:1056
	s_addc_u32 s23, s14, s13
	s_and_b32 s12, 0xffff, s7
	s_sext_i32_i16 s6, s7
	s_cmp_gt_i32 s6, -1
	s_mov_b32 s6, 0x8000
	s_cselect_b32 s13, s6, 0xffff
	v_cmp_o_f16_e64 s[6:7], s7, s7
	s_xor_b32 s12, s13, s12
	s_and_b64 s[6:7], s[6:7], exec
	s_waitcnt lgkmcnt(0)
	v_add_u32_e32 v1, v1, v2
	v_lshrrev_b32_e32 v2, 3, v0
	s_load_dword s6, s[4:5], 0x1b0
	v_and_b32_e32 v2, 28, v2
	v_lshl_add_u32 v8, v0, 2, v2
	v_lshrrev_b32_e32 v2, 1, v0
	s_cselect_b32 s26, s12, 0xffff
	s_load_dwordx2 s[12:13], s[4:5], 0x508
	v_and_b32_e32 v9, 0x7c, v2
	v_add_u32_e32 v2, -1, v0
	v_lshrrev_b32_e32 v4, 3, v2
	v_and_b32_e32 v4, 0x1ffffffc, v4
	s_waitcnt lgkmcnt(0)
	s_bitcmp1_b32 s6, 0
	v_lshl_add_u32 v11, v2, 2, v4
	v_mbcnt_lo_u32_b32 v2, -1, 0
	s_cselect_b64 s[4:5], -1, 0
	v_cmp_gt_u32_e64 s[6:7], 64, v0
	v_lshlrev_b32_e32 v10, 4, v0
	v_add_u32_e32 v4, s33, v0
	v_mov_b32_e32 v0, 0xffff
	v_mov_b32_e32 v12, 0x8000
	v_mbcnt_hi_u32_b32 v13, -1, v2
                                        ; implicit-def: $vgpr14
	s_branch .LBB209_35
.LBB209_33:                             ;   in Loop: Header=BB209_35 Depth=1
	s_or_b64 exec, exec, s[14:15]
	v_add_u32_e32 v1, v2, v1
.LBB209_34:                             ;   in Loop: Header=BB209_35 Depth=1
	s_add_i32 s34, s34, -1
	v_add_u32_e32 v3, v15, v3
	s_cmp_lg_u32 s34, 0
	v_add_u32_e32 v4, 0x100, v4
	s_cbranch_scc0 .LBB209_54
.LBB209_35:                             ; =>This Inner Loop Header: Depth=1
	v_cmp_gt_u64_e32 vcc, s[8:9], v[4:5]
	v_mov_b32_e32 v2, v5
	v_mov_b32_e32 v6, v5
	s_and_saveexec_b64 s[14:15], vcc
	s_cbranch_execz .LBB209_37
; %bb.36:                               ;   in Loop: Header=BB209_35 Depth=1
	v_mad_u64_u32 v[6:7], s[28:29], s16, v4, 0
	v_mov_b32_e32 v2, v7
	v_mad_u64_u32 v[14:15], s[28:29], s17, v4, v[2:3]
	v_mov_b32_e32 v2, s25
	v_mov_b32_e32 v7, v14
	v_lshlrev_b64 v[6:7], 1, v[6:7]
	v_add_co_u32_e32 v6, vcc, s24, v6
	v_addc_co_u32_e32 v7, vcc, v2, v7, vcc
	global_load_ushort v14, v[6:7], off
	s_waitcnt vmcnt(0)
	v_cmp_lt_i16_e32 vcc, -1, v14
	v_cndmask_b32_e32 v2, v0, v12, vcc
	v_xor_b32_sdwa v2, v2, v14 dst_sel:DWORD dst_unused:UNUSED_PAD src0_sel:DWORD src1_sel:WORD_0
	v_cmp_o_f16_e32 vcc, v14, v14
	v_cndmask_b32_e32 v6, v0, v2, vcc
	v_cmp_lt_u32_e32 vcc, s26, v6
	v_cndmask_b32_e64 v2, 0, 1, vcc
	v_cmp_gt_u32_e32 vcc, s26, v6
	v_cndmask_b32_e64 v7, 0, 1, vcc
	v_cndmask_b32_e64 v2, v7, v2, s[4:5]
	v_cmp_eq_u32_e32 vcc, s26, v6
	v_and_b32_e32 v2, 1, v2
	v_cndmask_b32_e64 v6, 0, 1, vcc
.LBB209_37:                             ;   in Loop: Header=BB209_35 Depth=1
	s_or_b64 exec, exec, s[14:15]
	ds_write_b32 v8, v2
	s_waitcnt vmcnt(0) lgkmcnt(0)
	s_barrier
	s_and_saveexec_b64 s[14:15], s[6:7]
	s_cbranch_execz .LBB209_39
; %bb.38:                               ;   in Loop: Header=BB209_35 Depth=1
	v_add_u32_e32 v7, v9, v10
	ds_read2_b32 v[15:16], v7 offset1:1
	ds_read2_b32 v[17:18], v7 offset0:2 offset1:3
	v_and_b32_e32 v19, 15, v13
	v_cmp_ne_u32_e32 vcc, 0, v19
	s_waitcnt lgkmcnt(1)
	v_add_u32_e32 v16, v16, v15
	s_waitcnt lgkmcnt(0)
	v_add3_u32 v16, v16, v17, v18
	v_bfe_i32 v18, v13, 4, 1
	; wave barrier
	s_nop 0
	v_mov_b32_dpp v17, v16 row_shr:1 row_mask:0xf bank_mask:0xf
	v_cndmask_b32_e32 v17, 0, v17, vcc
	v_add_u32_e32 v16, v17, v16
	v_cmp_lt_u32_e32 vcc, 1, v19
	s_nop 0
	v_mov_b32_dpp v17, v16 row_shr:2 row_mask:0xf bank_mask:0xf
	v_cndmask_b32_e32 v17, 0, v17, vcc
	v_add_u32_e32 v16, v16, v17
	v_cmp_lt_u32_e32 vcc, 3, v19
	;; [unrolled: 5-line block ×4, first 2 shown]
	s_nop 0
	v_mov_b32_dpp v17, v16 row_bcast:15 row_mask:0xf bank_mask:0xf
	v_and_b32_e32 v17, v18, v17
	v_add_u32_e32 v16, v16, v17
	v_and_b32_e32 v18, 64, v13
	s_nop 0
	v_mov_b32_dpp v17, v16 row_bcast:31 row_mask:0xf bank_mask:0xf
	v_cndmask_b32_e32 v17, 0, v17, vcc
	v_add_u32_e32 v16, v16, v17
	v_add_u32_e32 v17, -1, v13
	v_cmp_lt_i32_e32 vcc, v17, v18
	v_cndmask_b32_e32 v17, v17, v13, vcc
	v_lshlrev_b32_e32 v17, 2, v17
	ds_bpermute_b32 v16, v17, v16
	s_waitcnt lgkmcnt(0)
	v_add_u32_e32 v15, v16, v15
	v_cndmask_b32_e64 v17, v15, v2, s[2:3]
	ds_write_b32 v7, v17
	; wave barrier
	ds_read2_b32 v[15:16], v7 offset0:1 offset1:2
	ds_read_b32 v18, v7 offset:12
	s_waitcnt lgkmcnt(1)
	v_add_u32_e32 v15, v15, v17
	v_add_u32_e32 v16, v16, v15
	ds_write2_b32 v7, v15, v16 offset0:1 offset1:2
	s_waitcnt lgkmcnt(1)
	v_add_u32_e32 v15, v18, v16
	ds_write_b32 v7, v15 offset:12
.LBB209_39:                             ;   in Loop: Header=BB209_35 Depth=1
	s_or_b64 exec, exec, s[14:15]
	v_mov_b32_e32 v7, 0
	s_waitcnt lgkmcnt(0)
	s_barrier
	s_and_saveexec_b64 s[14:15], s[0:1]
; %bb.40:                               ;   in Loop: Header=BB209_35 Depth=1
	ds_read_b32 v7, v11
; %bb.41:                               ;   in Loop: Header=BB209_35 Depth=1
	s_or_b64 exec, exec, s[14:15]
	ds_read_b32 v15, v5 offset:1048
	v_cmp_ne_u32_e32 vcc, 0, v2
	s_waitcnt lgkmcnt(0)
	s_barrier
	s_and_saveexec_b64 s[14:15], vcc
	s_cbranch_execz .LBB209_43
; %bb.42:                               ;   in Loop: Header=BB209_35 Depth=1
	v_add_u32_e32 v7, v7, v3
	v_mad_u64_u32 v[16:17], s[28:29], s20, v7, 0
	v_mad_u64_u32 v[18:19], s[28:29], s12, v7, 0
	v_mov_b32_e32 v2, v17
	v_mad_u64_u32 v[20:21], s[28:29], s21, v7, v[2:3]
	v_mov_b32_e32 v2, v19
	v_mov_b32_e32 v21, s19
	;; [unrolled: 1-line block ×3, first 2 shown]
	v_lshlrev_b64 v[16:17], 1, v[16:17]
	v_mad_u64_u32 v[19:20], s[28:29], s13, v7, v[2:3]
	v_add_co_u32_e32 v16, vcc, s18, v16
	v_addc_co_u32_e32 v17, vcc, v21, v17, vcc
	global_store_short v[16:17], v14, off
	v_lshlrev_b64 v[16:17], 3, v[18:19]
	v_mov_b32_e32 v2, s23
	v_add_co_u32_e32 v16, vcc, s22, v16
	v_addc_co_u32_e32 v17, vcc, v2, v17, vcc
	global_store_dwordx2 v[16:17], v[4:5], off
.LBB209_43:                             ;   in Loop: Header=BB209_35 Depth=1
	s_or_b64 exec, exec, s[14:15]
	v_mov_b32_e32 v2, v5
	v_cmp_le_u64_e32 vcc, s[10:11], v[1:2]
	s_cbranch_vccnz .LBB209_34
; %bb.44:                               ;   in Loop: Header=BB209_35 Depth=1
	ds_write_b32 v8, v6
	s_waitcnt vmcnt(0) lgkmcnt(0)
	s_barrier
	s_and_saveexec_b64 s[14:15], s[6:7]
	s_cbranch_execz .LBB209_46
; %bb.45:                               ;   in Loop: Header=BB209_35 Depth=1
	v_add_u32_e32 v2, v9, v10
	ds_read2_b32 v[16:17], v2 offset1:1
	ds_read2_b32 v[18:19], v2 offset0:2 offset1:3
	v_and_b32_e32 v7, 15, v13
	v_cmp_ne_u32_e32 vcc, 0, v7
	s_waitcnt lgkmcnt(1)
	v_add_u32_e32 v17, v17, v16
	s_waitcnt lgkmcnt(0)
	v_add3_u32 v17, v17, v18, v19
	; wave barrier
	s_nop 1
	v_mov_b32_dpp v18, v17 row_shr:1 row_mask:0xf bank_mask:0xf
	v_cndmask_b32_e32 v18, 0, v18, vcc
	v_add_u32_e32 v17, v18, v17
	v_cmp_lt_u32_e32 vcc, 1, v7
	s_nop 0
	v_mov_b32_dpp v18, v17 row_shr:2 row_mask:0xf bank_mask:0xf
	v_cndmask_b32_e32 v18, 0, v18, vcc
	v_add_u32_e32 v17, v17, v18
	v_cmp_lt_u32_e32 vcc, 3, v7
	;; [unrolled: 5-line block ×3, first 2 shown]
	s_nop 0
	v_mov_b32_dpp v18, v17 row_shr:8 row_mask:0xf bank_mask:0xf
	v_cndmask_b32_e32 v7, 0, v18, vcc
	v_add_u32_e32 v7, v17, v7
	v_bfe_i32 v18, v13, 4, 1
	v_cmp_lt_u32_e32 vcc, 31, v13
	v_mov_b32_dpp v17, v7 row_bcast:15 row_mask:0xf bank_mask:0xf
	v_and_b32_e32 v17, v18, v17
	v_add_u32_e32 v7, v7, v17
	v_and_b32_e32 v18, 64, v13
	s_nop 0
	v_mov_b32_dpp v17, v7 row_bcast:31 row_mask:0xf bank_mask:0xf
	v_cndmask_b32_e32 v17, 0, v17, vcc
	v_add_u32_e32 v7, v7, v17
	v_add_u32_e32 v17, -1, v13
	v_cmp_lt_i32_e32 vcc, v17, v18
	v_cndmask_b32_e32 v17, v17, v13, vcc
	v_lshlrev_b32_e32 v17, 2, v17
	ds_bpermute_b32 v7, v17, v7
	s_waitcnt lgkmcnt(0)
	v_add_u32_e32 v7, v7, v16
	v_cndmask_b32_e64 v7, v7, v6, s[2:3]
	ds_write_b32 v2, v7
	; wave barrier
	ds_read2_b32 v[16:17], v2 offset0:1 offset1:2
	ds_read_b32 v18, v2 offset:12
	s_waitcnt lgkmcnt(1)
	v_add_u32_e32 v7, v16, v7
	v_add_u32_e32 v16, v17, v7
	ds_write2_b32 v2, v7, v16 offset0:1 offset1:2
	s_waitcnt lgkmcnt(1)
	v_add_u32_e32 v7, v18, v16
	ds_write_b32 v2, v7 offset:12
.LBB209_46:                             ;   in Loop: Header=BB209_35 Depth=1
	s_or_b64 exec, exec, s[14:15]
	v_mov_b32_e32 v7, 0
	s_waitcnt lgkmcnt(0)
	s_barrier
	s_and_saveexec_b64 s[14:15], s[0:1]
; %bb.47:                               ;   in Loop: Header=BB209_35 Depth=1
	ds_read_b32 v7, v11
; %bb.48:                               ;   in Loop: Header=BB209_35 Depth=1
	s_or_b64 exec, exec, s[14:15]
	ds_read_b32 v2, v5 offset:1048
	v_cmp_ne_u32_e32 vcc, 0, v6
	s_waitcnt lgkmcnt(0)
	s_barrier
	s_and_saveexec_b64 s[14:15], vcc
	s_cbranch_execz .LBB209_33
; %bb.49:                               ;   in Loop: Header=BB209_35 Depth=1
	v_add_u32_e32 v6, v7, v1
	v_mov_b32_e32 v7, v5
	v_cmp_gt_u64_e32 vcc, s[10:11], v[6:7]
	s_and_b64 exec, exec, vcc
	s_cbranch_execz .LBB209_33
; %bb.50:                               ;   in Loop: Header=BB209_35 Depth=1
	v_mad_u64_u32 v[16:17], s[28:29], s20, v6, 0
	v_mad_u64_u32 v[18:19], s[28:29], s12, v6, 0
	v_mov_b32_e32 v7, v17
	v_mad_u64_u32 v[20:21], s[28:29], s21, v6, v[7:8]
	v_mov_b32_e32 v7, v19
	v_mad_u64_u32 v[6:7], s[28:29], s13, v6, v[7:8]
	v_mov_b32_e32 v17, v20
	v_lshlrev_b64 v[16:17], 1, v[16:17]
	v_mov_b32_e32 v19, v6
	v_mov_b32_e32 v21, s19
	v_add_co_u32_e32 v16, vcc, s18, v16
	v_lshlrev_b64 v[6:7], 3, v[18:19]
	v_addc_co_u32_e32 v17, vcc, v21, v17, vcc
	global_store_short v[16:17], v14, off
	v_mov_b32_e32 v16, s23
	v_add_co_u32_e32 v6, vcc, s22, v6
	v_addc_co_u32_e32 v7, vcc, v16, v7, vcc
	global_store_dwordx2 v[6:7], v[4:5], off
	s_branch .LBB209_33
.LBB209_51:                             ;   in Loop: Header=BB209_52 Depth=1
	s_add_u32 s20, s20, 4
	s_addc_u32 s21, s21, 0
	s_waitcnt lgkmcnt(0)
	s_add_i32 s52, s19, s52
	s_add_u32 s22, s22, 4
	s_addc_u32 s23, s23, 0
	s_add_i32 s18, s18, 1
	s_cmp_lt_u32 s18, s35
	s_cbranch_scc0 .LBB209_30
.LBB209_52:                             ; =>This Inner Loop Header: Depth=1
	s_load_dword s19, s[20:21], 0x0
	s_cmp_ge_u32 s18, s76
	s_cbranch_scc1 .LBB209_51
; %bb.53:                               ;   in Loop: Header=BB209_52 Depth=1
	s_load_dword s57, s[22:23], 0x0
	s_waitcnt lgkmcnt(0)
	s_add_i32 s53, s19, s53
	s_add_i32 s51, s57, s51
	s_branch .LBB209_51
.LBB209_54:
	s_endpgm
	.section	.rodata,"a",@progbits
	.p2align	6, 0x0
	.amdhsa_kernel _ZN2at6native6mbtopk10gatherTopKIN3c104HalfEmLi3EEEvNS_4cuda6detail10TensorInfoIKT_T0_EESA_SA_bjSA_NS7_IS8_SA_EESA_NS7_IlSA_EESA_jjPS8_PjSF_j
		.amdhsa_group_segment_fixed_size 1068
		.amdhsa_private_segment_fixed_size 0
		.amdhsa_kernarg_size 1592
		.amdhsa_user_sgpr_count 6
		.amdhsa_user_sgpr_private_segment_buffer 1
		.amdhsa_user_sgpr_dispatch_ptr 0
		.amdhsa_user_sgpr_queue_ptr 0
		.amdhsa_user_sgpr_kernarg_segment_ptr 1
		.amdhsa_user_sgpr_dispatch_id 0
		.amdhsa_user_sgpr_flat_scratch_init 0
		.amdhsa_user_sgpr_private_segment_size 0
		.amdhsa_uses_dynamic_stack 0
		.amdhsa_system_sgpr_private_segment_wavefront_offset 0
		.amdhsa_system_sgpr_workgroup_id_x 1
		.amdhsa_system_sgpr_workgroup_id_y 1
		.amdhsa_system_sgpr_workgroup_id_z 1
		.amdhsa_system_sgpr_workgroup_info 0
		.amdhsa_system_vgpr_workitem_id 0
		.amdhsa_next_free_vgpr 22
		.amdhsa_next_free_sgpr 78
		.amdhsa_reserve_vcc 1
		.amdhsa_reserve_flat_scratch 0
		.amdhsa_float_round_mode_32 0
		.amdhsa_float_round_mode_16_64 0
		.amdhsa_float_denorm_mode_32 3
		.amdhsa_float_denorm_mode_16_64 3
		.amdhsa_dx10_clamp 1
		.amdhsa_ieee_mode 1
		.amdhsa_fp16_overflow 0
		.amdhsa_exception_fp_ieee_invalid_op 0
		.amdhsa_exception_fp_denorm_src 0
		.amdhsa_exception_fp_ieee_div_zero 0
		.amdhsa_exception_fp_ieee_overflow 0
		.amdhsa_exception_fp_ieee_underflow 0
		.amdhsa_exception_fp_ieee_inexact 0
		.amdhsa_exception_int_div_zero 0
	.end_amdhsa_kernel
	.section	.text._ZN2at6native6mbtopk10gatherTopKIN3c104HalfEmLi3EEEvNS_4cuda6detail10TensorInfoIKT_T0_EESA_SA_bjSA_NS7_IS8_SA_EESA_NS7_IlSA_EESA_jjPS8_PjSF_j,"axG",@progbits,_ZN2at6native6mbtopk10gatherTopKIN3c104HalfEmLi3EEEvNS_4cuda6detail10TensorInfoIKT_T0_EESA_SA_bjSA_NS7_IS8_SA_EESA_NS7_IlSA_EESA_jjPS8_PjSF_j,comdat
.Lfunc_end209:
	.size	_ZN2at6native6mbtopk10gatherTopKIN3c104HalfEmLi3EEEvNS_4cuda6detail10TensorInfoIKT_T0_EESA_SA_bjSA_NS7_IS8_SA_EESA_NS7_IlSA_EESA_jjPS8_PjSF_j, .Lfunc_end209-_ZN2at6native6mbtopk10gatherTopKIN3c104HalfEmLi3EEEvNS_4cuda6detail10TensorInfoIKT_T0_EESA_SA_bjSA_NS7_IS8_SA_EESA_NS7_IlSA_EESA_jjPS8_PjSF_j
                                        ; -- End function
	.set _ZN2at6native6mbtopk10gatherTopKIN3c104HalfEmLi3EEEvNS_4cuda6detail10TensorInfoIKT_T0_EESA_SA_bjSA_NS7_IS8_SA_EESA_NS7_IlSA_EESA_jjPS8_PjSF_j.num_vgpr, 22
	.set _ZN2at6native6mbtopk10gatherTopKIN3c104HalfEmLi3EEEvNS_4cuda6detail10TensorInfoIKT_T0_EESA_SA_bjSA_NS7_IS8_SA_EESA_NS7_IlSA_EESA_jjPS8_PjSF_j.num_agpr, 0
	.set _ZN2at6native6mbtopk10gatherTopKIN3c104HalfEmLi3EEEvNS_4cuda6detail10TensorInfoIKT_T0_EESA_SA_bjSA_NS7_IS8_SA_EESA_NS7_IlSA_EESA_jjPS8_PjSF_j.numbered_sgpr, 78
	.set _ZN2at6native6mbtopk10gatherTopKIN3c104HalfEmLi3EEEvNS_4cuda6detail10TensorInfoIKT_T0_EESA_SA_bjSA_NS7_IS8_SA_EESA_NS7_IlSA_EESA_jjPS8_PjSF_j.num_named_barrier, 0
	.set _ZN2at6native6mbtopk10gatherTopKIN3c104HalfEmLi3EEEvNS_4cuda6detail10TensorInfoIKT_T0_EESA_SA_bjSA_NS7_IS8_SA_EESA_NS7_IlSA_EESA_jjPS8_PjSF_j.private_seg_size, 0
	.set _ZN2at6native6mbtopk10gatherTopKIN3c104HalfEmLi3EEEvNS_4cuda6detail10TensorInfoIKT_T0_EESA_SA_bjSA_NS7_IS8_SA_EESA_NS7_IlSA_EESA_jjPS8_PjSF_j.uses_vcc, 1
	.set _ZN2at6native6mbtopk10gatherTopKIN3c104HalfEmLi3EEEvNS_4cuda6detail10TensorInfoIKT_T0_EESA_SA_bjSA_NS7_IS8_SA_EESA_NS7_IlSA_EESA_jjPS8_PjSF_j.uses_flat_scratch, 0
	.set _ZN2at6native6mbtopk10gatherTopKIN3c104HalfEmLi3EEEvNS_4cuda6detail10TensorInfoIKT_T0_EESA_SA_bjSA_NS7_IS8_SA_EESA_NS7_IlSA_EESA_jjPS8_PjSF_j.has_dyn_sized_stack, 0
	.set _ZN2at6native6mbtopk10gatherTopKIN3c104HalfEmLi3EEEvNS_4cuda6detail10TensorInfoIKT_T0_EESA_SA_bjSA_NS7_IS8_SA_EESA_NS7_IlSA_EESA_jjPS8_PjSF_j.has_recursion, 0
	.set _ZN2at6native6mbtopk10gatherTopKIN3c104HalfEmLi3EEEvNS_4cuda6detail10TensorInfoIKT_T0_EESA_SA_bjSA_NS7_IS8_SA_EESA_NS7_IlSA_EESA_jjPS8_PjSF_j.has_indirect_call, 0
	.section	.AMDGPU.csdata,"",@progbits
; Kernel info:
; codeLenInByte = 3344
; TotalNumSgprs: 82
; NumVgprs: 22
; ScratchSize: 0
; MemoryBound: 0
; FloatMode: 240
; IeeeMode: 1
; LDSByteSize: 1068 bytes/workgroup (compile time only)
; SGPRBlocks: 10
; VGPRBlocks: 5
; NumSGPRsForWavesPerEU: 82
; NumVGPRsForWavesPerEU: 22
; Occupancy: 9
; WaveLimiterHint : 1
; COMPUTE_PGM_RSRC2:SCRATCH_EN: 0
; COMPUTE_PGM_RSRC2:USER_SGPR: 6
; COMPUTE_PGM_RSRC2:TRAP_HANDLER: 0
; COMPUTE_PGM_RSRC2:TGID_X_EN: 1
; COMPUTE_PGM_RSRC2:TGID_Y_EN: 1
; COMPUTE_PGM_RSRC2:TGID_Z_EN: 1
; COMPUTE_PGM_RSRC2:TIDIG_COMP_CNT: 0
	.section	.text._ZN2at6native6sbtopk10gatherTopKIN3c104HalfEmLi3ELb0EEEvNS_4cuda6detail10TensorInfoIKT_T0_EESA_SA_bSA_SA_NS7_IS8_SA_EESA_NS7_IlSA_EESA_PS8_,"axG",@progbits,_ZN2at6native6sbtopk10gatherTopKIN3c104HalfEmLi3ELb0EEEvNS_4cuda6detail10TensorInfoIKT_T0_EESA_SA_bSA_SA_NS7_IS8_SA_EESA_NS7_IlSA_EESA_PS8_,comdat
	.protected	_ZN2at6native6sbtopk10gatherTopKIN3c104HalfEmLi3ELb0EEEvNS_4cuda6detail10TensorInfoIKT_T0_EESA_SA_bSA_SA_NS7_IS8_SA_EESA_NS7_IlSA_EESA_PS8_ ; -- Begin function _ZN2at6native6sbtopk10gatherTopKIN3c104HalfEmLi3ELb0EEEvNS_4cuda6detail10TensorInfoIKT_T0_EESA_SA_bSA_SA_NS7_IS8_SA_EESA_NS7_IlSA_EESA_PS8_
	.globl	_ZN2at6native6sbtopk10gatherTopKIN3c104HalfEmLi3ELb0EEEvNS_4cuda6detail10TensorInfoIKT_T0_EESA_SA_bSA_SA_NS7_IS8_SA_EESA_NS7_IlSA_EESA_PS8_
	.p2align	8
	.type	_ZN2at6native6sbtopk10gatherTopKIN3c104HalfEmLi3ELb0EEEvNS_4cuda6detail10TensorInfoIKT_T0_EESA_SA_bSA_SA_NS7_IS8_SA_EESA_NS7_IlSA_EESA_PS8_,@function
_ZN2at6native6sbtopk10gatherTopKIN3c104HalfEmLi3ELb0EEEvNS_4cuda6detail10TensorInfoIKT_T0_EESA_SA_bSA_SA_NS7_IS8_SA_EESA_NS7_IlSA_EESA_PS8_: ; @_ZN2at6native6sbtopk10gatherTopKIN3c104HalfEmLi3ELb0EEEvNS_4cuda6detail10TensorInfoIKT_T0_EESA_SA_bSA_SA_NS7_IS8_SA_EESA_NS7_IlSA_EESA_PS8_
; %bb.0:
	s_load_dwordx2 s[18:19], s[4:5], 0x520
	s_load_dwordx4 s[60:63], s[4:5], 0x1b8
	s_mov_b64 s[26:27], s[4:5]
	s_add_u32 s16, s26, 0x520
	s_addc_u32 s17, s27, 0
	s_waitcnt lgkmcnt(0)
	s_mul_i32 s0, s19, s8
	s_add_i32 s0, s0, s7
	s_mul_i32 s0, s0, s18
	s_add_i32 s28, s0, s6
	s_mov_b32 s29, 0
	v_mov_b32_e32 v1, s28
	v_mov_b32_e32 v2, s29
	v_cmp_le_u64_e32 vcc, s[60:61], v[1:2]
	s_cbranch_vccnz .LBB210_501
; %bb.1:
	s_load_dwordx4 s[0:3], s[26:27], 0x10
	s_mov_b64 s[8:9], 0
	s_mov_b64 s[4:5], 0
	s_waitcnt lgkmcnt(0)
	v_mov_b32_e32 v1, s2
	v_mov_b32_e32 v2, s3
	v_cmp_lt_u64_e32 vcc, s[28:29], v[1:2]
	s_cbranch_vccnz .LBB210_3
; %bb.2:
	v_cvt_f32_u32_e32 v1, s2
	s_sub_i32 s4, 0, s2
	s_mov_b32 s5, 0
	v_rcp_iflag_f32_e32 v1, v1
	v_mul_f32_e32 v1, 0x4f7ffffe, v1
	v_cvt_u32_f32_e32 v1, v1
	v_readfirstlane_b32 s7, v1
	s_mul_i32 s4, s4, s7
	s_mul_hi_u32 s4, s7, s4
	s_add_i32 s7, s7, s4
	s_mul_hi_u32 s4, s28, s7
	s_mul_i32 s9, s4, s2
	s_sub_i32 s9, s28, s9
	s_add_i32 s7, s4, 1
	s_sub_i32 s10, s9, s2
	s_cmp_ge_u32 s9, s2
	s_cselect_b32 s4, s7, s4
	s_cselect_b32 s9, s10, s9
	s_add_i32 s7, s4, 1
	s_cmp_ge_u32 s9, s2
	s_cselect_b32 s4, s7, s4
.LBB210_3:
	s_load_dwordx4 s[12:15], s[26:27], 0x1d8
	v_mov_b32_e32 v2, s1
	v_mov_b32_e32 v1, s0
	v_cmp_lt_u64_e32 vcc, s[4:5], v[1:2]
	s_cbranch_vccnz .LBB210_5
; %bb.4:
	v_cvt_f32_u32_e32 v1, s0
	s_sub_i32 s7, 0, s0
	v_rcp_iflag_f32_e32 v1, v1
	v_mul_f32_e32 v1, 0x4f7ffffe, v1
	v_cvt_u32_f32_e32 v1, v1
	v_readfirstlane_b32 s8, v1
	s_mul_i32 s7, s7, s8
	s_mul_hi_u32 s7, s8, s7
	s_add_i32 s8, s8, s7
	s_mul_hi_u32 s7, s4, s8
	s_mul_i32 s9, s7, s0
	s_sub_i32 s9, s4, s9
	s_add_i32 s8, s7, 1
	s_sub_i32 s10, s9, s0
	s_cmp_ge_u32 s9, s0
	s_cselect_b32 s7, s8, s7
	s_cselect_b32 s9, s10, s9
	s_add_i32 s8, s7, 1
	s_cmp_ge_u32 s9, s0
	s_cselect_b32 s8, s8, s7
.LBB210_5:
	s_waitcnt lgkmcnt(0)
	v_mov_b32_e32 v1, s14
	v_mov_b32_e32 v2, s15
	v_cmp_lt_u64_e32 vcc, s[28:29], v[1:2]
	s_mov_b64 s[10:11], 0
                                        ; implicit-def: $vgpr48 : SGPR spill to VGPR lane
	v_writelane_b32 v48, s10, 0
	s_mov_b64 s[20:21], 0
	v_writelane_b32 v48, s11, 1
	s_cbranch_vccnz .LBB210_7
; %bb.6:
	v_cvt_f32_u32_e32 v1, s14
	s_sub_i32 s7, 0, s14
	s_mov_b32 s21, 0
	v_rcp_iflag_f32_e32 v1, v1
	v_mul_f32_e32 v1, 0x4f7ffffe, v1
	v_cvt_u32_f32_e32 v1, v1
	v_readfirstlane_b32 s9, v1
	s_mul_i32 s7, s7, s9
	s_mul_hi_u32 s7, s9, s7
	s_add_i32 s9, s9, s7
	s_mul_hi_u32 s7, s28, s9
	s_mul_i32 s10, s7, s14
	s_sub_i32 s10, s28, s10
	s_add_i32 s9, s7, 1
	s_sub_i32 s11, s10, s14
	s_cmp_ge_u32 s10, s14
	s_cselect_b32 s7, s9, s7
	s_cselect_b32 s10, s11, s10
	s_add_i32 s9, s7, 1
	s_cmp_ge_u32 s10, s14
	s_cselect_b32 s20, s9, s7
.LBB210_7:
	s_load_dwordx4 s[36:39], s[26:27], 0x380
	v_mov_b32_e32 v1, s12
	v_mov_b32_e32 v2, s13
	v_cmp_lt_u64_e32 vcc, s[20:21], v[1:2]
	s_cbranch_vccnz .LBB210_9
; %bb.8:
	v_cvt_f32_u32_e32 v1, s12
	s_sub_i32 s7, 0, s12
	v_rcp_iflag_f32_e32 v1, v1
	v_mul_f32_e32 v1, 0x4f7ffffe, v1
	v_cvt_u32_f32_e32 v1, v1
	v_readfirstlane_b32 s9, v1
	s_mul_i32 s7, s7, s9
	s_mul_hi_u32 s7, s9, s7
	s_add_i32 s9, s9, s7
	s_mul_hi_u32 s7, s20, s9
	s_mul_i32 s10, s7, s12
	s_sub_i32 s10, s20, s10
	s_add_i32 s9, s7, 1
	s_sub_i32 s11, s10, s12
	s_cmp_ge_u32 s10, s12
	s_cselect_b32 s7, s9, s7
	s_cselect_b32 s10, s11, s10
	s_add_i32 s9, s7, 1
	s_cmp_ge_u32 s10, s12
	s_cselect_b32 s10, s9, s7
	v_writelane_b32 v48, s10, 0
	v_writelane_b32 v48, s11, 1
.LBB210_9:
	v_writelane_b32 v48, s20, 2
	v_writelane_b32 v48, s21, 3
	;; [unrolled: 1-line block ×6, first 2 shown]
	s_load_dwordx2 s[10:11], s[26:27], 0xe0
	s_load_dwordx4 s[12:15], s[26:27], 0xd0
	s_waitcnt lgkmcnt(0)
	v_mov_b32_e32 v1, s38
	v_mov_b32_e32 v2, s39
	v_cmp_lt_u64_e32 vcc, s[28:29], v[1:2]
	s_mov_b64 s[20:21], 0
	v_writelane_b32 v48, s20, 8
	s_mov_b64 s[22:23], 0
	v_writelane_b32 v48, s21, 9
	s_cbranch_vccnz .LBB210_11
; %bb.10:
	v_cvt_f32_u32_e32 v1, s38
	s_sub_i32 s7, 0, s38
	s_mov_b32 s23, 0
	v_rcp_iflag_f32_e32 v1, v1
	v_mul_f32_e32 v1, 0x4f7ffffe, v1
	v_cvt_u32_f32_e32 v1, v1
	v_readfirstlane_b32 s9, v1
	s_mul_i32 s7, s7, s9
	s_mul_hi_u32 s7, s9, s7
	s_add_i32 s9, s9, s7
	s_mul_hi_u32 s7, s28, s9
	s_mul_i32 s19, s7, s38
	s_sub_i32 s19, s28, s19
	s_add_i32 s9, s7, 1
	s_sub_i32 s20, s19, s38
	s_cmp_ge_u32 s19, s38
	s_cselect_b32 s7, s9, s7
	s_cselect_b32 s19, s20, s19
	s_add_i32 s9, s7, 1
	s_cmp_ge_u32 s19, s38
	s_cselect_b32 s22, s9, s7
.LBB210_11:
	s_load_dwordx2 s[20:21], s[26:27], 0x450
	s_load_dwordx4 s[40:43], s[26:27], 0x440
	v_mov_b32_e32 v1, s36
	v_mov_b32_e32 v2, s37
	s_waitcnt lgkmcnt(0)
	v_writelane_b32 v48, s20, 10
	v_writelane_b32 v48, s21, 11
	s_load_dwordx2 s[20:21], s[26:27], 0x2a8
	v_writelane_b32 v48, s40, 12
	v_writelane_b32 v48, s41, 13
	;; [unrolled: 1-line block ×4, first 2 shown]
	s_load_dwordx4 s[40:43], s[26:27], 0x298
	s_waitcnt lgkmcnt(0)
	v_writelane_b32 v48, s20, 16
	v_writelane_b32 v48, s21, 17
	s_load_dwordx2 s[20:21], s[26:27], 0x0
	v_writelane_b32 v48, s40, 18
	v_writelane_b32 v48, s41, 19
	;; [unrolled: 1-line block ×5, first 2 shown]
	v_cmp_lt_u64_e32 vcc, s[22:23], v[1:2]
	v_writelane_b32 v48, s23, 23
	s_cbranch_vccnz .LBB210_13
; %bb.12:
	v_cvt_f32_u32_e32 v1, s36
	s_sub_i32 s7, 0, s36
	v_readlane_b32 s22, v48, 22
	v_readlane_b32 s23, v48, 23
	v_rcp_iflag_f32_e32 v1, v1
	v_mul_f32_e32 v1, 0x4f7ffffe, v1
	v_cvt_u32_f32_e32 v1, v1
	v_readfirstlane_b32 s9, v1
	s_mul_i32 s7, s7, s9
	s_mul_hi_u32 s7, s9, s7
	s_add_i32 s9, s9, s7
	s_mul_hi_u32 s7, s22, s9
	s_mul_i32 s19, s7, s36
	s_sub_i32 s19, s22, s19
	s_add_i32 s9, s7, 1
	s_sub_i32 s22, s19, s36
	s_cmp_ge_u32 s19, s36
	s_cselect_b32 s7, s9, s7
	s_cselect_b32 s19, s22, s19
	s_add_i32 s9, s7, 1
	s_cmp_ge_u32 s19, s36
	s_cselect_b32 s22, s9, s7
	v_writelane_b32 v48, s22, 8
	v_writelane_b32 v48, s23, 9
.LBB210_13:
	s_load_dwordx2 s[22:23], s[26:27], 0x370
	v_writelane_b32 v48, s36, 24
	v_writelane_b32 v48, s37, 25
	;; [unrolled: 1-line block ×4, first 2 shown]
	s_waitcnt lgkmcnt(0)
	v_writelane_b32 v48, s22, 28
	v_writelane_b32 v48, s23, 29
	s_load_dwordx2 s[22:23], s[26:27], 0x1c8
	s_load_dwordx4 s[64:67], s[26:27], 0x1a0
	s_mov_b32 s93, 0
	v_cmp_eq_u32_e64 s[24:25], 0, v0
	s_waitcnt lgkmcnt(0)
	v_writelane_b32 v48, s22, 30
	v_writelane_b32 v48, s23, 31
	s_mov_b64 s[22:23], exec
	v_writelane_b32 v48, s24, 32
	v_writelane_b32 v48, s25, 33
	s_and_b64 s[24:25], s[22:23], s[24:25]
	s_mov_b64 exec, s[24:25]
	s_cbranch_execz .LBB210_15
; %bb.14:
	v_mov_b32_e32 v1, 0
	v_mov_b32_e32 v3, s64
	;; [unrolled: 1-line block ×4, first 2 shown]
	ds_write_b32 v1, v1 offset:5144
	ds_write_b128 v1, v[1:4] offset:5120
.LBB210_15:
	s_or_b64 exec, exec, s[22:23]
	s_mul_i32 s1, s8, s1
	s_mul_hi_u32 s7, s8, s0
	s_add_i32 s7, s7, s1
	s_mul_i32 s0, s8, s0
	s_sub_u32 s0, s4, s0
	s_subb_u32 s1, s5, s7
	s_mul_i32 s5, s0, s15
	s_mul_hi_u32 s7, s0, s14
	s_add_i32 s5, s7, s5
	s_mul_i32 s1, s1, s14
	s_add_i32 s1, s5, s1
	s_mul_i32 s5, s8, s13
	s_mul_hi_u32 s7, s8, s12
	s_add_i32 s9, s7, s5
	s_mul_i32 s3, s4, s3
	s_mul_hi_u32 s5, s4, s2
	s_add_i32 s5, s5, s3
	s_mul_i32 s2, s4, s2
	s_mov_b32 s4, s28
	v_writelane_b32 v48, s4, 34
	s_sub_u32 s2, s28, s2
	v_writelane_b32 v48, s5, 35
	s_subb_u32 s3, 0, s5
	s_mul_i32 s4, s2, s11
	s_mul_hi_u32 s5, s2, s10
	s_mul_i32 s8, s8, s12
	s_add_i32 s4, s5, s4
	s_mul_i32 s3, s3, s10
	s_add_i32 s3, s4, s3
	s_lshl_b64 s[4:5], s[8:9], 1
	s_mul_i32 s0, s0, s14
	s_add_u32 s4, s20, s4
	s_addc_u32 s5, s21, s5
	s_lshl_b64 s[0:1], s[0:1], 1
	v_writelane_b32 v48, s26, 36
	s_load_dword s7, s[26:27], 0x1b0
	s_mul_i32 s2, s2, s10
	s_add_u32 s4, s4, s0
	s_addc_u32 s5, s5, s1
	s_lshl_b64 s[0:1], s[2:3], 1
	s_add_u32 s33, s4, s0
	s_addc_u32 s82, s5, s1
	s_waitcnt lgkmcnt(0)
	s_bitcmp1_b32 s7, 0
	v_writelane_b32 v48, s27, 37
	s_cselect_b64 s[0:1], -1, 0
	v_writelane_b32 v48, s0, 38
	v_writelane_b32 v48, s1, 39
	s_xor_b64 s[0:1], s[0:1], -1
	v_writelane_b32 v48, s0, 40
	v_writelane_b32 v48, s1, 41
	v_mbcnt_lo_u32_b32 v1, -1, 0
	v_mad_u64_u32 v[4:5], s[0:1], s62, v0, 0
	v_mbcnt_hi_u32_b32 v26, -1, v1
	v_cmp_gt_u32_e32 vcc, 64, v0
	v_cmp_gt_i32_e64 s[10:11], 4, v26
	s_and_b64 s[0:1], vcc, s[10:11]
	v_writelane_b32 v48, s0, 42
	v_mov_b32_e32 v1, 0x600
	v_mov_b32_e32 v3, v5
	v_writelane_b32 v48, s1, 43
	v_mov_b32_e32 v2, 0
	v_mad_u64_u32 v[5:6], s[0:1], s63, v0, v[3:4]
	v_cmp_gt_u64_e64 s[0:1], s[64:65], v[1:2]
	v_mov_b32_e32 v3, 0
	v_writelane_b32 v48, s0, 44
	v_mov_b32_e32 v1, v3
	v_writelane_b32 v48, s1, 45
	v_cmp_gt_u64_e64 s[0:1], s[64:65], v[0:1]
	v_writelane_b32 v48, s0, 46
	v_writelane_b32 v48, s1, 47
	v_cmp_gt_u32_e64 s[0:1], 2, v0
	v_writelane_b32 v48, s0, 48
	s_barrier
	v_writelane_b32 v48, s1, 49
	s_load_dword s0, s[16:17], 0xc
	v_lshlrev_b64 v[4:5], 1, v[4:5]
	v_mov_b32_e32 v2, s82
	v_add_co_u32_e32 v12, vcc, s33, v4
	s_waitcnt lgkmcnt(0)
	s_and_b32 s83, s0, 0xffff
	s_bfe_u32 s0, s0, 0xa0006
	s_cmp_gt_u32 s83, 63
	s_cselect_b64 s[2:3], -1, 0
	v_addc_co_u32_e32 v13, vcc, v2, v5, vcc
	v_lshlrev_b32_e32 v2, 2, v26
	v_writelane_b32 v48, s2, 50
	s_add_u32 s1, s83, -1
	v_and_b32_e32 v23, 0x100, v2
	v_writelane_b32 v48, s3, 51
	s_addc_u32 s2, 0, -1
	v_lshrrev_b32_e32 v2, 1, v0
	v_writelane_b32 v48, s1, 52
	s_add_u32 s1, s1, s64
	v_and_b32_e32 v2, 0x1e0, v2
	v_lshlrev_b64 v[4:5], v26, -1
	v_writelane_b32 v48, s1, 53
	v_or_b32_e32 v29, 0xc00, v2
	v_add_u32_e32 v2, 2, v0
	v_writelane_b32 v48, s2, 54
	s_addc_u32 s1, s2, s65
	v_cmp_gt_u64_e32 vcc, s[64:65], v[2:3]
	v_not_b32_e32 v25, v4
	v_writelane_b32 v48, s0, 55
	s_cmp_lt_u32 s6, s18
	v_mov_b32_e32 v4, s65
	v_not_b32_e32 v24, v5
	v_writelane_b32 v48, s1, 56
	s_cselect_b32 s1, 12, 18
	v_cndmask_b32_e32 v5, 0, v4, vcc
	v_mov_b32_e32 v4, s64
	s_add_u32 s2, s16, s1
	v_cndmask_b32_e32 v2, v2, v4, vcc
	v_not_b32_e32 v4, v0
	s_addc_u32 s3, s17, 0
	v_add_co_u32_e32 v4, vcc, v2, v4
	v_writelane_b32 v48, s2, 57
	v_addc_co_u32_e32 v5, vcc, -1, v5, vcc
	v_writelane_b32 v48, s3, 58
	v_cmp_lt_u64_e64 s[2:3], 1, v[4:5]
	v_and_b32_e32 v16, -2, v4
	v_writelane_b32 v48, s2, 59
	v_mov_b32_e32 v17, v5
	v_writelane_b32 v48, s3, 60
	v_cmp_ne_u64_e64 s[2:3], v[4:5], v[16:17]
	s_add_i32 s1, s0, -1
	v_writelane_b32 v48, s2, 61
	v_writelane_b32 v48, s3, 62
	s_bfe_u32 s2, s83, 0x30006
	s_and_b32 s1, s1, 0xffff
	s_cmp_gt_u32 s1, 6
	s_cselect_b64 s[4:5], -1, 0
                                        ; implicit-def: $vgpr47 : SGPR spill to VGPR lane
	s_and_b32 s80, s0, 0x3f8
	v_writelane_b32 v48, s4, 63
	v_writelane_b32 v47, s5, 0
	s_cmp_lg_u32 s2, 0
	v_writelane_b32 v47, s2, 1
	s_cselect_b64 s[0:1], -1, 0
	v_writelane_b32 v47, s0, 2
	v_cmp_eq_u32_e64 s[84:85], 0, v26
	v_writelane_b32 v47, s1, 3
	v_writelane_b32 v47, s84, 4
	v_lshlrev_b32_e32 v27, 1, v0
	s_mov_b32 s23, s62
	v_mov_b32_e32 v2, 0xc00
	v_mov_b32_e32 v19, s66
	v_writelane_b32 v47, s85, 5
	v_lshlrev_b32_e32 v14, 2, v0
	v_mov_b32_e32 v15, v3
	v_add_u32_e32 v28, 0xc00, v27
	s_mov_b32 s24, s63
	v_lshlrev_b32_e32 v31, 3, v0
	v_lshl_or_b32 v32, v26, 3, v2
	s_lshl_b32 s81, s83, 1
	s_mov_b32 s0, 14
	s_mov_b64 s[88:89], 0
	v_mov_b32_e32 v33, 0xffff
	v_mov_b32_e32 v34, 0x8000
	;; [unrolled: 1-line block ×3, first 2 shown]
	v_mov_b32_e32 v36, -1
	v_mov_b32_e32 v37, 0x5040100
	v_mov_b32_e32 v39, 0
	;; [unrolled: 1-line block ×3, first 2 shown]
	v_add_co_u32_e32 v18, vcc, v16, v0
	v_mov_b32_e32 v38, 0
	s_mov_b32 s1, 0
	v_mov_b32_e32 v20, s67
	v_writelane_b32 v47, s23, 6
                                        ; implicit-def: $sgpr2_sgpr3
                                        ; implicit-def: $sgpr14_sgpr15
                                        ; implicit-def: $sgpr70_sgpr71
                                        ; implicit-def: $sgpr72_sgpr73
                                        ; implicit-def: $sgpr68_sgpr69
                                        ; implicit-def: $sgpr74_sgpr75
                                        ; implicit-def: $sgpr60_sgpr61
                                        ; implicit-def: $sgpr90_sgpr91
                                        ; implicit-def: $sgpr42_sgpr43
                                        ; implicit-def: $sgpr16_sgpr17
	v_writelane_b32 v47, s24, 7
	s_branch .LBB210_18
.LBB210_16:                             ;   in Loop: Header=BB210_18 Depth=1
	s_or_b64 exec, exec, s[10:11]
	s_andn2_b64 s[10:11], s[16:17], exec
	s_and_b64 s[8:9], s[8:9], exec
	v_mov_b32_e32 v20, v5
	s_or_b64 s[16:17], s[10:11], s[8:9]
	s_andn2_b64 s[42:43], s[42:43], exec
	s_andn2_b64 s[90:91], s[90:91], exec
	;; [unrolled: 1-line block ×4, first 2 shown]
	s_orn2_b64 s[6:7], s[6:7], exec
	v_mov_b32_e32 v19, v4
.LBB210_17:                             ;   in Loop: Header=BB210_18 Depth=1
	s_or_b64 exec, exec, s[4:5]
	s_and_b64 s[4:5], exec, s[6:7]
	s_or_b64 s[88:89], s[4:5], s[88:89]
	s_andn2_b64 s[4:5], s[68:69], exec
	s_and_b64 s[6:7], s[16:17], exec
	s_or_b64 s[68:69], s[4:5], s[6:7]
	s_andn2_b64 s[4:5], s[72:73], exec
	s_and_b64 s[6:7], s[42:43], exec
	;; [unrolled: 3-line block ×5, first 2 shown]
	s_or_b64 s[2:3], s[2:3], s[4:5]
	s_andn2_b64 exec, exec, s[88:89]
	s_cbranch_execz .LBB210_497
.LBB210_18:                             ; =>This Loop Header: Depth=1
                                        ;     Child Loop BB210_23 Depth 2
                                        ;     Child Loop BB210_37 Depth 2
	;; [unrolled: 1-line block ×25, first 2 shown]
	ds_read_b128 v[4:7], v3 offset:5120
	s_waitcnt lgkmcnt(0)
	v_readfirstlane_b32 s87, v5
	v_readfirstlane_b32 s86, v4
	s_cmp_lg_u64 s[86:87], 0
	s_cbranch_scc1 .LBB210_50
; %bb.19:                               ;   in Loop: Header=BB210_18 Depth=1
	v_readlane_b32 s4, v48, 44
	v_readlane_b32 s5, v48, 45
	s_and_b64 vcc, exec, s[4:5]
	s_cbranch_vccz .LBB210_31
; %bb.20:                               ;   in Loop: Header=BB210_18 Depth=1
	s_mov_b64 s[4:5], 0x601
	v_cmp_gt_u64_e32 vcc, s[4:5], v[6:7]
	s_mov_b64 s[4:5], 0
	s_mov_b64 s[6:7], 0
	s_cbranch_vccz .LBB210_32
; %bb.21:                               ;   in Loop: Header=BB210_18 Depth=1
	v_readlane_b32 s6, v48, 57
	v_readlane_b32 s7, v48, 58
	global_load_ushort v6, v[12:13], off
	v_mov_b32_e32 v5, v1
	s_mov_b64 s[8:9], 0
	v_mov_b32_e32 v4, v0
	s_nop 0
	global_load_ushort v2, v3, s[6:7]
	s_branch .LBB210_23
.LBB210_22:                             ;   in Loop: Header=BB210_23 Depth=2
	s_or_b64 exec, exec, s[6:7]
	s_waitcnt vmcnt(0)
	v_mov_b32_e32 v6, v7
	s_andn2_b64 exec, exec, s[8:9]
	s_cbranch_execz .LBB210_106
.LBB210_23:                             ;   Parent Loop BB210_18 Depth=1
                                        ; =>  This Inner Loop Header: Depth=2
	s_waitcnt vmcnt(0)
	v_add_co_u32_sdwa v4, vcc, v4, v2 dst_sel:DWORD dst_unused:UNUSED_PAD src0_sel:DWORD src1_sel:WORD_0
	v_addc_co_u32_e32 v5, vcc, 0, v5, vcc
	v_cmp_gt_u64_e64 s[6:7], s[64:65], v[4:5]
	v_cmp_le_u64_e32 vcc, s[64:65], v[4:5]
	s_waitcnt lgkmcnt(0)
	v_mov_b32_e32 v8, 0
	v_mov_b32_e32 v7, 0
	s_and_saveexec_b64 s[10:11], s[6:7]
	s_cbranch_execz .LBB210_25
; %bb.24:                               ;   in Loop: Header=BB210_23 Depth=2
	v_mul_lo_u32 v7, v5, s62
	v_mul_lo_u32 v11, v4, s63
	v_mad_u64_u32 v[9:10], s[6:7], v4, s62, 0
	v_add3_u32 v10, v10, v11, v7
	v_lshlrev_b64 v[9:10], 1, v[9:10]
	v_mov_b32_e32 v7, s82
	v_add_co_u32_e64 v9, s[6:7], s33, v9
	v_addc_co_u32_e64 v10, s[6:7], v7, v10, s[6:7]
	global_load_ushort v7, v[9:10], off
.LBB210_25:                             ;   in Loop: Header=BB210_23 Depth=2
	s_or_b64 exec, exec, s[10:11]
	v_cmp_lt_i16_e64 s[6:7], -1, v6
	v_cndmask_b32_e64 v9, v33, v34, s[6:7]
	v_xor_b32_sdwa v9, v9, v6 dst_sel:DWORD dst_unused:UNUSED_PAD src0_sel:DWORD src1_sel:WORD_0
	v_cmp_o_f16_e64 s[6:7], v6, v6
	v_cndmask_b32_e64 v9, v33, v9, s[6:7]
	v_and_b32_e32 v9, v9, v38
	v_cmp_eq_u32_e64 s[18:19], v9, v30
	s_cmp_lg_u64 s[18:19], 0
	s_cselect_b64 s[6:7], -1, 0
	s_and_b64 s[6:7], s[84:85], s[6:7]
	s_and_saveexec_b64 s[10:11], s[6:7]
	s_cbranch_execz .LBB210_29
; %bb.26:                               ;   in Loop: Header=BB210_23 Depth=2
	s_mov_b64 s[20:21], exec
	v_mbcnt_lo_u32_b32 v8, s20, 0
	v_mbcnt_hi_u32_b32 v8, s21, v8
	s_bcnt1_i32_b64 s22, s[18:19]
	v_cmp_eq_u32_e64 s[6:7], 0, v8
                                        ; implicit-def: $vgpr9
	s_and_saveexec_b64 s[12:13], s[6:7]
; %bb.27:                               ;   in Loop: Header=BB210_23 Depth=2
	s_bcnt1_i32_b64 s6, s[20:21]
	s_mul_i32 s6, s22, s6
	v_mov_b32_e32 v9, s6
	ds_add_rtn_u32 v9, v3, v9 offset:5144
; %bb.28:                               ;   in Loop: Header=BB210_23 Depth=2
	s_or_b64 exec, exec, s[12:13]
	s_waitcnt lgkmcnt(0)
	v_readfirstlane_b32 s6, v9
	v_mov_b32_e32 v9, s6
	v_mad_u32_u24 v8, s22, v8, v9
.LBB210_29:                             ;   in Loop: Header=BB210_23 Depth=2
	s_or_b64 exec, exec, s[10:11]
	ds_bpermute_b32 v8, v23, v8
	s_and_b64 s[6:7], exec, vcc
	s_or_b64 s[8:9], s[6:7], s[8:9]
	s_and_saveexec_b64 s[6:7], s[18:19]
	s_cbranch_execz .LBB210_22
; %bb.30:                               ;   in Loop: Header=BB210_23 Depth=2
	v_and_b32_e32 v10, s18, v25
	v_and_b32_e32 v9, s19, v24
	v_bcnt_u32_b32 v10, v10, 0
	v_bcnt_u32_b32 v9, v9, v10
	v_lshlrev_b32_e32 v9, 1, v9
	s_waitcnt lgkmcnt(0)
	v_lshl_add_u32 v8, v8, 1, v9
	ds_write_b16 v8, v6
	s_branch .LBB210_22
.LBB210_31:                             ;   in Loop: Header=BB210_18 Depth=1
	s_mov_b64 s[4:5], -1
	s_mov_b64 s[6:7], 0
.LBB210_32:                             ;   in Loop: Header=BB210_18 Depth=1
	s_and_b64 vcc, exec, s[4:5]
	s_cbranch_vccz .LBB210_48
.LBB210_33:                             ;   in Loop: Header=BB210_18 Depth=1
	s_mov_b64 s[4:5], exec
	v_readlane_b32 s6, v48, 46
	v_readlane_b32 s7, v48, 47
	s_and_b64 s[6:7], s[4:5], s[6:7]
	s_mov_b64 exec, s[6:7]
	s_cbranch_execz .LBB210_45
; %bb.34:                               ;   in Loop: Header=BB210_18 Depth=1
	v_readlane_b32 s6, v48, 57
	v_readlane_b32 s7, v48, 58
	s_nop 4
	global_load_ushort v2, v3, s[6:7]
	global_load_ushort v10, v[12:13], off
	v_mov_b32_e32 v6, v0
	s_waitcnt vmcnt(1)
	v_readfirstlane_b32 s8, v2
	v_add_u32_sdwa v2, v2, v0 dst_sel:DWORD dst_unused:UNUSED_PAD src0_sel:WORD_0 src1_sel:DWORD
	v_cmp_gt_u64_e32 vcc, s[64:65], v[2:3]
	s_and_saveexec_b64 s[6:7], vcc
	s_cbranch_execz .LBB210_44
; %bb.35:                               ;   in Loop: Header=BB210_18 Depth=1
	s_and_b32 s12, s8, 0xffff
	s_cmp_eq_u32 s12, 1
	v_readlane_b32 s10, v48, 59
                                        ; implicit-def: $vgpr6_vgpr7
	s_cselect_b64 s[8:9], -1, 0
	v_readlane_b32 s11, v48, 60
	v_mov_b32_e32 v5, v1
	v_mov_b32_e32 v8, v3
	s_and_b64 s[18:19], s[10:11], s[8:9]
	s_mov_b64 s[10:11], -1
	v_mov_b32_e32 v4, v0
	v_mov_b32_e32 v7, v2
	s_and_saveexec_b64 s[8:9], s[18:19]
	s_cbranch_execz .LBB210_39
; %bb.36:                               ;   in Loop: Header=BB210_18 Depth=1
	v_add_co_u32_e32 v4, vcc, 1, v2
	v_addc_co_u32_e64 v5, s[10:11], 0, 0, vcc
	v_mov_b32_e32 v8, v16
	v_mov_b32_e32 v7, v5
	s_waitcnt vmcnt(0)
	v_lshlrev_b32_e32 v21, 16, v10
	s_mov_b64 s[10:11], 0
	v_mov_b32_e32 v9, v17
	v_mov_b32_e32 v11, v27
	;; [unrolled: 1-line block ×5, first 2 shown]
.LBB210_37:                             ;   Parent Loop BB210_18 Depth=1
                                        ; =>  This Inner Loop Header: Depth=2
	v_mul_lo_u32 v44, v5, s23
	v_mul_lo_u32 v45, v4, s24
	v_mad_u64_u32 v[42:43], s[18:19], v4, s23, 0
	v_mul_lo_u32 v10, v7, s62
	v_mul_lo_u32 v22, v6, s63
	v_mad_u64_u32 v[40:41], s[18:19], v6, s62, 0
	v_add3_u32 v43, v43, v45, v44
	v_lshlrev_b64 v[42:43], 1, v[42:43]
	v_add3_u32 v41, v41, v22, v10
	v_mov_b32_e32 v46, s82
	v_lshlrev_b64 v[40:41], 1, v[40:41]
	v_add_co_u32_e32 v42, vcc, s33, v42
	v_addc_co_u32_e32 v43, vcc, v46, v43, vcc
	v_add_co_u32_e32 v40, vcc, s33, v40
	v_addc_co_u32_e32 v41, vcc, v46, v41, vcc
	global_load_ushort v22, v[42:43], off
	global_load_ushort v10, v[40:41], off
	v_add_co_u32_e32 v6, vcc, 2, v6
	v_addc_co_u32_e32 v7, vcc, 0, v7, vcc
	v_add_co_u32_e32 v4, vcc, 2, v4
	v_addc_co_u32_e32 v5, vcc, 0, v5, vcc
	v_add_co_u32_e32 v8, vcc, -2, v8
	v_addc_co_u32_e32 v9, vcc, -1, v9, vcc
	s_mov_b32 s13, 0x5040100
	v_cmp_eq_u64_e32 vcc, 0, v[8:9]
	s_or_b64 s[10:11], vcc, s[10:11]
	s_waitcnt vmcnt(1)
	v_alignbit_b32 v21, v22, v21, 16
	s_waitcnt vmcnt(0)
	v_perm_b32 v40, v10, v22, s13
	ds_write_b32 v11, v21
	v_add_u32_e32 v11, 4, v11
	v_mov_b32_e32 v21, v40
	s_andn2_b64 exec, exec, s[10:11]
	s_cbranch_execnz .LBB210_37
; %bb.38:                               ;   in Loop: Header=BB210_18 Depth=1
	s_or_b64 exec, exec, s[10:11]
	v_readlane_b32 s10, v48, 61
	v_add_co_u32_e32 v7, vcc, v2, v16
	v_readlane_b32 s11, v48, 62
	v_addc_co_u32_e32 v8, vcc, 0, v17, vcc
	v_add_co_u32_e32 v6, vcc, -1, v7
	s_orn2_b64 s[10:11], s[10:11], exec
	v_mov_b32_e32 v4, v18
	v_mov_b32_e32 v5, v19
.LBB210_39:                             ;   in Loop: Header=BB210_18 Depth=1
	s_or_b64 exec, exec, s[8:9]
	s_and_saveexec_b64 s[8:9], s[10:11]
	s_cbranch_execz .LBB210_43
; %bb.40:                               ;   in Loop: Header=BB210_18 Depth=1
	s_mov_b64 s[10:11], 0
	s_sub_u32 s13, 0, s12
.LBB210_41:                             ;   Parent Loop BB210_18 Depth=1
                                        ; =>  This Inner Loop Header: Depth=2
	s_waitcnt vmcnt(0)
	v_mov_b32_e32 v2, v10
	v_mul_lo_u32 v9, v8, s62
	v_mul_lo_u32 v10, v7, s63
	v_mad_u64_u32 v[5:6], s[18:19], v7, s62, 0
	v_mov_b32_e32 v11, s82
	v_lshlrev_b32_e32 v4, 1, v4
	v_add3_u32 v6, v6, v10, v9
	v_lshlrev_b64 v[5:6], 1, v[5:6]
	ds_write_b16 v4, v2
	v_add_co_u32_e32 v5, vcc, s33, v5
	v_addc_co_u32_e32 v6, vcc, v11, v6, vcc
	global_load_ushort v10, v[5:6], off
	v_mov_b32_e32 v4, v7
	v_mov_b32_e32 v5, v8
	v_add_co_u32_e32 v7, vcc, s12, v7
	v_addc_co_u32_e32 v8, vcc, 0, v8, vcc
	v_cmp_le_u64_e32 vcc, s[64:65], v[7:8]
	s_or_b64 s[10:11], vcc, s[10:11]
	v_add_co_u32_e32 v6, vcc, s13, v7
	s_andn2_b64 exec, exec, s[10:11]
	s_cbranch_execnz .LBB210_41
; %bb.42:                               ;   in Loop: Header=BB210_18 Depth=1
	s_or_b64 exec, exec, s[10:11]
.LBB210_43:                             ;   in Loop: Header=BB210_18 Depth=1
	s_or_b64 exec, exec, s[8:9]
.LBB210_44:                             ;   in Loop: Header=BB210_18 Depth=1
	s_or_b64 exec, exec, s[6:7]
	v_lshlrev_b32_e32 v2, 1, v6
	s_waitcnt vmcnt(0)
	ds_write_b16 v2, v10
.LBB210_45:                             ;   in Loop: Header=BB210_18 Depth=1
	s_or_b64 exec, exec, s[4:5]
	s_waitcnt lgkmcnt(0)
	s_barrier
	s_mov_b64 s[4:5], exec
	v_readlane_b32 s6, v48, 32
	v_readlane_b32 s7, v48, 33
	s_and_b64 s[6:7], s[4:5], s[6:7]
	s_mov_b64 exec, s[6:7]
; %bb.46:                               ;   in Loop: Header=BB210_18 Depth=1
	v_mov_b32_e32 v4, s64
	v_mov_b32_e32 v5, s65
	ds_write_b64 v3, v[4:5] offset:5120
; %bb.47:                               ;   in Loop: Header=BB210_18 Depth=1
	s_or_b64 exec, exec, s[4:5]
	s_mov_b64 s[6:7], -1
	s_waitcnt lgkmcnt(0)
	s_barrier
.LBB210_48:                             ;   in Loop: Header=BB210_18 Depth=1
	s_mov_b64 s[86:87], 0
	s_and_b64 vcc, exec, s[6:7]
	s_cbranch_vccz .LBB210_50
; %bb.49:                               ;   in Loop: Header=BB210_18 Depth=1
	ds_read_b64 v[4:5], v3 offset:5120
	s_waitcnt lgkmcnt(0)
	v_readfirstlane_b32 s86, v4
.LBB210_50:                             ;   in Loop: Header=BB210_18 Depth=1
	s_cmp_lt_i32 s86, 1
	s_mov_b64 s[4:5], -1
                                        ; implicit-def: $vgpr4_vgpr5
                                        ; implicit-def: $vgpr8_vgpr9
	s_cbranch_scc1 .LBB210_60
; %bb.51:                               ;   in Loop: Header=BB210_18 Depth=1
	s_and_b64 vcc, exec, s[4:5]
	s_cbranch_vccnz .LBB210_74
.LBB210_52:                             ;   in Loop: Header=BB210_18 Depth=1
	s_lshl_b32 s6, s1, 6
	s_and_saveexec_b64 s[4:5], s[84:85]
	s_cbranch_execz .LBB210_54
.LBB210_53:                             ;   in Loop: Header=BB210_18 Depth=1
	v_lshl_add_u32 v2, s6, 3, v29
	ds_write_b128 v2, v[4:7]
	ds_write_b128 v2, v[8:11] offset:16
.LBB210_54:                             ;   in Loop: Header=BB210_18 Depth=1
	s_or_b64 exec, exec, s[4:5]
	s_waitcnt lgkmcnt(0)
	s_barrier
	s_mov_b64 s[4:5], exec
	v_readlane_b32 s8, v48, 42
	v_readlane_b32 s9, v48, 43
	s_and_b64 s[8:9], s[4:5], s[8:9]
	s_mov_b64 exec, s[8:9]
	s_cbranch_execz .LBB210_89
; %bb.55:                               ;   in Loop: Header=BB210_18 Depth=1
	v_readlane_b32 s8, v48, 50
	v_mov_b32_e32 v4, 0
	v_readlane_b32 s9, v48, 51
	v_mov_b32_e32 v5, 0
	s_andn2_b64 vcc, exec, s[8:9]
	s_cbranch_vccnz .LBB210_88
; %bb.56:                               ;   in Loop: Header=BB210_18 Depth=1
	v_readlane_b32 s8, v48, 63
	v_readlane_b32 s9, v47, 0
	s_andn2_b64 vcc, exec, s[8:9]
	s_cbranch_vccnz .LBB210_84
; %bb.57:                               ;   in Loop: Header=BB210_18 Depth=1
	v_mov_b32_e32 v4, 0
	v_lshl_add_u32 v2, s1, 9, v32
	v_mov_b32_e32 v5, 0
	s_mov_b32 s7, 0
.LBB210_58:                             ;   Parent Loop BB210_18 Depth=1
                                        ; =>  This Inner Loop Header: Depth=2
	ds_read2_b64 v[6:9], v2 offset1:4
	s_add_i32 s7, s7, 8
	s_cmp_eq_u32 s80, s7
	s_waitcnt lgkmcnt(0)
	v_add_co_u32_e32 v4, vcc, v6, v4
	v_addc_co_u32_e32 v5, vcc, v7, v5, vcc
	v_add_co_u32_e32 v8, vcc, v8, v4
	v_addc_co_u32_e32 v9, vcc, v9, v5, vcc
	ds_read2_b64 v[4:7], v2 offset0:8 offset1:12
	s_waitcnt lgkmcnt(0)
	v_add_co_u32_e32 v4, vcc, v4, v8
	v_addc_co_u32_e32 v5, vcc, v5, v9, vcc
	v_add_co_u32_e32 v8, vcc, v6, v4
	v_addc_co_u32_e32 v9, vcc, v7, v5, vcc
	ds_read2_b64 v[4:7], v2 offset0:16 offset1:20
	;; [unrolled: 6-line block ×3, first 2 shown]
	v_add_u32_e32 v2, 0x100, v2
	s_waitcnt lgkmcnt(0)
	v_add_co_u32_e32 v4, vcc, v4, v8
	v_addc_co_u32_e32 v5, vcc, v5, v9, vcc
	v_add_co_u32_e32 v4, vcc, v6, v4
	v_addc_co_u32_e32 v5, vcc, v7, v5, vcc
	s_cbranch_scc0 .LBB210_58
; %bb.59:                               ;   in Loop: Header=BB210_18 Depth=1
	s_mov_b32 s7, s80
	s_branch .LBB210_85
.LBB210_60:                             ;   in Loop: Header=BB210_18 Depth=1
	v_readlane_b32 s4, v48, 57
	v_readlane_b32 s5, v48, 58
	s_nop 4
	global_load_ushort v2, v3, s[4:5]
	s_mov_b32 s4, s93
	s_waitcnt vmcnt(0)
	v_readfirstlane_b32 s5, v2
	s_and_b32 s5, 0xffff, s5
	s_lshl_b32 s76, s5, 2
	s_mov_b32 s5, s65
	s_cmp_lg_u64 s[4:5], 0
	s_cbranch_scc0 .LBB210_83
; %bb.61:                               ;   in Loop: Header=BB210_18 Depth=1
	v_cvt_f32_u32_e32 v4, s76
	s_sub_u32 s6, 0, s76
	s_subb_u32 s7, 0, 0
	v_mac_f32_e32 v4, 0, v35
	v_rcp_f32_e32 v4, v4
	v_mul_f32_e32 v4, 0x5f7ffffc, v4
	v_mul_f32_e32 v5, 0x2f800000, v4
	v_trunc_f32_e32 v5, v5
	v_mac_f32_e32 v4, 0xcf800000, v5
	v_cvt_u32_f32_e32 v5, v5
	v_cvt_u32_f32_e32 v4, v4
	v_readfirstlane_b32 s8, v5
	v_readfirstlane_b32 s4, v4
	s_mul_i32 s5, s6, s8
	s_mul_hi_u32 s10, s6, s4
	s_mul_i32 s9, s7, s4
	s_add_i32 s5, s10, s5
	s_mul_i32 s11, s6, s4
	s_add_i32 s5, s5, s9
	s_mul_hi_u32 s10, s4, s11
	s_mul_i32 s12, s4, s5
	s_mul_hi_u32 s9, s4, s5
	s_add_u32 s10, s10, s12
	s_addc_u32 s9, 0, s9
	s_mul_hi_u32 s13, s8, s11
	s_mul_i32 s11, s8, s11
	s_add_u32 s10, s10, s11
	s_mul_hi_u32 s12, s8, s5
	s_addc_u32 s9, s9, s13
	s_addc_u32 s10, s12, 0
	s_mul_i32 s5, s8, s5
	s_add_u32 s5, s9, s5
	s_addc_u32 s9, 0, s10
	s_add_u32 s10, s4, s5
	s_cselect_b64 s[4:5], -1, 0
	s_cmp_lg_u64 s[4:5], 0
	s_addc_u32 s8, s8, s9
	s_mul_i32 s4, s6, s8
	s_mul_hi_u32 s5, s6, s10
	s_add_i32 s4, s5, s4
	s_mul_i32 s7, s7, s10
	s_add_i32 s4, s4, s7
	s_mul_i32 s6, s6, s10
	s_mul_hi_u32 s7, s8, s6
	s_mul_i32 s9, s8, s6
	s_mul_i32 s12, s10, s4
	s_mul_hi_u32 s6, s10, s6
	s_mul_hi_u32 s11, s10, s4
	s_add_u32 s6, s6, s12
	s_addc_u32 s11, 0, s11
	s_add_u32 s6, s6, s9
	s_mul_hi_u32 s5, s8, s4
	s_addc_u32 s6, s11, s7
	s_addc_u32 s5, s5, 0
	s_mul_i32 s4, s8, s4
	s_add_u32 s4, s6, s4
	s_addc_u32 s6, 0, s5
	s_add_u32 s7, s10, s4
	s_cselect_b64 s[4:5], -1, 0
	s_cmp_lg_u64 s[4:5], 0
	s_addc_u32 s4, s8, s6
	s_mul_i32 s6, s64, s4
	s_mul_hi_u32 s8, s64, s7
	s_mul_hi_u32 s5, s64, s4
	s_add_u32 s6, s8, s6
	s_addc_u32 s5, 0, s5
	s_mul_hi_u32 s9, s65, s7
	s_mul_i32 s7, s65, s7
	s_add_u32 s6, s6, s7
	s_mul_hi_u32 s8, s65, s4
	s_addc_u32 s5, s5, s9
	s_addc_u32 s6, s8, 0
	s_mul_i32 s4, s65, s4
	s_add_u32 s4, s5, s4
	s_addc_u32 s5, 0, s6
	s_mul_i32 s5, s76, s5
	s_mul_hi_u32 s6, s76, s4
	s_add_i32 s6, s6, s5
	s_mul_i32 s4, s76, s4
	s_sub_u32 s7, s64, s4
	s_cselect_b64 s[4:5], -1, 0
	s_cmp_lg_u64 s[4:5], 0
	s_subb_u32 s6, s65, s6
	s_sub_u32 s8, s7, s76
	s_cselect_b64 s[4:5], -1, 0
	s_cmp_lg_u64 s[4:5], 0
	s_subb_u32 s9, s6, 0
	;; [unrolled: 4-line block ×3, first 2 shown]
	s_cmp_ge_u32 s8, s76
	s_cselect_b32 s5, -1, 0
	s_cmp_eq_u32 s9, 0
	s_cselect_b32 s5, s5, -1
	s_cmp_lg_u32 s5, 0
	s_cselect_b32 s4, s4, s9
	s_cselect_b32 s8, s10, s8
	s_cmp_ge_u32 s7, s76
	s_cselect_b32 s5, -1, 0
	s_cmp_eq_u32 s6, 0
	s_cselect_b32 s5, s5, -1
	s_cmp_lg_u32 s5, 0
	s_cselect_b32 s5, s4, s6
	s_cselect_b32 s4, s8, s7
	s_cbranch_execnz .LBB210_63
.LBB210_62:                             ;   in Loop: Header=BB210_18 Depth=1
	v_cvt_f32_u32_e32 v4, s76
	s_sub_i32 s4, 0, s76
	v_rcp_iflag_f32_e32 v4, v4
	v_mul_f32_e32 v4, 0x4f7ffffe, v4
	v_cvt_u32_f32_e32 v4, v4
	v_readfirstlane_b32 s5, v4
	s_mul_i32 s4, s4, s5
	s_mul_hi_u32 s4, s5, s4
	s_add_i32 s5, s5, s4
	s_mul_hi_u32 s4, s64, s5
	s_mul_i32 s4, s4, s76
	s_sub_i32 s4, s64, s4
	s_sub_i32 s5, s4, s76
	s_cmp_ge_u32 s4, s76
	s_cselect_b32 s4, s5, s4
	s_sub_i32 s5, s4, s76
	s_cmp_ge_u32 s4, s76
	s_cselect_b32 s92, s5, s4
	s_mov_b64 s[4:5], s[92:93]
.LBB210_63:                             ;   in Loop: Header=BB210_18 Depth=1
	s_sub_u32 s58, s64, s4
	s_subb_u32 s59, s65, s5
	v_cmp_gt_u64_e32 vcc, s[58:59], v[14:15]
	v_mov_b32_e32 v4, 0
	v_mov_b32_e32 v6, 0
	;; [unrolled: 1-line block ×8, first 2 shown]
	s_and_saveexec_b64 s[8:9], vcc
	s_cbranch_execz .LBB210_67
; %bb.64:                               ;   in Loop: Header=BB210_18 Depth=1
	v_mov_b32_e32 v22, v15
	s_mov_b64 s[10:11], 0
	s_mov_b64 s[84:85], 0
	;; [unrolled: 1-line block ×5, first 2 shown]
	v_mov_b32_e32 v21, v14
.LBB210_65:                             ;   Parent Loop BB210_18 Depth=1
                                        ; =>  This Inner Loop Header: Depth=2
	v_mul_lo_u32 v6, v22, s62
	v_mul_lo_u32 v7, v21, s63
	v_mad_u64_u32 v[4:5], s[4:5], v21, s62, 0
	v_mov_b32_e32 v8, s82
	s_lshl_b64 s[4:5], s[62:63], 1
	v_add3_u32 v5, v5, v7, v6
	v_lshlrev_b64 v[4:5], 1, v[4:5]
	v_mov_b32_e32 v9, s5
	v_add_co_u32_e64 v4, s[6:7], s33, v4
	v_addc_co_u32_e64 v5, s[6:7], v8, v5, s[6:7]
	global_load_ushort v6, v[4:5], off
	v_add_co_u32_e64 v4, s[6:7], s4, v4
	v_addc_co_u32_e64 v5, s[6:7], v5, v9, s[6:7]
	global_load_ushort v7, v[4:5], off
	;; [unrolled: 3-line block ×4, first 2 shown]
	v_add_co_u32_e32 v21, vcc, s76, v21
	v_addc_co_u32_e32 v22, vcc, 0, v22, vcc
	v_cmp_le_u64_e32 vcc, s[58:59], v[21:22]
	s_waitcnt vmcnt(3)
	v_cmp_lt_i16_e64 s[6:7], -1, v6
	v_cndmask_b32_e64 v5, v33, v34, s[6:7]
	v_xor_b32_sdwa v5, v5, v6 dst_sel:DWORD dst_unused:UNUSED_PAD src0_sel:DWORD src1_sel:WORD_0
	s_waitcnt vmcnt(2)
	v_cmp_lt_i16_e64 s[6:7], -1, v7
	v_cndmask_b32_e64 v9, v33, v34, s[6:7]
	v_cmp_o_f16_e64 s[6:7], v6, v6
	v_cndmask_b32_e64 v5, v33, v5, s[6:7]
	v_xor_b32_sdwa v6, v9, v7 dst_sel:DWORD dst_unused:UNUSED_PAD src0_sel:DWORD src1_sel:WORD_0
	s_waitcnt vmcnt(1)
	v_cmp_lt_i16_e64 s[6:7], -1, v8
	v_cndmask_b32_e64 v9, v33, v34, s[6:7]
	v_cmp_o_f16_e64 s[6:7], v7, v7
	v_cndmask_b32_e64 v6, v33, v6, s[6:7]
	v_xor_b32_sdwa v7, v9, v8 dst_sel:DWORD dst_unused:UNUSED_PAD src0_sel:DWORD src1_sel:WORD_0
	s_waitcnt vmcnt(0)
	v_cmp_lt_i16_e64 s[6:7], -1, v4
	v_cndmask_b32_e64 v9, v33, v34, s[6:7]
	v_and_b32_e32 v10, v5, v38
	v_bfe_u32 v5, v5, s0, 2
	v_cmp_o_f16_e64 s[6:7], v8, v8
	v_cndmask_b32_e64 v7, v33, v7, s[6:7]
	v_xor_b32_sdwa v8, v9, v4 dst_sel:DWORD dst_unused:UNUSED_PAD src0_sel:DWORD src1_sel:WORD_0
	v_cmp_eq_u32_e64 s[20:21], v10, v30
	v_and_b32_e32 v9, v6, v38
	v_bfe_u32 v6, v6, s0, 2
	v_cmp_eq_u32_e64 s[6:7], 0, v5
	v_cmp_o_f16_e64 s[18:19], v4, v4
	v_cmp_eq_u32_e64 s[44:45], 1, v5
	v_cmp_eq_u32_e64 s[36:37], 2, v5
	;; [unrolled: 1-line block ×3, first 2 shown]
	v_cndmask_b32_e64 v4, v33, v8, s[18:19]
	v_cmp_eq_u32_e64 s[18:19], v9, v30
	v_and_b32_e32 v5, v7, v38
	v_bfe_u32 v7, v7, s0, 2
	v_cmp_eq_u32_e64 s[30:31], 0, v6
	s_and_b64 s[4:5], s[20:21], s[6:7]
	v_cmp_eq_u32_e64 s[46:47], 1, v6
	v_cmp_eq_u32_e64 s[38:39], 2, v6
	;; [unrolled: 1-line block ×3, first 2 shown]
	v_cndmask_b32_e64 v6, 0, 1, s[4:5]
	v_cmp_eq_u32_e64 s[26:27], v5, v30
	v_and_b32_e32 v5, v4, v38
	v_bfe_u32 v4, v4, s0, 2
	v_cmp_eq_u32_e64 s[6:7], 0, v7
	s_and_b64 s[4:5], s[18:19], s[30:31]
	v_cmp_ne_u32_e64 s[50:51], 0, v6
	v_cndmask_b32_e64 v6, 0, 1, s[4:5]
	v_cmp_eq_u32_e64 s[30:31], v5, v30
	v_cmp_eq_u32_e64 s[52:53], 0, v4
	s_and_b64 s[4:5], s[26:27], s[6:7]
	v_cmp_eq_u32_e64 s[54:55], 1, v4
	v_cmp_eq_u32_e64 s[56:57], 2, v4
	;; [unrolled: 1-line block ×3, first 2 shown]
	v_cndmask_b32_e64 v4, 0, 1, s[4:5]
	s_and_b64 s[4:5], s[30:31], s[52:53]
	v_cmp_ne_u32_e64 s[6:7], 0, v4
	v_cndmask_b32_e64 v4, 0, 1, s[4:5]
	s_bcnt1_i32_b64 s77, s[50:51]
	v_cmp_ne_u32_e64 s[50:51], 0, v6
	s_bcnt1_i32_b64 s4, s[6:7]
	v_cmp_ne_u32_e64 s[6:7], 0, v4
	s_bcnt1_i32_b64 s50, s[50:51]
	s_bcnt1_i32_b64 s5, s[6:7]
	s_add_u32 s6, s77, s94
	s_addc_u32 s7, 0, s95
	s_add_u32 s6, s6, s50
	s_addc_u32 s7, s7, 0
	;; [unrolled: 2-line block ×4, first 2 shown]
	s_and_b64 s[4:5], s[20:21], s[44:45]
	v_cmp_eq_u32_e64 s[48:49], 1, v7
	v_cndmask_b32_e64 v6, 0, 1, s[4:5]
	s_and_b64 s[4:5], s[18:19], s[46:47]
	v_cmp_eq_u32_e64 s[40:41], 2, v7
	v_cmp_eq_u32_e64 s[28:29], 3, v7
	v_cndmask_b32_e64 v7, 0, 1, s[4:5]
	s_and_b64 s[4:5], s[26:27], s[48:49]
	v_cndmask_b32_e64 v8, 0, 1, s[4:5]
	s_and_b64 s[4:5], s[30:31], s[54:55]
	v_cndmask_b32_e64 v9, 0, 1, s[4:5]
	v_cmp_ne_u32_e64 s[6:7], 0, v6
	v_cmp_ne_u32_e64 s[44:45], 0, v7
	;; [unrolled: 1-line block ×4, first 2 shown]
	s_bcnt1_i32_b64 s4, s[6:7]
	s_bcnt1_i32_b64 s5, s[44:45]
	;; [unrolled: 1-line block ×4, first 2 shown]
	s_add_u32 s4, s4, s12
	s_addc_u32 s12, 0, s13
	s_add_u32 s4, s4, s5
	s_addc_u32 s5, s12, 0
	s_add_u32 s4, s4, s6
	s_addc_u32 s5, s5, 0
	s_add_u32 s12, s4, s7
	s_addc_u32 s13, s5, 0
	s_and_b64 s[4:5], s[20:21], s[36:37]
	v_cndmask_b32_e64 v8, 0, 1, s[4:5]
	s_and_b64 s[4:5], s[18:19], s[38:39]
	v_cndmask_b32_e64 v9, 0, 1, s[4:5]
	s_and_b64 s[4:5], s[26:27], s[40:41]
	v_cndmask_b32_e64 v10, 0, 1, s[4:5]
	s_and_b64 s[4:5], s[30:31], s[56:57]
	v_cndmask_b32_e64 v11, 0, 1, s[4:5]
	v_cmp_ne_u32_e64 s[6:7], 0, v8
	v_cmp_ne_u32_e64 s[36:37], 0, v9
	;; [unrolled: 1-line block ×4, first 2 shown]
	s_bcnt1_i32_b64 s4, s[6:7]
	s_bcnt1_i32_b64 s5, s[36:37]
	;; [unrolled: 1-line block ×4, first 2 shown]
	s_add_u32 s4, s4, s78
	s_addc_u32 s36, 0, s79
	s_add_u32 s4, s4, s5
	s_addc_u32 s5, s36, 0
	;; [unrolled: 2-line block ×4, first 2 shown]
	s_and_b64 s[4:5], s[20:21], s[22:23]
	v_cndmask_b32_e64 v10, 0, 1, s[4:5]
	s_and_b64 s[4:5], s[18:19], s[24:25]
	v_cndmask_b32_e64 v11, 0, 1, s[4:5]
	;; [unrolled: 2-line block ×4, first 2 shown]
	v_cmp_ne_u32_e64 s[6:7], 0, v10
	v_cmp_ne_u32_e64 s[18:19], 0, v11
	;; [unrolled: 1-line block ×4, first 2 shown]
	s_bcnt1_i32_b64 s4, s[6:7]
	s_bcnt1_i32_b64 s5, s[18:19]
	;; [unrolled: 1-line block ×4, first 2 shown]
	s_add_u32 s4, s4, s84
	s_addc_u32 s18, 0, s85
	s_add_u32 s4, s4, s5
	s_addc_u32 s5, s18, 0
	;; [unrolled: 2-line block ×3, first 2 shown]
	s_add_u32 s84, s4, s7
	v_mov_b32_e32 v4, s94
	v_mov_b32_e32 v6, s12
	;; [unrolled: 1-line block ×3, first 2 shown]
	s_addc_u32 s85, s5, 0
	v_mov_b32_e32 v10, s84
	v_mov_b32_e32 v5, s95
	;; [unrolled: 1-line block ×4, first 2 shown]
	s_or_b64 s[10:11], vcc, s[10:11]
	v_mov_b32_e32 v11, s85
	s_andn2_b64 exec, exec, s[10:11]
	s_cbranch_execnz .LBB210_65
; %bb.66:                               ;   in Loop: Header=BB210_18 Depth=1
	s_or_b64 exec, exec, s[10:11]
	v_readlane_b32 s84, v47, 4
	v_readlane_b32 s85, v47, 5
.LBB210_67:                             ;   in Loop: Header=BB210_18 Depth=1
	s_or_b64 exec, exec, s[8:9]
	v_mov_b32_e32 v22, s59
	v_add_co_u32_e32 v21, vcc, s58, v0
	v_addc_co_u32_e32 v22, vcc, 0, v22, vcc
	v_cmp_gt_u64_e32 vcc, s[64:65], v[21:22]
	s_and_saveexec_b64 s[4:5], vcc
	s_cbranch_execz .LBB210_73
; %bb.68:                               ;   in Loop: Header=BB210_18 Depth=1
	v_mul_lo_u32 v42, v22, s62
	v_mul_lo_u32 v43, v21, s63
	v_mad_u64_u32 v[40:41], s[6:7], v21, s62, 0
	s_mov_b64 s[8:9], 0
	v_add3_u32 v41, v41, v43, v42
	v_lshlrev_b64 v[40:41], 1, v[40:41]
	v_mov_b32_e32 v42, s82
	v_add_co_u32_e32 v40, vcc, s33, v40
	v_addc_co_u32_e32 v41, vcc, v42, v41, vcc
	global_load_ushort v41, v[40:41], off
	s_branch .LBB210_70
.LBB210_69:                             ;   in Loop: Header=BB210_70 Depth=2
	s_or_b64 exec, exec, s[10:11]
	s_and_b64 s[6:7], exec, vcc
	s_waitcnt vmcnt(0)
	v_cmp_lt_i16_e32 vcc, -1, v41
	v_cndmask_b32_e32 v42, v33, v34, vcc
	v_xor_b32_sdwa v42, v42, v41 dst_sel:DWORD dst_unused:UNUSED_PAD src0_sel:DWORD src1_sel:WORD_0
	v_cmp_o_f16_e32 vcc, v41, v41
	v_cndmask_b32_e32 v41, v33, v42, vcc
	v_and_b32_e32 v42, v41, v38
	v_bfe_u32 v41, v41, s0, 2
	s_or_b64 s[8:9], s[6:7], s[8:9]
	v_cmp_eq_u32_e32 vcc, v42, v30
	v_cmp_eq_u32_e64 s[6:7], 0, v41
	s_and_b64 s[6:7], vcc, s[6:7]
	v_cndmask_b32_e64 v42, 0, 1, s[6:7]
	v_cmp_ne_u32_e64 s[6:7], 0, v42
	s_bcnt1_i32_b64 s6, s[6:7]
	v_add_co_u32_e64 v4, s[6:7], s6, v4
	v_addc_co_u32_e64 v5, s[6:7], 0, v5, s[6:7]
	v_cmp_eq_u32_e64 s[6:7], 1, v41
	s_and_b64 s[6:7], vcc, s[6:7]
	v_cndmask_b32_e64 v42, 0, 1, s[6:7]
	v_cmp_ne_u32_e64 s[6:7], 0, v42
	s_bcnt1_i32_b64 s6, s[6:7]
	v_add_co_u32_e64 v6, s[6:7], s6, v6
	v_addc_co_u32_e64 v7, s[6:7], 0, v7, s[6:7]
	;; [unrolled: 7-line block ×3, first 2 shown]
	v_cmp_eq_u32_e64 s[6:7], 3, v41
	s_and_b64 s[6:7], vcc, s[6:7]
	v_cndmask_b32_e64 v41, 0, 1, s[6:7]
	v_cmp_ne_u32_e32 vcc, 0, v41
	s_bcnt1_i32_b64 s6, vcc
	v_add_co_u32_e32 v10, vcc, s6, v10
	v_addc_co_u32_e32 v11, vcc, 0, v11, vcc
	v_mov_b32_e32 v41, v40
	s_andn2_b64 exec, exec, s[8:9]
	s_cbranch_execz .LBB210_72
.LBB210_70:                             ;   Parent Loop BB210_18 Depth=1
                                        ; =>  This Inner Loop Header: Depth=2
	v_add_co_u32_sdwa v21, vcc, v21, v2 dst_sel:DWORD dst_unused:UNUSED_PAD src0_sel:DWORD src1_sel:WORD_0
	v_addc_co_u32_e32 v22, vcc, 0, v22, vcc
	v_cmp_gt_u64_e64 s[6:7], s[64:65], v[21:22]
	v_cmp_le_u64_e32 vcc, s[64:65], v[21:22]
	v_mov_b32_e32 v40, 0
	s_and_saveexec_b64 s[10:11], s[6:7]
	s_cbranch_execz .LBB210_69
; %bb.71:                               ;   in Loop: Header=BB210_70 Depth=2
	v_mul_lo_u32 v40, v22, s62
	v_mul_lo_u32 v44, v21, s63
	v_mad_u64_u32 v[42:43], s[6:7], v21, s62, 0
	v_add3_u32 v43, v43, v44, v40
	v_lshlrev_b64 v[42:43], 1, v[42:43]
	v_mov_b32_e32 v40, s82
	v_add_co_u32_e64 v42, s[6:7], s33, v42
	v_addc_co_u32_e64 v43, s[6:7], v40, v43, s[6:7]
	global_load_ushort v40, v[42:43], off
	s_branch .LBB210_69
.LBB210_72:                             ;   in Loop: Header=BB210_18 Depth=1
	s_or_b64 exec, exec, s[8:9]
.LBB210_73:                             ;   in Loop: Header=BB210_18 Depth=1
	s_or_b64 exec, exec, s[4:5]
	s_branch .LBB210_52
.LBB210_74:                             ;   in Loop: Header=BB210_18 Depth=1
	v_readlane_b32 s4, v48, 57
	v_readlane_b32 s5, v48, 58
	v_mov_b32_e32 v8, 0
	v_mov_b32_e32 v9, 0
	s_nop 2
	global_load_ushort v2, v3, s[4:5]
	s_waitcnt vmcnt(0)
	v_readfirstlane_b32 s4, v2
	s_and_b32 s87, 0xffff, s4
	s_lshl_b32 s92, s87, 2
	v_cvt_f32_u32_e32 v4, s92
	s_sub_i32 s4, 0, s92
	v_rcp_iflag_f32_e32 v6, v4
	v_mov_b32_e32 v4, 0
	v_mov_b32_e32 v5, 0
	v_mul_f32_e32 v6, 0x4f7ffffe, v6
	v_cvt_u32_f32_e32 v10, v6
	v_mov_b32_e32 v6, 0
	v_mov_b32_e32 v7, 0
	v_readfirstlane_b32 s5, v10
	s_mul_i32 s4, s4, s5
	s_mul_hi_u32 s4, s5, s4
	s_add_i32 s5, s5, s4
	s_mul_hi_u32 s4, s86, s5
	s_mul_i32 s5, s4, s92
	s_sub_i32 s5, s86, s5
	s_add_i32 s6, s4, 1
	s_sub_i32 s7, s5, s92
	s_cmp_ge_u32 s5, s92
	s_cselect_b32 s4, s6, s4
	s_cselect_b32 s5, s7, s5
	s_add_i32 s6, s4, 1
	s_cmp_ge_u32 s5, s92
	s_cselect_b32 s4, s6, s4
	s_mul_hi_u32 s9, s87, s4
	s_mul_i32 s8, s87, s4
	s_lshl_b64 s[10:11], s[8:9], 2
	v_cmp_gt_u64_e32 vcc, s[10:11], v[14:15]
	v_mov_b32_e32 v10, 0
	v_mov_b32_e32 v11, 0
	s_and_saveexec_b64 s[12:13], vcc
	s_cbranch_execz .LBB210_78
; %bb.75:                               ;   in Loop: Header=BB210_18 Depth=1
	v_mov_b32_e32 v22, v15
	s_lshl_b32 s9, s87, 3
	s_mov_b64 s[78:79], 0
	v_mov_b32_e32 v40, v31
	s_mov_b64 s[84:85], 0
	s_mov_b64 s[94:95], 0
	;; [unrolled: 1-line block ×4, first 2 shown]
	v_mov_b32_e32 v21, v14
.LBB210_76:                             ;   Parent Loop BB210_18 Depth=1
                                        ; =>  This Inner Loop Header: Depth=2
	ds_read_b64 v[4:5], v40
	v_add_co_u32_e32 v21, vcc, s92, v21
	v_addc_co_u32_e32 v22, vcc, 0, v22, vcc
	s_waitcnt lgkmcnt(0)
	v_cmp_lt_i16_e64 s[6:7], -1, v4
	v_cndmask_b32_e64 v6, v33, v34, s[6:7]
	v_cmp_gt_i16_sdwa s[6:7], v4, v36 src0_sel:WORD_1 src1_sel:DWORD
	v_cndmask_b32_e64 v7, v33, v34, s[6:7]
	v_cmp_lt_i16_e64 s[6:7], -1, v5
	v_cndmask_b32_e64 v8, v33, v34, s[6:7]
	v_cmp_gt_i16_sdwa s[6:7], v5, v36 src0_sel:WORD_1 src1_sel:DWORD
	v_cndmask_b32_e64 v9, v33, v34, s[6:7]
	v_xor_b32_sdwa v8, v8, v5 dst_sel:DWORD dst_unused:UNUSED_PAD src0_sel:DWORD src1_sel:WORD_0
	v_cmp_o_f16_e64 s[18:19], v5, v5
	v_xor_b32_sdwa v9, v9, v5 dst_sel:DWORD dst_unused:UNUSED_PAD src0_sel:DWORD src1_sel:WORD_1
	v_cmp_o_f16_sdwa s[20:21], v5, v5 src0_sel:WORD_1 src1_sel:WORD_1
	v_xor_b32_sdwa v5, v6, v4 dst_sel:DWORD dst_unused:UNUSED_PAD src0_sel:DWORD src1_sel:WORD_0
	v_cmp_o_f16_e64 s[22:23], v4, v4
	v_xor_b32_sdwa v7, v7, v4 dst_sel:DWORD dst_unused:UNUSED_PAD src0_sel:DWORD src1_sel:WORD_1
	v_cmp_o_f16_sdwa s[6:7], v4, v4 src0_sel:WORD_1 src1_sel:WORD_1
	v_cndmask_b32_e64 v4, v33, v5, s[22:23]
	v_cndmask_b32_e64 v5, v33, v7, s[6:7]
	;; [unrolled: 1-line block ×3, first 2 shown]
	v_and_b32_e32 v8, v4, v38
	v_bfe_u32 v4, v4, s0, 2
	v_cndmask_b32_e64 v7, v33, v9, s[20:21]
	v_and_b32_e32 v9, v5, v38
	v_bfe_u32 v5, v5, s0, 2
	v_cmp_eq_u32_e64 s[24:25], v8, v30
	v_cmp_eq_u32_e64 s[6:7], 0, v4
	v_and_b32_e32 v10, v6, v38
	v_bfe_u32 v6, v6, s0, 2
	v_cmp_eq_u32_e64 s[22:23], v9, v30
	v_cmp_eq_u32_e64 s[36:37], 0, v5
	s_and_b64 s[6:7], s[24:25], s[6:7]
	v_and_b32_e32 v11, v7, v38
	v_bfe_u32 v7, v7, s0, 2
	v_cmp_eq_u32_e64 s[20:21], v10, v30
	v_cmp_eq_u32_e64 s[38:39], 0, v6
	;; [unrolled: 1-line block ×5, first 2 shown]
	v_cndmask_b32_e64 v4, 0, 1, s[6:7]
	s_and_b64 s[6:7], s[22:23], s[36:37]
	v_cmp_eq_u32_e64 s[18:19], v11, v30
	v_cmp_eq_u32_e64 s[40:41], 0, v7
	;; [unrolled: 1-line block ×5, first 2 shown]
	v_cndmask_b32_e64 v5, 0, 1, s[6:7]
	s_and_b64 s[6:7], s[20:21], s[38:39]
	v_cmp_eq_u32_e64 s[48:49], 1, v6
	v_cmp_eq_u32_e64 s[56:57], 2, v6
	;; [unrolled: 1-line block ×3, first 2 shown]
	v_cndmask_b32_e64 v6, 0, 1, s[6:7]
	s_and_b64 s[6:7], s[18:19], s[40:41]
	v_cmp_eq_u32_e64 s[50:51], 1, v7
	v_cmp_eq_u32_e64 s[58:59], 2, v7
	v_cmp_eq_u32_e64 s[26:27], 3, v7
	v_cndmask_b32_e64 v7, 0, 1, s[6:7]
	v_cmp_ne_u32_e64 s[6:7], 0, v4
	v_cmp_ne_u32_e64 s[36:37], 0, v5
	v_cmp_ne_u32_e64 s[38:39], 0, v6
	v_cmp_ne_u32_e64 s[40:41], 0, v7
	s_bcnt1_i32_b64 s6, s[6:7]
	s_bcnt1_i32_b64 s7, s[36:37]
	s_bcnt1_i32_b64 s36, s[38:39]
	s_bcnt1_i32_b64 s37, s[40:41]
	s_add_u32 s6, s6, s76
	s_addc_u32 s38, 0, s77
	s_add_u32 s6, s6, s7
	s_addc_u32 s7, s38, 0
	s_add_u32 s6, s6, s36
	s_addc_u32 s7, s7, 0
	s_add_u32 s76, s6, s37
	s_addc_u32 s77, s7, 0
	s_and_b64 s[6:7], s[24:25], s[44:45]
	v_cndmask_b32_e64 v6, 0, 1, s[6:7]
	s_and_b64 s[6:7], s[22:23], s[46:47]
	v_cndmask_b32_e64 v7, 0, 1, s[6:7]
	s_and_b64 s[6:7], s[20:21], s[48:49]
	v_cndmask_b32_e64 v8, 0, 1, s[6:7]
	s_and_b64 s[6:7], s[18:19], s[50:51]
	v_cndmask_b32_e64 v9, 0, 1, s[6:7]
	v_cmp_ne_u32_e64 s[6:7], 0, v6
	v_cmp_ne_u32_e64 s[36:37], 0, v7
	v_cmp_ne_u32_e64 s[38:39], 0, v8
	v_cmp_ne_u32_e64 s[40:41], 0, v9
	s_bcnt1_i32_b64 s6, s[6:7]
	s_bcnt1_i32_b64 s7, s[36:37]
	s_bcnt1_i32_b64 s36, s[38:39]
	s_bcnt1_i32_b64 s37, s[40:41]
	s_add_u32 s4, s6, s4
	s_addc_u32 s5, 0, s5
	s_add_u32 s4, s4, s7
	s_addc_u32 s5, s5, 0
	s_add_u32 s4, s4, s36
	s_addc_u32 s5, s5, 0
	s_add_u32 s4, s4, s37
	s_addc_u32 s5, s5, 0
	s_and_b64 s[6:7], s[24:25], s[52:53]
	v_cndmask_b32_e64 v8, 0, 1, s[6:7]
	s_and_b64 s[6:7], s[22:23], s[54:55]
	v_cndmask_b32_e64 v9, 0, 1, s[6:7]
	s_and_b64 s[6:7], s[20:21], s[56:57]
	v_cndmask_b32_e64 v10, 0, 1, s[6:7]
	s_and_b64 s[6:7], s[18:19], s[58:59]
	;; [unrolled: 24-line block ×3, first 2 shown]
	v_cndmask_b32_e64 v42, 0, 1, s[6:7]
	v_cmp_ne_u32_e64 s[6:7], 0, v10
	v_cmp_ne_u32_e64 s[18:19], 0, v11
	;; [unrolled: 1-line block ×4, first 2 shown]
	s_bcnt1_i32_b64 s6, s[6:7]
	s_bcnt1_i32_b64 s7, s[18:19]
	;; [unrolled: 1-line block ×4, first 2 shown]
	s_add_u32 s6, s6, s84
	s_addc_u32 s20, 0, s85
	s_add_u32 s6, s6, s7
	s_addc_u32 s7, s20, 0
	;; [unrolled: 2-line block ×3, first 2 shown]
	v_cmp_le_u64_e32 vcc, s[10:11], v[21:22]
	s_add_u32 s84, s6, s19
	v_mov_b32_e32 v4, s76
	v_mov_b32_e32 v7, s5
	;; [unrolled: 1-line block ×3, first 2 shown]
	s_addc_u32 s85, s7, 0
	v_mov_b32_e32 v10, s84
	v_add_u32_e32 v40, s9, v40
	v_mov_b32_e32 v5, s77
	v_mov_b32_e32 v6, s4
	;; [unrolled: 1-line block ×3, first 2 shown]
	s_or_b64 s[78:79], vcc, s[78:79]
	v_mov_b32_e32 v11, s85
	s_andn2_b64 exec, exec, s[78:79]
	s_cbranch_execnz .LBB210_76
; %bb.77:                               ;   in Loop: Header=BB210_18 Depth=1
	s_or_b64 exec, exec, s[78:79]
	v_readlane_b32 s84, v47, 4
	v_readlane_b32 s85, v47, 5
.LBB210_78:                             ;   in Loop: Header=BB210_18 Depth=1
	s_or_b64 exec, exec, s[12:13]
	v_mov_b32_e32 v22, s11
	v_add_co_u32_e32 v21, vcc, s10, v0
	s_and_b32 s92, s86, 0x7fffffff
	v_addc_co_u32_e32 v22, vcc, 0, v22, vcc
	v_cmp_gt_u64_e32 vcc, s[92:93], v[21:22]
	s_and_saveexec_b64 s[4:5], vcc
	s_cbranch_execz .LBB210_82
; %bb.79:                               ;   in Loop: Header=BB210_18 Depth=1
	v_lshl_add_u32 v40, s8, 3, v27
	s_lshl_b32 s10, s87, 1
	s_mov_b64 s[8:9], 0
.LBB210_80:                             ;   Parent Loop BB210_18 Depth=1
                                        ; =>  This Inner Loop Header: Depth=2
	ds_read_u16 v41, v40
	v_add_co_u32_sdwa v21, vcc, v21, v2 dst_sel:DWORD dst_unused:UNUSED_PAD src0_sel:DWORD src1_sel:WORD_0
	v_addc_co_u32_e32 v22, vcc, 0, v22, vcc
	s_waitcnt lgkmcnt(0)
	v_cmp_lt_i16_e64 s[6:7], -1, v41
	v_cndmask_b32_e64 v42, v33, v34, s[6:7]
	v_xor_b32_sdwa v42, v42, v41 dst_sel:DWORD dst_unused:UNUSED_PAD src0_sel:DWORD src1_sel:WORD_0
	v_cmp_o_f16_e64 s[6:7], v41, v41
	v_cndmask_b32_e64 v41, v33, v42, s[6:7]
	v_and_b32_e32 v42, v41, v38
	v_bfe_u32 v41, v41, s0, 2
	v_cmp_eq_u32_e64 s[6:7], v42, v30
	v_cmp_eq_u32_e64 s[18:19], 0, v41
	;; [unrolled: 1-line block ×3, first 2 shown]
	s_and_b64 s[12:13], s[6:7], s[18:19]
	v_cmp_eq_u32_e64 s[22:23], 2, v41
	v_cmp_eq_u32_e64 s[24:25], 3, v41
	v_cndmask_b32_e64 v41, 0, 1, s[12:13]
	s_and_b64 s[12:13], s[6:7], s[20:21]
	v_cndmask_b32_e64 v42, 0, 1, s[12:13]
	s_and_b64 s[12:13], s[6:7], s[22:23]
	s_and_b64 s[6:7], s[6:7], s[24:25]
	v_cndmask_b32_e64 v43, 0, 1, s[12:13]
	v_cndmask_b32_e64 v44, 0, 1, s[6:7]
	v_cmp_le_u64_e32 vcc, s[92:93], v[21:22]
	v_cmp_ne_u32_e64 s[6:7], 0, v41
	v_cmp_ne_u32_e64 s[18:19], 0, v42
	;; [unrolled: 1-line block ×4, first 2 shown]
	s_bcnt1_i32_b64 s6, s[6:7]
	s_bcnt1_i32_b64 s7, s[18:19]
	;; [unrolled: 1-line block ×4, first 2 shown]
	s_or_b64 s[8:9], vcc, s[8:9]
	v_add_co_u32_e32 v4, vcc, s6, v4
	v_addc_co_u32_e32 v5, vcc, 0, v5, vcc
	v_add_co_u32_e32 v6, vcc, s7, v6
	v_addc_co_u32_e32 v7, vcc, 0, v7, vcc
	;; [unrolled: 2-line block ×3, first 2 shown]
	v_add_co_u32_e32 v10, vcc, s12, v10
	v_add_u32_e32 v40, s10, v40
	v_addc_co_u32_e32 v11, vcc, 0, v11, vcc
	s_andn2_b64 exec, exec, s[8:9]
	s_cbranch_execnz .LBB210_80
; %bb.81:                               ;   in Loop: Header=BB210_18 Depth=1
	s_or_b64 exec, exec, s[8:9]
.LBB210_82:                             ;   in Loop: Header=BB210_18 Depth=1
	s_or_b64 exec, exec, s[4:5]
	s_lshl_b32 s6, s1, 6
	s_and_saveexec_b64 s[4:5], s[84:85]
	s_cbranch_execnz .LBB210_53
	s_branch .LBB210_54
.LBB210_83:                             ;   in Loop: Header=BB210_18 Depth=1
                                        ; implicit-def: $sgpr4_sgpr5
	s_branch .LBB210_62
.LBB210_84:                             ;   in Loop: Header=BB210_18 Depth=1
	v_mov_b32_e32 v4, 0
	v_mov_b32_e32 v5, 0
	s_mov_b32 s7, 0
.LBB210_85:                             ;   in Loop: Header=BB210_18 Depth=1
	v_readlane_b32 s8, v47, 2
	v_readlane_b32 s9, v47, 3
	s_andn2_b64 vcc, exec, s[8:9]
	s_cbranch_vccnz .LBB210_88
; %bb.86:                               ;   in Loop: Header=BB210_18 Depth=1
	s_lshl_b32 s8, s1, 9
	s_lshl_b32 s7, s7, 5
	s_add_i32 s8, s8, s7
	v_add_u32_e32 v2, s8, v32
	v_readlane_b32 s7, v47, 1
.LBB210_87:                             ;   Parent Loop BB210_18 Depth=1
                                        ; =>  This Inner Loop Header: Depth=2
	ds_read_b64 v[6:7], v2
	s_add_i32 s7, s7, -1
	v_add_u32_e32 v2, 32, v2
	s_cmp_lg_u32 s7, 0
	s_waitcnt lgkmcnt(0)
	v_add_co_u32_e32 v4, vcc, v6, v4
	v_addc_co_u32_e32 v5, vcc, v7, v5, vcc
	s_cbranch_scc1 .LBB210_87
.LBB210_88:                             ;   in Loop: Header=BB210_18 Depth=1
	v_add_lshl_u32 v2, s6, v26, 3
	ds_write_b64 v2, v[4:5] offset:3072
.LBB210_89:                             ;   in Loop: Header=BB210_18 Depth=1
	s_or_b64 exec, exec, s[4:5]
	s_lshl_b32 s4, s6, 3
	v_mov_b32_e32 v2, s4
	s_waitcnt lgkmcnt(0)
	s_barrier
	ds_read_b128 v[4:7], v2 offset:3072
	ds_read_b128 v[8:11], v2 offset:3088
	v_readlane_b32 s4, v48, 40
	s_lshl_b32 s86, 3, s0
	v_cmp_eq_u64_e64 s[18:19], 1, v[19:20]
	v_readlane_b32 s5, v48, 41
	s_waitcnt lgkmcnt(1)
	v_readfirstlane_b32 s21, v5
	v_readfirstlane_b32 s20, v4
	;; [unrolled: 1-line block ×4, first 2 shown]
	s_waitcnt lgkmcnt(0)
	v_readfirstlane_b32 s27, v9
	v_readfirstlane_b32 s26, v8
	;; [unrolled: 1-line block ×4, first 2 shown]
	s_not_b32 s87, s86
	s_mov_b64 s[40:41], -1
	s_mov_b64 s[22:23], 0
	s_andn2_b64 vcc, exec, s[4:5]
	s_mov_b64 s[34:35], 0
	s_mov_b64 s[30:31], 0
                                        ; implicit-def: $sgpr36_sgpr37
                                        ; implicit-def: $sgpr38_sgpr39
                                        ; implicit-def: $vgpr4_vgpr5
                                        ; implicit-def: $vgpr2
                                        ; implicit-def: $vgpr9
                                        ; implicit-def: $vgpr8
                                        ; implicit-def: $vgpr10
	s_cbranch_vccnz .LBB210_292
; %bb.90:                               ;   in Loop: Header=BB210_18 Depth=1
	s_cmp_eq_u64 s[20:21], 1
	s_cselect_b64 s[4:5], -1, 0
	s_and_b64 s[6:7], s[4:5], s[18:19]
	s_mov_b64 s[4:5], -1
	v_mov_b32_e32 v9, v30
	v_mov_b32_e32 v8, v38
	;; [unrolled: 1-line block ×3, first 2 shown]
                                        ; implicit-def: $sgpr38_sgpr39
                                        ; implicit-def: $sgpr36_sgpr37
	s_and_saveexec_b64 s[30:31], s[6:7]
	s_cbranch_execz .LBB210_127
; %bb.91:                               ;   in Loop: Header=BB210_18 Depth=1
	ds_read_b64 v[4:5], v3 offset:5120
	s_waitcnt lgkmcnt(0)
	s_barrier
	v_readfirstlane_b32 s8, v4
	v_readfirstlane_b32 s9, v5
	s_mov_b64 s[4:5], exec
	v_readlane_b32 s10, v48, 48
	v_readlane_b32 s11, v48, 49
	s_and_b64 s[10:11], s[4:5], s[10:11]
	s_mov_b64 exec, s[10:11]
; %bb.92:                               ;   in Loop: Header=BB210_18 Depth=1
	ds_write_b16 v28, v3
; %bb.93:                               ;   in Loop: Header=BB210_18 Depth=1
	s_or_b64 exec, exec, s[4:5]
	v_and_b32_e32 v9, s87, v30
	v_or_b32_e32 v8, s86, v38
	s_mov_b64 s[36:37], -1
	s_mov_b64 s[38:39], 0
	s_cmp_eq_u64 s[8:9], 0
	s_mov_b64 s[4:5], 0
	s_mov_b64 s[10:11], -1
	s_waitcnt lgkmcnt(0)
	s_barrier
                                        ; implicit-def: $vgpr10
	s_cbranch_scc1 .LBB210_111
; %bb.94:                               ;   in Loop: Header=BB210_18 Depth=1
	v_readlane_b32 s4, v48, 52
	s_add_u32 s34, s8, s4
	v_readlane_b32 s4, v48, 54
	s_addc_u32 s5, s9, s4
	s_mov_b32 s4, s93
	s_cmp_lg_u64 s[4:5], 0
	s_cbranch_scc0 .LBB210_154
; %bb.95:                               ;   in Loop: Header=BB210_18 Depth=1
	v_cvt_f32_u32_e32 v2, s83
	s_sub_u32 s4, 0, s83
	s_subb_u32 s12, 0, 0
	v_mac_f32_e32 v2, 0, v35
	v_rcp_f32_e32 v2, v2
	v_mul_f32_e32 v2, 0x5f7ffffc, v2
	v_mul_f32_e32 v4, 0x2f800000, v2
	v_trunc_f32_e32 v4, v4
	v_mac_f32_e32 v2, 0xcf800000, v4
	v_cvt_u32_f32_e32 v4, v4
	v_cvt_u32_f32_e32 v2, v2
	v_readfirstlane_b32 s13, v4
	v_readfirstlane_b32 s10, v2
	s_mul_i32 s11, s4, s13
	s_mul_hi_u32 s40, s4, s10
	s_mul_i32 s35, s12, s10
	s_add_i32 s11, s40, s11
	s_mul_i32 s41, s4, s10
	s_add_i32 s11, s11, s35
	s_mul_hi_u32 s40, s10, s41
	s_mul_i32 s44, s10, s11
	s_mul_hi_u32 s35, s10, s11
	s_add_u32 s40, s40, s44
	s_addc_u32 s35, 0, s35
	s_mul_hi_u32 s45, s13, s41
	s_mul_i32 s41, s13, s41
	s_add_u32 s40, s40, s41
	s_mul_hi_u32 s44, s13, s11
	s_addc_u32 s35, s35, s45
	s_addc_u32 s40, s44, 0
	s_mul_i32 s11, s13, s11
	s_add_u32 s11, s35, s11
	s_addc_u32 s35, 0, s40
	s_add_u32 s40, s10, s11
	s_cselect_b64 s[10:11], -1, 0
	s_cmp_lg_u64 s[10:11], 0
	s_addc_u32 s13, s13, s35
	s_mul_i32 s10, s4, s13
	s_mul_hi_u32 s11, s4, s40
	s_add_i32 s10, s11, s10
	s_mul_i32 s12, s12, s40
	s_add_i32 s10, s10, s12
	s_mul_i32 s4, s4, s40
	s_mul_hi_u32 s12, s13, s4
	s_mul_i32 s35, s13, s4
	s_mul_i32 s44, s40, s10
	s_mul_hi_u32 s4, s40, s4
	s_mul_hi_u32 s41, s40, s10
	s_add_u32 s4, s4, s44
	s_addc_u32 s41, 0, s41
	s_add_u32 s4, s4, s35
	s_mul_hi_u32 s11, s13, s10
	s_addc_u32 s4, s41, s12
	s_addc_u32 s11, s11, 0
	s_mul_i32 s10, s13, s10
	s_add_u32 s4, s4, s10
	s_addc_u32 s12, 0, s11
	s_add_u32 s4, s40, s4
	s_cselect_b64 s[10:11], -1, 0
	s_cmp_lg_u64 s[10:11], 0
	s_addc_u32 s10, s13, s12
	s_mul_i32 s12, s34, s10
	s_mul_hi_u32 s13, s34, s4
	s_mul_hi_u32 s11, s34, s10
	s_add_u32 s12, s13, s12
	s_addc_u32 s11, 0, s11
	s_mul_hi_u32 s35, s5, s4
	s_mul_i32 s4, s5, s4
	s_add_u32 s4, s12, s4
	s_mul_hi_u32 s13, s5, s10
	s_addc_u32 s4, s11, s35
	s_addc_u32 s11, s13, 0
	s_mul_i32 s10, s5, s10
	s_add_u32 s4, s4, s10
	s_addc_u32 s10, 0, s11
	s_mul_i32 s10, s83, s10
	s_mul_hi_u32 s11, s83, s4
	s_add_i32 s12, s11, s10
	s_mul_i32 s4, s83, s4
	s_sub_u32 s4, s34, s4
	s_cselect_b64 s[10:11], -1, 0
	s_cmp_lg_u64 s[10:11], 0
	s_subb_u32 s12, s5, s12
	s_sub_u32 s13, s4, s83
	s_cselect_b64 s[10:11], -1, 0
	s_cmp_lg_u64 s[10:11], 0
	s_subb_u32 s35, s12, 0
	;; [unrolled: 4-line block ×3, first 2 shown]
	s_cmp_ge_u32 s13, s83
	s_cselect_b32 s11, -1, 0
	s_cmp_eq_u32 s35, 0
	s_cselect_b32 s11, s11, -1
	s_cmp_lg_u32 s11, 0
	s_cselect_b32 s10, s10, s35
	s_cselect_b32 s13, s40, s13
	s_cmp_ge_u32 s4, s83
	s_cselect_b32 s11, -1, 0
	s_cmp_eq_u32 s12, 0
	s_cselect_b32 s11, s11, -1
	s_cmp_lg_u32 s11, 0
	s_cselect_b32 s11, s10, s12
	s_cselect_b32 s10, s13, s4
	s_cbranch_execnz .LBB210_97
.LBB210_96:                             ;   in Loop: Header=BB210_18 Depth=1
	v_cvt_f32_u32_e32 v2, s83
	s_sub_i32 s4, 0, s83
	v_rcp_iflag_f32_e32 v2, v2
	v_mul_f32_e32 v2, 0x4f7ffffe, v2
	v_cvt_u32_f32_e32 v2, v2
	v_readfirstlane_b32 s10, v2
	s_mul_i32 s4, s4, s10
	s_mul_hi_u32 s4, s10, s4
	s_add_i32 s10, s10, s4
	s_mul_hi_u32 s4, s34, s10
	s_mul_i32 s4, s4, s83
	s_sub_i32 s4, s34, s4
	s_sub_i32 s10, s4, s83
	s_cmp_ge_u32 s4, s83
	s_cselect_b32 s4, s10, s4
	s_sub_i32 s10, s4, s83
	s_cmp_ge_u32 s4, s83
	s_cselect_b32 s92, s10, s4
	s_mov_b64 s[10:11], s[92:93]
.LBB210_97:                             ;   in Loop: Header=BB210_18 Depth=1
	s_sub_u32 s34, s34, s10
	s_subb_u32 s35, s5, s11
	v_cmp_gt_u64_e32 vcc, s[34:35], v[0:1]
	s_mov_b64 s[10:11], 0
	s_mov_b64 s[4:5], 0
                                        ; implicit-def: $vgpr10
	s_and_saveexec_b64 s[12:13], vcc
	s_cbranch_execz .LBB210_110
; %bb.98:                               ;   in Loop: Header=BB210_18 Depth=1
	v_mov_b32_e32 v5, v1
	v_mov_b32_e32 v2, v27
	;; [unrolled: 1-line block ×3, first 2 shown]
                                        ; implicit-def: $sgpr40_sgpr41
	s_branch .LBB210_102
.LBB210_99:                             ;   in Loop: Header=BB210_102 Depth=2
	s_or_b64 exec, exec, s[44:45]
	s_waitcnt lgkmcnt(0)
	s_barrier
	ds_read_b32 v6, v3 offset:3072
	s_waitcnt lgkmcnt(0)
	s_barrier
	v_cmp_neq_f16_e32 vcc, 0, v6
	s_cbranch_vccnz .LBB210_105
; %bb.100:                              ;   in Loop: Header=BB210_102 Depth=2
	v_add_co_u32_e32 v4, vcc, s83, v4
	v_addc_co_u32_e32 v5, vcc, 0, v5, vcc
	v_cmp_le_u64_e32 vcc, s[34:35], v[4:5]
	v_add_u32_e32 v2, s81, v2
	s_mov_b64 s[44:45], 0
	s_orn2_b64 s[46:47], vcc, exec
.LBB210_101:                            ;   in Loop: Header=BB210_102 Depth=2
	s_and_b64 s[46:47], exec, s[46:47]
	s_or_b64 s[4:5], s[46:47], s[4:5]
	s_andn2_b64 s[40:41], s[40:41], exec
	s_and_b64 s[44:45], s[44:45], exec
	s_or_b64 s[40:41], s[40:41], s[44:45]
	s_andn2_b64 exec, exec, s[4:5]
	s_cbranch_execz .LBB210_109
.LBB210_102:                            ;   Parent Loop BB210_18 Depth=1
                                        ; =>  This Inner Loop Header: Depth=2
	v_cmp_gt_u64_e32 vcc, s[8:9], v[4:5]
	s_and_saveexec_b64 s[44:45], vcc
	s_cbranch_execz .LBB210_99
; %bb.103:                              ;   in Loop: Header=BB210_102 Depth=2
	ds_read_u16 v6, v2
	s_waitcnt lgkmcnt(0)
	v_cmp_lt_i16_e32 vcc, -1, v6
	v_cndmask_b32_e32 v7, v33, v34, vcc
	v_xor_b32_sdwa v7, v7, v6 dst_sel:DWORD dst_unused:UNUSED_PAD src0_sel:DWORD src1_sel:WORD_0
	v_cmp_o_f16_e32 vcc, v6, v6
	v_cndmask_b32_e32 v7, v33, v7, vcc
	v_and_b32_e32 v7, v7, v8
	v_cmp_eq_u32_e32 vcc, v7, v9
	s_and_b64 exec, exec, vcc
	s_cbranch_execz .LBB210_99
; %bb.104:                              ;   in Loop: Header=BB210_102 Depth=2
	s_movk_i32 s46, 0x3c00
	v_perm_b32 v6, v6, s46, v37
	ds_write_b32 v3, v6 offset:3072
	s_branch .LBB210_99
.LBB210_105:                            ;   in Loop: Header=BB210_102 Depth=2
	s_mov_b64 s[46:47], -1
                                        ; implicit-def: $vgpr4_vgpr5
                                        ; implicit-def: $vgpr2
	s_mov_b64 s[44:45], -1
	s_branch .LBB210_101
.LBB210_106:                            ;   in Loop: Header=BB210_18 Depth=1
	s_or_b64 exec, exec, s[8:9]
	s_waitcnt lgkmcnt(0)
	s_barrier
	s_mov_b64 s[6:7], exec
	v_readlane_b32 s8, v48, 32
	v_readlane_b32 s9, v48, 33
	s_and_b64 s[8:9], s[6:7], s[8:9]
	s_mov_b64 exec, s[8:9]
	s_cbranch_execz .LBB210_108
; %bb.107:                              ;   in Loop: Header=BB210_18 Depth=1
	ds_read_b32 v4, v3 offset:5144
	s_waitcnt lgkmcnt(0)
	v_ashrrev_i32_e32 v5, 31, v4
	ds_write_b64 v3, v[4:5] offset:5120
.LBB210_108:                            ;   in Loop: Header=BB210_18 Depth=1
	s_or_b64 exec, exec, s[6:7]
	s_waitcnt lgkmcnt(0)
	s_barrier
	s_mov_b64 s[6:7], -1
	s_and_b64 vcc, exec, s[4:5]
	s_cbranch_vccnz .LBB210_33
	s_branch .LBB210_48
.LBB210_109:                            ;   in Loop: Header=BB210_18 Depth=1
	s_or_b64 exec, exec, s[4:5]
	v_lshrrev_b32_e32 v10, 16, v6
	s_and_b64 s[4:5], s[40:41], exec
.LBB210_110:                            ;   in Loop: Header=BB210_18 Depth=1
	s_or_b64 exec, exec, s[12:13]
.LBB210_111:                            ;   in Loop: Header=BB210_18 Depth=1
	s_and_b64 vcc, exec, s[10:11]
	s_cbranch_vccz .LBB210_126
; %bb.112:                              ;   in Loop: Header=BB210_18 Depth=1
	v_readlane_b32 s38, v48, 55
	v_readlane_b32 s39, v48, 56
	s_mov_b32 s38, s93
	s_cmp_lg_u64 s[38:39], 0
	v_writelane_b32 v48, s38, 55
	v_writelane_b32 v48, s39, 56
	s_cbranch_scc0 .LBB210_155
; %bb.113:                              ;   in Loop: Header=BB210_18 Depth=1
	v_cvt_f32_u32_e32 v2, s83
	s_sub_u32 s10, 0, s83
	s_subb_u32 s11, 0, 0
	v_mac_f32_e32 v2, 0, v35
	v_rcp_f32_e32 v2, v2
	v_mul_f32_e32 v2, 0x5f7ffffc, v2
	v_mul_f32_e32 v4, 0x2f800000, v2
	v_trunc_f32_e32 v4, v4
	v_mac_f32_e32 v2, 0xcf800000, v4
	v_cvt_u32_f32_e32 v4, v4
	v_cvt_u32_f32_e32 v2, v2
	v_readfirstlane_b32 s12, v4
	v_readfirstlane_b32 s8, v2
	s_mul_i32 s9, s10, s12
	s_mul_hi_u32 s34, s10, s8
	s_mul_i32 s13, s11, s8
	s_add_i32 s9, s34, s9
	s_mul_i32 s35, s10, s8
	s_add_i32 s9, s9, s13
	s_mul_hi_u32 s34, s8, s35
	s_mul_i32 s36, s8, s9
	s_mul_hi_u32 s13, s8, s9
	s_add_u32 s34, s34, s36
	s_addc_u32 s13, 0, s13
	s_mul_hi_u32 s37, s12, s35
	s_mul_i32 s35, s12, s35
	s_add_u32 s34, s34, s35
	s_mul_hi_u32 s36, s12, s9
	s_addc_u32 s13, s13, s37
	s_addc_u32 s34, s36, 0
	s_mul_i32 s9, s12, s9
	s_add_u32 s9, s13, s9
	s_addc_u32 s13, 0, s34
	s_add_u32 s34, s8, s9
	s_cselect_b64 s[8:9], -1, 0
	s_cmp_lg_u64 s[8:9], 0
	s_addc_u32 s12, s12, s13
	s_mul_i32 s8, s10, s12
	s_mul_hi_u32 s9, s10, s34
	s_add_i32 s8, s9, s8
	s_mul_i32 s11, s11, s34
	s_add_i32 s8, s8, s11
	s_mul_i32 s10, s10, s34
	s_mul_hi_u32 s11, s12, s10
	s_mul_i32 s13, s12, s10
	s_mul_i32 s36, s34, s8
	s_mul_hi_u32 s10, s34, s10
	s_mul_hi_u32 s35, s34, s8
	s_add_u32 s10, s10, s36
	s_addc_u32 s35, 0, s35
	s_add_u32 s10, s10, s13
	s_mul_hi_u32 s9, s12, s8
	s_addc_u32 s10, s35, s11
	s_addc_u32 s9, s9, 0
	s_mul_i32 s8, s12, s8
	s_add_u32 s8, s10, s8
	s_addc_u32 s10, 0, s9
	s_add_u32 s11, s34, s8
	s_cselect_b64 s[8:9], -1, 0
	s_cmp_lg_u64 s[8:9], 0
	s_addc_u32 s8, s12, s10
	v_readlane_b32 s34, v48, 53
	s_mul_i32 s10, s34, s8
	s_mul_hi_u32 s12, s34, s11
	s_mul_hi_u32 s9, s34, s8
	s_add_u32 s10, s12, s10
	s_addc_u32 s9, 0, s9
	s_mul_hi_u32 s13, s39, s11
	s_mul_i32 s11, s39, s11
	s_add_u32 s10, s10, s11
	s_mul_hi_u32 s12, s39, s8
	s_addc_u32 s9, s9, s13
	s_addc_u32 s10, s12, 0
	s_mul_i32 s8, s39, s8
	s_add_u32 s8, s9, s8
	s_addc_u32 s9, 0, s10
	s_mul_i32 s9, s83, s9
	s_mul_hi_u32 s10, s83, s8
	s_add_i32 s10, s10, s9
	s_mul_i32 s8, s83, s8
	s_sub_u32 s11, s34, s8
	s_cselect_b64 s[8:9], -1, 0
	s_cmp_lg_u64 s[8:9], 0
	s_subb_u32 s10, s39, s10
	s_sub_u32 s12, s11, s83
	s_cselect_b64 s[8:9], -1, 0
	s_cmp_lg_u64 s[8:9], 0
	s_subb_u32 s13, s10, 0
	;; [unrolled: 4-line block ×3, first 2 shown]
	s_cmp_ge_u32 s12, s83
	s_cselect_b32 s9, -1, 0
	s_cmp_eq_u32 s13, 0
	s_cselect_b32 s9, s9, -1
	s_cmp_lg_u32 s9, 0
	s_cselect_b32 s8, s8, s13
	s_cselect_b32 s12, s34, s12
	s_cmp_ge_u32 s11, s83
	s_cselect_b32 s9, -1, 0
	s_cmp_eq_u32 s10, 0
	s_cselect_b32 s9, s9, -1
	s_cmp_lg_u32 s9, 0
	s_cselect_b32 s9, s8, s10
	s_cselect_b32 s8, s12, s11
	s_cbranch_execnz .LBB210_115
.LBB210_114:                            ;   in Loop: Header=BB210_18 Depth=1
	v_cvt_f32_u32_e32 v2, s83
	s_sub_i32 s8, 0, s83
	v_readlane_b32 s10, v48, 53
	v_rcp_iflag_f32_e32 v2, v2
	v_mul_f32_e32 v2, 0x4f7ffffe, v2
	v_cvt_u32_f32_e32 v2, v2
	v_readfirstlane_b32 s9, v2
	s_mul_i32 s8, s8, s9
	s_mul_hi_u32 s8, s9, s8
	s_add_i32 s9, s9, s8
	s_mul_hi_u32 s8, s10, s9
	s_mul_i32 s8, s8, s83
	s_sub_i32 s8, s10, s8
	s_sub_i32 s9, s8, s83
	s_cmp_ge_u32 s8, s83
	s_cselect_b32 s8, s9, s8
	s_sub_i32 s9, s8, s83
	s_cmp_ge_u32 s8, s83
	s_cselect_b32 s92, s9, s8
	s_mov_b64 s[8:9], s[92:93]
.LBB210_115:                            ;   in Loop: Header=BB210_18 Depth=1
	v_readlane_b32 s10, v48, 53
	v_readlane_b32 s12, v48, 55
	s_sub_u32 s10, s10, s8
	v_readlane_b32 s13, v48, 56
	s_subb_u32 s11, s13, s9
	v_cmp_gt_u64_e32 vcc, s[10:11], v[0:1]
                                        ; implicit-def: $vgpr10
	s_and_saveexec_b64 s[8:9], vcc
	s_cbranch_execz .LBB210_125
; %bb.116:                              ;   in Loop: Header=BB210_18 Depth=1
	v_mov_b32_e32 v5, v1
	s_mov_b64 s[12:13], 0
	v_mov_b32_e32 v4, v0
                                        ; implicit-def: $sgpr34_sgpr35
	s_branch .LBB210_120
.LBB210_117:                            ;   in Loop: Header=BB210_120 Depth=2
	s_or_b64 exec, exec, s[36:37]
	s_waitcnt lgkmcnt(0)
	s_barrier
	ds_read_b32 v2, v3 offset:3072
	s_waitcnt lgkmcnt(0)
	s_barrier
	v_cmp_neq_f16_e32 vcc, 0, v2
	s_cbranch_vccnz .LBB210_123
; %bb.118:                              ;   in Loop: Header=BB210_120 Depth=2
	v_add_co_u32_e32 v4, vcc, s83, v4
	v_addc_co_u32_e32 v5, vcc, 0, v5, vcc
	v_cmp_le_u64_e32 vcc, s[10:11], v[4:5]
	s_mov_b64 s[36:37], 0
	s_orn2_b64 s[38:39], vcc, exec
.LBB210_119:                            ;   in Loop: Header=BB210_120 Depth=2
	s_and_b64 s[38:39], exec, s[38:39]
	s_or_b64 s[12:13], s[38:39], s[12:13]
	s_andn2_b64 s[34:35], s[34:35], exec
	s_and_b64 s[36:37], s[36:37], exec
	s_or_b64 s[34:35], s[34:35], s[36:37]
	s_andn2_b64 exec, exec, s[12:13]
	s_cbranch_execz .LBB210_124
.LBB210_120:                            ;   Parent Loop BB210_18 Depth=1
                                        ; =>  This Inner Loop Header: Depth=2
	v_cmp_gt_u64_e32 vcc, s[64:65], v[4:5]
	s_and_saveexec_b64 s[36:37], vcc
	s_cbranch_execz .LBB210_117
; %bb.121:                              ;   in Loop: Header=BB210_120 Depth=2
	v_mul_lo_u32 v2, v5, s62
	v_mul_lo_u32 v10, v4, s63
	v_mad_u64_u32 v[6:7], s[38:39], v4, s62, 0
	v_add3_u32 v7, v7, v10, v2
	v_lshlrev_b64 v[6:7], 1, v[6:7]
	v_mov_b32_e32 v2, s82
	v_add_co_u32_e32 v6, vcc, s33, v6
	v_addc_co_u32_e32 v7, vcc, v2, v7, vcc
	global_load_ushort v2, v[6:7], off
	s_waitcnt vmcnt(0)
	v_cmp_lt_i16_e32 vcc, -1, v2
	v_cndmask_b32_e32 v6, v33, v34, vcc
	v_xor_b32_sdwa v6, v6, v2 dst_sel:DWORD dst_unused:UNUSED_PAD src0_sel:DWORD src1_sel:WORD_0
	v_cmp_o_f16_e32 vcc, v2, v2
	v_cndmask_b32_e32 v6, v33, v6, vcc
	v_and_b32_e32 v6, v6, v8
	v_cmp_eq_u32_e32 vcc, v6, v9
	s_and_b64 exec, exec, vcc
	s_cbranch_execz .LBB210_117
; %bb.122:                              ;   in Loop: Header=BB210_120 Depth=2
	s_movk_i32 s38, 0x3c00
	v_perm_b32 v2, v2, s38, v37
	ds_write_b32 v3, v2 offset:3072
	s_branch .LBB210_117
.LBB210_123:                            ;   in Loop: Header=BB210_120 Depth=2
	s_mov_b64 s[38:39], -1
                                        ; implicit-def: $vgpr4_vgpr5
	s_mov_b64 s[36:37], -1
	s_branch .LBB210_119
.LBB210_124:                            ;   in Loop: Header=BB210_18 Depth=1
	s_or_b64 exec, exec, s[12:13]
	s_andn2_b64 s[4:5], s[4:5], exec
	s_and_b64 s[10:11], s[34:35], exec
	v_lshrrev_b32_e32 v10, 16, v2
	s_or_b64 s[4:5], s[4:5], s[10:11]
.LBB210_125:                            ;   in Loop: Header=BB210_18 Depth=1
	s_or_b64 exec, exec, s[8:9]
	s_mov_b64 s[36:37], 0
	s_mov_b64 s[38:39], -1
.LBB210_126:                            ;   in Loop: Header=BB210_18 Depth=1
	s_orn2_b64 s[4:5], s[4:5], exec
.LBB210_127:                            ;   in Loop: Header=BB210_18 Depth=1
	s_or_b64 exec, exec, s[30:31]
	s_mov_b64 s[40:41], 0
	s_mov_b64 s[34:35], 0
	;; [unrolled: 1-line block ×3, first 2 shown]
                                        ; implicit-def: $vgpr4_vgpr5
                                        ; implicit-def: $vgpr2
	s_and_saveexec_b64 s[44:45], s[4:5]
	s_cbranch_execz .LBB210_291
; %bb.128:                              ;   in Loop: Header=BB210_18 Depth=1
	v_mov_b32_e32 v4, 1
	s_xor_b64 s[8:9], s[6:7], -1
	v_mov_b32_e32 v2, 1
	v_mov_b32_e32 v5, 0
	s_mov_b64 s[6:7], 0
	s_and_saveexec_b64 s[4:5], s[8:9]
	s_cbranch_execz .LBB210_137
; %bb.129:                              ;   in Loop: Header=BB210_18 Depth=1
	v_cmp_ge_u64_e32 vcc, s[20:21], v[19:20]
	s_and_saveexec_b64 s[6:7], vcc
	s_xor_b64 s[6:7], exec, s[6:7]
	s_cbranch_execz .LBB210_134
; %bb.130:                              ;   in Loop: Header=BB210_18 Depth=1
	ds_read_b64 v[4:5], v3 offset:5120
	v_and_b32_e32 v9, s87, v9
	v_or_b32_e32 v8, s86, v8
	s_waitcnt lgkmcnt(0)
	v_cmp_ne_u64_e32 vcc, 0, v[4:5]
	s_cbranch_vccnz .LBB210_134
; %bb.131:                              ;   in Loop: Header=BB210_18 Depth=1
	s_mov_b64 s[8:9], exec
	v_readlane_b32 s10, v48, 32
	v_readlane_b32 s11, v48, 33
	s_and_b64 s[10:11], s[8:9], s[10:11]
	s_mov_b64 exec, s[10:11]
; %bb.132:                              ;   in Loop: Header=BB210_18 Depth=1
	v_mov_b32_e32 v4, s20
	v_mov_b32_e32 v5, s21
	ds_write_b64 v3, v[4:5] offset:5128
; %bb.133:                              ;   in Loop: Header=BB210_18 Depth=1
	s_or_b64 exec, exec, s[8:9]
	s_waitcnt lgkmcnt(0)
	s_barrier
.LBB210_134:                            ;   in Loop: Header=BB210_18 Depth=1
	s_or_saveexec_b64 s[6:7], s[6:7]
	v_mov_b32_e32 v4, v19
	s_mov_b64 s[8:9], 0
	v_mov_b32_e32 v2, 8
	v_mov_b32_e32 v5, v20
	s_xor_b64 exec, exec, s[6:7]
; %bb.135:                              ;   in Loop: Header=BB210_18 Depth=1
	v_subrev_co_u32_e32 v4, vcc, s20, v19
	v_mov_b32_e32 v2, s21
	v_subb_co_u32_e32 v5, vcc, v20, v2, vcc
	v_mov_b32_e32 v2, 0
	s_mov_b64 s[8:9], exec
; %bb.136:                              ;   in Loop: Header=BB210_18 Depth=1
	s_or_b64 exec, exec, s[6:7]
	s_and_b64 s[6:7], s[8:9], exec
.LBB210_137:                            ;   in Loop: Header=BB210_18 Depth=1
	s_or_b64 exec, exec, s[4:5]
	s_mov_b64 s[4:5], -1
                                        ; implicit-def: $sgpr30_sgpr31
                                        ; implicit-def: $sgpr34_sgpr35
	s_and_saveexec_b64 s[8:9], s[6:7]
	s_xor_b64 s[6:7], exec, s[8:9]
	s_cbranch_execz .LBB210_288
; %bb.138:                              ;   in Loop: Header=BB210_18 Depth=1
	s_cmp_eq_u64 s[24:25], 1
	v_cmp_eq_u64_e32 vcc, 1, v[4:5]
	s_cselect_b64 s[4:5], -1, 0
	s_and_b64 s[48:49], s[4:5], vcc
	s_mov_b64 s[4:5], -1
                                        ; implicit-def: $sgpr34_sgpr35
                                        ; implicit-def: $sgpr30_sgpr31
	s_and_saveexec_b64 s[46:47], s[48:49]
	s_cbranch_execz .LBB210_174
; %bb.139:                              ;   in Loop: Header=BB210_18 Depth=1
	ds_read_b64 v[6:7], v3 offset:5120
	s_waitcnt lgkmcnt(0)
	s_barrier
	v_readfirstlane_b32 s8, v6
	v_readfirstlane_b32 s9, v7
	s_mov_b64 s[4:5], exec
	v_readlane_b32 s10, v48, 48
	v_readlane_b32 s11, v48, 49
	s_and_b64 s[10:11], s[4:5], s[10:11]
	s_mov_b64 exec, s[10:11]
; %bb.140:                              ;   in Loop: Header=BB210_18 Depth=1
	ds_write_b16 v28, v3
; %bb.141:                              ;   in Loop: Header=BB210_18 Depth=1
	s_or_b64 exec, exec, s[4:5]
	v_and_b32_e32 v6, s87, v9
	v_lshl_or_b32 v9, 1, s0, v6
	v_or_b32_e32 v8, s86, v8
	s_mov_b64 s[30:31], -1
	s_mov_b64 s[34:35], 0
	s_cmp_eq_u64 s[8:9], 0
	s_mov_b64 s[4:5], 0
	s_mov_b64 s[10:11], -1
	s_waitcnt lgkmcnt(0)
	s_barrier
                                        ; implicit-def: $vgpr10
	s_cbranch_scc1 .LBB210_158
; %bb.142:                              ;   in Loop: Header=BB210_18 Depth=1
	v_readlane_b32 s4, v48, 52
	s_add_u32 s50, s8, s4
	v_readlane_b32 s4, v48, 54
	s_addc_u32 s5, s9, s4
	s_mov_b32 s4, s93
	s_cmp_lg_u64 s[4:5], 0
	s_cbranch_scc0 .LBB210_201
; %bb.143:                              ;   in Loop: Header=BB210_18 Depth=1
	v_cvt_f32_u32_e32 v6, s83
	s_sub_u32 s4, 0, s83
	s_subb_u32 s12, 0, 0
	v_mac_f32_e32 v6, 0, v35
	v_rcp_f32_e32 v6, v6
	v_mul_f32_e32 v6, 0x5f7ffffc, v6
	v_mul_f32_e32 v7, 0x2f800000, v6
	v_trunc_f32_e32 v7, v7
	v_mac_f32_e32 v6, 0xcf800000, v7
	v_cvt_u32_f32_e32 v7, v7
	v_cvt_u32_f32_e32 v6, v6
	v_readfirstlane_b32 s13, v7
	v_readfirstlane_b32 s10, v6
	s_mul_i32 s11, s4, s13
	s_mul_hi_u32 s52, s4, s10
	s_mul_i32 s51, s12, s10
	s_add_i32 s11, s52, s11
	s_mul_i32 s53, s4, s10
	s_add_i32 s11, s11, s51
	s_mul_hi_u32 s52, s10, s53
	s_mul_i32 s54, s10, s11
	s_mul_hi_u32 s51, s10, s11
	s_add_u32 s52, s52, s54
	s_addc_u32 s51, 0, s51
	s_mul_hi_u32 s55, s13, s53
	s_mul_i32 s53, s13, s53
	s_add_u32 s52, s52, s53
	s_mul_hi_u32 s54, s13, s11
	s_addc_u32 s51, s51, s55
	s_addc_u32 s52, s54, 0
	s_mul_i32 s11, s13, s11
	s_add_u32 s11, s51, s11
	s_addc_u32 s51, 0, s52
	s_add_u32 s52, s10, s11
	s_cselect_b64 s[10:11], -1, 0
	s_cmp_lg_u64 s[10:11], 0
	s_addc_u32 s13, s13, s51
	s_mul_i32 s10, s4, s13
	s_mul_hi_u32 s11, s4, s52
	s_add_i32 s10, s11, s10
	s_mul_i32 s12, s12, s52
	s_add_i32 s10, s10, s12
	s_mul_i32 s4, s4, s52
	s_mul_hi_u32 s12, s13, s4
	s_mul_i32 s51, s13, s4
	s_mul_i32 s54, s52, s10
	s_mul_hi_u32 s4, s52, s4
	s_mul_hi_u32 s53, s52, s10
	s_add_u32 s4, s4, s54
	s_addc_u32 s53, 0, s53
	s_add_u32 s4, s4, s51
	s_mul_hi_u32 s11, s13, s10
	s_addc_u32 s4, s53, s12
	s_addc_u32 s11, s11, 0
	s_mul_i32 s10, s13, s10
	s_add_u32 s4, s4, s10
	s_addc_u32 s12, 0, s11
	s_add_u32 s4, s52, s4
	s_cselect_b64 s[10:11], -1, 0
	s_cmp_lg_u64 s[10:11], 0
	s_addc_u32 s10, s13, s12
	s_mul_i32 s12, s50, s10
	s_mul_hi_u32 s13, s50, s4
	s_mul_hi_u32 s11, s50, s10
	s_add_u32 s12, s13, s12
	s_addc_u32 s11, 0, s11
	s_mul_hi_u32 s51, s5, s4
	s_mul_i32 s4, s5, s4
	s_add_u32 s4, s12, s4
	s_mul_hi_u32 s13, s5, s10
	s_addc_u32 s4, s11, s51
	s_addc_u32 s11, s13, 0
	s_mul_i32 s10, s5, s10
	s_add_u32 s4, s4, s10
	s_addc_u32 s10, 0, s11
	s_mul_i32 s10, s83, s10
	s_mul_hi_u32 s11, s83, s4
	s_add_i32 s12, s11, s10
	s_mul_i32 s4, s83, s4
	s_sub_u32 s4, s50, s4
	s_cselect_b64 s[10:11], -1, 0
	s_cmp_lg_u64 s[10:11], 0
	s_subb_u32 s12, s5, s12
	s_sub_u32 s13, s4, s83
	s_cselect_b64 s[10:11], -1, 0
	s_cmp_lg_u64 s[10:11], 0
	s_subb_u32 s51, s12, 0
	;; [unrolled: 4-line block ×3, first 2 shown]
	s_cmp_ge_u32 s13, s83
	s_cselect_b32 s11, -1, 0
	s_cmp_eq_u32 s51, 0
	s_cselect_b32 s11, s11, -1
	s_cmp_lg_u32 s11, 0
	s_cselect_b32 s10, s10, s51
	s_cselect_b32 s13, s52, s13
	s_cmp_ge_u32 s4, s83
	s_cselect_b32 s11, -1, 0
	s_cmp_eq_u32 s12, 0
	s_cselect_b32 s11, s11, -1
	s_cmp_lg_u32 s11, 0
	s_cselect_b32 s11, s10, s12
	s_cselect_b32 s10, s13, s4
	s_cbranch_execnz .LBB210_145
.LBB210_144:                            ;   in Loop: Header=BB210_18 Depth=1
	v_cvt_f32_u32_e32 v6, s83
	s_sub_i32 s4, 0, s83
	v_rcp_iflag_f32_e32 v6, v6
	v_mul_f32_e32 v6, 0x4f7ffffe, v6
	v_cvt_u32_f32_e32 v6, v6
	v_readfirstlane_b32 s10, v6
	s_mul_i32 s4, s4, s10
	s_mul_hi_u32 s4, s10, s4
	s_add_i32 s10, s10, s4
	s_mul_hi_u32 s4, s50, s10
	s_mul_i32 s4, s4, s83
	s_sub_i32 s4, s50, s4
	s_sub_i32 s10, s4, s83
	s_cmp_ge_u32 s4, s83
	s_cselect_b32 s4, s10, s4
	s_sub_i32 s10, s4, s83
	s_cmp_ge_u32 s4, s83
	s_cselect_b32 s92, s10, s4
	s_mov_b64 s[10:11], s[92:93]
.LBB210_145:                            ;   in Loop: Header=BB210_18 Depth=1
	s_sub_u32 s50, s50, s10
	s_subb_u32 s51, s5, s11
	v_cmp_gt_u64_e32 vcc, s[50:51], v[0:1]
	s_mov_b64 s[10:11], 0
	s_mov_b64 s[4:5], 0
                                        ; implicit-def: $vgpr10
	s_and_saveexec_b64 s[12:13], vcc
	s_cbranch_execz .LBB210_157
; %bb.146:                              ;   in Loop: Header=BB210_18 Depth=1
	v_mov_b32_e32 v7, v1
	v_mov_b32_e32 v10, v27
	;; [unrolled: 1-line block ×3, first 2 shown]
                                        ; implicit-def: $sgpr52_sgpr53
	s_branch .LBB210_150
.LBB210_147:                            ;   in Loop: Header=BB210_150 Depth=2
	s_or_b64 exec, exec, s[54:55]
	s_waitcnt lgkmcnt(0)
	s_barrier
	ds_read_b32 v11, v3 offset:3072
	s_waitcnt lgkmcnt(0)
	s_barrier
	v_cmp_neq_f16_e32 vcc, 0, v11
	s_cbranch_vccnz .LBB210_153
; %bb.148:                              ;   in Loop: Header=BB210_150 Depth=2
	v_add_co_u32_e32 v6, vcc, s83, v6
	v_addc_co_u32_e32 v7, vcc, 0, v7, vcc
	v_cmp_le_u64_e32 vcc, s[50:51], v[6:7]
	v_add_u32_e32 v10, s81, v10
	s_mov_b64 s[54:55], 0
	s_orn2_b64 s[56:57], vcc, exec
.LBB210_149:                            ;   in Loop: Header=BB210_150 Depth=2
	s_and_b64 s[56:57], exec, s[56:57]
	s_or_b64 s[4:5], s[56:57], s[4:5]
	s_andn2_b64 s[52:53], s[52:53], exec
	s_and_b64 s[54:55], s[54:55], exec
	s_or_b64 s[52:53], s[52:53], s[54:55]
	s_andn2_b64 exec, exec, s[4:5]
	s_cbranch_execz .LBB210_156
.LBB210_150:                            ;   Parent Loop BB210_18 Depth=1
                                        ; =>  This Inner Loop Header: Depth=2
	v_cmp_gt_u64_e32 vcc, s[8:9], v[6:7]
	s_and_saveexec_b64 s[54:55], vcc
	s_cbranch_execz .LBB210_147
; %bb.151:                              ;   in Loop: Header=BB210_150 Depth=2
	ds_read_u16 v11, v10
	s_waitcnt lgkmcnt(0)
	v_cmp_lt_i16_e32 vcc, -1, v11
	v_cndmask_b32_e32 v21, v33, v34, vcc
	v_xor_b32_sdwa v21, v21, v11 dst_sel:DWORD dst_unused:UNUSED_PAD src0_sel:DWORD src1_sel:WORD_0
	v_cmp_o_f16_e32 vcc, v11, v11
	v_cndmask_b32_e32 v21, v33, v21, vcc
	v_and_b32_e32 v21, v21, v8
	v_cmp_eq_u32_e32 vcc, v21, v9
	s_and_b64 exec, exec, vcc
	s_cbranch_execz .LBB210_147
; %bb.152:                              ;   in Loop: Header=BB210_150 Depth=2
	s_movk_i32 s56, 0x3c00
	v_perm_b32 v11, v11, s56, v37
	ds_write_b32 v3, v11 offset:3072
	s_branch .LBB210_147
.LBB210_153:                            ;   in Loop: Header=BB210_150 Depth=2
	s_mov_b64 s[56:57], -1
                                        ; implicit-def: $vgpr6_vgpr7
                                        ; implicit-def: $vgpr10
	s_mov_b64 s[54:55], -1
	s_branch .LBB210_149
.LBB210_154:                            ;   in Loop: Header=BB210_18 Depth=1
                                        ; implicit-def: $sgpr10_sgpr11
	s_branch .LBB210_96
.LBB210_155:                            ;   in Loop: Header=BB210_18 Depth=1
                                        ; implicit-def: $sgpr8_sgpr9
	s_branch .LBB210_114
.LBB210_156:                            ;   in Loop: Header=BB210_18 Depth=1
	s_or_b64 exec, exec, s[4:5]
	v_lshrrev_b32_e32 v10, 16, v11
	s_and_b64 s[4:5], s[52:53], exec
.LBB210_157:                            ;   in Loop: Header=BB210_18 Depth=1
	s_or_b64 exec, exec, s[12:13]
.LBB210_158:                            ;   in Loop: Header=BB210_18 Depth=1
	s_and_b64 vcc, exec, s[10:11]
	s_cbranch_vccz .LBB210_173
; %bb.159:                              ;   in Loop: Header=BB210_18 Depth=1
	v_readlane_b32 s50, v48, 55
	v_readlane_b32 s51, v48, 56
	s_mov_b32 s50, s93
	s_cmp_lg_u64 s[50:51], 0
	v_writelane_b32 v48, s50, 55
	v_writelane_b32 v48, s51, 56
	s_cbranch_scc0 .LBB210_202
; %bb.160:                              ;   in Loop: Header=BB210_18 Depth=1
	v_cvt_f32_u32_e32 v6, s83
	s_sub_u32 s10, 0, s83
	s_subb_u32 s11, 0, 0
	v_mac_f32_e32 v6, 0, v35
	v_rcp_f32_e32 v6, v6
	v_mul_f32_e32 v6, 0x5f7ffffc, v6
	v_mul_f32_e32 v7, 0x2f800000, v6
	v_trunc_f32_e32 v7, v7
	v_mac_f32_e32 v6, 0xcf800000, v7
	v_cvt_u32_f32_e32 v7, v7
	v_cvt_u32_f32_e32 v6, v6
	v_readfirstlane_b32 s12, v7
	v_readfirstlane_b32 s8, v6
	s_mul_i32 s9, s10, s12
	s_mul_hi_u32 s30, s10, s8
	s_mul_i32 s13, s11, s8
	s_add_i32 s9, s30, s9
	s_mul_i32 s31, s10, s8
	s_add_i32 s9, s9, s13
	s_mul_hi_u32 s30, s8, s31
	s_mul_i32 s34, s8, s9
	s_mul_hi_u32 s13, s8, s9
	s_add_u32 s30, s30, s34
	s_addc_u32 s13, 0, s13
	s_mul_hi_u32 s35, s12, s31
	s_mul_i32 s31, s12, s31
	s_add_u32 s30, s30, s31
	s_mul_hi_u32 s34, s12, s9
	s_addc_u32 s13, s13, s35
	s_addc_u32 s30, s34, 0
	s_mul_i32 s9, s12, s9
	s_add_u32 s9, s13, s9
	s_addc_u32 s13, 0, s30
	s_add_u32 s30, s8, s9
	s_cselect_b64 s[8:9], -1, 0
	s_cmp_lg_u64 s[8:9], 0
	s_addc_u32 s12, s12, s13
	s_mul_i32 s8, s10, s12
	s_mul_hi_u32 s9, s10, s30
	s_add_i32 s8, s9, s8
	s_mul_i32 s11, s11, s30
	s_add_i32 s8, s8, s11
	s_mul_i32 s10, s10, s30
	s_mul_hi_u32 s11, s12, s10
	s_mul_i32 s13, s12, s10
	s_mul_i32 s34, s30, s8
	s_mul_hi_u32 s10, s30, s10
	s_mul_hi_u32 s31, s30, s8
	s_add_u32 s10, s10, s34
	s_addc_u32 s31, 0, s31
	s_add_u32 s10, s10, s13
	s_mul_hi_u32 s9, s12, s8
	s_addc_u32 s10, s31, s11
	s_addc_u32 s9, s9, 0
	s_mul_i32 s8, s12, s8
	s_add_u32 s8, s10, s8
	s_addc_u32 s10, 0, s9
	s_add_u32 s11, s30, s8
	s_cselect_b64 s[8:9], -1, 0
	s_cmp_lg_u64 s[8:9], 0
	s_addc_u32 s8, s12, s10
	v_readlane_b32 s30, v48, 53
	s_mul_i32 s10, s30, s8
	s_mul_hi_u32 s12, s30, s11
	s_mul_hi_u32 s9, s30, s8
	s_add_u32 s10, s12, s10
	s_addc_u32 s9, 0, s9
	s_mul_hi_u32 s13, s51, s11
	s_mul_i32 s11, s51, s11
	s_add_u32 s10, s10, s11
	s_mul_hi_u32 s12, s51, s8
	s_addc_u32 s9, s9, s13
	s_addc_u32 s10, s12, 0
	s_mul_i32 s8, s51, s8
	s_add_u32 s8, s9, s8
	s_addc_u32 s9, 0, s10
	s_mul_i32 s9, s83, s9
	s_mul_hi_u32 s10, s83, s8
	s_add_i32 s10, s10, s9
	s_mul_i32 s8, s83, s8
	s_sub_u32 s11, s30, s8
	s_cselect_b64 s[8:9], -1, 0
	s_cmp_lg_u64 s[8:9], 0
	s_subb_u32 s10, s51, s10
	s_sub_u32 s12, s11, s83
	s_cselect_b64 s[8:9], -1, 0
	s_cmp_lg_u64 s[8:9], 0
	s_subb_u32 s13, s10, 0
	;; [unrolled: 4-line block ×3, first 2 shown]
	s_cmp_ge_u32 s12, s83
	s_cselect_b32 s9, -1, 0
	s_cmp_eq_u32 s13, 0
	s_cselect_b32 s9, s9, -1
	s_cmp_lg_u32 s9, 0
	s_cselect_b32 s8, s8, s13
	s_cselect_b32 s12, s30, s12
	s_cmp_ge_u32 s11, s83
	s_cselect_b32 s9, -1, 0
	s_cmp_eq_u32 s10, 0
	s_cselect_b32 s9, s9, -1
	s_cmp_lg_u32 s9, 0
	s_cselect_b32 s9, s8, s10
	s_cselect_b32 s8, s12, s11
	s_cbranch_execnz .LBB210_162
.LBB210_161:                            ;   in Loop: Header=BB210_18 Depth=1
	v_cvt_f32_u32_e32 v6, s83
	s_sub_i32 s8, 0, s83
	v_readlane_b32 s10, v48, 53
	v_rcp_iflag_f32_e32 v6, v6
	v_mul_f32_e32 v6, 0x4f7ffffe, v6
	v_cvt_u32_f32_e32 v6, v6
	v_readfirstlane_b32 s9, v6
	s_mul_i32 s8, s8, s9
	s_mul_hi_u32 s8, s9, s8
	s_add_i32 s9, s9, s8
	s_mul_hi_u32 s8, s10, s9
	s_mul_i32 s8, s8, s83
	s_sub_i32 s8, s10, s8
	s_sub_i32 s9, s8, s83
	s_cmp_ge_u32 s8, s83
	s_cselect_b32 s8, s9, s8
	s_sub_i32 s9, s8, s83
	s_cmp_ge_u32 s8, s83
	s_cselect_b32 s92, s9, s8
	s_mov_b64 s[8:9], s[92:93]
.LBB210_162:                            ;   in Loop: Header=BB210_18 Depth=1
	v_readlane_b32 s10, v48, 53
	v_readlane_b32 s12, v48, 55
	s_sub_u32 s10, s10, s8
	v_readlane_b32 s13, v48, 56
	s_subb_u32 s11, s13, s9
	v_cmp_gt_u64_e32 vcc, s[10:11], v[0:1]
                                        ; implicit-def: $vgpr10
	s_and_saveexec_b64 s[8:9], vcc
	s_cbranch_execz .LBB210_172
; %bb.163:                              ;   in Loop: Header=BB210_18 Depth=1
	v_mov_b32_e32 v7, v1
	s_mov_b64 s[12:13], 0
	v_mov_b32_e32 v6, v0
                                        ; implicit-def: $sgpr30_sgpr31
	s_branch .LBB210_167
.LBB210_164:                            ;   in Loop: Header=BB210_167 Depth=2
	s_or_b64 exec, exec, s[34:35]
	s_waitcnt lgkmcnt(0)
	s_barrier
	ds_read_b32 v10, v3 offset:3072
	s_waitcnt lgkmcnt(0)
	s_barrier
	v_cmp_eq_f16_e32 vcc, 0, v10
	s_cbranch_vccz .LBB210_170
; %bb.165:                              ;   in Loop: Header=BB210_167 Depth=2
	v_add_co_u32_e32 v6, vcc, s83, v6
	v_addc_co_u32_e32 v7, vcc, 0, v7, vcc
	v_cmp_le_u64_e32 vcc, s[10:11], v[6:7]
	s_mov_b64 s[34:35], 0
	s_orn2_b64 s[50:51], vcc, exec
.LBB210_166:                            ;   in Loop: Header=BB210_167 Depth=2
	s_and_b64 s[50:51], exec, s[50:51]
	s_or_b64 s[12:13], s[50:51], s[12:13]
	s_andn2_b64 s[30:31], s[30:31], exec
	s_and_b64 s[34:35], s[34:35], exec
	s_or_b64 s[30:31], s[30:31], s[34:35]
	s_andn2_b64 exec, exec, s[12:13]
	s_cbranch_execz .LBB210_171
.LBB210_167:                            ;   Parent Loop BB210_18 Depth=1
                                        ; =>  This Inner Loop Header: Depth=2
	v_cmp_gt_u64_e32 vcc, s[64:65], v[6:7]
	s_and_saveexec_b64 s[34:35], vcc
	s_cbranch_execz .LBB210_164
; %bb.168:                              ;   in Loop: Header=BB210_167 Depth=2
	v_mul_lo_u32 v21, v7, s62
	v_mul_lo_u32 v22, v6, s63
	v_mad_u64_u32 v[10:11], s[50:51], v6, s62, 0
	v_add3_u32 v11, v11, v22, v21
	v_lshlrev_b64 v[10:11], 1, v[10:11]
	v_mov_b32_e32 v21, s82
	v_add_co_u32_e32 v10, vcc, s33, v10
	v_addc_co_u32_e32 v11, vcc, v21, v11, vcc
	global_load_ushort v10, v[10:11], off
	s_waitcnt vmcnt(0)
	v_cmp_lt_i16_e32 vcc, -1, v10
	v_cndmask_b32_e32 v11, v33, v34, vcc
	v_xor_b32_sdwa v11, v11, v10 dst_sel:DWORD dst_unused:UNUSED_PAD src0_sel:DWORD src1_sel:WORD_0
	v_cmp_o_f16_e32 vcc, v10, v10
	v_cndmask_b32_e32 v11, v33, v11, vcc
	v_and_b32_e32 v11, v11, v8
	v_cmp_eq_u32_e32 vcc, v11, v9
	s_and_b64 exec, exec, vcc
	s_cbranch_execz .LBB210_164
; %bb.169:                              ;   in Loop: Header=BB210_167 Depth=2
	s_movk_i32 s50, 0x3c00
	v_perm_b32 v10, v10, s50, v37
	ds_write_b32 v3, v10 offset:3072
	s_branch .LBB210_164
.LBB210_170:                            ;   in Loop: Header=BB210_167 Depth=2
	s_mov_b64 s[50:51], -1
                                        ; implicit-def: $vgpr6_vgpr7
	s_mov_b64 s[34:35], -1
	s_branch .LBB210_166
.LBB210_171:                            ;   in Loop: Header=BB210_18 Depth=1
	s_or_b64 exec, exec, s[12:13]
	s_andn2_b64 s[4:5], s[4:5], exec
	s_and_b64 s[10:11], s[30:31], exec
	v_lshrrev_b32_e32 v10, 16, v10
	s_or_b64 s[4:5], s[4:5], s[10:11]
.LBB210_172:                            ;   in Loop: Header=BB210_18 Depth=1
	s_or_b64 exec, exec, s[8:9]
	s_mov_b64 s[30:31], 0
	s_mov_b64 s[34:35], -1
.LBB210_173:                            ;   in Loop: Header=BB210_18 Depth=1
	s_orn2_b64 s[4:5], s[4:5], exec
.LBB210_174:                            ;   in Loop: Header=BB210_18 Depth=1
	s_or_b64 exec, exec, s[46:47]
	s_mov_b64 s[8:9], 0
	s_and_saveexec_b64 s[46:47], s[4:5]
	s_cbranch_execz .LBB210_287
; %bb.175:                              ;   in Loop: Header=BB210_18 Depth=1
	v_mov_b32_e32 v6, 1
	s_xor_b64 s[10:11], s[48:49], -1
	v_mov_b32_e32 v2, 1
	v_mov_b32_e32 v7, 0
	s_and_saveexec_b64 s[4:5], s[10:11]
	s_cbranch_execz .LBB210_184
; %bb.176:                              ;   in Loop: Header=BB210_18 Depth=1
	v_cmp_ge_u64_e32 vcc, s[24:25], v[4:5]
	s_and_saveexec_b64 s[8:9], vcc
	s_xor_b64 s[8:9], exec, s[8:9]
	s_cbranch_execz .LBB210_181
; %bb.177:                              ;   in Loop: Header=BB210_18 Depth=1
	ds_read_b64 v[6:7], v3 offset:5120
	v_and_b32_e32 v2, s87, v9
	v_lshl_or_b32 v9, 1, s0, v2
	v_or_b32_e32 v8, s86, v8
	s_waitcnt lgkmcnt(0)
	v_cmp_ne_u64_e32 vcc, 0, v[6:7]
	s_cbranch_vccnz .LBB210_181
; %bb.178:                              ;   in Loop: Header=BB210_18 Depth=1
	s_mov_b64 s[10:11], exec
	v_readlane_b32 s12, v48, 32
	v_readlane_b32 s13, v48, 33
	s_and_b64 s[12:13], s[10:11], s[12:13]
	s_mov_b64 exec, s[12:13]
; %bb.179:                              ;   in Loop: Header=BB210_18 Depth=1
	v_mov_b32_e32 v6, s24
	v_mov_b32_e32 v7, s25
	ds_write_b64 v3, v[6:7] offset:5128
; %bb.180:                              ;   in Loop: Header=BB210_18 Depth=1
	s_or_b64 exec, exec, s[10:11]
	s_waitcnt lgkmcnt(0)
	s_barrier
.LBB210_181:                            ;   in Loop: Header=BB210_18 Depth=1
	s_or_saveexec_b64 s[8:9], s[8:9]
	s_mov_b64 s[10:11], 0
	v_mov_b32_e32 v2, 8
	s_xor_b64 exec, exec, s[8:9]
; %bb.182:                              ;   in Loop: Header=BB210_18 Depth=1
	v_subrev_co_u32_e32 v4, vcc, s24, v4
	v_mov_b32_e32 v2, s25
	v_subb_co_u32_e32 v5, vcc, v5, v2, vcc
	v_mov_b32_e32 v2, 0
	s_mov_b64 s[10:11], exec
; %bb.183:                              ;   in Loop: Header=BB210_18 Depth=1
	s_or_b64 exec, exec, s[8:9]
	v_mov_b32_e32 v7, v5
	s_and_b64 s[8:9], s[10:11], exec
	v_mov_b32_e32 v6, v4
.LBB210_184:                            ;   in Loop: Header=BB210_18 Depth=1
	s_or_b64 exec, exec, s[4:5]
	s_mov_b64 s[4:5], -1
                                        ; implicit-def: $sgpr50_sgpr51
                                        ; implicit-def: $sgpr52_sgpr53
	s_and_saveexec_b64 s[48:49], s[8:9]
	s_cbranch_execz .LBB210_286
; %bb.185:                              ;   in Loop: Header=BB210_18 Depth=1
	s_cmp_eq_u64 s[26:27], 1
	v_cmp_eq_u64_e32 vcc, 1, v[6:7]
	s_cselect_b64 s[4:5], -1, 0
	s_and_b64 s[56:57], s[4:5], vcc
	s_mov_b64 s[4:5], -1
                                        ; implicit-def: $sgpr52_sgpr53
                                        ; implicit-def: $sgpr50_sgpr51
	s_and_saveexec_b64 s[54:55], s[56:57]
	s_cbranch_execz .LBB210_221
; %bb.186:                              ;   in Loop: Header=BB210_18 Depth=1
	ds_read_b64 v[4:5], v3 offset:5120
	s_waitcnt lgkmcnt(0)
	s_barrier
	v_readfirstlane_b32 s8, v4
	v_readfirstlane_b32 s9, v5
	s_mov_b64 s[4:5], exec
	v_readlane_b32 s10, v48, 48
	v_readlane_b32 s11, v48, 49
	s_and_b64 s[10:11], s[4:5], s[10:11]
	s_mov_b64 exec, s[10:11]
; %bb.187:                              ;   in Loop: Header=BB210_18 Depth=1
	ds_write_b16 v28, v3
; %bb.188:                              ;   in Loop: Header=BB210_18 Depth=1
	s_or_b64 exec, exec, s[4:5]
	v_and_b32_e32 v4, s87, v9
	v_lshl_or_b32 v9, 2, s0, v4
	v_or_b32_e32 v8, s86, v8
	s_mov_b64 s[50:51], -1
	s_mov_b64 s[52:53], 0
	s_cmp_eq_u64 s[8:9], 0
	s_mov_b64 s[4:5], 0
	s_mov_b64 s[10:11], -1
	s_waitcnt lgkmcnt(0)
	s_barrier
                                        ; implicit-def: $vgpr10
	s_cbranch_scc1 .LBB210_205
; %bb.189:                              ;   in Loop: Header=BB210_18 Depth=1
	v_readlane_b32 s4, v48, 52
	s_add_u32 s58, s8, s4
	v_readlane_b32 s4, v48, 54
	s_addc_u32 s5, s9, s4
	s_mov_b32 s4, s93
	s_cmp_lg_u64 s[4:5], 0
	s_cbranch_scc0 .LBB210_238
; %bb.190:                              ;   in Loop: Header=BB210_18 Depth=1
	v_cvt_f32_u32_e32 v4, s83
	s_sub_u32 s4, 0, s83
	s_subb_u32 s12, 0, 0
	v_mac_f32_e32 v4, 0, v35
	v_rcp_f32_e32 v4, v4
	v_mul_f32_e32 v4, 0x5f7ffffc, v4
	v_mul_f32_e32 v5, 0x2f800000, v4
	v_trunc_f32_e32 v5, v5
	v_mac_f32_e32 v4, 0xcf800000, v5
	v_cvt_u32_f32_e32 v5, v5
	v_cvt_u32_f32_e32 v4, v4
	v_readfirstlane_b32 s13, v5
	v_readfirstlane_b32 s10, v4
	s_mul_i32 s11, s4, s13
	s_mul_hi_u32 s76, s4, s10
	s_mul_i32 s59, s12, s10
	s_add_i32 s11, s76, s11
	s_mul_i32 s77, s4, s10
	s_add_i32 s11, s11, s59
	s_mul_hi_u32 s76, s10, s77
	s_mul_i32 s78, s10, s11
	s_mul_hi_u32 s59, s10, s11
	s_add_u32 s76, s76, s78
	s_addc_u32 s59, 0, s59
	s_mul_hi_u32 s79, s13, s77
	s_mul_i32 s77, s13, s77
	s_add_u32 s76, s76, s77
	s_mul_hi_u32 s78, s13, s11
	s_addc_u32 s59, s59, s79
	s_addc_u32 s76, s78, 0
	s_mul_i32 s11, s13, s11
	s_add_u32 s11, s59, s11
	s_addc_u32 s59, 0, s76
	s_add_u32 s76, s10, s11
	s_cselect_b64 s[10:11], -1, 0
	s_cmp_lg_u64 s[10:11], 0
	s_addc_u32 s13, s13, s59
	s_mul_i32 s10, s4, s13
	s_mul_hi_u32 s11, s4, s76
	s_add_i32 s10, s11, s10
	s_mul_i32 s12, s12, s76
	s_add_i32 s10, s10, s12
	s_mul_i32 s4, s4, s76
	s_mul_hi_u32 s12, s13, s4
	s_mul_i32 s59, s13, s4
	s_mul_i32 s78, s76, s10
	s_mul_hi_u32 s4, s76, s4
	s_mul_hi_u32 s77, s76, s10
	s_add_u32 s4, s4, s78
	s_addc_u32 s77, 0, s77
	s_add_u32 s4, s4, s59
	s_mul_hi_u32 s11, s13, s10
	s_addc_u32 s4, s77, s12
	s_addc_u32 s11, s11, 0
	s_mul_i32 s10, s13, s10
	s_add_u32 s4, s4, s10
	s_addc_u32 s12, 0, s11
	s_add_u32 s4, s76, s4
	s_cselect_b64 s[10:11], -1, 0
	s_cmp_lg_u64 s[10:11], 0
	s_addc_u32 s10, s13, s12
	s_mul_i32 s12, s58, s10
	s_mul_hi_u32 s13, s58, s4
	s_mul_hi_u32 s11, s58, s10
	s_add_u32 s12, s13, s12
	s_addc_u32 s11, 0, s11
	s_mul_hi_u32 s59, s5, s4
	s_mul_i32 s4, s5, s4
	s_add_u32 s4, s12, s4
	s_mul_hi_u32 s13, s5, s10
	s_addc_u32 s4, s11, s59
	s_addc_u32 s11, s13, 0
	s_mul_i32 s10, s5, s10
	s_add_u32 s4, s4, s10
	s_addc_u32 s10, 0, s11
	s_mul_i32 s10, s83, s10
	s_mul_hi_u32 s11, s83, s4
	s_add_i32 s12, s11, s10
	s_mul_i32 s4, s83, s4
	s_sub_u32 s4, s58, s4
	s_cselect_b64 s[10:11], -1, 0
	s_cmp_lg_u64 s[10:11], 0
	s_subb_u32 s12, s5, s12
	s_sub_u32 s13, s4, s83
	s_cselect_b64 s[10:11], -1, 0
	s_cmp_lg_u64 s[10:11], 0
	s_subb_u32 s59, s12, 0
	;; [unrolled: 4-line block ×3, first 2 shown]
	s_cmp_ge_u32 s13, s83
	s_cselect_b32 s11, -1, 0
	s_cmp_eq_u32 s59, 0
	s_cselect_b32 s11, s11, -1
	s_cmp_lg_u32 s11, 0
	s_cselect_b32 s10, s10, s59
	s_cselect_b32 s13, s76, s13
	s_cmp_ge_u32 s4, s83
	s_cselect_b32 s11, -1, 0
	s_cmp_eq_u32 s12, 0
	s_cselect_b32 s11, s11, -1
	s_cmp_lg_u32 s11, 0
	s_cselect_b32 s11, s10, s12
	s_cselect_b32 s10, s13, s4
	s_cbranch_execnz .LBB210_192
.LBB210_191:                            ;   in Loop: Header=BB210_18 Depth=1
	v_cvt_f32_u32_e32 v4, s83
	s_sub_i32 s4, 0, s83
	v_rcp_iflag_f32_e32 v4, v4
	v_mul_f32_e32 v4, 0x4f7ffffe, v4
	v_cvt_u32_f32_e32 v4, v4
	v_readfirstlane_b32 s10, v4
	s_mul_i32 s4, s4, s10
	s_mul_hi_u32 s4, s10, s4
	s_add_i32 s10, s10, s4
	s_mul_hi_u32 s4, s58, s10
	s_mul_i32 s4, s4, s83
	s_sub_i32 s4, s58, s4
	s_sub_i32 s10, s4, s83
	s_cmp_ge_u32 s4, s83
	s_cselect_b32 s4, s10, s4
	s_sub_i32 s10, s4, s83
	s_cmp_ge_u32 s4, s83
	s_cselect_b32 s92, s10, s4
	s_mov_b64 s[10:11], s[92:93]
.LBB210_192:                            ;   in Loop: Header=BB210_18 Depth=1
	s_sub_u32 s58, s58, s10
	s_subb_u32 s59, s5, s11
	v_cmp_gt_u64_e32 vcc, s[58:59], v[0:1]
	s_mov_b64 s[10:11], 0
	s_mov_b64 s[4:5], 0
                                        ; implicit-def: $vgpr10
	s_and_saveexec_b64 s[12:13], vcc
	s_cbranch_execz .LBB210_204
; %bb.193:                              ;   in Loop: Header=BB210_18 Depth=1
	v_mov_b32_e32 v5, v1
	v_mov_b32_e32 v10, v27
	;; [unrolled: 1-line block ×3, first 2 shown]
                                        ; implicit-def: $sgpr76_sgpr77
	s_branch .LBB210_197
.LBB210_194:                            ;   in Loop: Header=BB210_197 Depth=2
	s_or_b64 exec, exec, s[78:79]
	s_waitcnt lgkmcnt(0)
	s_barrier
	ds_read_b32 v11, v3 offset:3072
	s_waitcnt lgkmcnt(0)
	s_barrier
	v_cmp_neq_f16_e32 vcc, 0, v11
	s_cbranch_vccnz .LBB210_200
; %bb.195:                              ;   in Loop: Header=BB210_197 Depth=2
	v_add_co_u32_e32 v4, vcc, s83, v4
	v_addc_co_u32_e32 v5, vcc, 0, v5, vcc
	v_cmp_le_u64_e32 vcc, s[58:59], v[4:5]
	v_add_u32_e32 v10, s81, v10
	s_mov_b64 s[78:79], 0
	s_orn2_b64 s[84:85], vcc, exec
.LBB210_196:                            ;   in Loop: Header=BB210_197 Depth=2
	s_and_b64 s[84:85], exec, s[84:85]
	s_or_b64 s[4:5], s[84:85], s[4:5]
	s_andn2_b64 s[76:77], s[76:77], exec
	s_and_b64 s[78:79], s[78:79], exec
	s_or_b64 s[76:77], s[76:77], s[78:79]
	s_andn2_b64 exec, exec, s[4:5]
	s_cbranch_execz .LBB210_203
.LBB210_197:                            ;   Parent Loop BB210_18 Depth=1
                                        ; =>  This Inner Loop Header: Depth=2
	v_cmp_gt_u64_e32 vcc, s[8:9], v[4:5]
	s_and_saveexec_b64 s[78:79], vcc
	s_cbranch_execz .LBB210_194
; %bb.198:                              ;   in Loop: Header=BB210_197 Depth=2
	ds_read_u16 v11, v10
	s_waitcnt lgkmcnt(0)
	v_cmp_lt_i16_e32 vcc, -1, v11
	v_cndmask_b32_e32 v21, v33, v34, vcc
	v_xor_b32_sdwa v21, v21, v11 dst_sel:DWORD dst_unused:UNUSED_PAD src0_sel:DWORD src1_sel:WORD_0
	v_cmp_o_f16_e32 vcc, v11, v11
	v_cndmask_b32_e32 v21, v33, v21, vcc
	v_and_b32_e32 v21, v21, v8
	v_cmp_eq_u32_e32 vcc, v21, v9
	s_and_b64 exec, exec, vcc
	s_cbranch_execz .LBB210_194
; %bb.199:                              ;   in Loop: Header=BB210_197 Depth=2
	s_movk_i32 s84, 0x3c00
	v_perm_b32 v11, v11, s84, v37
	ds_write_b32 v3, v11 offset:3072
	s_branch .LBB210_194
.LBB210_200:                            ;   in Loop: Header=BB210_197 Depth=2
	s_mov_b64 s[84:85], -1
                                        ; implicit-def: $vgpr4_vgpr5
                                        ; implicit-def: $vgpr10
	s_mov_b64 s[78:79], -1
	s_branch .LBB210_196
.LBB210_201:                            ;   in Loop: Header=BB210_18 Depth=1
                                        ; implicit-def: $sgpr10_sgpr11
	s_branch .LBB210_144
.LBB210_202:                            ;   in Loop: Header=BB210_18 Depth=1
                                        ; implicit-def: $sgpr8_sgpr9
	s_branch .LBB210_161
.LBB210_203:                            ;   in Loop: Header=BB210_18 Depth=1
	s_or_b64 exec, exec, s[4:5]
	v_readlane_b32 s84, v47, 4
	v_lshrrev_b32_e32 v10, 16, v11
	s_and_b64 s[4:5], s[76:77], exec
	v_readlane_b32 s85, v47, 5
.LBB210_204:                            ;   in Loop: Header=BB210_18 Depth=1
	s_or_b64 exec, exec, s[12:13]
.LBB210_205:                            ;   in Loop: Header=BB210_18 Depth=1
	s_and_b64 vcc, exec, s[10:11]
	s_cbranch_vccz .LBB210_220
; %bb.206:                              ;   in Loop: Header=BB210_18 Depth=1
	v_readlane_b32 s58, v48, 55
	v_readlane_b32 s59, v48, 56
	s_mov_b32 s58, s93
	s_cmp_lg_u64 s[58:59], 0
	v_writelane_b32 v48, s58, 55
	v_writelane_b32 v48, s59, 56
	s_cbranch_scc0 .LBB210_239
; %bb.207:                              ;   in Loop: Header=BB210_18 Depth=1
	v_cvt_f32_u32_e32 v4, s83
	s_sub_u32 s10, 0, s83
	s_subb_u32 s11, 0, 0
	v_mac_f32_e32 v4, 0, v35
	v_rcp_f32_e32 v4, v4
	v_mul_f32_e32 v4, 0x5f7ffffc, v4
	v_mul_f32_e32 v5, 0x2f800000, v4
	v_trunc_f32_e32 v5, v5
	v_mac_f32_e32 v4, 0xcf800000, v5
	v_cvt_u32_f32_e32 v5, v5
	v_cvt_u32_f32_e32 v4, v4
	v_readfirstlane_b32 s12, v5
	v_readfirstlane_b32 s8, v4
	s_mul_i32 s9, s10, s12
	s_mul_hi_u32 s50, s10, s8
	s_mul_i32 s13, s11, s8
	s_add_i32 s9, s50, s9
	s_mul_i32 s51, s10, s8
	s_add_i32 s9, s9, s13
	s_mul_hi_u32 s50, s8, s51
	s_mul_i32 s52, s8, s9
	s_mul_hi_u32 s13, s8, s9
	s_add_u32 s50, s50, s52
	s_addc_u32 s13, 0, s13
	s_mul_hi_u32 s53, s12, s51
	s_mul_i32 s51, s12, s51
	s_add_u32 s50, s50, s51
	s_mul_hi_u32 s52, s12, s9
	s_addc_u32 s13, s13, s53
	s_addc_u32 s50, s52, 0
	s_mul_i32 s9, s12, s9
	s_add_u32 s9, s13, s9
	s_addc_u32 s13, 0, s50
	s_add_u32 s50, s8, s9
	s_cselect_b64 s[8:9], -1, 0
	s_cmp_lg_u64 s[8:9], 0
	s_addc_u32 s12, s12, s13
	s_mul_i32 s8, s10, s12
	s_mul_hi_u32 s9, s10, s50
	s_add_i32 s8, s9, s8
	s_mul_i32 s11, s11, s50
	s_add_i32 s8, s8, s11
	s_mul_i32 s10, s10, s50
	s_mul_hi_u32 s11, s12, s10
	s_mul_i32 s13, s12, s10
	s_mul_i32 s52, s50, s8
	s_mul_hi_u32 s10, s50, s10
	s_mul_hi_u32 s51, s50, s8
	s_add_u32 s10, s10, s52
	s_addc_u32 s51, 0, s51
	s_add_u32 s10, s10, s13
	s_mul_hi_u32 s9, s12, s8
	s_addc_u32 s10, s51, s11
	s_addc_u32 s9, s9, 0
	s_mul_i32 s8, s12, s8
	s_add_u32 s8, s10, s8
	s_addc_u32 s10, 0, s9
	s_add_u32 s11, s50, s8
	s_cselect_b64 s[8:9], -1, 0
	s_cmp_lg_u64 s[8:9], 0
	s_addc_u32 s8, s12, s10
	v_readlane_b32 s50, v48, 53
	s_mul_i32 s10, s50, s8
	s_mul_hi_u32 s12, s50, s11
	s_mul_hi_u32 s9, s50, s8
	s_add_u32 s10, s12, s10
	s_addc_u32 s9, 0, s9
	s_mul_hi_u32 s13, s59, s11
	s_mul_i32 s11, s59, s11
	s_add_u32 s10, s10, s11
	s_mul_hi_u32 s12, s59, s8
	s_addc_u32 s9, s9, s13
	s_addc_u32 s10, s12, 0
	s_mul_i32 s8, s59, s8
	s_add_u32 s8, s9, s8
	s_addc_u32 s9, 0, s10
	s_mul_i32 s9, s83, s9
	s_mul_hi_u32 s10, s83, s8
	s_add_i32 s10, s10, s9
	s_mul_i32 s8, s83, s8
	s_sub_u32 s11, s50, s8
	s_cselect_b64 s[8:9], -1, 0
	s_cmp_lg_u64 s[8:9], 0
	s_subb_u32 s10, s59, s10
	s_sub_u32 s12, s11, s83
	s_cselect_b64 s[8:9], -1, 0
	s_cmp_lg_u64 s[8:9], 0
	s_subb_u32 s13, s10, 0
	;; [unrolled: 4-line block ×3, first 2 shown]
	s_cmp_ge_u32 s12, s83
	s_cselect_b32 s9, -1, 0
	s_cmp_eq_u32 s13, 0
	s_cselect_b32 s9, s9, -1
	s_cmp_lg_u32 s9, 0
	s_cselect_b32 s8, s8, s13
	s_cselect_b32 s12, s50, s12
	s_cmp_ge_u32 s11, s83
	s_cselect_b32 s9, -1, 0
	s_cmp_eq_u32 s10, 0
	s_cselect_b32 s9, s9, -1
	s_cmp_lg_u32 s9, 0
	s_cselect_b32 s9, s8, s10
	s_cselect_b32 s8, s12, s11
	s_cbranch_execnz .LBB210_209
.LBB210_208:                            ;   in Loop: Header=BB210_18 Depth=1
	v_cvt_f32_u32_e32 v4, s83
	s_sub_i32 s8, 0, s83
	v_readlane_b32 s10, v48, 53
	v_rcp_iflag_f32_e32 v4, v4
	v_mul_f32_e32 v4, 0x4f7ffffe, v4
	v_cvt_u32_f32_e32 v4, v4
	v_readfirstlane_b32 s9, v4
	s_mul_i32 s8, s8, s9
	s_mul_hi_u32 s8, s9, s8
	s_add_i32 s9, s9, s8
	s_mul_hi_u32 s8, s10, s9
	s_mul_i32 s8, s8, s83
	s_sub_i32 s8, s10, s8
	s_sub_i32 s9, s8, s83
	s_cmp_ge_u32 s8, s83
	s_cselect_b32 s8, s9, s8
	s_sub_i32 s9, s8, s83
	s_cmp_ge_u32 s8, s83
	s_cselect_b32 s92, s9, s8
	s_mov_b64 s[8:9], s[92:93]
.LBB210_209:                            ;   in Loop: Header=BB210_18 Depth=1
	v_readlane_b32 s10, v48, 53
	v_readlane_b32 s12, v48, 55
	s_sub_u32 s10, s10, s8
	v_readlane_b32 s13, v48, 56
	s_subb_u32 s11, s13, s9
	v_cmp_gt_u64_e32 vcc, s[10:11], v[0:1]
                                        ; implicit-def: $vgpr10
	s_and_saveexec_b64 s[8:9], vcc
	s_cbranch_execz .LBB210_219
; %bb.210:                              ;   in Loop: Header=BB210_18 Depth=1
	v_mov_b32_e32 v5, v1
	s_mov_b64 s[12:13], 0
	v_mov_b32_e32 v4, v0
                                        ; implicit-def: $sgpr50_sgpr51
	s_branch .LBB210_214
.LBB210_211:                            ;   in Loop: Header=BB210_214 Depth=2
	s_or_b64 exec, exec, s[52:53]
	s_waitcnt lgkmcnt(0)
	s_barrier
	ds_read_b32 v10, v3 offset:3072
	s_waitcnt lgkmcnt(0)
	s_barrier
	v_cmp_eq_f16_e32 vcc, 0, v10
	s_cbranch_vccz .LBB210_217
; %bb.212:                              ;   in Loop: Header=BB210_214 Depth=2
	v_add_co_u32_e32 v4, vcc, s83, v4
	v_addc_co_u32_e32 v5, vcc, 0, v5, vcc
	v_cmp_le_u64_e32 vcc, s[10:11], v[4:5]
	s_mov_b64 s[52:53], 0
	s_orn2_b64 s[58:59], vcc, exec
.LBB210_213:                            ;   in Loop: Header=BB210_214 Depth=2
	s_and_b64 s[58:59], exec, s[58:59]
	s_or_b64 s[12:13], s[58:59], s[12:13]
	s_andn2_b64 s[50:51], s[50:51], exec
	s_and_b64 s[52:53], s[52:53], exec
	s_or_b64 s[50:51], s[50:51], s[52:53]
	s_andn2_b64 exec, exec, s[12:13]
	s_cbranch_execz .LBB210_218
.LBB210_214:                            ;   Parent Loop BB210_18 Depth=1
                                        ; =>  This Inner Loop Header: Depth=2
	v_cmp_gt_u64_e32 vcc, s[64:65], v[4:5]
	s_and_saveexec_b64 s[52:53], vcc
	s_cbranch_execz .LBB210_211
; %bb.215:                              ;   in Loop: Header=BB210_214 Depth=2
	v_mul_lo_u32 v21, v5, s62
	v_mul_lo_u32 v22, v4, s63
	v_mad_u64_u32 v[10:11], s[58:59], v4, s62, 0
	v_add3_u32 v11, v11, v22, v21
	v_lshlrev_b64 v[10:11], 1, v[10:11]
	v_mov_b32_e32 v21, s82
	v_add_co_u32_e32 v10, vcc, s33, v10
	v_addc_co_u32_e32 v11, vcc, v21, v11, vcc
	global_load_ushort v10, v[10:11], off
	s_waitcnt vmcnt(0)
	v_cmp_lt_i16_e32 vcc, -1, v10
	v_cndmask_b32_e32 v11, v33, v34, vcc
	v_xor_b32_sdwa v11, v11, v10 dst_sel:DWORD dst_unused:UNUSED_PAD src0_sel:DWORD src1_sel:WORD_0
	v_cmp_o_f16_e32 vcc, v10, v10
	v_cndmask_b32_e32 v11, v33, v11, vcc
	v_and_b32_e32 v11, v11, v8
	v_cmp_eq_u32_e32 vcc, v11, v9
	s_and_b64 exec, exec, vcc
	s_cbranch_execz .LBB210_211
; %bb.216:                              ;   in Loop: Header=BB210_214 Depth=2
	s_movk_i32 s58, 0x3c00
	v_perm_b32 v10, v10, s58, v37
	ds_write_b32 v3, v10 offset:3072
	s_branch .LBB210_211
.LBB210_217:                            ;   in Loop: Header=BB210_214 Depth=2
	s_mov_b64 s[58:59], -1
                                        ; implicit-def: $vgpr4_vgpr5
	s_mov_b64 s[52:53], -1
	s_branch .LBB210_213
.LBB210_218:                            ;   in Loop: Header=BB210_18 Depth=1
	s_or_b64 exec, exec, s[12:13]
	s_andn2_b64 s[4:5], s[4:5], exec
	s_and_b64 s[10:11], s[50:51], exec
	v_lshrrev_b32_e32 v10, 16, v10
	s_or_b64 s[4:5], s[4:5], s[10:11]
.LBB210_219:                            ;   in Loop: Header=BB210_18 Depth=1
	s_or_b64 exec, exec, s[8:9]
	s_mov_b64 s[50:51], 0
	s_mov_b64 s[52:53], -1
.LBB210_220:                            ;   in Loop: Header=BB210_18 Depth=1
	s_orn2_b64 s[4:5], s[4:5], exec
.LBB210_221:                            ;   in Loop: Header=BB210_18 Depth=1
	s_or_b64 exec, exec, s[54:55]
	s_mov_b64 s[8:9], 0
	s_and_saveexec_b64 s[54:55], s[4:5]
	s_cbranch_execz .LBB210_285
; %bb.222:                              ;   in Loop: Header=BB210_18 Depth=1
	v_mov_b32_e32 v4, 1
	s_xor_b64 s[8:9], s[56:57], -1
	v_mov_b32_e32 v2, 1
	v_mov_b32_e32 v5, 0
	s_mov_b64 s[12:13], 0
	s_and_saveexec_b64 s[4:5], s[8:9]
	s_cbranch_execz .LBB210_231
; %bb.223:                              ;   in Loop: Header=BB210_18 Depth=1
	v_cmp_ge_u64_e32 vcc, s[26:27], v[6:7]
	s_and_saveexec_b64 s[8:9], vcc
	s_xor_b64 s[8:9], exec, s[8:9]
	s_cbranch_execz .LBB210_228
; %bb.224:                              ;   in Loop: Header=BB210_18 Depth=1
	ds_read_b64 v[4:5], v3 offset:5120
	v_and_b32_e32 v2, s87, v9
	v_lshl_or_b32 v9, 2, s0, v2
	v_or_b32_e32 v8, s86, v8
	s_waitcnt lgkmcnt(0)
	v_cmp_ne_u64_e32 vcc, 0, v[4:5]
	s_cbranch_vccnz .LBB210_228
; %bb.225:                              ;   in Loop: Header=BB210_18 Depth=1
	s_mov_b64 s[10:11], exec
	v_readlane_b32 s12, v48, 32
	v_readlane_b32 s13, v48, 33
	s_and_b64 s[12:13], s[10:11], s[12:13]
	s_mov_b64 exec, s[12:13]
; %bb.226:                              ;   in Loop: Header=BB210_18 Depth=1
	v_mov_b32_e32 v4, s26
	v_mov_b32_e32 v5, s27
	ds_write_b64 v3, v[4:5] offset:5128
; %bb.227:                              ;   in Loop: Header=BB210_18 Depth=1
	s_or_b64 exec, exec, s[10:11]
	s_waitcnt lgkmcnt(0)
	s_barrier
.LBB210_228:                            ;   in Loop: Header=BB210_18 Depth=1
	s_or_saveexec_b64 s[8:9], s[8:9]
	s_mov_b64 s[10:11], 0
	v_mov_b32_e32 v2, 8
	s_xor_b64 exec, exec, s[8:9]
; %bb.229:                              ;   in Loop: Header=BB210_18 Depth=1
	v_subrev_co_u32_e32 v6, vcc, s26, v6
	v_mov_b32_e32 v2, s27
	v_subb_co_u32_e32 v7, vcc, v7, v2, vcc
	v_mov_b32_e32 v2, 0
	s_mov_b64 s[10:11], exec
; %bb.230:                              ;   in Loop: Header=BB210_18 Depth=1
	s_or_b64 exec, exec, s[8:9]
	v_mov_b32_e32 v4, v6
	s_and_b64 s[12:13], s[10:11], exec
	v_mov_b32_e32 v5, v7
.LBB210_231:                            ;   in Loop: Header=BB210_18 Depth=1
	s_or_b64 exec, exec, s[4:5]
	s_mov_b64 s[4:5], -1
                                        ; implicit-def: $sgpr10_sgpr11
                                        ; implicit-def: $sgpr8_sgpr9
	s_and_saveexec_b64 s[56:57], s[12:13]
	s_cbranch_execz .LBB210_284
; %bb.232:                              ;   in Loop: Header=BB210_18 Depth=1
	s_cmp_eq_u64 s[28:29], 1
	v_cmp_eq_u64_e32 vcc, 1, v[4:5]
	s_cselect_b64 s[4:5], -1, 0
	s_mov_b64 s[12:13], -1
	s_and_b64 s[4:5], s[4:5], vcc
                                        ; implicit-def: $sgpr10_sgpr11
                                        ; implicit-def: $sgpr8_sgpr9
	s_mov_b64 s[58:59], exec
	v_writelane_b32 v47, s4, 8
	v_writelane_b32 v47, s5, 9
	s_and_b64 s[4:5], s[58:59], s[4:5]
	s_mov_b64 exec, s[4:5]
	s_cbranch_execz .LBB210_272
; %bb.233:                              ;   in Loop: Header=BB210_18 Depth=1
	ds_read_b64 v[6:7], v3 offset:5120
	s_waitcnt lgkmcnt(0)
	s_barrier
	v_readfirstlane_b32 s12, v6
	v_readfirstlane_b32 s13, v7
	s_mov_b64 s[4:5], exec
	v_readlane_b32 s8, v48, 48
	v_readlane_b32 s9, v48, 49
	s_and_b64 s[8:9], s[4:5], s[8:9]
	s_mov_b64 exec, s[8:9]
; %bb.234:                              ;   in Loop: Header=BB210_18 Depth=1
	ds_write_b16 v28, v3
; %bb.235:                              ;   in Loop: Header=BB210_18 Depth=1
	s_or_b64 exec, exec, s[4:5]
	v_or_b32_e32 v9, s86, v9
	v_or_b32_e32 v8, s86, v8
	s_mov_b64 s[8:9], -1
	s_mov_b64 s[10:11], 0
	s_cmp_eq_u64 s[12:13], 0
	s_mov_b64 s[4:5], 0
	s_mov_b64 s[76:77], -1
	s_waitcnt lgkmcnt(0)
	s_barrier
                                        ; implicit-def: $vgpr10
	s_cbranch_scc1 .LBB210_254
; %bb.236:                              ;   in Loop: Header=BB210_18 Depth=1
	v_readlane_b32 s4, v48, 52
	s_add_u32 s78, s12, s4
	v_readlane_b32 s4, v48, 54
	s_addc_u32 s5, s13, s4
	s_mov_b32 s4, s93
	v_writelane_b32 v47, s58, 10
	s_cmp_lg_u64 s[4:5], 0
	v_writelane_b32 v47, s59, 11
	s_cbranch_scc0 .LBB210_240
; %bb.237:                              ;   in Loop: Header=BB210_18 Depth=1
	v_cvt_f32_u32_e32 v6, s83
	s_sub_u32 s4, 0, s83
	s_subb_u32 s76, 0, 0
	v_mac_f32_e32 v6, 0, v35
	v_rcp_f32_e32 v6, v6
	v_mul_f32_e32 v6, 0x5f7ffffc, v6
	v_mul_f32_e32 v7, 0x2f800000, v6
	v_trunc_f32_e32 v7, v7
	v_mac_f32_e32 v6, 0xcf800000, v7
	v_cvt_u32_f32_e32 v7, v7
	v_cvt_u32_f32_e32 v6, v6
	v_readfirstlane_b32 s77, v7
	v_readfirstlane_b32 s58, v6
	s_mul_i32 s59, s4, s77
	s_mul_hi_u32 s84, s4, s58
	s_mul_i32 s79, s76, s58
	s_add_i32 s59, s84, s59
	s_mul_i32 s85, s4, s58
	s_add_i32 s59, s59, s79
	s_mul_hi_u32 s84, s58, s85
	s_mul_i32 s92, s58, s59
	s_mul_hi_u32 s79, s58, s59
	s_add_u32 s84, s84, s92
	s_addc_u32 s79, 0, s79
	s_mul_hi_u32 s94, s77, s85
	s_mul_i32 s85, s77, s85
	s_add_u32 s84, s84, s85
	s_mul_hi_u32 s92, s77, s59
	s_addc_u32 s79, s79, s94
	s_addc_u32 s84, s92, 0
	s_mul_i32 s59, s77, s59
	s_add_u32 s59, s79, s59
	s_addc_u32 s79, 0, s84
	s_add_u32 s84, s58, s59
	s_cselect_b64 s[58:59], -1, 0
	s_cmp_lg_u64 s[58:59], 0
	s_addc_u32 s77, s77, s79
	s_mul_i32 s58, s4, s77
	s_mul_hi_u32 s59, s4, s84
	s_add_i32 s58, s59, s58
	s_mul_i32 s76, s76, s84
	s_add_i32 s58, s58, s76
	s_mul_i32 s4, s4, s84
	s_mul_hi_u32 s76, s77, s4
	s_mul_i32 s79, s77, s4
	s_mul_i32 s92, s84, s58
	s_mul_hi_u32 s4, s84, s4
	s_mul_hi_u32 s85, s84, s58
	s_add_u32 s4, s4, s92
	s_addc_u32 s85, 0, s85
	s_add_u32 s4, s4, s79
	s_mul_hi_u32 s59, s77, s58
	s_addc_u32 s4, s85, s76
	s_addc_u32 s59, s59, 0
	s_mul_i32 s58, s77, s58
	s_add_u32 s4, s4, s58
	s_addc_u32 s76, 0, s59
	s_add_u32 s4, s84, s4
	s_cselect_b64 s[58:59], -1, 0
	s_cmp_lg_u64 s[58:59], 0
	s_addc_u32 s58, s77, s76
	s_mul_i32 s76, s78, s58
	s_mul_hi_u32 s77, s78, s4
	s_mul_hi_u32 s59, s78, s58
	s_add_u32 s76, s77, s76
	s_addc_u32 s59, 0, s59
	s_mul_hi_u32 s79, s5, s4
	s_mul_i32 s4, s5, s4
	s_add_u32 s4, s76, s4
	s_mul_hi_u32 s77, s5, s58
	s_addc_u32 s4, s59, s79
	s_addc_u32 s59, s77, 0
	s_mul_i32 s58, s5, s58
	s_add_u32 s4, s4, s58
	s_addc_u32 s58, 0, s59
	s_mul_i32 s58, s83, s58
	s_mul_hi_u32 s59, s83, s4
	s_add_i32 s76, s59, s58
	s_mul_i32 s4, s83, s4
	s_sub_u32 s4, s78, s4
	s_cselect_b64 s[58:59], -1, 0
	s_cmp_lg_u64 s[58:59], 0
	s_subb_u32 s76, s5, s76
	s_sub_u32 s77, s4, s83
	s_cselect_b64 s[58:59], -1, 0
	s_cmp_lg_u64 s[58:59], 0
	s_subb_u32 s79, s76, 0
	;; [unrolled: 4-line block ×3, first 2 shown]
	s_cmp_ge_u32 s77, s83
	s_cselect_b32 s59, -1, 0
	s_cmp_eq_u32 s79, 0
	s_cselect_b32 s59, s59, -1
	s_cmp_lg_u32 s59, 0
	s_cselect_b32 s58, s58, s79
	s_cselect_b32 s59, s84, s77
	s_cmp_ge_u32 s4, s83
	s_cselect_b32 s77, -1, 0
	s_cmp_eq_u32 s76, 0
	s_cselect_b32 s77, s77, -1
	s_cmp_lg_u32 s77, 0
	s_cselect_b32 s77, s58, s76
	s_cselect_b32 s76, s59, s4
	s_mov_b64 s[58:59], 0
	s_branch .LBB210_241
.LBB210_238:                            ;   in Loop: Header=BB210_18 Depth=1
                                        ; implicit-def: $sgpr10_sgpr11
	s_branch .LBB210_191
.LBB210_239:                            ;   in Loop: Header=BB210_18 Depth=1
                                        ; implicit-def: $sgpr8_sgpr9
	s_branch .LBB210_208
.LBB210_240:                            ;   in Loop: Header=BB210_18 Depth=1
	s_mov_b64 s[58:59], -1
                                        ; implicit-def: $sgpr76_sgpr77
.LBB210_241:                            ;   in Loop: Header=BB210_18 Depth=1
	s_andn2_b64 vcc, exec, s[58:59]
	s_cbranch_vccnz .LBB210_243
; %bb.242:                              ;   in Loop: Header=BB210_18 Depth=1
	v_cvt_f32_u32_e32 v6, s83
	s_sub_i32 s4, 0, s83
	v_rcp_iflag_f32_e32 v6, v6
	v_mul_f32_e32 v6, 0x4f7ffffe, v6
	v_cvt_u32_f32_e32 v6, v6
	v_readfirstlane_b32 s58, v6
	s_mul_i32 s4, s4, s58
	s_mul_hi_u32 s4, s58, s4
	s_add_i32 s58, s58, s4
	s_mul_hi_u32 s4, s78, s58
	s_mul_i32 s4, s4, s83
	s_sub_i32 s4, s78, s4
	s_sub_i32 s58, s4, s83
	s_cmp_ge_u32 s4, s83
	s_cselect_b32 s4, s58, s4
	s_sub_i32 s58, s4, s83
	s_cmp_ge_u32 s4, s83
	s_cselect_b32 s92, s58, s4
	s_mov_b64 s[76:77], s[92:93]
.LBB210_243:                            ;   in Loop: Header=BB210_18 Depth=1
	s_sub_u32 s84, s78, s76
	s_subb_u32 s85, s5, s77
	v_cmp_gt_u64_e32 vcc, s[84:85], v[0:1]
	s_mov_b64 s[76:77], 0
	s_mov_b64 s[4:5], 0
                                        ; implicit-def: $vgpr10
	s_and_saveexec_b64 s[78:79], vcc
	s_cbranch_execz .LBB210_253
; %bb.244:                              ;   in Loop: Header=BB210_18 Depth=1
	v_mov_b32_e32 v7, v1
	v_mov_b32_e32 v10, v27
	;; [unrolled: 1-line block ×3, first 2 shown]
                                        ; implicit-def: $sgpr94_sgpr95
	s_branch .LBB210_248
.LBB210_245:                            ;   in Loop: Header=BB210_248 Depth=2
	s_or_b64 exec, exec, s[58:59]
	s_waitcnt lgkmcnt(0)
	s_barrier
	ds_read_b32 v11, v3 offset:3072
	s_waitcnt lgkmcnt(0)
	s_barrier
	v_cmp_neq_f16_e32 vcc, 0, v11
	s_cbranch_vccnz .LBB210_251
; %bb.246:                              ;   in Loop: Header=BB210_248 Depth=2
	v_add_co_u32_e32 v6, vcc, s83, v6
	v_addc_co_u32_e32 v7, vcc, 0, v7, vcc
	v_cmp_le_u64_e32 vcc, s[84:85], v[6:7]
	v_add_u32_e32 v10, s81, v10
	s_mov_b64 s[58:59], 0
	s_orn2_b64 vcc, vcc, exec
.LBB210_247:                            ;   in Loop: Header=BB210_248 Depth=2
	s_and_b64 vcc, exec, vcc
	s_or_b64 s[4:5], vcc, s[4:5]
	s_andn2_b64 s[94:95], s[94:95], exec
	s_and_b64 s[58:59], s[58:59], exec
	s_or_b64 s[94:95], s[94:95], s[58:59]
	s_andn2_b64 exec, exec, s[4:5]
	s_cbranch_execz .LBB210_252
.LBB210_248:                            ;   Parent Loop BB210_18 Depth=1
                                        ; =>  This Inner Loop Header: Depth=2
	v_cmp_gt_u64_e32 vcc, s[12:13], v[6:7]
	s_and_saveexec_b64 s[58:59], vcc
	s_cbranch_execz .LBB210_245
; %bb.249:                              ;   in Loop: Header=BB210_248 Depth=2
	ds_read_u16 v11, v10
	s_waitcnt lgkmcnt(0)
	v_cmp_lt_i16_e32 vcc, -1, v11
	v_cndmask_b32_e32 v21, v33, v34, vcc
	v_xor_b32_sdwa v21, v21, v11 dst_sel:DWORD dst_unused:UNUSED_PAD src0_sel:DWORD src1_sel:WORD_0
	v_cmp_o_f16_e32 vcc, v11, v11
	v_cndmask_b32_e32 v21, v33, v21, vcc
	v_and_b32_e32 v21, v21, v8
	v_cmp_eq_u32_e32 vcc, v21, v9
	s_and_b64 exec, exec, vcc
	s_cbranch_execz .LBB210_245
; %bb.250:                              ;   in Loop: Header=BB210_248 Depth=2
	s_movk_i32 s92, 0x3c00
	v_perm_b32 v11, v11, s92, v37
	ds_write_b32 v3, v11 offset:3072
	s_branch .LBB210_245
.LBB210_251:                            ;   in Loop: Header=BB210_248 Depth=2
	s_mov_b64 vcc, -1
                                        ; implicit-def: $vgpr6_vgpr7
                                        ; implicit-def: $vgpr10
	s_mov_b64 s[58:59], -1
	s_branch .LBB210_247
.LBB210_252:                            ;   in Loop: Header=BB210_18 Depth=1
	s_or_b64 exec, exec, s[4:5]
	v_lshrrev_b32_e32 v10, 16, v11
	s_and_b64 s[4:5], s[94:95], exec
.LBB210_253:                            ;   in Loop: Header=BB210_18 Depth=1
	s_or_b64 exec, exec, s[78:79]
	v_readlane_b32 s84, v47, 4
	v_readlane_b32 s58, v47, 10
	;; [unrolled: 1-line block ×4, first 2 shown]
.LBB210_254:                            ;   in Loop: Header=BB210_18 Depth=1
	s_and_b64 vcc, exec, s[76:77]
	s_cbranch_vccz .LBB210_271
; %bb.255:                              ;   in Loop: Header=BB210_18 Depth=1
	v_readlane_b32 s78, v48, 55
	v_readlane_b32 s79, v48, 56
	s_mov_b32 s78, s93
	s_cmp_lg_u64 s[78:79], 0
	v_writelane_b32 v48, s78, 55
	v_writelane_b32 v48, s79, 56
	s_cbranch_scc0 .LBB210_257
; %bb.256:                              ;   in Loop: Header=BB210_18 Depth=1
	v_cvt_f32_u32_e32 v6, s83
	s_sub_u32 s10, 0, s83
	s_subb_u32 s11, 0, 0
	s_mov_b64 s[94:95], s[58:59]
	v_mac_f32_e32 v6, 0, v35
	v_rcp_f32_e32 v6, v6
	v_mul_f32_e32 v6, 0x5f7ffffc, v6
	v_mul_f32_e32 v7, 0x2f800000, v6
	v_trunc_f32_e32 v7, v7
	v_mac_f32_e32 v6, 0xcf800000, v7
	v_cvt_u32_f32_e32 v7, v7
	v_cvt_u32_f32_e32 v6, v6
	v_readfirstlane_b32 s12, v7
	v_readfirstlane_b32 s8, v6
	s_mul_i32 s9, s10, s12
	s_mul_hi_u32 s58, s10, s8
	s_mul_i32 s13, s11, s8
	s_add_i32 s9, s58, s9
	s_mul_i32 s59, s10, s8
	s_add_i32 s9, s9, s13
	s_mul_hi_u32 s58, s8, s59
	s_mul_i32 s76, s8, s9
	s_mul_hi_u32 s13, s8, s9
	s_add_u32 s58, s58, s76
	s_addc_u32 s13, 0, s13
	s_mul_hi_u32 s77, s12, s59
	s_mul_i32 s59, s12, s59
	s_add_u32 s58, s58, s59
	s_mul_hi_u32 s76, s12, s9
	s_addc_u32 s13, s13, s77
	s_addc_u32 s58, s76, 0
	s_mul_i32 s9, s12, s9
	s_add_u32 s9, s13, s9
	s_addc_u32 s13, 0, s58
	s_add_u32 s58, s8, s9
	s_cselect_b64 s[8:9], -1, 0
	s_cmp_lg_u64 s[8:9], 0
	s_addc_u32 s12, s12, s13
	s_mul_i32 s8, s10, s12
	s_mul_hi_u32 s9, s10, s58
	s_add_i32 s8, s9, s8
	s_mul_i32 s11, s11, s58
	s_add_i32 s8, s8, s11
	s_mul_i32 s10, s10, s58
	s_mul_hi_u32 s11, s12, s10
	s_mul_i32 s13, s12, s10
	s_mul_i32 s76, s58, s8
	s_mul_hi_u32 s10, s58, s10
	s_mul_hi_u32 s59, s58, s8
	s_add_u32 s10, s10, s76
	s_addc_u32 s59, 0, s59
	s_add_u32 s10, s10, s13
	s_mul_hi_u32 s9, s12, s8
	s_addc_u32 s10, s59, s11
	s_addc_u32 s9, s9, 0
	s_mul_i32 s8, s12, s8
	s_add_u32 s8, s10, s8
	s_addc_u32 s10, 0, s9
	s_add_u32 s11, s58, s8
	s_cselect_b64 s[8:9], -1, 0
	s_cmp_lg_u64 s[8:9], 0
	s_addc_u32 s8, s12, s10
	v_readlane_b32 s58, v48, 53
	s_mul_i32 s10, s58, s8
	s_mul_hi_u32 s12, s58, s11
	s_mul_hi_u32 s9, s58, s8
	s_add_u32 s10, s12, s10
	s_addc_u32 s9, 0, s9
	s_mul_hi_u32 s13, s79, s11
	s_mul_i32 s11, s79, s11
	s_add_u32 s10, s10, s11
	s_mul_hi_u32 s12, s79, s8
	s_addc_u32 s9, s9, s13
	s_addc_u32 s10, s12, 0
	s_mul_i32 s8, s79, s8
	s_add_u32 s8, s9, s8
	s_addc_u32 s9, 0, s10
	s_mul_i32 s9, s83, s9
	s_mul_hi_u32 s10, s83, s8
	s_add_i32 s10, s10, s9
	s_mul_i32 s8, s83, s8
	s_sub_u32 s11, s58, s8
	s_cselect_b64 s[8:9], -1, 0
	s_cmp_lg_u64 s[8:9], 0
	s_subb_u32 s10, s79, s10
	s_sub_u32 s12, s11, s83
	s_cselect_b64 s[8:9], -1, 0
	s_cmp_lg_u64 s[8:9], 0
	s_subb_u32 s13, s10, 0
	;; [unrolled: 4-line block ×3, first 2 shown]
	s_cmp_ge_u32 s12, s83
	s_cselect_b32 s9, -1, 0
	s_cmp_eq_u32 s13, 0
	s_cselect_b32 s9, s9, -1
	s_cmp_lg_u32 s9, 0
	s_cselect_b32 s8, s8, s13
	s_cselect_b32 s12, s58, s12
	s_cmp_ge_u32 s11, s83
	s_cselect_b32 s9, -1, 0
	s_cmp_eq_u32 s10, 0
	s_cselect_b32 s9, s9, -1
	s_cmp_lg_u32 s9, 0
	s_mov_b64 s[58:59], s[94:95]
	s_cselect_b32 s9, s8, s10
	s_cselect_b32 s8, s12, s11
	s_mov_b64 s[10:11], 0
	s_branch .LBB210_258
.LBB210_257:                            ;   in Loop: Header=BB210_18 Depth=1
	s_mov_b64 s[10:11], -1
                                        ; implicit-def: $sgpr8_sgpr9
.LBB210_258:                            ;   in Loop: Header=BB210_18 Depth=1
	s_andn2_b64 vcc, exec, s[10:11]
	s_cbranch_vccnz .LBB210_260
; %bb.259:                              ;   in Loop: Header=BB210_18 Depth=1
	v_cvt_f32_u32_e32 v6, s83
	s_sub_i32 s8, 0, s83
	v_readlane_b32 s10, v48, 53
	v_rcp_iflag_f32_e32 v6, v6
	v_mul_f32_e32 v6, 0x4f7ffffe, v6
	v_cvt_u32_f32_e32 v6, v6
	v_readfirstlane_b32 s9, v6
	s_mul_i32 s8, s8, s9
	s_mul_hi_u32 s8, s9, s8
	s_add_i32 s9, s9, s8
	s_mul_hi_u32 s8, s10, s9
	s_mul_i32 s8, s8, s83
	s_sub_i32 s8, s10, s8
	s_sub_i32 s9, s8, s83
	s_cmp_ge_u32 s8, s83
	s_cselect_b32 s8, s9, s8
	s_sub_i32 s9, s8, s83
	s_cmp_ge_u32 s8, s83
	s_cselect_b32 s92, s9, s8
	s_mov_b64 s[8:9], s[92:93]
.LBB210_260:                            ;   in Loop: Header=BB210_18 Depth=1
	v_readlane_b32 s10, v48, 53
	v_readlane_b32 s12, v48, 55
	s_sub_u32 s10, s10, s8
	v_readlane_b32 s13, v48, 56
	s_subb_u32 s11, s13, s9
	v_cmp_gt_u64_e32 vcc, s[10:11], v[0:1]
                                        ; implicit-def: $vgpr10
	s_and_saveexec_b64 s[8:9], vcc
	s_cbranch_execz .LBB210_270
; %bb.261:                              ;   in Loop: Header=BB210_18 Depth=1
	v_mov_b32_e32 v7, v1
	s_mov_b64 s[94:95], s[58:59]
	s_mov_b64 s[12:13], 0
	v_mov_b32_e32 v6, v0
                                        ; implicit-def: $sgpr76_sgpr77
	s_branch .LBB210_265
.LBB210_262:                            ;   in Loop: Header=BB210_265 Depth=2
	s_or_b64 exec, exec, s[78:79]
	s_waitcnt lgkmcnt(0)
	s_barrier
	ds_read_b32 v10, v3 offset:3072
	s_waitcnt lgkmcnt(0)
	s_barrier
	v_cmp_eq_f16_e32 vcc, 0, v10
	s_cbranch_vccz .LBB210_268
; %bb.263:                              ;   in Loop: Header=BB210_265 Depth=2
	v_add_co_u32_e32 v6, vcc, s83, v6
	v_addc_co_u32_e32 v7, vcc, 0, v7, vcc
	v_cmp_le_u64_e32 vcc, s[10:11], v[6:7]
	s_mov_b64 s[58:59], 0
	s_orn2_b64 s[78:79], vcc, exec
.LBB210_264:                            ;   in Loop: Header=BB210_265 Depth=2
	s_and_b64 s[78:79], exec, s[78:79]
	s_or_b64 s[12:13], s[78:79], s[12:13]
	s_andn2_b64 s[76:77], s[76:77], exec
	s_and_b64 s[58:59], s[58:59], exec
	s_or_b64 s[76:77], s[76:77], s[58:59]
	s_andn2_b64 exec, exec, s[12:13]
	s_cbranch_execz .LBB210_269
.LBB210_265:                            ;   Parent Loop BB210_18 Depth=1
                                        ; =>  This Inner Loop Header: Depth=2
	v_cmp_gt_u64_e32 vcc, s[64:65], v[6:7]
	s_and_saveexec_b64 s[78:79], vcc
	s_cbranch_execz .LBB210_262
; %bb.266:                              ;   in Loop: Header=BB210_265 Depth=2
	v_mul_lo_u32 v21, v7, s62
	v_mul_lo_u32 v22, v6, s63
	v_mad_u64_u32 v[10:11], s[58:59], v6, s62, 0
	v_add3_u32 v11, v11, v22, v21
	v_lshlrev_b64 v[10:11], 1, v[10:11]
	v_mov_b32_e32 v21, s82
	v_add_co_u32_e32 v10, vcc, s33, v10
	v_addc_co_u32_e32 v11, vcc, v21, v11, vcc
	global_load_ushort v10, v[10:11], off
	s_waitcnt vmcnt(0)
	v_cmp_lt_i16_e32 vcc, -1, v10
	v_cndmask_b32_e32 v11, v33, v34, vcc
	v_xor_b32_sdwa v11, v11, v10 dst_sel:DWORD dst_unused:UNUSED_PAD src0_sel:DWORD src1_sel:WORD_0
	v_cmp_o_f16_e32 vcc, v10, v10
	v_cndmask_b32_e32 v11, v33, v11, vcc
	v_and_b32_e32 v11, v11, v8
	v_cmp_eq_u32_e32 vcc, v11, v9
	s_and_b64 exec, exec, vcc
	s_cbranch_execz .LBB210_262
; %bb.267:                              ;   in Loop: Header=BB210_265 Depth=2
	s_movk_i32 s58, 0x3c00
	v_perm_b32 v10, v10, s58, v37
	ds_write_b32 v3, v10 offset:3072
	s_branch .LBB210_262
.LBB210_268:                            ;   in Loop: Header=BB210_265 Depth=2
	s_mov_b64 s[78:79], -1
                                        ; implicit-def: $vgpr6_vgpr7
	s_mov_b64 s[58:59], -1
	s_branch .LBB210_264
.LBB210_269:                            ;   in Loop: Header=BB210_18 Depth=1
	s_or_b64 exec, exec, s[12:13]
	s_andn2_b64 s[4:5], s[4:5], exec
	s_and_b64 s[10:11], s[76:77], exec
	v_lshrrev_b32_e32 v10, 16, v10
	s_or_b64 s[4:5], s[4:5], s[10:11]
	s_mov_b64 s[58:59], s[94:95]
.LBB210_270:                            ;   in Loop: Header=BB210_18 Depth=1
	s_or_b64 exec, exec, s[8:9]
	s_mov_b64 s[8:9], 0
	s_mov_b64 s[10:11], -1
.LBB210_271:                            ;   in Loop: Header=BB210_18 Depth=1
	s_orn2_b64 s[12:13], s[4:5], exec
.LBB210_272:                            ;   in Loop: Header=BB210_18 Depth=1
	s_or_b64 exec, exec, s[58:59]
	s_mov_b64 s[58:59], 0
	s_and_saveexec_b64 s[4:5], s[12:13]
	s_cbranch_execz .LBB210_283
; %bb.273:                              ;   in Loop: Header=BB210_18 Depth=1
	v_readlane_b32 s12, v47, 8
	v_readlane_b32 s13, v47, 9
	v_mov_b32_e32 v6, 1
	s_xor_b64 s[58:59], s[12:13], -1
	v_mov_b32_e32 v7, 0
	v_mov_b32_e32 v2, 1
	s_and_saveexec_b64 s[12:13], s[58:59]
	s_cbranch_execz .LBB210_282
; %bb.274:                              ;   in Loop: Header=BB210_18 Depth=1
	v_cmp_ge_u64_e32 vcc, s[28:29], v[4:5]
	s_and_saveexec_b64 s[58:59], vcc
	s_xor_b64 s[58:59], exec, s[58:59]
	s_cbranch_execz .LBB210_279
; %bb.275:                              ;   in Loop: Header=BB210_18 Depth=1
	ds_read_b64 v[6:7], v3 offset:5120
	v_or_b32_e32 v9, s86, v9
	v_or_b32_e32 v8, s86, v8
	s_waitcnt lgkmcnt(0)
	v_cmp_ne_u64_e32 vcc, 0, v[6:7]
	s_cbranch_vccnz .LBB210_279
; %bb.276:                              ;   in Loop: Header=BB210_18 Depth=1
	s_mov_b64 s[76:77], exec
	v_readlane_b32 s78, v48, 32
	v_readlane_b32 s79, v48, 33
	s_and_b64 s[78:79], s[76:77], s[78:79]
	s_mov_b64 exec, s[78:79]
; %bb.277:                              ;   in Loop: Header=BB210_18 Depth=1
	v_mov_b32_e32 v6, s28
	v_mov_b32_e32 v7, s29
	ds_write_b64 v3, v[6:7] offset:5128
; %bb.278:                              ;   in Loop: Header=BB210_18 Depth=1
	s_or_b64 exec, exec, s[76:77]
	s_waitcnt lgkmcnt(0)
	s_barrier
.LBB210_279:                            ;   in Loop: Header=BB210_18 Depth=1
	s_andn2_saveexec_b64 s[58:59], s[58:59]
; %bb.280:                              ;   in Loop: Header=BB210_18 Depth=1
	v_mov_b32_e32 v2, s29
	v_subrev_co_u32_e32 v4, vcc, s28, v4
	v_subb_co_u32_e32 v5, vcc, v5, v2, vcc
; %bb.281:                              ;   in Loop: Header=BB210_18 Depth=1
	s_or_b64 exec, exec, s[58:59]
	v_mov_b32_e32 v7, v5
	v_mov_b32_e32 v2, 8
	;; [unrolled: 1-line block ×3, first 2 shown]
.LBB210_282:                            ;   in Loop: Header=BB210_18 Depth=1
	s_or_b64 exec, exec, s[12:13]
	v_mov_b32_e32 v4, v6
	s_mov_b64 s[58:59], exec
	v_mov_b32_e32 v5, v7
.LBB210_283:                            ;   in Loop: Header=BB210_18 Depth=1
	s_or_b64 exec, exec, s[4:5]
	s_orn2_b64 s[4:5], s[58:59], exec
.LBB210_284:                            ;   in Loop: Header=BB210_18 Depth=1
	s_or_b64 exec, exec, s[56:57]
	s_andn2_b64 s[12:13], s[52:53], exec
	s_and_b64 s[10:11], s[10:11], exec
	s_or_b64 s[52:53], s[12:13], s[10:11]
	s_andn2_b64 s[10:11], s[50:51], exec
	s_and_b64 s[8:9], s[8:9], exec
	v_mov_b32_e32 v7, v5
	s_or_b64 s[50:51], s[10:11], s[8:9]
	s_and_b64 s[8:9], s[4:5], exec
	v_mov_b32_e32 v6, v4
.LBB210_285:                            ;   in Loop: Header=BB210_18 Depth=1
	s_or_b64 exec, exec, s[54:55]
	s_orn2_b64 s[4:5], s[8:9], exec
.LBB210_286:                            ;   in Loop: Header=BB210_18 Depth=1
	s_or_b64 exec, exec, s[48:49]
	s_andn2_b64 s[8:9], s[34:35], exec
	s_and_b64 s[10:11], s[52:53], exec
	s_or_b64 s[34:35], s[8:9], s[10:11]
	s_andn2_b64 s[8:9], s[30:31], exec
	s_and_b64 s[10:11], s[50:51], exec
	v_mov_b32_e32 v4, v6
	s_or_b64 s[30:31], s[8:9], s[10:11]
	s_and_b64 s[8:9], s[4:5], exec
	v_mov_b32_e32 v5, v7
.LBB210_287:                            ;   in Loop: Header=BB210_18 Depth=1
	s_or_b64 exec, exec, s[46:47]
	s_orn2_b64 s[4:5], s[8:9], exec
.LBB210_288:                            ;   in Loop: Header=BB210_18 Depth=1
	s_or_b64 exec, exec, s[6:7]
	s_mov_b64 s[6:7], 0
	s_mov_b64 s[8:9], 0
	s_and_saveexec_b64 s[10:11], s[4:5]
	s_xor_b64 s[4:5], exec, s[10:11]
; %bb.289:                              ;   in Loop: Header=BB210_18 Depth=1
	v_cmp_eq_u32_e32 vcc, 8, v2
	v_cmp_ne_u32_e64 s[6:7], 8, v2
	s_and_b64 s[8:9], s[6:7], exec
	s_and_b64 s[6:7], vcc, exec
; %bb.290:                              ;   in Loop: Header=BB210_18 Depth=1
	s_or_b64 exec, exec, s[4:5]
	s_andn2_b64 s[4:5], s[38:39], exec
	s_and_b64 s[10:11], s[34:35], exec
	s_or_b64 s[38:39], s[4:5], s[10:11]
	s_andn2_b64 s[4:5], s[36:37], exec
	s_and_b64 s[10:11], s[30:31], exec
	s_or_b64 s[36:37], s[4:5], s[10:11]
	s_and_b64 s[30:31], s[8:9], exec
	s_and_b64 s[34:35], s[6:7], exec
.LBB210_291:                            ;   in Loop: Header=BB210_18 Depth=1
	s_or_b64 exec, exec, s[44:45]
.LBB210_292:                            ;   in Loop: Header=BB210_18 Depth=1
	s_and_b64 vcc, exec, s[40:41]
	s_cbranch_vccz .LBB210_309
; %bb.293:                              ;   in Loop: Header=BB210_18 Depth=1
	s_cmp_eq_u64 s[28:29], 1
	s_cselect_b64 s[4:5], -1, 0
	s_and_b64 s[6:7], s[4:5], s[18:19]
	s_mov_b64 s[4:5], -1
                                        ; implicit-def: $sgpr18_sgpr19
                                        ; implicit-def: $sgpr22_sgpr23
	s_and_saveexec_b64 s[36:37], s[6:7]
	s_cbranch_execz .LBB210_328
; %bb.294:                              ;   in Loop: Header=BB210_18 Depth=1
	ds_read_b64 v[4:5], v3 offset:5120
	s_waitcnt lgkmcnt(0)
	s_barrier
	v_readfirstlane_b32 s8, v4
	v_readfirstlane_b32 s9, v5
	s_mov_b64 s[4:5], exec
	v_readlane_b32 s10, v48, 48
	v_readlane_b32 s11, v48, 49
	s_and_b64 s[10:11], s[4:5], s[10:11]
	s_mov_b64 exec, s[10:11]
; %bb.295:                              ;   in Loop: Header=BB210_18 Depth=1
	ds_write_b16 v28, v3
; %bb.296:                              ;   in Loop: Header=BB210_18 Depth=1
	s_or_b64 exec, exec, s[4:5]
	v_or_b32_e32 v30, s86, v30
	v_or_b32_e32 v38, s86, v38
	s_mov_b64 s[22:23], -1
	s_mov_b64 s[18:19], 0
	s_cmp_eq_u64 s[8:9], 0
	s_mov_b64 s[4:5], 0
	s_mov_b64 s[10:11], -1
	s_waitcnt lgkmcnt(0)
	s_barrier
                                        ; implicit-def: $vgpr39
	s_cbranch_scc1 .LBB210_312
; %bb.297:                              ;   in Loop: Header=BB210_18 Depth=1
	v_readlane_b32 s4, v48, 52
	s_add_u32 s38, s8, s4
	v_readlane_b32 s4, v48, 54
	s_addc_u32 s5, s9, s4
	s_mov_b32 s4, s93
	s_cmp_lg_u64 s[4:5], 0
	s_cbranch_scc0 .LBB210_355
; %bb.298:                              ;   in Loop: Header=BB210_18 Depth=1
	v_cvt_f32_u32_e32 v2, s83
	s_sub_u32 s4, 0, s83
	s_subb_u32 s12, 0, 0
	v_mac_f32_e32 v2, 0, v35
	v_rcp_f32_e32 v2, v2
	v_mul_f32_e32 v2, 0x5f7ffffc, v2
	v_mul_f32_e32 v4, 0x2f800000, v2
	v_trunc_f32_e32 v4, v4
	v_mac_f32_e32 v2, 0xcf800000, v4
	v_cvt_u32_f32_e32 v4, v4
	v_cvt_u32_f32_e32 v2, v2
	v_readfirstlane_b32 s13, v4
	v_readfirstlane_b32 s10, v2
	s_mul_i32 s11, s4, s13
	s_mul_hi_u32 s40, s4, s10
	s_mul_i32 s39, s12, s10
	s_add_i32 s11, s40, s11
	s_mul_i32 s41, s4, s10
	s_add_i32 s11, s11, s39
	s_mul_hi_u32 s40, s10, s41
	s_mul_i32 s44, s10, s11
	s_mul_hi_u32 s39, s10, s11
	s_add_u32 s40, s40, s44
	s_addc_u32 s39, 0, s39
	s_mul_hi_u32 s45, s13, s41
	s_mul_i32 s41, s13, s41
	s_add_u32 s40, s40, s41
	s_mul_hi_u32 s44, s13, s11
	s_addc_u32 s39, s39, s45
	s_addc_u32 s40, s44, 0
	s_mul_i32 s11, s13, s11
	s_add_u32 s11, s39, s11
	s_addc_u32 s39, 0, s40
	s_add_u32 s40, s10, s11
	s_cselect_b64 s[10:11], -1, 0
	s_cmp_lg_u64 s[10:11], 0
	s_addc_u32 s13, s13, s39
	s_mul_i32 s10, s4, s13
	s_mul_hi_u32 s11, s4, s40
	s_add_i32 s10, s11, s10
	s_mul_i32 s12, s12, s40
	s_add_i32 s10, s10, s12
	s_mul_i32 s4, s4, s40
	s_mul_hi_u32 s12, s13, s4
	s_mul_i32 s39, s13, s4
	s_mul_i32 s44, s40, s10
	s_mul_hi_u32 s4, s40, s4
	s_mul_hi_u32 s41, s40, s10
	s_add_u32 s4, s4, s44
	s_addc_u32 s41, 0, s41
	s_add_u32 s4, s4, s39
	s_mul_hi_u32 s11, s13, s10
	s_addc_u32 s4, s41, s12
	s_addc_u32 s11, s11, 0
	s_mul_i32 s10, s13, s10
	s_add_u32 s4, s4, s10
	s_addc_u32 s12, 0, s11
	s_add_u32 s4, s40, s4
	s_cselect_b64 s[10:11], -1, 0
	s_cmp_lg_u64 s[10:11], 0
	s_addc_u32 s10, s13, s12
	s_mul_i32 s12, s38, s10
	s_mul_hi_u32 s13, s38, s4
	s_mul_hi_u32 s11, s38, s10
	s_add_u32 s12, s13, s12
	s_addc_u32 s11, 0, s11
	s_mul_hi_u32 s39, s5, s4
	s_mul_i32 s4, s5, s4
	s_add_u32 s4, s12, s4
	s_mul_hi_u32 s13, s5, s10
	s_addc_u32 s4, s11, s39
	s_addc_u32 s11, s13, 0
	s_mul_i32 s10, s5, s10
	s_add_u32 s4, s4, s10
	s_addc_u32 s10, 0, s11
	s_mul_i32 s10, s83, s10
	s_mul_hi_u32 s11, s83, s4
	s_add_i32 s12, s11, s10
	s_mul_i32 s4, s83, s4
	s_sub_u32 s4, s38, s4
	s_cselect_b64 s[10:11], -1, 0
	s_cmp_lg_u64 s[10:11], 0
	s_subb_u32 s12, s5, s12
	s_sub_u32 s13, s4, s83
	s_cselect_b64 s[10:11], -1, 0
	s_cmp_lg_u64 s[10:11], 0
	s_subb_u32 s39, s12, 0
	;; [unrolled: 4-line block ×3, first 2 shown]
	s_cmp_ge_u32 s13, s83
	s_cselect_b32 s11, -1, 0
	s_cmp_eq_u32 s39, 0
	s_cselect_b32 s11, s11, -1
	s_cmp_lg_u32 s11, 0
	s_cselect_b32 s10, s10, s39
	s_cselect_b32 s13, s40, s13
	s_cmp_ge_u32 s4, s83
	s_cselect_b32 s11, -1, 0
	s_cmp_eq_u32 s12, 0
	s_cselect_b32 s11, s11, -1
	s_cmp_lg_u32 s11, 0
	s_cselect_b32 s11, s10, s12
	s_cselect_b32 s10, s13, s4
	s_cbranch_execnz .LBB210_300
.LBB210_299:                            ;   in Loop: Header=BB210_18 Depth=1
	v_cvt_f32_u32_e32 v2, s83
	s_sub_i32 s4, 0, s83
	v_rcp_iflag_f32_e32 v2, v2
	v_mul_f32_e32 v2, 0x4f7ffffe, v2
	v_cvt_u32_f32_e32 v2, v2
	v_readfirstlane_b32 s10, v2
	s_mul_i32 s4, s4, s10
	s_mul_hi_u32 s4, s10, s4
	s_add_i32 s10, s10, s4
	s_mul_hi_u32 s4, s38, s10
	s_mul_i32 s4, s4, s83
	s_sub_i32 s4, s38, s4
	s_sub_i32 s10, s4, s83
	s_cmp_ge_u32 s4, s83
	s_cselect_b32 s4, s10, s4
	s_sub_i32 s10, s4, s83
	s_cmp_ge_u32 s4, s83
	s_cselect_b32 s92, s10, s4
	s_mov_b64 s[10:11], s[92:93]
.LBB210_300:                            ;   in Loop: Header=BB210_18 Depth=1
	s_sub_u32 s38, s38, s10
	s_subb_u32 s39, s5, s11
	v_cmp_gt_u64_e32 vcc, s[38:39], v[0:1]
	s_mov_b64 s[10:11], 0
	s_mov_b64 s[4:5], 0
                                        ; implicit-def: $vgpr39
	s_and_saveexec_b64 s[12:13], vcc
	s_cbranch_execz .LBB210_311
; %bb.301:                              ;   in Loop: Header=BB210_18 Depth=1
	v_mov_b32_e32 v5, v1
	v_mov_b32_e32 v2, v27
	v_mov_b32_e32 v4, v0
                                        ; implicit-def: $sgpr40_sgpr41
	s_branch .LBB210_305
.LBB210_302:                            ;   in Loop: Header=BB210_305 Depth=2
	s_or_b64 exec, exec, s[44:45]
	s_waitcnt lgkmcnt(0)
	s_barrier
	ds_read_b32 v6, v3 offset:3072
	s_waitcnt lgkmcnt(0)
	s_barrier
	v_cmp_neq_f16_e32 vcc, 0, v6
	s_cbranch_vccnz .LBB210_308
; %bb.303:                              ;   in Loop: Header=BB210_305 Depth=2
	v_add_co_u32_e32 v4, vcc, s83, v4
	v_addc_co_u32_e32 v5, vcc, 0, v5, vcc
	v_cmp_le_u64_e32 vcc, s[38:39], v[4:5]
	v_add_u32_e32 v2, s81, v2
	s_mov_b64 s[44:45], 0
	s_orn2_b64 s[46:47], vcc, exec
.LBB210_304:                            ;   in Loop: Header=BB210_305 Depth=2
	s_and_b64 s[46:47], exec, s[46:47]
	s_or_b64 s[4:5], s[46:47], s[4:5]
	s_andn2_b64 s[40:41], s[40:41], exec
	s_and_b64 s[44:45], s[44:45], exec
	s_or_b64 s[40:41], s[40:41], s[44:45]
	s_andn2_b64 exec, exec, s[4:5]
	s_cbranch_execz .LBB210_310
.LBB210_305:                            ;   Parent Loop BB210_18 Depth=1
                                        ; =>  This Inner Loop Header: Depth=2
	v_cmp_gt_u64_e32 vcc, s[8:9], v[4:5]
	s_and_saveexec_b64 s[44:45], vcc
	s_cbranch_execz .LBB210_302
; %bb.306:                              ;   in Loop: Header=BB210_305 Depth=2
	ds_read_u16 v6, v2
	s_waitcnt lgkmcnt(0)
	v_cmp_lt_i16_e32 vcc, -1, v6
	v_cndmask_b32_e32 v7, v33, v34, vcc
	v_xor_b32_sdwa v7, v7, v6 dst_sel:DWORD dst_unused:UNUSED_PAD src0_sel:DWORD src1_sel:WORD_0
	v_cmp_o_f16_e32 vcc, v6, v6
	v_cndmask_b32_e32 v7, v33, v7, vcc
	v_and_b32_e32 v7, v7, v38
	v_cmp_eq_u32_e32 vcc, v7, v30
	s_and_b64 exec, exec, vcc
	s_cbranch_execz .LBB210_302
; %bb.307:                              ;   in Loop: Header=BB210_305 Depth=2
	s_movk_i32 s46, 0x3c00
	v_perm_b32 v6, v6, s46, v37
	ds_write_b32 v3, v6 offset:3072
	s_branch .LBB210_302
.LBB210_308:                            ;   in Loop: Header=BB210_305 Depth=2
	s_mov_b64 s[46:47], -1
                                        ; implicit-def: $vgpr4_vgpr5
                                        ; implicit-def: $vgpr2
	s_mov_b64 s[44:45], -1
	s_branch .LBB210_304
.LBB210_309:                            ;   in Loop: Header=BB210_18 Depth=1
	s_mov_b64 s[18:19], 0
	v_mov_b32_e32 v30, v9
	v_mov_b32_e32 v38, v8
	;; [unrolled: 1-line block ×3, first 2 shown]
	s_and_saveexec_b64 s[4:5], s[34:35]
	s_cbranch_execnz .LBB210_493
	s_branch .LBB210_494
.LBB210_310:                            ;   in Loop: Header=BB210_18 Depth=1
	s_or_b64 exec, exec, s[4:5]
	v_lshrrev_b32_e32 v39, 16, v6
	s_and_b64 s[4:5], s[40:41], exec
.LBB210_311:                            ;   in Loop: Header=BB210_18 Depth=1
	s_or_b64 exec, exec, s[12:13]
.LBB210_312:                            ;   in Loop: Header=BB210_18 Depth=1
	s_and_b64 vcc, exec, s[10:11]
	s_cbranch_vccz .LBB210_327
; %bb.313:                              ;   in Loop: Header=BB210_18 Depth=1
	v_readlane_b32 s38, v48, 55
	v_readlane_b32 s39, v48, 56
	s_mov_b32 s38, s93
	s_cmp_lg_u64 s[38:39], 0
	v_writelane_b32 v48, s38, 55
	v_writelane_b32 v48, s39, 56
	s_cbranch_scc0 .LBB210_356
; %bb.314:                              ;   in Loop: Header=BB210_18 Depth=1
	v_cvt_f32_u32_e32 v2, s83
	s_sub_u32 s10, 0, s83
	s_subb_u32 s11, 0, 0
	v_mac_f32_e32 v2, 0, v35
	v_rcp_f32_e32 v2, v2
	v_mul_f32_e32 v2, 0x5f7ffffc, v2
	v_mul_f32_e32 v4, 0x2f800000, v2
	v_trunc_f32_e32 v4, v4
	v_mac_f32_e32 v2, 0xcf800000, v4
	v_cvt_u32_f32_e32 v4, v4
	v_cvt_u32_f32_e32 v2, v2
	v_readfirstlane_b32 s12, v4
	v_readfirstlane_b32 s8, v2
	s_mul_i32 s9, s10, s12
	s_mul_hi_u32 s18, s10, s8
	s_mul_i32 s13, s11, s8
	s_add_i32 s9, s18, s9
	s_mul_i32 s19, s10, s8
	s_add_i32 s9, s9, s13
	s_mul_hi_u32 s18, s8, s19
	s_mul_i32 s22, s8, s9
	s_mul_hi_u32 s13, s8, s9
	s_add_u32 s18, s18, s22
	s_addc_u32 s13, 0, s13
	s_mul_hi_u32 s23, s12, s19
	s_mul_i32 s19, s12, s19
	s_add_u32 s18, s18, s19
	s_mul_hi_u32 s22, s12, s9
	s_addc_u32 s13, s13, s23
	s_addc_u32 s18, s22, 0
	s_mul_i32 s9, s12, s9
	s_add_u32 s9, s13, s9
	s_addc_u32 s13, 0, s18
	s_add_u32 s18, s8, s9
	s_cselect_b64 s[8:9], -1, 0
	s_cmp_lg_u64 s[8:9], 0
	s_addc_u32 s12, s12, s13
	s_mul_i32 s8, s10, s12
	s_mul_hi_u32 s9, s10, s18
	s_add_i32 s8, s9, s8
	s_mul_i32 s11, s11, s18
	s_add_i32 s8, s8, s11
	s_mul_i32 s10, s10, s18
	s_mul_hi_u32 s11, s12, s10
	s_mul_i32 s13, s12, s10
	s_mul_i32 s22, s18, s8
	s_mul_hi_u32 s10, s18, s10
	s_mul_hi_u32 s19, s18, s8
	s_add_u32 s10, s10, s22
	s_addc_u32 s19, 0, s19
	s_add_u32 s10, s10, s13
	s_mul_hi_u32 s9, s12, s8
	s_addc_u32 s10, s19, s11
	s_addc_u32 s9, s9, 0
	s_mul_i32 s8, s12, s8
	s_add_u32 s8, s10, s8
	s_addc_u32 s10, 0, s9
	s_add_u32 s11, s18, s8
	s_cselect_b64 s[8:9], -1, 0
	s_cmp_lg_u64 s[8:9], 0
	s_addc_u32 s8, s12, s10
	v_readlane_b32 s18, v48, 53
	s_mul_i32 s10, s18, s8
	s_mul_hi_u32 s12, s18, s11
	s_mul_hi_u32 s9, s18, s8
	s_add_u32 s10, s12, s10
	s_addc_u32 s9, 0, s9
	s_mul_hi_u32 s13, s39, s11
	s_mul_i32 s11, s39, s11
	s_add_u32 s10, s10, s11
	s_mul_hi_u32 s12, s39, s8
	s_addc_u32 s9, s9, s13
	s_addc_u32 s10, s12, 0
	s_mul_i32 s8, s39, s8
	s_add_u32 s8, s9, s8
	s_addc_u32 s9, 0, s10
	s_mul_i32 s9, s83, s9
	s_mul_hi_u32 s10, s83, s8
	s_add_i32 s10, s10, s9
	s_mul_i32 s8, s83, s8
	s_sub_u32 s11, s18, s8
	s_cselect_b64 s[8:9], -1, 0
	s_cmp_lg_u64 s[8:9], 0
	s_subb_u32 s10, s39, s10
	s_sub_u32 s12, s11, s83
	s_cselect_b64 s[8:9], -1, 0
	s_cmp_lg_u64 s[8:9], 0
	s_subb_u32 s13, s10, 0
	;; [unrolled: 4-line block ×3, first 2 shown]
	s_cmp_ge_u32 s12, s83
	s_cselect_b32 s9, -1, 0
	s_cmp_eq_u32 s13, 0
	s_cselect_b32 s9, s9, -1
	s_cmp_lg_u32 s9, 0
	s_cselect_b32 s8, s8, s13
	s_cselect_b32 s12, s18, s12
	s_cmp_ge_u32 s11, s83
	s_cselect_b32 s9, -1, 0
	s_cmp_eq_u32 s10, 0
	s_cselect_b32 s9, s9, -1
	s_cmp_lg_u32 s9, 0
	s_cselect_b32 s9, s8, s10
	s_cselect_b32 s8, s12, s11
	s_cbranch_execnz .LBB210_316
.LBB210_315:                            ;   in Loop: Header=BB210_18 Depth=1
	v_cvt_f32_u32_e32 v2, s83
	s_sub_i32 s8, 0, s83
	v_readlane_b32 s10, v48, 53
	v_rcp_iflag_f32_e32 v2, v2
	v_mul_f32_e32 v2, 0x4f7ffffe, v2
	v_cvt_u32_f32_e32 v2, v2
	v_readfirstlane_b32 s9, v2
	s_mul_i32 s8, s8, s9
	s_mul_hi_u32 s8, s9, s8
	s_add_i32 s9, s9, s8
	s_mul_hi_u32 s8, s10, s9
	s_mul_i32 s8, s8, s83
	s_sub_i32 s8, s10, s8
	s_sub_i32 s9, s8, s83
	s_cmp_ge_u32 s8, s83
	s_cselect_b32 s8, s9, s8
	s_sub_i32 s9, s8, s83
	s_cmp_ge_u32 s8, s83
	s_cselect_b32 s92, s9, s8
	s_mov_b64 s[8:9], s[92:93]
.LBB210_316:                            ;   in Loop: Header=BB210_18 Depth=1
	v_readlane_b32 s10, v48, 53
	v_readlane_b32 s12, v48, 55
	s_sub_u32 s10, s10, s8
	v_readlane_b32 s13, v48, 56
	s_subb_u32 s11, s13, s9
	v_cmp_gt_u64_e32 vcc, s[10:11], v[0:1]
                                        ; implicit-def: $vgpr39
	s_and_saveexec_b64 s[8:9], vcc
	s_cbranch_execz .LBB210_326
; %bb.317:                              ;   in Loop: Header=BB210_18 Depth=1
	v_mov_b32_e32 v5, v1
	s_mov_b64 s[12:13], 0
	v_mov_b32_e32 v4, v0
                                        ; implicit-def: $sgpr18_sgpr19
	s_branch .LBB210_321
.LBB210_318:                            ;   in Loop: Header=BB210_321 Depth=2
	s_or_b64 exec, exec, s[22:23]
	s_waitcnt lgkmcnt(0)
	s_barrier
	ds_read_b32 v2, v3 offset:3072
	s_waitcnt lgkmcnt(0)
	s_barrier
	v_cmp_neq_f16_e32 vcc, 0, v2
	s_cbranch_vccnz .LBB210_324
; %bb.319:                              ;   in Loop: Header=BB210_321 Depth=2
	v_add_co_u32_e32 v4, vcc, s83, v4
	v_addc_co_u32_e32 v5, vcc, 0, v5, vcc
	v_cmp_le_u64_e32 vcc, s[10:11], v[4:5]
	s_mov_b64 s[22:23], 0
	s_orn2_b64 s[38:39], vcc, exec
.LBB210_320:                            ;   in Loop: Header=BB210_321 Depth=2
	s_and_b64 s[38:39], exec, s[38:39]
	s_or_b64 s[12:13], s[38:39], s[12:13]
	s_andn2_b64 s[18:19], s[18:19], exec
	s_and_b64 s[22:23], s[22:23], exec
	s_or_b64 s[18:19], s[18:19], s[22:23]
	s_andn2_b64 exec, exec, s[12:13]
	s_cbranch_execz .LBB210_325
.LBB210_321:                            ;   Parent Loop BB210_18 Depth=1
                                        ; =>  This Inner Loop Header: Depth=2
	v_cmp_gt_u64_e32 vcc, s[64:65], v[4:5]
	s_and_saveexec_b64 s[22:23], vcc
	s_cbranch_execz .LBB210_318
; %bb.322:                              ;   in Loop: Header=BB210_321 Depth=2
	v_mul_lo_u32 v2, v5, s62
	v_mul_lo_u32 v8, v4, s63
	v_mad_u64_u32 v[6:7], s[38:39], v4, s62, 0
	v_add3_u32 v7, v7, v8, v2
	v_lshlrev_b64 v[6:7], 1, v[6:7]
	v_mov_b32_e32 v2, s82
	v_add_co_u32_e32 v6, vcc, s33, v6
	v_addc_co_u32_e32 v7, vcc, v2, v7, vcc
	global_load_ushort v2, v[6:7], off
	s_waitcnt vmcnt(0)
	v_cmp_lt_i16_e32 vcc, -1, v2
	v_cndmask_b32_e32 v6, v33, v34, vcc
	v_xor_b32_sdwa v6, v6, v2 dst_sel:DWORD dst_unused:UNUSED_PAD src0_sel:DWORD src1_sel:WORD_0
	v_cmp_o_f16_e32 vcc, v2, v2
	v_cndmask_b32_e32 v6, v33, v6, vcc
	v_and_b32_e32 v6, v6, v38
	v_cmp_eq_u32_e32 vcc, v6, v30
	s_and_b64 exec, exec, vcc
	s_cbranch_execz .LBB210_318
; %bb.323:                              ;   in Loop: Header=BB210_321 Depth=2
	s_movk_i32 s38, 0x3c00
	v_perm_b32 v2, v2, s38, v37
	ds_write_b32 v3, v2 offset:3072
	s_branch .LBB210_318
.LBB210_324:                            ;   in Loop: Header=BB210_321 Depth=2
	s_mov_b64 s[38:39], -1
                                        ; implicit-def: $vgpr4_vgpr5
	s_mov_b64 s[22:23], -1
	s_branch .LBB210_320
.LBB210_325:                            ;   in Loop: Header=BB210_18 Depth=1
	s_or_b64 exec, exec, s[12:13]
	s_andn2_b64 s[4:5], s[4:5], exec
	s_and_b64 s[10:11], s[18:19], exec
	v_lshrrev_b32_e32 v39, 16, v2
	s_or_b64 s[4:5], s[4:5], s[10:11]
.LBB210_326:                            ;   in Loop: Header=BB210_18 Depth=1
	s_or_b64 exec, exec, s[8:9]
	s_mov_b64 s[22:23], 0
	s_mov_b64 s[18:19], -1
.LBB210_327:                            ;   in Loop: Header=BB210_18 Depth=1
	s_orn2_b64 s[4:5], s[4:5], exec
.LBB210_328:                            ;   in Loop: Header=BB210_18 Depth=1
	s_or_b64 exec, exec, s[36:37]
                                        ; implicit-def: $vgpr4_vgpr5
                                        ; implicit-def: $vgpr2
	s_and_saveexec_b64 s[36:37], s[4:5]
	s_cbranch_execz .LBB210_492
; %bb.329:                              ;   in Loop: Header=BB210_18 Depth=1
	v_mov_b32_e32 v4, 1
	s_xor_b64 s[8:9], s[6:7], -1
	v_mov_b32_e32 v2, 1
	v_mov_b32_e32 v5, 0
	s_mov_b64 s[6:7], 0
	s_and_saveexec_b64 s[4:5], s[8:9]
	s_cbranch_execz .LBB210_338
; %bb.330:                              ;   in Loop: Header=BB210_18 Depth=1
	v_cmp_ge_u64_e32 vcc, s[28:29], v[19:20]
	s_and_saveexec_b64 s[6:7], vcc
	s_xor_b64 s[6:7], exec, s[6:7]
	s_cbranch_execz .LBB210_335
; %bb.331:                              ;   in Loop: Header=BB210_18 Depth=1
	ds_read_b64 v[4:5], v3 offset:5120
	v_or_b32_e32 v30, s86, v30
	v_or_b32_e32 v38, s86, v38
	s_waitcnt lgkmcnt(0)
	v_cmp_ne_u64_e32 vcc, 0, v[4:5]
	s_cbranch_vccnz .LBB210_335
; %bb.332:                              ;   in Loop: Header=BB210_18 Depth=1
	s_mov_b64 s[8:9], exec
	v_readlane_b32 s10, v48, 32
	v_readlane_b32 s11, v48, 33
	s_and_b64 s[10:11], s[8:9], s[10:11]
	s_mov_b64 exec, s[10:11]
; %bb.333:                              ;   in Loop: Header=BB210_18 Depth=1
	v_mov_b32_e32 v4, s28
	v_mov_b32_e32 v5, s29
	ds_write_b64 v3, v[4:5] offset:5128
; %bb.334:                              ;   in Loop: Header=BB210_18 Depth=1
	s_or_b64 exec, exec, s[8:9]
	s_waitcnt lgkmcnt(0)
	s_barrier
.LBB210_335:                            ;   in Loop: Header=BB210_18 Depth=1
	s_or_saveexec_b64 s[6:7], s[6:7]
	s_mov_b64 s[8:9], 0
	v_mov_b32_e32 v2, 5
	s_xor_b64 exec, exec, s[6:7]
; %bb.336:                              ;   in Loop: Header=BB210_18 Depth=1
	v_subrev_co_u32_e32 v19, vcc, s28, v19
	v_mov_b32_e32 v2, s29
	v_subb_co_u32_e32 v20, vcc, v20, v2, vcc
	v_mov_b32_e32 v2, 0
	s_mov_b64 s[8:9], exec
; %bb.337:                              ;   in Loop: Header=BB210_18 Depth=1
	s_or_b64 exec, exec, s[6:7]
	v_mov_b32_e32 v4, v19
	s_and_b64 s[6:7], s[8:9], exec
	v_mov_b32_e32 v5, v20
.LBB210_338:                            ;   in Loop: Header=BB210_18 Depth=1
	s_or_b64 exec, exec, s[4:5]
	s_mov_b64 s[4:5], -1
                                        ; implicit-def: $sgpr28_sgpr29
                                        ; implicit-def: $sgpr38_sgpr39
	s_and_saveexec_b64 s[8:9], s[6:7]
	s_xor_b64 s[6:7], exec, s[8:9]
	s_cbranch_execz .LBB210_489
; %bb.339:                              ;   in Loop: Header=BB210_18 Depth=1
	s_cmp_eq_u64 s[26:27], 1
	v_cmp_eq_u64_e32 vcc, 1, v[4:5]
	s_cselect_b64 s[4:5], -1, 0
	s_and_b64 s[44:45], s[4:5], vcc
	s_mov_b64 s[4:5], -1
                                        ; implicit-def: $sgpr38_sgpr39
                                        ; implicit-def: $sgpr28_sgpr29
	s_and_saveexec_b64 s[40:41], s[44:45]
	s_cbranch_execz .LBB210_375
; %bb.340:                              ;   in Loop: Header=BB210_18 Depth=1
	ds_read_b64 v[6:7], v3 offset:5120
	s_waitcnt lgkmcnt(0)
	s_barrier
	v_readfirstlane_b32 s8, v6
	v_readfirstlane_b32 s9, v7
	s_mov_b64 s[4:5], exec
	v_readlane_b32 s10, v48, 48
	v_readlane_b32 s11, v48, 49
	s_and_b64 s[10:11], s[4:5], s[10:11]
	s_mov_b64 exec, s[10:11]
; %bb.341:                              ;   in Loop: Header=BB210_18 Depth=1
	ds_write_b16 v28, v3
; %bb.342:                              ;   in Loop: Header=BB210_18 Depth=1
	s_or_b64 exec, exec, s[4:5]
	v_and_b32_e32 v6, s87, v30
	v_lshl_or_b32 v30, 2, s0, v6
	v_or_b32_e32 v38, s86, v38
	s_mov_b64 s[28:29], -1
	s_mov_b64 s[38:39], 0
	s_cmp_eq_u64 s[8:9], 0
	s_mov_b64 s[4:5], 0
	s_mov_b64 s[10:11], -1
	s_waitcnt lgkmcnt(0)
	s_barrier
                                        ; implicit-def: $vgpr39
	s_cbranch_scc1 .LBB210_359
; %bb.343:                              ;   in Loop: Header=BB210_18 Depth=1
	v_readlane_b32 s4, v48, 52
	s_add_u32 s46, s8, s4
	v_readlane_b32 s4, v48, 54
	s_addc_u32 s5, s9, s4
	s_mov_b32 s4, s93
	s_cmp_lg_u64 s[4:5], 0
	s_cbranch_scc0 .LBB210_402
; %bb.344:                              ;   in Loop: Header=BB210_18 Depth=1
	v_cvt_f32_u32_e32 v6, s83
	s_sub_u32 s4, 0, s83
	s_subb_u32 s12, 0, 0
	v_mac_f32_e32 v6, 0, v35
	v_rcp_f32_e32 v6, v6
	v_mul_f32_e32 v6, 0x5f7ffffc, v6
	v_mul_f32_e32 v7, 0x2f800000, v6
	v_trunc_f32_e32 v7, v7
	v_mac_f32_e32 v6, 0xcf800000, v7
	v_cvt_u32_f32_e32 v7, v7
	v_cvt_u32_f32_e32 v6, v6
	v_readfirstlane_b32 s13, v7
	v_readfirstlane_b32 s10, v6
	s_mul_i32 s11, s4, s13
	s_mul_hi_u32 s48, s4, s10
	s_mul_i32 s47, s12, s10
	s_add_i32 s11, s48, s11
	s_mul_i32 s49, s4, s10
	s_add_i32 s11, s11, s47
	s_mul_hi_u32 s48, s10, s49
	s_mul_i32 s50, s10, s11
	s_mul_hi_u32 s47, s10, s11
	s_add_u32 s48, s48, s50
	s_addc_u32 s47, 0, s47
	s_mul_hi_u32 s51, s13, s49
	s_mul_i32 s49, s13, s49
	s_add_u32 s48, s48, s49
	s_mul_hi_u32 s50, s13, s11
	s_addc_u32 s47, s47, s51
	s_addc_u32 s48, s50, 0
	s_mul_i32 s11, s13, s11
	s_add_u32 s11, s47, s11
	s_addc_u32 s47, 0, s48
	s_add_u32 s48, s10, s11
	s_cselect_b64 s[10:11], -1, 0
	s_cmp_lg_u64 s[10:11], 0
	s_addc_u32 s13, s13, s47
	s_mul_i32 s10, s4, s13
	s_mul_hi_u32 s11, s4, s48
	s_add_i32 s10, s11, s10
	s_mul_i32 s12, s12, s48
	s_add_i32 s10, s10, s12
	s_mul_i32 s4, s4, s48
	s_mul_hi_u32 s12, s13, s4
	s_mul_i32 s47, s13, s4
	s_mul_i32 s50, s48, s10
	s_mul_hi_u32 s4, s48, s4
	s_mul_hi_u32 s49, s48, s10
	s_add_u32 s4, s4, s50
	s_addc_u32 s49, 0, s49
	s_add_u32 s4, s4, s47
	s_mul_hi_u32 s11, s13, s10
	s_addc_u32 s4, s49, s12
	s_addc_u32 s11, s11, 0
	s_mul_i32 s10, s13, s10
	s_add_u32 s4, s4, s10
	s_addc_u32 s12, 0, s11
	s_add_u32 s4, s48, s4
	s_cselect_b64 s[10:11], -1, 0
	s_cmp_lg_u64 s[10:11], 0
	s_addc_u32 s10, s13, s12
	s_mul_i32 s12, s46, s10
	s_mul_hi_u32 s13, s46, s4
	s_mul_hi_u32 s11, s46, s10
	s_add_u32 s12, s13, s12
	s_addc_u32 s11, 0, s11
	s_mul_hi_u32 s47, s5, s4
	s_mul_i32 s4, s5, s4
	s_add_u32 s4, s12, s4
	s_mul_hi_u32 s13, s5, s10
	s_addc_u32 s4, s11, s47
	s_addc_u32 s11, s13, 0
	s_mul_i32 s10, s5, s10
	s_add_u32 s4, s4, s10
	s_addc_u32 s10, 0, s11
	s_mul_i32 s10, s83, s10
	s_mul_hi_u32 s11, s83, s4
	s_add_i32 s12, s11, s10
	s_mul_i32 s4, s83, s4
	s_sub_u32 s4, s46, s4
	s_cselect_b64 s[10:11], -1, 0
	s_cmp_lg_u64 s[10:11], 0
	s_subb_u32 s12, s5, s12
	s_sub_u32 s13, s4, s83
	s_cselect_b64 s[10:11], -1, 0
	s_cmp_lg_u64 s[10:11], 0
	s_subb_u32 s47, s12, 0
	;; [unrolled: 4-line block ×3, first 2 shown]
	s_cmp_ge_u32 s13, s83
	s_cselect_b32 s11, -1, 0
	s_cmp_eq_u32 s47, 0
	s_cselect_b32 s11, s11, -1
	s_cmp_lg_u32 s11, 0
	s_cselect_b32 s10, s10, s47
	s_cselect_b32 s13, s48, s13
	s_cmp_ge_u32 s4, s83
	s_cselect_b32 s11, -1, 0
	s_cmp_eq_u32 s12, 0
	s_cselect_b32 s11, s11, -1
	s_cmp_lg_u32 s11, 0
	s_cselect_b32 s11, s10, s12
	s_cselect_b32 s10, s13, s4
	s_cbranch_execnz .LBB210_346
.LBB210_345:                            ;   in Loop: Header=BB210_18 Depth=1
	v_cvt_f32_u32_e32 v6, s83
	s_sub_i32 s4, 0, s83
	v_rcp_iflag_f32_e32 v6, v6
	v_mul_f32_e32 v6, 0x4f7ffffe, v6
	v_cvt_u32_f32_e32 v6, v6
	v_readfirstlane_b32 s10, v6
	s_mul_i32 s4, s4, s10
	s_mul_hi_u32 s4, s10, s4
	s_add_i32 s10, s10, s4
	s_mul_hi_u32 s4, s46, s10
	s_mul_i32 s4, s4, s83
	s_sub_i32 s4, s46, s4
	s_sub_i32 s10, s4, s83
	s_cmp_ge_u32 s4, s83
	s_cselect_b32 s4, s10, s4
	s_sub_i32 s10, s4, s83
	s_cmp_ge_u32 s4, s83
	s_cselect_b32 s92, s10, s4
	s_mov_b64 s[10:11], s[92:93]
.LBB210_346:                            ;   in Loop: Header=BB210_18 Depth=1
	s_sub_u32 s46, s46, s10
	s_subb_u32 s47, s5, s11
	v_cmp_gt_u64_e32 vcc, s[46:47], v[0:1]
	s_mov_b64 s[10:11], 0
	s_mov_b64 s[4:5], 0
                                        ; implicit-def: $vgpr39
	s_and_saveexec_b64 s[12:13], vcc
	s_cbranch_execz .LBB210_358
; %bb.347:                              ;   in Loop: Header=BB210_18 Depth=1
	v_mov_b32_e32 v7, v1
	v_mov_b32_e32 v8, v27
	;; [unrolled: 1-line block ×3, first 2 shown]
                                        ; implicit-def: $sgpr48_sgpr49
	s_branch .LBB210_351
.LBB210_348:                            ;   in Loop: Header=BB210_351 Depth=2
	s_or_b64 exec, exec, s[50:51]
	s_waitcnt lgkmcnt(0)
	s_barrier
	ds_read_b32 v9, v3 offset:3072
	s_waitcnt lgkmcnt(0)
	s_barrier
	v_cmp_neq_f16_e32 vcc, 0, v9
	s_cbranch_vccnz .LBB210_354
; %bb.349:                              ;   in Loop: Header=BB210_351 Depth=2
	v_add_co_u32_e32 v6, vcc, s83, v6
	v_addc_co_u32_e32 v7, vcc, 0, v7, vcc
	v_cmp_le_u64_e32 vcc, s[46:47], v[6:7]
	v_add_u32_e32 v8, s81, v8
	s_mov_b64 s[50:51], 0
	s_orn2_b64 s[52:53], vcc, exec
.LBB210_350:                            ;   in Loop: Header=BB210_351 Depth=2
	s_and_b64 s[52:53], exec, s[52:53]
	s_or_b64 s[4:5], s[52:53], s[4:5]
	s_andn2_b64 s[48:49], s[48:49], exec
	s_and_b64 s[50:51], s[50:51], exec
	s_or_b64 s[48:49], s[48:49], s[50:51]
	s_andn2_b64 exec, exec, s[4:5]
	s_cbranch_execz .LBB210_357
.LBB210_351:                            ;   Parent Loop BB210_18 Depth=1
                                        ; =>  This Inner Loop Header: Depth=2
	v_cmp_gt_u64_e32 vcc, s[8:9], v[6:7]
	s_and_saveexec_b64 s[50:51], vcc
	s_cbranch_execz .LBB210_348
; %bb.352:                              ;   in Loop: Header=BB210_351 Depth=2
	ds_read_u16 v9, v8
	s_waitcnt lgkmcnt(0)
	v_cmp_lt_i16_e32 vcc, -1, v9
	v_cndmask_b32_e32 v10, v33, v34, vcc
	v_xor_b32_sdwa v10, v10, v9 dst_sel:DWORD dst_unused:UNUSED_PAD src0_sel:DWORD src1_sel:WORD_0
	v_cmp_o_f16_e32 vcc, v9, v9
	v_cndmask_b32_e32 v10, v33, v10, vcc
	v_and_b32_e32 v10, v10, v38
	v_cmp_eq_u32_e32 vcc, v10, v30
	s_and_b64 exec, exec, vcc
	s_cbranch_execz .LBB210_348
; %bb.353:                              ;   in Loop: Header=BB210_351 Depth=2
	s_movk_i32 s52, 0x3c00
	v_perm_b32 v9, v9, s52, v37
	ds_write_b32 v3, v9 offset:3072
	s_branch .LBB210_348
.LBB210_354:                            ;   in Loop: Header=BB210_351 Depth=2
	s_mov_b64 s[52:53], -1
                                        ; implicit-def: $vgpr6_vgpr7
                                        ; implicit-def: $vgpr8
	s_mov_b64 s[50:51], -1
	s_branch .LBB210_350
.LBB210_355:                            ;   in Loop: Header=BB210_18 Depth=1
                                        ; implicit-def: $sgpr10_sgpr11
	s_branch .LBB210_299
.LBB210_356:                            ;   in Loop: Header=BB210_18 Depth=1
                                        ; implicit-def: $sgpr8_sgpr9
	s_branch .LBB210_315
.LBB210_357:                            ;   in Loop: Header=BB210_18 Depth=1
	s_or_b64 exec, exec, s[4:5]
	v_lshrrev_b32_e32 v39, 16, v9
	s_and_b64 s[4:5], s[48:49], exec
.LBB210_358:                            ;   in Loop: Header=BB210_18 Depth=1
	s_or_b64 exec, exec, s[12:13]
.LBB210_359:                            ;   in Loop: Header=BB210_18 Depth=1
	s_and_b64 vcc, exec, s[10:11]
	s_cbranch_vccz .LBB210_374
; %bb.360:                              ;   in Loop: Header=BB210_18 Depth=1
	v_readlane_b32 s46, v48, 55
	v_readlane_b32 s47, v48, 56
	s_mov_b32 s46, s93
	s_cmp_lg_u64 s[46:47], 0
	v_writelane_b32 v48, s46, 55
	v_writelane_b32 v48, s47, 56
	s_cbranch_scc0 .LBB210_403
; %bb.361:                              ;   in Loop: Header=BB210_18 Depth=1
	v_cvt_f32_u32_e32 v6, s83
	s_sub_u32 s10, 0, s83
	s_subb_u32 s11, 0, 0
	v_mac_f32_e32 v6, 0, v35
	v_rcp_f32_e32 v6, v6
	v_mul_f32_e32 v6, 0x5f7ffffc, v6
	v_mul_f32_e32 v7, 0x2f800000, v6
	v_trunc_f32_e32 v7, v7
	v_mac_f32_e32 v6, 0xcf800000, v7
	v_cvt_u32_f32_e32 v7, v7
	v_cvt_u32_f32_e32 v6, v6
	v_readfirstlane_b32 s12, v7
	v_readfirstlane_b32 s8, v6
	s_mul_i32 s9, s10, s12
	s_mul_hi_u32 s28, s10, s8
	s_mul_i32 s13, s11, s8
	s_add_i32 s9, s28, s9
	s_mul_i32 s29, s10, s8
	s_add_i32 s9, s9, s13
	s_mul_hi_u32 s28, s8, s29
	s_mul_i32 s38, s8, s9
	s_mul_hi_u32 s13, s8, s9
	s_add_u32 s28, s28, s38
	s_addc_u32 s13, 0, s13
	s_mul_hi_u32 s39, s12, s29
	s_mul_i32 s29, s12, s29
	s_add_u32 s28, s28, s29
	s_mul_hi_u32 s38, s12, s9
	s_addc_u32 s13, s13, s39
	s_addc_u32 s28, s38, 0
	s_mul_i32 s9, s12, s9
	s_add_u32 s9, s13, s9
	s_addc_u32 s13, 0, s28
	s_add_u32 s28, s8, s9
	s_cselect_b64 s[8:9], -1, 0
	s_cmp_lg_u64 s[8:9], 0
	s_addc_u32 s12, s12, s13
	s_mul_i32 s8, s10, s12
	s_mul_hi_u32 s9, s10, s28
	s_add_i32 s8, s9, s8
	s_mul_i32 s11, s11, s28
	s_add_i32 s8, s8, s11
	s_mul_i32 s10, s10, s28
	s_mul_hi_u32 s11, s12, s10
	s_mul_i32 s13, s12, s10
	s_mul_i32 s38, s28, s8
	s_mul_hi_u32 s10, s28, s10
	s_mul_hi_u32 s29, s28, s8
	s_add_u32 s10, s10, s38
	s_addc_u32 s29, 0, s29
	s_add_u32 s10, s10, s13
	s_mul_hi_u32 s9, s12, s8
	s_addc_u32 s10, s29, s11
	s_addc_u32 s9, s9, 0
	s_mul_i32 s8, s12, s8
	s_add_u32 s8, s10, s8
	s_addc_u32 s10, 0, s9
	s_add_u32 s11, s28, s8
	s_cselect_b64 s[8:9], -1, 0
	s_cmp_lg_u64 s[8:9], 0
	s_addc_u32 s8, s12, s10
	v_readlane_b32 s28, v48, 53
	s_mul_i32 s10, s28, s8
	s_mul_hi_u32 s12, s28, s11
	s_mul_hi_u32 s9, s28, s8
	s_add_u32 s10, s12, s10
	s_addc_u32 s9, 0, s9
	s_mul_hi_u32 s13, s47, s11
	s_mul_i32 s11, s47, s11
	s_add_u32 s10, s10, s11
	s_mul_hi_u32 s12, s47, s8
	s_addc_u32 s9, s9, s13
	s_addc_u32 s10, s12, 0
	s_mul_i32 s8, s47, s8
	s_add_u32 s8, s9, s8
	s_addc_u32 s9, 0, s10
	s_mul_i32 s9, s83, s9
	s_mul_hi_u32 s10, s83, s8
	s_add_i32 s10, s10, s9
	s_mul_i32 s8, s83, s8
	s_sub_u32 s11, s28, s8
	s_cselect_b64 s[8:9], -1, 0
	s_cmp_lg_u64 s[8:9], 0
	s_subb_u32 s10, s47, s10
	s_sub_u32 s12, s11, s83
	s_cselect_b64 s[8:9], -1, 0
	s_cmp_lg_u64 s[8:9], 0
	s_subb_u32 s13, s10, 0
	;; [unrolled: 4-line block ×3, first 2 shown]
	s_cmp_ge_u32 s12, s83
	s_cselect_b32 s9, -1, 0
	s_cmp_eq_u32 s13, 0
	s_cselect_b32 s9, s9, -1
	s_cmp_lg_u32 s9, 0
	s_cselect_b32 s8, s8, s13
	s_cselect_b32 s12, s28, s12
	s_cmp_ge_u32 s11, s83
	s_cselect_b32 s9, -1, 0
	s_cmp_eq_u32 s10, 0
	s_cselect_b32 s9, s9, -1
	s_cmp_lg_u32 s9, 0
	s_cselect_b32 s9, s8, s10
	s_cselect_b32 s8, s12, s11
	s_cbranch_execnz .LBB210_363
.LBB210_362:                            ;   in Loop: Header=BB210_18 Depth=1
	v_cvt_f32_u32_e32 v6, s83
	s_sub_i32 s8, 0, s83
	v_readlane_b32 s10, v48, 53
	v_rcp_iflag_f32_e32 v6, v6
	v_mul_f32_e32 v6, 0x4f7ffffe, v6
	v_cvt_u32_f32_e32 v6, v6
	v_readfirstlane_b32 s9, v6
	s_mul_i32 s8, s8, s9
	s_mul_hi_u32 s8, s9, s8
	s_add_i32 s9, s9, s8
	s_mul_hi_u32 s8, s10, s9
	s_mul_i32 s8, s8, s83
	s_sub_i32 s8, s10, s8
	s_sub_i32 s9, s8, s83
	s_cmp_ge_u32 s8, s83
	s_cselect_b32 s8, s9, s8
	s_sub_i32 s9, s8, s83
	s_cmp_ge_u32 s8, s83
	s_cselect_b32 s92, s9, s8
	s_mov_b64 s[8:9], s[92:93]
.LBB210_363:                            ;   in Loop: Header=BB210_18 Depth=1
	v_readlane_b32 s10, v48, 53
	v_readlane_b32 s12, v48, 55
	s_sub_u32 s10, s10, s8
	v_readlane_b32 s13, v48, 56
	s_subb_u32 s11, s13, s9
	v_cmp_gt_u64_e32 vcc, s[10:11], v[0:1]
                                        ; implicit-def: $vgpr39
	s_and_saveexec_b64 s[8:9], vcc
	s_cbranch_execz .LBB210_373
; %bb.364:                              ;   in Loop: Header=BB210_18 Depth=1
	v_mov_b32_e32 v7, v1
	s_mov_b64 s[12:13], 0
	v_mov_b32_e32 v6, v0
                                        ; implicit-def: $sgpr28_sgpr29
	s_branch .LBB210_368
.LBB210_365:                            ;   in Loop: Header=BB210_368 Depth=2
	s_or_b64 exec, exec, s[38:39]
	s_waitcnt lgkmcnt(0)
	s_barrier
	ds_read_b32 v8, v3 offset:3072
	s_waitcnt lgkmcnt(0)
	s_barrier
	v_cmp_eq_f16_e32 vcc, 0, v8
	s_cbranch_vccz .LBB210_371
; %bb.366:                              ;   in Loop: Header=BB210_368 Depth=2
	v_add_co_u32_e32 v6, vcc, s83, v6
	v_addc_co_u32_e32 v7, vcc, 0, v7, vcc
	v_cmp_le_u64_e32 vcc, s[10:11], v[6:7]
	s_mov_b64 s[38:39], 0
	s_orn2_b64 s[46:47], vcc, exec
.LBB210_367:                            ;   in Loop: Header=BB210_368 Depth=2
	s_and_b64 s[46:47], exec, s[46:47]
	s_or_b64 s[12:13], s[46:47], s[12:13]
	s_andn2_b64 s[28:29], s[28:29], exec
	s_and_b64 s[38:39], s[38:39], exec
	s_or_b64 s[28:29], s[28:29], s[38:39]
	s_andn2_b64 exec, exec, s[12:13]
	s_cbranch_execz .LBB210_372
.LBB210_368:                            ;   Parent Loop BB210_18 Depth=1
                                        ; =>  This Inner Loop Header: Depth=2
	v_cmp_gt_u64_e32 vcc, s[64:65], v[6:7]
	s_and_saveexec_b64 s[38:39], vcc
	s_cbranch_execz .LBB210_365
; %bb.369:                              ;   in Loop: Header=BB210_368 Depth=2
	v_mul_lo_u32 v10, v7, s62
	v_mul_lo_u32 v11, v6, s63
	v_mad_u64_u32 v[8:9], s[46:47], v6, s62, 0
	v_add3_u32 v9, v9, v11, v10
	v_lshlrev_b64 v[8:9], 1, v[8:9]
	v_mov_b32_e32 v10, s82
	v_add_co_u32_e32 v8, vcc, s33, v8
	v_addc_co_u32_e32 v9, vcc, v10, v9, vcc
	global_load_ushort v8, v[8:9], off
	s_waitcnt vmcnt(0)
	v_cmp_lt_i16_e32 vcc, -1, v8
	v_cndmask_b32_e32 v9, v33, v34, vcc
	v_xor_b32_sdwa v9, v9, v8 dst_sel:DWORD dst_unused:UNUSED_PAD src0_sel:DWORD src1_sel:WORD_0
	v_cmp_o_f16_e32 vcc, v8, v8
	v_cndmask_b32_e32 v9, v33, v9, vcc
	v_and_b32_e32 v9, v9, v38
	v_cmp_eq_u32_e32 vcc, v9, v30
	s_and_b64 exec, exec, vcc
	s_cbranch_execz .LBB210_365
; %bb.370:                              ;   in Loop: Header=BB210_368 Depth=2
	s_movk_i32 s46, 0x3c00
	v_perm_b32 v8, v8, s46, v37
	ds_write_b32 v3, v8 offset:3072
	s_branch .LBB210_365
.LBB210_371:                            ;   in Loop: Header=BB210_368 Depth=2
	s_mov_b64 s[46:47], -1
                                        ; implicit-def: $vgpr6_vgpr7
	s_mov_b64 s[38:39], -1
	s_branch .LBB210_367
.LBB210_372:                            ;   in Loop: Header=BB210_18 Depth=1
	s_or_b64 exec, exec, s[12:13]
	s_andn2_b64 s[4:5], s[4:5], exec
	s_and_b64 s[10:11], s[28:29], exec
	v_lshrrev_b32_e32 v39, 16, v8
	s_or_b64 s[4:5], s[4:5], s[10:11]
.LBB210_373:                            ;   in Loop: Header=BB210_18 Depth=1
	s_or_b64 exec, exec, s[8:9]
	s_mov_b64 s[28:29], 0
	s_mov_b64 s[38:39], -1
.LBB210_374:                            ;   in Loop: Header=BB210_18 Depth=1
	s_orn2_b64 s[4:5], s[4:5], exec
.LBB210_375:                            ;   in Loop: Header=BB210_18 Depth=1
	s_or_b64 exec, exec, s[40:41]
	s_mov_b64 s[8:9], 0
	s_and_saveexec_b64 s[40:41], s[4:5]
	s_cbranch_execz .LBB210_488
; %bb.376:                              ;   in Loop: Header=BB210_18 Depth=1
	v_mov_b32_e32 v6, 1
	s_xor_b64 s[10:11], s[44:45], -1
	v_mov_b32_e32 v2, 1
	v_mov_b32_e32 v7, 0
	s_and_saveexec_b64 s[4:5], s[10:11]
	s_cbranch_execz .LBB210_385
; %bb.377:                              ;   in Loop: Header=BB210_18 Depth=1
	v_cmp_ge_u64_e32 vcc, s[26:27], v[4:5]
	s_and_saveexec_b64 s[8:9], vcc
	s_xor_b64 s[8:9], exec, s[8:9]
	s_cbranch_execz .LBB210_382
; %bb.378:                              ;   in Loop: Header=BB210_18 Depth=1
	ds_read_b64 v[6:7], v3 offset:5120
	v_and_b32_e32 v2, s87, v30
	v_lshl_or_b32 v30, 2, s0, v2
	v_or_b32_e32 v38, s86, v38
	s_waitcnt lgkmcnt(0)
	v_cmp_ne_u64_e32 vcc, 0, v[6:7]
	s_cbranch_vccnz .LBB210_382
; %bb.379:                              ;   in Loop: Header=BB210_18 Depth=1
	s_mov_b64 s[10:11], exec
	v_readlane_b32 s12, v48, 32
	v_readlane_b32 s13, v48, 33
	s_and_b64 s[12:13], s[10:11], s[12:13]
	s_mov_b64 exec, s[12:13]
; %bb.380:                              ;   in Loop: Header=BB210_18 Depth=1
	v_mov_b32_e32 v6, s26
	v_mov_b32_e32 v7, s27
	ds_write_b64 v3, v[6:7] offset:5128
; %bb.381:                              ;   in Loop: Header=BB210_18 Depth=1
	s_or_b64 exec, exec, s[10:11]
	s_waitcnt lgkmcnt(0)
	s_barrier
.LBB210_382:                            ;   in Loop: Header=BB210_18 Depth=1
	s_or_saveexec_b64 s[8:9], s[8:9]
	s_mov_b64 s[10:11], 0
	v_mov_b32_e32 v2, 5
	s_xor_b64 exec, exec, s[8:9]
; %bb.383:                              ;   in Loop: Header=BB210_18 Depth=1
	v_subrev_co_u32_e32 v4, vcc, s26, v4
	v_mov_b32_e32 v2, s27
	v_subb_co_u32_e32 v5, vcc, v5, v2, vcc
	v_mov_b32_e32 v2, 0
	s_mov_b64 s[10:11], exec
; %bb.384:                              ;   in Loop: Header=BB210_18 Depth=1
	s_or_b64 exec, exec, s[8:9]
	v_mov_b32_e32 v7, v5
	s_and_b64 s[8:9], s[10:11], exec
	v_mov_b32_e32 v6, v4
.LBB210_385:                            ;   in Loop: Header=BB210_18 Depth=1
	s_or_b64 exec, exec, s[4:5]
	s_mov_b64 s[4:5], -1
                                        ; implicit-def: $sgpr44_sgpr45
                                        ; implicit-def: $sgpr46_sgpr47
	s_and_saveexec_b64 s[26:27], s[8:9]
	s_cbranch_execz .LBB210_487
; %bb.386:                              ;   in Loop: Header=BB210_18 Depth=1
	s_cmp_eq_u64 s[24:25], 1
	v_cmp_eq_u64_e32 vcc, 1, v[6:7]
	s_cselect_b64 s[4:5], -1, 0
	s_and_b64 s[50:51], s[4:5], vcc
	s_mov_b64 s[4:5], -1
                                        ; implicit-def: $sgpr46_sgpr47
                                        ; implicit-def: $sgpr44_sgpr45
	s_and_saveexec_b64 s[48:49], s[50:51]
	s_cbranch_execz .LBB210_422
; %bb.387:                              ;   in Loop: Header=BB210_18 Depth=1
	ds_read_b64 v[4:5], v3 offset:5120
	s_waitcnt lgkmcnt(0)
	s_barrier
	v_readfirstlane_b32 s8, v4
	v_readfirstlane_b32 s9, v5
	s_mov_b64 s[4:5], exec
	v_readlane_b32 s10, v48, 48
	v_readlane_b32 s11, v48, 49
	s_and_b64 s[10:11], s[4:5], s[10:11]
	s_mov_b64 exec, s[10:11]
; %bb.388:                              ;   in Loop: Header=BB210_18 Depth=1
	ds_write_b16 v28, v3
; %bb.389:                              ;   in Loop: Header=BB210_18 Depth=1
	s_or_b64 exec, exec, s[4:5]
	v_and_b32_e32 v4, s87, v30
	v_lshl_or_b32 v30, 1, s0, v4
	v_or_b32_e32 v38, s86, v38
	s_mov_b64 s[44:45], -1
	s_mov_b64 s[46:47], 0
	s_cmp_eq_u64 s[8:9], 0
	s_mov_b64 s[4:5], 0
	s_mov_b64 s[10:11], -1
	s_waitcnt lgkmcnt(0)
	s_barrier
                                        ; implicit-def: $vgpr39
	s_cbranch_scc1 .LBB210_406
; %bb.390:                              ;   in Loop: Header=BB210_18 Depth=1
	v_readlane_b32 s4, v48, 52
	s_add_u32 s52, s8, s4
	v_readlane_b32 s4, v48, 54
	s_addc_u32 s5, s9, s4
	s_mov_b32 s4, s93
	s_cmp_lg_u64 s[4:5], 0
	s_cbranch_scc0 .LBB210_439
; %bb.391:                              ;   in Loop: Header=BB210_18 Depth=1
	v_cvt_f32_u32_e32 v4, s83
	s_sub_u32 s4, 0, s83
	s_subb_u32 s12, 0, 0
	v_mac_f32_e32 v4, 0, v35
	v_rcp_f32_e32 v4, v4
	v_mul_f32_e32 v4, 0x5f7ffffc, v4
	v_mul_f32_e32 v5, 0x2f800000, v4
	v_trunc_f32_e32 v5, v5
	v_mac_f32_e32 v4, 0xcf800000, v5
	v_cvt_u32_f32_e32 v5, v5
	v_cvt_u32_f32_e32 v4, v4
	v_readfirstlane_b32 s13, v5
	v_readfirstlane_b32 s10, v4
	s_mul_i32 s11, s4, s13
	s_mul_hi_u32 s54, s4, s10
	s_mul_i32 s53, s12, s10
	s_add_i32 s11, s54, s11
	s_mul_i32 s55, s4, s10
	s_add_i32 s11, s11, s53
	s_mul_hi_u32 s54, s10, s55
	s_mul_i32 s56, s10, s11
	s_mul_hi_u32 s53, s10, s11
	s_add_u32 s54, s54, s56
	s_addc_u32 s53, 0, s53
	s_mul_hi_u32 s57, s13, s55
	s_mul_i32 s55, s13, s55
	s_add_u32 s54, s54, s55
	s_mul_hi_u32 s56, s13, s11
	s_addc_u32 s53, s53, s57
	s_addc_u32 s54, s56, 0
	s_mul_i32 s11, s13, s11
	s_add_u32 s11, s53, s11
	s_addc_u32 s53, 0, s54
	s_add_u32 s54, s10, s11
	s_cselect_b64 s[10:11], -1, 0
	s_cmp_lg_u64 s[10:11], 0
	s_addc_u32 s13, s13, s53
	s_mul_i32 s10, s4, s13
	s_mul_hi_u32 s11, s4, s54
	s_add_i32 s10, s11, s10
	s_mul_i32 s12, s12, s54
	s_add_i32 s10, s10, s12
	s_mul_i32 s4, s4, s54
	s_mul_hi_u32 s12, s13, s4
	s_mul_i32 s53, s13, s4
	s_mul_i32 s56, s54, s10
	s_mul_hi_u32 s4, s54, s4
	s_mul_hi_u32 s55, s54, s10
	s_add_u32 s4, s4, s56
	s_addc_u32 s55, 0, s55
	s_add_u32 s4, s4, s53
	s_mul_hi_u32 s11, s13, s10
	s_addc_u32 s4, s55, s12
	s_addc_u32 s11, s11, 0
	s_mul_i32 s10, s13, s10
	s_add_u32 s4, s4, s10
	s_addc_u32 s12, 0, s11
	s_add_u32 s4, s54, s4
	s_cselect_b64 s[10:11], -1, 0
	s_cmp_lg_u64 s[10:11], 0
	s_addc_u32 s10, s13, s12
	s_mul_i32 s12, s52, s10
	s_mul_hi_u32 s13, s52, s4
	s_mul_hi_u32 s11, s52, s10
	s_add_u32 s12, s13, s12
	s_addc_u32 s11, 0, s11
	s_mul_hi_u32 s53, s5, s4
	s_mul_i32 s4, s5, s4
	s_add_u32 s4, s12, s4
	s_mul_hi_u32 s13, s5, s10
	s_addc_u32 s4, s11, s53
	s_addc_u32 s11, s13, 0
	s_mul_i32 s10, s5, s10
	s_add_u32 s4, s4, s10
	s_addc_u32 s10, 0, s11
	s_mul_i32 s10, s83, s10
	s_mul_hi_u32 s11, s83, s4
	s_add_i32 s12, s11, s10
	s_mul_i32 s4, s83, s4
	s_sub_u32 s4, s52, s4
	s_cselect_b64 s[10:11], -1, 0
	s_cmp_lg_u64 s[10:11], 0
	s_subb_u32 s12, s5, s12
	s_sub_u32 s13, s4, s83
	s_cselect_b64 s[10:11], -1, 0
	s_cmp_lg_u64 s[10:11], 0
	s_subb_u32 s53, s12, 0
	;; [unrolled: 4-line block ×3, first 2 shown]
	s_cmp_ge_u32 s13, s83
	s_cselect_b32 s11, -1, 0
	s_cmp_eq_u32 s53, 0
	s_cselect_b32 s11, s11, -1
	s_cmp_lg_u32 s11, 0
	s_cselect_b32 s10, s10, s53
	s_cselect_b32 s13, s54, s13
	s_cmp_ge_u32 s4, s83
	s_cselect_b32 s11, -1, 0
	s_cmp_eq_u32 s12, 0
	s_cselect_b32 s11, s11, -1
	s_cmp_lg_u32 s11, 0
	s_cselect_b32 s11, s10, s12
	s_cselect_b32 s10, s13, s4
	s_cbranch_execnz .LBB210_393
.LBB210_392:                            ;   in Loop: Header=BB210_18 Depth=1
	v_cvt_f32_u32_e32 v4, s83
	s_sub_i32 s4, 0, s83
	v_rcp_iflag_f32_e32 v4, v4
	v_mul_f32_e32 v4, 0x4f7ffffe, v4
	v_cvt_u32_f32_e32 v4, v4
	v_readfirstlane_b32 s10, v4
	s_mul_i32 s4, s4, s10
	s_mul_hi_u32 s4, s10, s4
	s_add_i32 s10, s10, s4
	s_mul_hi_u32 s4, s52, s10
	s_mul_i32 s4, s4, s83
	s_sub_i32 s4, s52, s4
	s_sub_i32 s10, s4, s83
	s_cmp_ge_u32 s4, s83
	s_cselect_b32 s4, s10, s4
	s_sub_i32 s10, s4, s83
	s_cmp_ge_u32 s4, s83
	s_cselect_b32 s92, s10, s4
	s_mov_b64 s[10:11], s[92:93]
.LBB210_393:                            ;   in Loop: Header=BB210_18 Depth=1
	s_sub_u32 s52, s52, s10
	s_subb_u32 s53, s5, s11
	v_cmp_gt_u64_e32 vcc, s[52:53], v[0:1]
	s_mov_b64 s[10:11], 0
	s_mov_b64 s[4:5], 0
                                        ; implicit-def: $vgpr39
	s_and_saveexec_b64 s[12:13], vcc
	s_cbranch_execz .LBB210_405
; %bb.394:                              ;   in Loop: Header=BB210_18 Depth=1
	v_mov_b32_e32 v5, v1
	v_mov_b32_e32 v8, v27
	v_mov_b32_e32 v4, v0
                                        ; implicit-def: $sgpr54_sgpr55
	s_branch .LBB210_398
.LBB210_395:                            ;   in Loop: Header=BB210_398 Depth=2
	s_or_b64 exec, exec, s[56:57]
	s_waitcnt lgkmcnt(0)
	s_barrier
	ds_read_b32 v9, v3 offset:3072
	s_waitcnt lgkmcnt(0)
	s_barrier
	v_cmp_neq_f16_e32 vcc, 0, v9
	s_cbranch_vccnz .LBB210_401
; %bb.396:                              ;   in Loop: Header=BB210_398 Depth=2
	v_add_co_u32_e32 v4, vcc, s83, v4
	v_addc_co_u32_e32 v5, vcc, 0, v5, vcc
	v_cmp_le_u64_e32 vcc, s[52:53], v[4:5]
	v_add_u32_e32 v8, s81, v8
	s_mov_b64 s[56:57], 0
	s_orn2_b64 s[58:59], vcc, exec
.LBB210_397:                            ;   in Loop: Header=BB210_398 Depth=2
	s_and_b64 s[58:59], exec, s[58:59]
	s_or_b64 s[4:5], s[58:59], s[4:5]
	s_andn2_b64 s[54:55], s[54:55], exec
	s_and_b64 s[56:57], s[56:57], exec
	s_or_b64 s[54:55], s[54:55], s[56:57]
	s_andn2_b64 exec, exec, s[4:5]
	s_cbranch_execz .LBB210_404
.LBB210_398:                            ;   Parent Loop BB210_18 Depth=1
                                        ; =>  This Inner Loop Header: Depth=2
	v_cmp_gt_u64_e32 vcc, s[8:9], v[4:5]
	s_and_saveexec_b64 s[56:57], vcc
	s_cbranch_execz .LBB210_395
; %bb.399:                              ;   in Loop: Header=BB210_398 Depth=2
	ds_read_u16 v9, v8
	s_waitcnt lgkmcnt(0)
	v_cmp_lt_i16_e32 vcc, -1, v9
	v_cndmask_b32_e32 v10, v33, v34, vcc
	v_xor_b32_sdwa v10, v10, v9 dst_sel:DWORD dst_unused:UNUSED_PAD src0_sel:DWORD src1_sel:WORD_0
	v_cmp_o_f16_e32 vcc, v9, v9
	v_cndmask_b32_e32 v10, v33, v10, vcc
	v_and_b32_e32 v10, v10, v38
	v_cmp_eq_u32_e32 vcc, v10, v30
	s_and_b64 exec, exec, vcc
	s_cbranch_execz .LBB210_395
; %bb.400:                              ;   in Loop: Header=BB210_398 Depth=2
	s_movk_i32 s58, 0x3c00
	v_perm_b32 v9, v9, s58, v37
	ds_write_b32 v3, v9 offset:3072
	s_branch .LBB210_395
.LBB210_401:                            ;   in Loop: Header=BB210_398 Depth=2
	s_mov_b64 s[58:59], -1
                                        ; implicit-def: $vgpr4_vgpr5
                                        ; implicit-def: $vgpr8
	s_mov_b64 s[56:57], -1
	s_branch .LBB210_397
.LBB210_402:                            ;   in Loop: Header=BB210_18 Depth=1
                                        ; implicit-def: $sgpr10_sgpr11
	s_branch .LBB210_345
.LBB210_403:                            ;   in Loop: Header=BB210_18 Depth=1
                                        ; implicit-def: $sgpr8_sgpr9
	s_branch .LBB210_362
.LBB210_404:                            ;   in Loop: Header=BB210_18 Depth=1
	s_or_b64 exec, exec, s[4:5]
	v_lshrrev_b32_e32 v39, 16, v9
	s_and_b64 s[4:5], s[54:55], exec
.LBB210_405:                            ;   in Loop: Header=BB210_18 Depth=1
	s_or_b64 exec, exec, s[12:13]
.LBB210_406:                            ;   in Loop: Header=BB210_18 Depth=1
	s_and_b64 vcc, exec, s[10:11]
	s_cbranch_vccz .LBB210_421
; %bb.407:                              ;   in Loop: Header=BB210_18 Depth=1
	v_readlane_b32 s52, v48, 55
	v_readlane_b32 s53, v48, 56
	s_mov_b32 s52, s93
	s_cmp_lg_u64 s[52:53], 0
	v_writelane_b32 v48, s52, 55
	v_writelane_b32 v48, s53, 56
	s_cbranch_scc0 .LBB210_440
; %bb.408:                              ;   in Loop: Header=BB210_18 Depth=1
	v_cvt_f32_u32_e32 v4, s83
	s_sub_u32 s10, 0, s83
	s_subb_u32 s11, 0, 0
	v_mac_f32_e32 v4, 0, v35
	v_rcp_f32_e32 v4, v4
	v_mul_f32_e32 v4, 0x5f7ffffc, v4
	v_mul_f32_e32 v5, 0x2f800000, v4
	v_trunc_f32_e32 v5, v5
	v_mac_f32_e32 v4, 0xcf800000, v5
	v_cvt_u32_f32_e32 v5, v5
	v_cvt_u32_f32_e32 v4, v4
	v_readfirstlane_b32 s12, v5
	v_readfirstlane_b32 s8, v4
	s_mul_i32 s9, s10, s12
	s_mul_hi_u32 s44, s10, s8
	s_mul_i32 s13, s11, s8
	s_add_i32 s9, s44, s9
	s_mul_i32 s45, s10, s8
	s_add_i32 s9, s9, s13
	s_mul_hi_u32 s44, s8, s45
	s_mul_i32 s46, s8, s9
	s_mul_hi_u32 s13, s8, s9
	s_add_u32 s44, s44, s46
	s_addc_u32 s13, 0, s13
	s_mul_hi_u32 s47, s12, s45
	s_mul_i32 s45, s12, s45
	s_add_u32 s44, s44, s45
	s_mul_hi_u32 s46, s12, s9
	s_addc_u32 s13, s13, s47
	s_addc_u32 s44, s46, 0
	s_mul_i32 s9, s12, s9
	s_add_u32 s9, s13, s9
	s_addc_u32 s13, 0, s44
	s_add_u32 s44, s8, s9
	s_cselect_b64 s[8:9], -1, 0
	s_cmp_lg_u64 s[8:9], 0
	s_addc_u32 s12, s12, s13
	s_mul_i32 s8, s10, s12
	s_mul_hi_u32 s9, s10, s44
	s_add_i32 s8, s9, s8
	s_mul_i32 s11, s11, s44
	s_add_i32 s8, s8, s11
	s_mul_i32 s10, s10, s44
	s_mul_hi_u32 s11, s12, s10
	s_mul_i32 s13, s12, s10
	s_mul_i32 s46, s44, s8
	s_mul_hi_u32 s10, s44, s10
	s_mul_hi_u32 s45, s44, s8
	s_add_u32 s10, s10, s46
	s_addc_u32 s45, 0, s45
	s_add_u32 s10, s10, s13
	s_mul_hi_u32 s9, s12, s8
	s_addc_u32 s10, s45, s11
	s_addc_u32 s9, s9, 0
	s_mul_i32 s8, s12, s8
	s_add_u32 s8, s10, s8
	s_addc_u32 s10, 0, s9
	s_add_u32 s11, s44, s8
	s_cselect_b64 s[8:9], -1, 0
	s_cmp_lg_u64 s[8:9], 0
	s_addc_u32 s8, s12, s10
	v_readlane_b32 s44, v48, 53
	s_mul_i32 s10, s44, s8
	s_mul_hi_u32 s12, s44, s11
	s_mul_hi_u32 s9, s44, s8
	s_add_u32 s10, s12, s10
	s_addc_u32 s9, 0, s9
	s_mul_hi_u32 s13, s53, s11
	s_mul_i32 s11, s53, s11
	s_add_u32 s10, s10, s11
	s_mul_hi_u32 s12, s53, s8
	s_addc_u32 s9, s9, s13
	s_addc_u32 s10, s12, 0
	s_mul_i32 s8, s53, s8
	s_add_u32 s8, s9, s8
	s_addc_u32 s9, 0, s10
	s_mul_i32 s9, s83, s9
	s_mul_hi_u32 s10, s83, s8
	s_add_i32 s10, s10, s9
	s_mul_i32 s8, s83, s8
	s_sub_u32 s11, s44, s8
	s_cselect_b64 s[8:9], -1, 0
	s_cmp_lg_u64 s[8:9], 0
	s_subb_u32 s10, s53, s10
	s_sub_u32 s12, s11, s83
	s_cselect_b64 s[8:9], -1, 0
	s_cmp_lg_u64 s[8:9], 0
	s_subb_u32 s13, s10, 0
	;; [unrolled: 4-line block ×3, first 2 shown]
	s_cmp_ge_u32 s12, s83
	s_cselect_b32 s9, -1, 0
	s_cmp_eq_u32 s13, 0
	s_cselect_b32 s9, s9, -1
	s_cmp_lg_u32 s9, 0
	s_cselect_b32 s8, s8, s13
	s_cselect_b32 s12, s44, s12
	s_cmp_ge_u32 s11, s83
	s_cselect_b32 s9, -1, 0
	s_cmp_eq_u32 s10, 0
	s_cselect_b32 s9, s9, -1
	s_cmp_lg_u32 s9, 0
	s_cselect_b32 s9, s8, s10
	s_cselect_b32 s8, s12, s11
	s_cbranch_execnz .LBB210_410
.LBB210_409:                            ;   in Loop: Header=BB210_18 Depth=1
	v_cvt_f32_u32_e32 v4, s83
	s_sub_i32 s8, 0, s83
	v_readlane_b32 s10, v48, 53
	v_rcp_iflag_f32_e32 v4, v4
	v_mul_f32_e32 v4, 0x4f7ffffe, v4
	v_cvt_u32_f32_e32 v4, v4
	v_readfirstlane_b32 s9, v4
	s_mul_i32 s8, s8, s9
	s_mul_hi_u32 s8, s9, s8
	s_add_i32 s9, s9, s8
	s_mul_hi_u32 s8, s10, s9
	s_mul_i32 s8, s8, s83
	s_sub_i32 s8, s10, s8
	s_sub_i32 s9, s8, s83
	s_cmp_ge_u32 s8, s83
	s_cselect_b32 s8, s9, s8
	s_sub_i32 s9, s8, s83
	s_cmp_ge_u32 s8, s83
	s_cselect_b32 s92, s9, s8
	s_mov_b64 s[8:9], s[92:93]
.LBB210_410:                            ;   in Loop: Header=BB210_18 Depth=1
	v_readlane_b32 s10, v48, 53
	v_readlane_b32 s12, v48, 55
	s_sub_u32 s10, s10, s8
	v_readlane_b32 s13, v48, 56
	s_subb_u32 s11, s13, s9
	v_cmp_gt_u64_e32 vcc, s[10:11], v[0:1]
                                        ; implicit-def: $vgpr39
	s_and_saveexec_b64 s[8:9], vcc
	s_cbranch_execz .LBB210_420
; %bb.411:                              ;   in Loop: Header=BB210_18 Depth=1
	v_mov_b32_e32 v5, v1
	s_mov_b64 s[12:13], 0
	v_mov_b32_e32 v4, v0
                                        ; implicit-def: $sgpr44_sgpr45
	s_branch .LBB210_415
.LBB210_412:                            ;   in Loop: Header=BB210_415 Depth=2
	s_or_b64 exec, exec, s[46:47]
	s_waitcnt lgkmcnt(0)
	s_barrier
	ds_read_b32 v8, v3 offset:3072
	s_waitcnt lgkmcnt(0)
	s_barrier
	v_cmp_eq_f16_e32 vcc, 0, v8
	s_cbranch_vccz .LBB210_418
; %bb.413:                              ;   in Loop: Header=BB210_415 Depth=2
	v_add_co_u32_e32 v4, vcc, s83, v4
	v_addc_co_u32_e32 v5, vcc, 0, v5, vcc
	v_cmp_le_u64_e32 vcc, s[10:11], v[4:5]
	s_mov_b64 s[46:47], 0
	s_orn2_b64 s[52:53], vcc, exec
.LBB210_414:                            ;   in Loop: Header=BB210_415 Depth=2
	s_and_b64 s[52:53], exec, s[52:53]
	s_or_b64 s[12:13], s[52:53], s[12:13]
	s_andn2_b64 s[44:45], s[44:45], exec
	s_and_b64 s[46:47], s[46:47], exec
	s_or_b64 s[44:45], s[44:45], s[46:47]
	s_andn2_b64 exec, exec, s[12:13]
	s_cbranch_execz .LBB210_419
.LBB210_415:                            ;   Parent Loop BB210_18 Depth=1
                                        ; =>  This Inner Loop Header: Depth=2
	v_cmp_gt_u64_e32 vcc, s[64:65], v[4:5]
	s_and_saveexec_b64 s[46:47], vcc
	s_cbranch_execz .LBB210_412
; %bb.416:                              ;   in Loop: Header=BB210_415 Depth=2
	v_mul_lo_u32 v10, v5, s62
	v_mul_lo_u32 v11, v4, s63
	v_mad_u64_u32 v[8:9], s[52:53], v4, s62, 0
	v_add3_u32 v9, v9, v11, v10
	v_lshlrev_b64 v[8:9], 1, v[8:9]
	v_mov_b32_e32 v10, s82
	v_add_co_u32_e32 v8, vcc, s33, v8
	v_addc_co_u32_e32 v9, vcc, v10, v9, vcc
	global_load_ushort v8, v[8:9], off
	s_waitcnt vmcnt(0)
	v_cmp_lt_i16_e32 vcc, -1, v8
	v_cndmask_b32_e32 v9, v33, v34, vcc
	v_xor_b32_sdwa v9, v9, v8 dst_sel:DWORD dst_unused:UNUSED_PAD src0_sel:DWORD src1_sel:WORD_0
	v_cmp_o_f16_e32 vcc, v8, v8
	v_cndmask_b32_e32 v9, v33, v9, vcc
	v_and_b32_e32 v9, v9, v38
	v_cmp_eq_u32_e32 vcc, v9, v30
	s_and_b64 exec, exec, vcc
	s_cbranch_execz .LBB210_412
; %bb.417:                              ;   in Loop: Header=BB210_415 Depth=2
	s_movk_i32 s52, 0x3c00
	v_perm_b32 v8, v8, s52, v37
	ds_write_b32 v3, v8 offset:3072
	s_branch .LBB210_412
.LBB210_418:                            ;   in Loop: Header=BB210_415 Depth=2
	s_mov_b64 s[52:53], -1
                                        ; implicit-def: $vgpr4_vgpr5
	s_mov_b64 s[46:47], -1
	s_branch .LBB210_414
.LBB210_419:                            ;   in Loop: Header=BB210_18 Depth=1
	s_or_b64 exec, exec, s[12:13]
	s_andn2_b64 s[4:5], s[4:5], exec
	s_and_b64 s[10:11], s[44:45], exec
	v_lshrrev_b32_e32 v39, 16, v8
	s_or_b64 s[4:5], s[4:5], s[10:11]
.LBB210_420:                            ;   in Loop: Header=BB210_18 Depth=1
	s_or_b64 exec, exec, s[8:9]
	s_mov_b64 s[44:45], 0
	s_mov_b64 s[46:47], -1
.LBB210_421:                            ;   in Loop: Header=BB210_18 Depth=1
	s_orn2_b64 s[4:5], s[4:5], exec
.LBB210_422:                            ;   in Loop: Header=BB210_18 Depth=1
	s_or_b64 exec, exec, s[48:49]
	s_mov_b64 s[8:9], 0
	s_and_saveexec_b64 s[48:49], s[4:5]
	s_cbranch_execz .LBB210_486
; %bb.423:                              ;   in Loop: Header=BB210_18 Depth=1
	v_mov_b32_e32 v4, 1
	s_xor_b64 s[10:11], s[50:51], -1
	v_mov_b32_e32 v2, 1
	v_mov_b32_e32 v5, 0
	s_and_saveexec_b64 s[4:5], s[10:11]
	s_cbranch_execz .LBB210_432
; %bb.424:                              ;   in Loop: Header=BB210_18 Depth=1
	v_cmp_ge_u64_e32 vcc, s[24:25], v[6:7]
	s_and_saveexec_b64 s[8:9], vcc
	s_xor_b64 s[8:9], exec, s[8:9]
	s_cbranch_execz .LBB210_429
; %bb.425:                              ;   in Loop: Header=BB210_18 Depth=1
	ds_read_b64 v[4:5], v3 offset:5120
	v_and_b32_e32 v2, s87, v30
	v_lshl_or_b32 v30, 1, s0, v2
	v_or_b32_e32 v38, s86, v38
	s_waitcnt lgkmcnt(0)
	v_cmp_ne_u64_e32 vcc, 0, v[4:5]
	s_cbranch_vccnz .LBB210_429
; %bb.426:                              ;   in Loop: Header=BB210_18 Depth=1
	s_mov_b64 s[10:11], exec
	v_readlane_b32 s12, v48, 32
	v_readlane_b32 s13, v48, 33
	s_and_b64 s[12:13], s[10:11], s[12:13]
	s_mov_b64 exec, s[12:13]
; %bb.427:                              ;   in Loop: Header=BB210_18 Depth=1
	v_mov_b32_e32 v4, s24
	v_mov_b32_e32 v5, s25
	ds_write_b64 v3, v[4:5] offset:5128
; %bb.428:                              ;   in Loop: Header=BB210_18 Depth=1
	s_or_b64 exec, exec, s[10:11]
	s_waitcnt lgkmcnt(0)
	s_barrier
.LBB210_429:                            ;   in Loop: Header=BB210_18 Depth=1
	s_or_saveexec_b64 s[8:9], s[8:9]
	s_mov_b64 s[10:11], 0
	v_mov_b32_e32 v2, 5
	s_xor_b64 exec, exec, s[8:9]
; %bb.430:                              ;   in Loop: Header=BB210_18 Depth=1
	v_subrev_co_u32_e32 v6, vcc, s24, v6
	v_mov_b32_e32 v2, s25
	v_subb_co_u32_e32 v7, vcc, v7, v2, vcc
	v_mov_b32_e32 v2, 0
	s_mov_b64 s[10:11], exec
; %bb.431:                              ;   in Loop: Header=BB210_18 Depth=1
	s_or_b64 exec, exec, s[8:9]
	v_mov_b32_e32 v4, v6
	s_and_b64 s[8:9], s[10:11], exec
	v_mov_b32_e32 v5, v7
.LBB210_432:                            ;   in Loop: Header=BB210_18 Depth=1
	s_or_b64 exec, exec, s[4:5]
	s_mov_b64 s[4:5], -1
                                        ; implicit-def: $sgpr56_sgpr57
                                        ; implicit-def: $sgpr54_sgpr55
	s_and_saveexec_b64 s[24:25], s[8:9]
	s_cbranch_execz .LBB210_485
; %bb.433:                              ;   in Loop: Header=BB210_18 Depth=1
	s_cmp_eq_u64 s[20:21], 1
	v_cmp_eq_u64_e32 vcc, 1, v[4:5]
	s_cselect_b64 s[4:5], -1, 0
	s_and_b64 s[50:51], s[4:5], vcc
	s_mov_b64 s[8:9], -1
                                        ; implicit-def: $sgpr56_sgpr57
                                        ; implicit-def: $sgpr54_sgpr55
	s_and_saveexec_b64 s[52:53], s[50:51]
	s_cbranch_execz .LBB210_473
; %bb.434:                              ;   in Loop: Header=BB210_18 Depth=1
	ds_read_b64 v[6:7], v3 offset:5120
	s_waitcnt lgkmcnt(0)
	s_barrier
	v_readfirstlane_b32 s8, v6
	v_readfirstlane_b32 s9, v7
	s_mov_b64 s[4:5], exec
	v_readlane_b32 s10, v48, 48
	v_readlane_b32 s11, v48, 49
	s_and_b64 s[10:11], s[4:5], s[10:11]
	s_mov_b64 exec, s[10:11]
; %bb.435:                              ;   in Loop: Header=BB210_18 Depth=1
	ds_write_b16 v28, v3
; %bb.436:                              ;   in Loop: Header=BB210_18 Depth=1
	s_or_b64 exec, exec, s[4:5]
	v_and_b32_e32 v30, s87, v30
	v_or_b32_e32 v38, s86, v38
	s_mov_b64 s[54:55], -1
	s_mov_b64 s[56:57], 0
	s_cmp_eq_u64 s[8:9], 0
	s_mov_b64 s[4:5], 0
	s_mov_b64 s[10:11], -1
	s_waitcnt lgkmcnt(0)
	s_barrier
                                        ; implicit-def: $vgpr39
	s_cbranch_scc1 .LBB210_455
; %bb.437:                              ;   in Loop: Header=BB210_18 Depth=1
	v_readlane_b32 s4, v48, 52
	s_add_u32 s58, s8, s4
	v_readlane_b32 s4, v48, 54
	s_addc_u32 s5, s9, s4
	s_mov_b32 s4, s93
	s_cmp_lg_u64 s[4:5], 0
	s_cbranch_scc0 .LBB210_441
; %bb.438:                              ;   in Loop: Header=BB210_18 Depth=1
	v_cvt_f32_u32_e32 v6, s83
	s_sub_u32 s4, 0, s83
	s_subb_u32 s12, 0, 0
	v_mac_f32_e32 v6, 0, v35
	v_rcp_f32_e32 v6, v6
	v_mul_f32_e32 v6, 0x5f7ffffc, v6
	v_mul_f32_e32 v7, 0x2f800000, v6
	v_trunc_f32_e32 v7, v7
	v_mac_f32_e32 v6, 0xcf800000, v7
	v_cvt_u32_f32_e32 v7, v7
	v_cvt_u32_f32_e32 v6, v6
	v_readfirstlane_b32 s13, v7
	v_readfirstlane_b32 s10, v6
	s_mul_i32 s11, s4, s13
	s_mul_hi_u32 s76, s4, s10
	s_mul_i32 s59, s12, s10
	s_add_i32 s11, s76, s11
	s_mul_i32 s77, s4, s10
	s_add_i32 s11, s11, s59
	s_mul_hi_u32 s76, s10, s77
	s_mul_i32 s78, s10, s11
	s_mul_hi_u32 s59, s10, s11
	s_add_u32 s76, s76, s78
	s_addc_u32 s59, 0, s59
	s_mul_hi_u32 s79, s13, s77
	s_mul_i32 s77, s13, s77
	s_add_u32 s76, s76, s77
	s_mul_hi_u32 s78, s13, s11
	s_addc_u32 s59, s59, s79
	s_addc_u32 s76, s78, 0
	s_mul_i32 s11, s13, s11
	s_add_u32 s11, s59, s11
	s_addc_u32 s59, 0, s76
	s_add_u32 s76, s10, s11
	s_cselect_b64 s[10:11], -1, 0
	s_cmp_lg_u64 s[10:11], 0
	s_addc_u32 s13, s13, s59
	s_mul_i32 s10, s4, s13
	s_mul_hi_u32 s11, s4, s76
	s_add_i32 s10, s11, s10
	s_mul_i32 s12, s12, s76
	s_add_i32 s10, s10, s12
	s_mul_i32 s4, s4, s76
	s_mul_hi_u32 s12, s13, s4
	s_mul_i32 s59, s13, s4
	s_mul_i32 s78, s76, s10
	s_mul_hi_u32 s4, s76, s4
	s_mul_hi_u32 s77, s76, s10
	s_add_u32 s4, s4, s78
	s_addc_u32 s77, 0, s77
	s_add_u32 s4, s4, s59
	s_mul_hi_u32 s11, s13, s10
	s_addc_u32 s4, s77, s12
	s_addc_u32 s11, s11, 0
	s_mul_i32 s10, s13, s10
	s_add_u32 s4, s4, s10
	s_addc_u32 s12, 0, s11
	s_add_u32 s4, s76, s4
	s_cselect_b64 s[10:11], -1, 0
	s_cmp_lg_u64 s[10:11], 0
	s_addc_u32 s10, s13, s12
	s_mul_i32 s12, s58, s10
	s_mul_hi_u32 s13, s58, s4
	s_mul_hi_u32 s11, s58, s10
	s_add_u32 s12, s13, s12
	s_addc_u32 s11, 0, s11
	s_mul_hi_u32 s59, s5, s4
	s_mul_i32 s4, s5, s4
	s_add_u32 s4, s12, s4
	s_mul_hi_u32 s13, s5, s10
	s_addc_u32 s4, s11, s59
	s_addc_u32 s11, s13, 0
	s_mul_i32 s10, s5, s10
	s_add_u32 s4, s4, s10
	s_addc_u32 s10, 0, s11
	s_mul_i32 s10, s83, s10
	s_mul_hi_u32 s11, s83, s4
	s_add_i32 s12, s11, s10
	s_mul_i32 s4, s83, s4
	s_sub_u32 s4, s58, s4
	s_cselect_b64 s[10:11], -1, 0
	s_cmp_lg_u64 s[10:11], 0
	s_subb_u32 s12, s5, s12
	s_sub_u32 s13, s4, s83
	s_cselect_b64 s[10:11], -1, 0
	s_cmp_lg_u64 s[10:11], 0
	s_subb_u32 s59, s12, 0
	;; [unrolled: 4-line block ×3, first 2 shown]
	s_cmp_ge_u32 s13, s83
	s_cselect_b32 s11, -1, 0
	s_cmp_eq_u32 s59, 0
	s_cselect_b32 s11, s11, -1
	s_cmp_lg_u32 s11, 0
	s_cselect_b32 s10, s10, s59
	s_cselect_b32 s13, s76, s13
	s_cmp_ge_u32 s4, s83
	s_cselect_b32 s11, -1, 0
	s_cmp_eq_u32 s12, 0
	s_cselect_b32 s11, s11, -1
	s_cmp_lg_u32 s11, 0
	s_cselect_b32 s11, s10, s12
	s_cselect_b32 s10, s13, s4
	s_mov_b64 s[12:13], 0
	s_branch .LBB210_442
.LBB210_439:                            ;   in Loop: Header=BB210_18 Depth=1
                                        ; implicit-def: $sgpr10_sgpr11
	s_branch .LBB210_392
.LBB210_440:                            ;   in Loop: Header=BB210_18 Depth=1
                                        ; implicit-def: $sgpr8_sgpr9
	s_branch .LBB210_409
.LBB210_441:                            ;   in Loop: Header=BB210_18 Depth=1
	s_mov_b64 s[12:13], -1
                                        ; implicit-def: $sgpr10_sgpr11
.LBB210_442:                            ;   in Loop: Header=BB210_18 Depth=1
	s_andn2_b64 vcc, exec, s[12:13]
	s_cbranch_vccnz .LBB210_444
; %bb.443:                              ;   in Loop: Header=BB210_18 Depth=1
	v_cvt_f32_u32_e32 v6, s83
	s_sub_i32 s4, 0, s83
	v_rcp_iflag_f32_e32 v6, v6
	v_mul_f32_e32 v6, 0x4f7ffffe, v6
	v_cvt_u32_f32_e32 v6, v6
	v_readfirstlane_b32 s10, v6
	s_mul_i32 s4, s4, s10
	s_mul_hi_u32 s4, s10, s4
	s_add_i32 s10, s10, s4
	s_mul_hi_u32 s4, s58, s10
	s_mul_i32 s4, s4, s83
	s_sub_i32 s4, s58, s4
	s_sub_i32 s10, s4, s83
	s_cmp_ge_u32 s4, s83
	s_cselect_b32 s4, s10, s4
	s_sub_i32 s10, s4, s83
	s_cmp_ge_u32 s4, s83
	s_cselect_b32 s92, s10, s4
	s_mov_b64 s[10:11], s[92:93]
.LBB210_444:                            ;   in Loop: Header=BB210_18 Depth=1
	s_sub_u32 s58, s58, s10
	s_subb_u32 s59, s5, s11
	v_cmp_gt_u64_e32 vcc, s[58:59], v[0:1]
	s_mov_b64 s[10:11], 0
	s_mov_b64 s[4:5], 0
                                        ; implicit-def: $vgpr39
	s_and_saveexec_b64 s[12:13], vcc
	s_cbranch_execz .LBB210_454
; %bb.445:                              ;   in Loop: Header=BB210_18 Depth=1
	v_mov_b32_e32 v7, v1
	v_mov_b32_e32 v8, v27
	;; [unrolled: 1-line block ×3, first 2 shown]
                                        ; implicit-def: $sgpr76_sgpr77
	s_branch .LBB210_449
.LBB210_446:                            ;   in Loop: Header=BB210_449 Depth=2
	s_or_b64 exec, exec, s[78:79]
	s_waitcnt lgkmcnt(0)
	s_barrier
	ds_read_b32 v9, v3 offset:3072
	s_waitcnt lgkmcnt(0)
	s_barrier
	v_cmp_neq_f16_e32 vcc, 0, v9
	s_cbranch_vccnz .LBB210_452
; %bb.447:                              ;   in Loop: Header=BB210_449 Depth=2
	v_add_co_u32_e32 v6, vcc, s83, v6
	v_addc_co_u32_e32 v7, vcc, 0, v7, vcc
	v_cmp_le_u64_e32 vcc, s[58:59], v[6:7]
	v_add_u32_e32 v8, s81, v8
	s_mov_b64 s[78:79], 0
	s_orn2_b64 s[84:85], vcc, exec
.LBB210_448:                            ;   in Loop: Header=BB210_449 Depth=2
	s_and_b64 s[84:85], exec, s[84:85]
	s_or_b64 s[4:5], s[84:85], s[4:5]
	s_andn2_b64 s[76:77], s[76:77], exec
	s_and_b64 s[78:79], s[78:79], exec
	s_or_b64 s[76:77], s[76:77], s[78:79]
	s_andn2_b64 exec, exec, s[4:5]
	s_cbranch_execz .LBB210_453
.LBB210_449:                            ;   Parent Loop BB210_18 Depth=1
                                        ; =>  This Inner Loop Header: Depth=2
	v_cmp_gt_u64_e32 vcc, s[8:9], v[6:7]
	s_and_saveexec_b64 s[78:79], vcc
	s_cbranch_execz .LBB210_446
; %bb.450:                              ;   in Loop: Header=BB210_449 Depth=2
	ds_read_u16 v9, v8
	s_waitcnt lgkmcnt(0)
	v_cmp_lt_i16_e32 vcc, -1, v9
	v_cndmask_b32_e32 v10, v33, v34, vcc
	v_xor_b32_sdwa v10, v10, v9 dst_sel:DWORD dst_unused:UNUSED_PAD src0_sel:DWORD src1_sel:WORD_0
	v_cmp_o_f16_e32 vcc, v9, v9
	v_cndmask_b32_e32 v10, v33, v10, vcc
	v_and_b32_e32 v10, v10, v38
	v_cmp_eq_u32_e32 vcc, v10, v30
	s_and_b64 exec, exec, vcc
	s_cbranch_execz .LBB210_446
; %bb.451:                              ;   in Loop: Header=BB210_449 Depth=2
	s_movk_i32 s84, 0x3c00
	v_perm_b32 v9, v9, s84, v37
	ds_write_b32 v3, v9 offset:3072
	s_branch .LBB210_446
.LBB210_452:                            ;   in Loop: Header=BB210_449 Depth=2
	s_mov_b64 s[84:85], -1
                                        ; implicit-def: $vgpr6_vgpr7
                                        ; implicit-def: $vgpr8
	s_mov_b64 s[78:79], -1
	s_branch .LBB210_448
.LBB210_453:                            ;   in Loop: Header=BB210_18 Depth=1
	s_or_b64 exec, exec, s[4:5]
	v_readlane_b32 s84, v47, 4
	v_lshrrev_b32_e32 v39, 16, v9
	s_and_b64 s[4:5], s[76:77], exec
	v_readlane_b32 s85, v47, 5
.LBB210_454:                            ;   in Loop: Header=BB210_18 Depth=1
	s_or_b64 exec, exec, s[12:13]
.LBB210_455:                            ;   in Loop: Header=BB210_18 Depth=1
	s_and_b64 vcc, exec, s[10:11]
	s_cbranch_vccz .LBB210_472
; %bb.456:                              ;   in Loop: Header=BB210_18 Depth=1
	v_readlane_b32 s58, v48, 55
	v_readlane_b32 s59, v48, 56
	s_mov_b32 s58, s93
	s_cmp_lg_u64 s[58:59], 0
	v_writelane_b32 v48, s58, 55
	v_writelane_b32 v48, s59, 56
	s_cbranch_scc0 .LBB210_458
; %bb.457:                              ;   in Loop: Header=BB210_18 Depth=1
	v_cvt_f32_u32_e32 v6, s83
	s_sub_u32 s10, 0, s83
	s_subb_u32 s11, 0, 0
	v_mac_f32_e32 v6, 0, v35
	v_rcp_f32_e32 v6, v6
	v_mul_f32_e32 v6, 0x5f7ffffc, v6
	v_mul_f32_e32 v7, 0x2f800000, v6
	v_trunc_f32_e32 v7, v7
	v_mac_f32_e32 v6, 0xcf800000, v7
	v_cvt_u32_f32_e32 v7, v7
	v_cvt_u32_f32_e32 v6, v6
	v_readfirstlane_b32 s12, v7
	v_readfirstlane_b32 s8, v6
	s_mul_i32 s9, s10, s12
	s_mul_hi_u32 s54, s10, s8
	s_mul_i32 s13, s11, s8
	s_add_i32 s9, s54, s9
	s_mul_i32 s55, s10, s8
	s_add_i32 s9, s9, s13
	s_mul_hi_u32 s54, s8, s55
	s_mul_i32 s56, s8, s9
	s_mul_hi_u32 s13, s8, s9
	s_add_u32 s54, s54, s56
	s_addc_u32 s13, 0, s13
	s_mul_hi_u32 s57, s12, s55
	s_mul_i32 s55, s12, s55
	s_add_u32 s54, s54, s55
	s_mul_hi_u32 s56, s12, s9
	s_addc_u32 s13, s13, s57
	s_addc_u32 s54, s56, 0
	s_mul_i32 s9, s12, s9
	s_add_u32 s9, s13, s9
	s_addc_u32 s13, 0, s54
	s_add_u32 s54, s8, s9
	s_cselect_b64 s[8:9], -1, 0
	s_cmp_lg_u64 s[8:9], 0
	s_addc_u32 s12, s12, s13
	s_mul_i32 s8, s10, s12
	s_mul_hi_u32 s9, s10, s54
	s_add_i32 s8, s9, s8
	s_mul_i32 s11, s11, s54
	s_add_i32 s8, s8, s11
	s_mul_i32 s10, s10, s54
	s_mul_hi_u32 s11, s12, s10
	s_mul_i32 s13, s12, s10
	s_mul_i32 s56, s54, s8
	s_mul_hi_u32 s10, s54, s10
	s_mul_hi_u32 s55, s54, s8
	s_add_u32 s10, s10, s56
	s_addc_u32 s55, 0, s55
	s_add_u32 s10, s10, s13
	s_mul_hi_u32 s9, s12, s8
	s_addc_u32 s10, s55, s11
	s_addc_u32 s9, s9, 0
	s_mul_i32 s8, s12, s8
	s_add_u32 s8, s10, s8
	s_addc_u32 s10, 0, s9
	s_add_u32 s11, s54, s8
	s_cselect_b64 s[8:9], -1, 0
	s_cmp_lg_u64 s[8:9], 0
	s_addc_u32 s8, s12, s10
	v_readlane_b32 s54, v48, 53
	s_mul_i32 s10, s54, s8
	s_mul_hi_u32 s12, s54, s11
	s_mul_hi_u32 s9, s54, s8
	s_add_u32 s10, s12, s10
	s_addc_u32 s9, 0, s9
	s_mul_hi_u32 s13, s59, s11
	s_mul_i32 s11, s59, s11
	s_add_u32 s10, s10, s11
	s_mul_hi_u32 s12, s59, s8
	s_addc_u32 s9, s9, s13
	s_addc_u32 s10, s12, 0
	s_mul_i32 s8, s59, s8
	s_add_u32 s8, s9, s8
	s_addc_u32 s9, 0, s10
	s_mul_i32 s9, s83, s9
	s_mul_hi_u32 s10, s83, s8
	s_add_i32 s10, s10, s9
	s_mul_i32 s8, s83, s8
	s_sub_u32 s11, s54, s8
	s_cselect_b64 s[8:9], -1, 0
	s_cmp_lg_u64 s[8:9], 0
	s_subb_u32 s10, s59, s10
	s_sub_u32 s12, s11, s83
	s_cselect_b64 s[8:9], -1, 0
	s_cmp_lg_u64 s[8:9], 0
	s_subb_u32 s13, s10, 0
	;; [unrolled: 4-line block ×3, first 2 shown]
	s_cmp_ge_u32 s12, s83
	s_cselect_b32 s9, -1, 0
	s_cmp_eq_u32 s13, 0
	s_cselect_b32 s9, s9, -1
	s_cmp_lg_u32 s9, 0
	s_cselect_b32 s8, s8, s13
	s_cselect_b32 s12, s54, s12
	s_cmp_ge_u32 s11, s83
	s_cselect_b32 s9, -1, 0
	s_cmp_eq_u32 s10, 0
	s_cselect_b32 s9, s9, -1
	s_cmp_lg_u32 s9, 0
	s_cselect_b32 s9, s8, s10
	s_cselect_b32 s8, s12, s11
	s_mov_b64 s[10:11], 0
	s_branch .LBB210_459
.LBB210_458:                            ;   in Loop: Header=BB210_18 Depth=1
	s_mov_b64 s[10:11], -1
                                        ; implicit-def: $sgpr8_sgpr9
.LBB210_459:                            ;   in Loop: Header=BB210_18 Depth=1
	s_andn2_b64 vcc, exec, s[10:11]
	s_cbranch_vccnz .LBB210_461
; %bb.460:                              ;   in Loop: Header=BB210_18 Depth=1
	v_cvt_f32_u32_e32 v6, s83
	s_sub_i32 s8, 0, s83
	v_readlane_b32 s10, v48, 53
	v_rcp_iflag_f32_e32 v6, v6
	v_mul_f32_e32 v6, 0x4f7ffffe, v6
	v_cvt_u32_f32_e32 v6, v6
	v_readfirstlane_b32 s9, v6
	s_mul_i32 s8, s8, s9
	s_mul_hi_u32 s8, s9, s8
	s_add_i32 s9, s9, s8
	s_mul_hi_u32 s8, s10, s9
	s_mul_i32 s8, s8, s83
	s_sub_i32 s8, s10, s8
	s_sub_i32 s9, s8, s83
	s_cmp_ge_u32 s8, s83
	s_cselect_b32 s8, s9, s8
	s_sub_i32 s9, s8, s83
	s_cmp_ge_u32 s8, s83
	s_cselect_b32 s92, s9, s8
	s_mov_b64 s[8:9], s[92:93]
.LBB210_461:                            ;   in Loop: Header=BB210_18 Depth=1
	v_readlane_b32 s10, v48, 53
	v_readlane_b32 s12, v48, 55
	s_sub_u32 s10, s10, s8
	v_readlane_b32 s13, v48, 56
	s_subb_u32 s11, s13, s9
	v_cmp_gt_u64_e32 vcc, s[10:11], v[0:1]
                                        ; implicit-def: $vgpr39
	s_and_saveexec_b64 s[8:9], vcc
	s_cbranch_execz .LBB210_471
; %bb.462:                              ;   in Loop: Header=BB210_18 Depth=1
	v_mov_b32_e32 v7, v1
	s_mov_b64 s[12:13], 0
	v_mov_b32_e32 v6, v0
                                        ; implicit-def: $sgpr54_sgpr55
	s_branch .LBB210_466
.LBB210_463:                            ;   in Loop: Header=BB210_466 Depth=2
	s_or_b64 exec, exec, s[56:57]
	s_waitcnt lgkmcnt(0)
	s_barrier
	ds_read_b32 v8, v3 offset:3072
	s_waitcnt lgkmcnt(0)
	s_barrier
	v_cmp_eq_f16_e32 vcc, 0, v8
	s_cbranch_vccz .LBB210_469
; %bb.464:                              ;   in Loop: Header=BB210_466 Depth=2
	v_add_co_u32_e32 v6, vcc, s83, v6
	v_addc_co_u32_e32 v7, vcc, 0, v7, vcc
	v_cmp_le_u64_e32 vcc, s[10:11], v[6:7]
	s_mov_b64 s[56:57], 0
	s_orn2_b64 s[58:59], vcc, exec
.LBB210_465:                            ;   in Loop: Header=BB210_466 Depth=2
	s_and_b64 s[58:59], exec, s[58:59]
	s_or_b64 s[12:13], s[58:59], s[12:13]
	s_andn2_b64 s[54:55], s[54:55], exec
	s_and_b64 s[56:57], s[56:57], exec
	s_or_b64 s[54:55], s[54:55], s[56:57]
	s_andn2_b64 exec, exec, s[12:13]
	s_cbranch_execz .LBB210_470
.LBB210_466:                            ;   Parent Loop BB210_18 Depth=1
                                        ; =>  This Inner Loop Header: Depth=2
	v_cmp_gt_u64_e32 vcc, s[64:65], v[6:7]
	s_and_saveexec_b64 s[56:57], vcc
	s_cbranch_execz .LBB210_463
; %bb.467:                              ;   in Loop: Header=BB210_466 Depth=2
	v_mul_lo_u32 v10, v7, s62
	v_mul_lo_u32 v11, v6, s63
	v_mad_u64_u32 v[8:9], s[58:59], v6, s62, 0
	v_add3_u32 v9, v9, v11, v10
	v_lshlrev_b64 v[8:9], 1, v[8:9]
	v_mov_b32_e32 v10, s82
	v_add_co_u32_e32 v8, vcc, s33, v8
	v_addc_co_u32_e32 v9, vcc, v10, v9, vcc
	global_load_ushort v8, v[8:9], off
	s_waitcnt vmcnt(0)
	v_cmp_lt_i16_e32 vcc, -1, v8
	v_cndmask_b32_e32 v9, v33, v34, vcc
	v_xor_b32_sdwa v9, v9, v8 dst_sel:DWORD dst_unused:UNUSED_PAD src0_sel:DWORD src1_sel:WORD_0
	v_cmp_o_f16_e32 vcc, v8, v8
	v_cndmask_b32_e32 v9, v33, v9, vcc
	v_and_b32_e32 v9, v9, v38
	v_cmp_eq_u32_e32 vcc, v9, v30
	s_and_b64 exec, exec, vcc
	s_cbranch_execz .LBB210_463
; %bb.468:                              ;   in Loop: Header=BB210_466 Depth=2
	s_movk_i32 s58, 0x3c00
	v_perm_b32 v8, v8, s58, v37
	ds_write_b32 v3, v8 offset:3072
	s_branch .LBB210_463
.LBB210_469:                            ;   in Loop: Header=BB210_466 Depth=2
	s_mov_b64 s[58:59], -1
                                        ; implicit-def: $vgpr6_vgpr7
	s_mov_b64 s[56:57], -1
	s_branch .LBB210_465
.LBB210_470:                            ;   in Loop: Header=BB210_18 Depth=1
	s_or_b64 exec, exec, s[12:13]
	s_andn2_b64 s[4:5], s[4:5], exec
	s_and_b64 s[10:11], s[54:55], exec
	v_lshrrev_b32_e32 v39, 16, v8
	s_or_b64 s[4:5], s[4:5], s[10:11]
.LBB210_471:                            ;   in Loop: Header=BB210_18 Depth=1
	s_or_b64 exec, exec, s[8:9]
	s_mov_b64 s[54:55], 0
	s_mov_b64 s[56:57], -1
.LBB210_472:                            ;   in Loop: Header=BB210_18 Depth=1
	s_orn2_b64 s[8:9], s[4:5], exec
.LBB210_473:                            ;   in Loop: Header=BB210_18 Depth=1
	s_or_b64 exec, exec, s[52:53]
	s_mov_b64 s[10:11], 0
	s_and_saveexec_b64 s[4:5], s[8:9]
	s_cbranch_execz .LBB210_484
; %bb.474:                              ;   in Loop: Header=BB210_18 Depth=1
	v_mov_b32_e32 v6, 1
	s_xor_b64 s[10:11], s[50:51], -1
	v_mov_b32_e32 v7, 0
	v_mov_b32_e32 v2, 1
	s_and_saveexec_b64 s[8:9], s[10:11]
	s_cbranch_execz .LBB210_483
; %bb.475:                              ;   in Loop: Header=BB210_18 Depth=1
	v_cmp_ge_u64_e32 vcc, s[20:21], v[4:5]
	s_and_saveexec_b64 s[10:11], vcc
	s_xor_b64 s[10:11], exec, s[10:11]
	s_cbranch_execz .LBB210_480
; %bb.476:                              ;   in Loop: Header=BB210_18 Depth=1
	ds_read_b64 v[6:7], v3 offset:5120
	v_and_b32_e32 v30, s87, v30
	v_or_b32_e32 v38, s86, v38
	s_waitcnt lgkmcnt(0)
	v_cmp_ne_u64_e32 vcc, 0, v[6:7]
	s_cbranch_vccnz .LBB210_480
; %bb.477:                              ;   in Loop: Header=BB210_18 Depth=1
	s_mov_b64 s[12:13], exec
	v_readlane_b32 s50, v48, 32
	v_readlane_b32 s51, v48, 33
	s_and_b64 s[50:51], s[12:13], s[50:51]
	s_mov_b64 exec, s[50:51]
; %bb.478:                              ;   in Loop: Header=BB210_18 Depth=1
	v_mov_b32_e32 v6, s20
	v_mov_b32_e32 v7, s21
	ds_write_b64 v3, v[6:7] offset:5128
; %bb.479:                              ;   in Loop: Header=BB210_18 Depth=1
	s_or_b64 exec, exec, s[12:13]
	s_waitcnt lgkmcnt(0)
	s_barrier
.LBB210_480:                            ;   in Loop: Header=BB210_18 Depth=1
	s_andn2_saveexec_b64 s[10:11], s[10:11]
; %bb.481:                              ;   in Loop: Header=BB210_18 Depth=1
	v_mov_b32_e32 v2, s21
	v_subrev_co_u32_e32 v4, vcc, s20, v4
	v_subb_co_u32_e32 v5, vcc, v5, v2, vcc
; %bb.482:                              ;   in Loop: Header=BB210_18 Depth=1
	s_or_b64 exec, exec, s[10:11]
	v_mov_b32_e32 v7, v5
	v_mov_b32_e32 v2, 5
	;; [unrolled: 1-line block ×3, first 2 shown]
.LBB210_483:                            ;   in Loop: Header=BB210_18 Depth=1
	s_or_b64 exec, exec, s[8:9]
	v_mov_b32_e32 v4, v6
	s_mov_b64 s[10:11], exec
	v_mov_b32_e32 v5, v7
.LBB210_484:                            ;   in Loop: Header=BB210_18 Depth=1
	s_or_b64 exec, exec, s[4:5]
	s_orn2_b64 s[4:5], s[10:11], exec
.LBB210_485:                            ;   in Loop: Header=BB210_18 Depth=1
	s_or_b64 exec, exec, s[24:25]
	s_andn2_b64 s[8:9], s[46:47], exec
	s_and_b64 s[10:11], s[56:57], exec
	s_or_b64 s[46:47], s[8:9], s[10:11]
	s_andn2_b64 s[8:9], s[44:45], exec
	s_and_b64 s[10:11], s[54:55], exec
	v_mov_b32_e32 v7, v5
	s_or_b64 s[44:45], s[8:9], s[10:11]
	s_and_b64 s[8:9], s[4:5], exec
	v_mov_b32_e32 v6, v4
.LBB210_486:                            ;   in Loop: Header=BB210_18 Depth=1
	s_or_b64 exec, exec, s[48:49]
	s_orn2_b64 s[4:5], s[8:9], exec
.LBB210_487:                            ;   in Loop: Header=BB210_18 Depth=1
	s_or_b64 exec, exec, s[26:27]
	s_andn2_b64 s[8:9], s[38:39], exec
	s_and_b64 s[10:11], s[46:47], exec
	s_or_b64 s[38:39], s[8:9], s[10:11]
	s_andn2_b64 s[8:9], s[28:29], exec
	s_and_b64 s[10:11], s[44:45], exec
	v_mov_b32_e32 v4, v6
	s_or_b64 s[28:29], s[8:9], s[10:11]
	s_and_b64 s[8:9], s[4:5], exec
	v_mov_b32_e32 v5, v7
.LBB210_488:                            ;   in Loop: Header=BB210_18 Depth=1
	s_or_b64 exec, exec, s[40:41]
	s_orn2_b64 s[4:5], s[8:9], exec
.LBB210_489:                            ;   in Loop: Header=BB210_18 Depth=1
	s_or_b64 exec, exec, s[6:7]
	s_mov_b64 s[6:7], s[34:35]
	s_mov_b64 s[8:9], s[30:31]
	s_and_saveexec_b64 s[10:11], s[4:5]
; %bb.490:                              ;   in Loop: Header=BB210_18 Depth=1
	v_cmp_ne_u32_e64 s[6:7], 5, v2
	v_cmp_eq_u32_e32 vcc, 5, v2
	s_andn2_b64 s[4:5], s[30:31], exec
	s_and_b64 s[6:7], s[6:7], exec
	s_or_b64 s[8:9], s[4:5], s[6:7]
	s_andn2_b64 s[4:5], s[34:35], exec
	s_and_b64 s[6:7], vcc, exec
	s_or_b64 s[6:7], s[4:5], s[6:7]
; %bb.491:                              ;   in Loop: Header=BB210_18 Depth=1
	s_or_b64 exec, exec, s[10:11]
	s_andn2_b64 s[4:5], s[18:19], exec
	s_and_b64 s[10:11], s[38:39], exec
	s_or_b64 s[18:19], s[4:5], s[10:11]
	s_andn2_b64 s[4:5], s[22:23], exec
	s_and_b64 s[10:11], s[28:29], exec
	s_or_b64 s[22:23], s[4:5], s[10:11]
	;; [unrolled: 3-line block ×4, first 2 shown]
.LBB210_492:                            ;   in Loop: Header=BB210_18 Depth=1
	s_or_b64 exec, exec, s[36:37]
	s_mov_b64 s[36:37], 0
	s_mov_b64 s[38:39], 0
	s_and_saveexec_b64 s[4:5], s[34:35]
.LBB210_493:                            ;   in Loop: Header=BB210_18 Depth=1
	v_mov_b32_e32 v2, 0
	s_or_b64 s[30:31], s[30:31], exec
.LBB210_494:                            ;   in Loop: Header=BB210_18 Depth=1
	s_or_b64 exec, exec, s[4:5]
	s_andn2_b64 s[4:5], s[42:43], exec
	s_and_b64 s[8:9], s[18:19], exec
	s_or_b64 s[42:43], s[4:5], s[8:9]
	s_andn2_b64 s[4:5], s[90:91], exec
	s_and_b64 s[8:9], s[22:23], exec
	s_or_b64 s[90:91], s[4:5], s[8:9]
	;; [unrolled: 3-line block ×3, first 2 shown]
	s_andn2_b64 s[4:5], s[74:75], exec
	s_and_b64 s[8:9], s[36:37], exec
	v_mov_b32_e32 v20, v5
	s_mov_b64 s[6:7], -1
	s_andn2_b64 s[16:17], s[16:17], exec
	s_or_b64 s[74:75], s[4:5], s[8:9]
	v_mov_b32_e32 v19, v4
	s_and_saveexec_b64 s[4:5], s[30:31]
	s_xor_b64 s[4:5], exec, s[4:5]
	v_readlane_b32 s23, v47, 6
	v_readlane_b32 s24, v47, 7
	s_cbranch_execz .LBB210_17
; %bb.495:                              ;   in Loop: Header=BB210_18 Depth=1
	v_cmp_eq_u32_e32 vcc, 0, v2
	s_mov_b64 s[8:9], -1
	s_and_saveexec_b64 s[10:11], vcc
	s_cbranch_execz .LBB210_16
; %bb.496:                              ;   in Loop: Header=BB210_18 Depth=1
	s_xor_b32 s1, s1, 1
	s_add_i32 s12, s0, -2
	s_cmp_eq_u32 s0, 0
	s_cselect_b64 s[6:7], -1, 0
	s_xor_b64 s[8:9], exec, -1
	s_orn2_b64 s[6:7], s[6:7], exec
	s_mov_b32 s0, s12
	s_branch .LBB210_16
.LBB210_497:
	s_or_b64 exec, exec, s[88:89]
	s_xor_b64 s[4:5], s[72:73], -1
	s_xor_b64 s[8:9], s[70:71], -1
	;; [unrolled: 1-line block ×5, first 2 shown]
	s_mov_b64 s[6:7], 0
	s_and_saveexec_b64 s[10:11], s[0:1]
	s_xor_b64 s[10:11], exec, s[10:11]
	s_cbranch_execnz .LBB210_502
; %bb.498:
	s_andn2_saveexec_b64 s[0:1], s[10:11]
	s_cbranch_execnz .LBB210_521
.LBB210_499:
	s_or_b64 exec, exec, s[0:1]
	s_and_saveexec_b64 s[0:1], s[6:7]
.LBB210_500:
	; divergent unreachable
.LBB210_501:
	s_endpgm
.LBB210_502:
	s_and_saveexec_b64 s[0:1], s[12:13]
	s_xor_b64 s[12:13], exec, s[0:1]
	s_cbranch_execz .LBB210_519
; %bb.503:
	s_and_saveexec_b64 s[0:1], s[8:9]
	s_xor_b64 s[14:15], exec, s[0:1]
	s_cbranch_execz .LBB210_517
; %bb.504:
	;; [unrolled: 4-line block ×3, first 2 shown]
	s_and_saveexec_b64 s[0:1], s[2:3]
	s_xor_b64 s[2:3], exec, s[0:1]
; %bb.506:
	v_and_b32_e32 v2, 0x8000, v30
	v_mov_b32_e32 v3, 0x8000
	v_mov_b32_e32 v4, 0xffff
	v_cmp_eq_u32_e32 vcc, 0, v2
	v_cndmask_b32_e32 v2, v3, v4, vcc
	v_xor_b32_e32 v39, v2, v30
; %bb.507:
	s_or_b64 exec, exec, s[2:3]
	s_mov_b64 s[2:3], exec
	v_readlane_b32 s0, v48, 32
	v_readlane_b32 s1, v48, 33
	;; [unrolled: 1-line block ×4, first 2 shown]
	s_and_b64 s[0:1], s[2:3], s[0:1]
	v_readlane_b32 s23, v48, 37
	v_readlane_b32 s18, v48, 34
	;; [unrolled: 1-line block ×4, first 2 shown]
	s_mov_b64 exec, s[0:1]
; %bb.508:
	v_mov_b32_e32 v2, 0
	v_mov_b32_e32 v3, v2
	ds_write_b64 v2, v[2:3] offset:5136
; %bb.509:
	s_or_b64 exec, exec, s[2:3]
	v_mov_b32_e32 v17, 0
	s_waitcnt lgkmcnt(0)
	s_barrier
	s_mov_b64 s[2:3], exec
	v_readlane_b32 s0, v48, 46
	v_readlane_b32 s1, v48, 47
	v_readlane_b32 s4, v48, 22
	s_and_b64 s[0:1], s[2:3], s[0:1]
	v_readlane_b32 s5, v48, 23
	s_mov_b64 exec, s[0:1]
	s_cbranch_execz .LBB210_511
; %bb.510:
	global_load_ushort v17, v[12:13], off
.LBB210_511:
	s_or_b64 exec, exec, s[2:3]
	v_readlane_b32 s28, v48, 24
	s_add_u32 s0, s64, 63
	v_readlane_b32 s30, v48, 26
	v_readlane_b32 s31, v48, 27
	s_addc_u32 s9, s65, 0
	s_and_b32 s8, s0, 0xffffffc0
	s_mul_i32 s0, s4, s31
	s_mul_hi_u32 s1, s4, s30
	s_add_i32 s1, s1, s0
	s_mul_i32 s0, s4, s30
	v_readlane_b32 s6, v48, 10
	s_sub_u32 s0, s18, s0
	v_readlane_b32 s7, v48, 11
	s_subb_u32 s1, 0, s1
	s_mul_i32 s2, s0, s7
	s_mul_hi_u32 s3, s0, s6
	s_add_i32 s2, s3, s2
	s_mul_i32 s1, s1, s6
	s_add_i32 s3, s2, s1
	s_mul_i32 s2, s0, s6
	v_readlane_b32 s24, v48, 4
	v_readlane_b32 s0, v48, 0
	;; [unrolled: 1-line block ×4, first 2 shown]
	s_mov_b32 s6, s0
	s_mul_i32 s0, s0, s25
	s_mul_hi_u32 s1, s6, s24
	s_add_i32 s1, s1, s0
	s_mul_i32 s0, s6, s24
	v_readlane_b32 s20, v48, 2
	v_readlane_b32 s36, v48, 18
	;; [unrolled: 1-line block ×3, first 2 shown]
	s_sub_u32 s0, s20, s0
	v_readlane_b32 s38, v48, 20
	v_readlane_b32 s39, v48, 21
	s_subb_u32 s1, s21, s1
	s_mov_b64 s[30:31], s[4:5]
	s_mul_i32 s4, s0, s39
	s_mul_hi_u32 s5, s0, s38
	v_readlane_b32 s37, v48, 19
	s_add_i32 s4, s5, s4
	s_mul_i32 s1, s1, s38
	v_readlane_b32 s26, v48, 6
	v_readlane_b32 s27, v48, 7
	s_add_i32 s1, s4, s1
	s_mul_i32 s4, s6, s37
	s_mul_hi_u32 s5, s6, s36
	s_add_i32 s5, s5, s4
	s_mul_i32 s4, s6, s36
	s_mul_i32 s6, s20, s27
	s_mul_hi_u32 s7, s20, s26
	s_add_i32 s7, s7, s6
	s_mul_i32 s6, s20, s26
	v_readlane_b32 s20, v48, 16
	s_sub_u32 s6, s18, s6
	v_readlane_b32 s21, v48, 17
	s_subb_u32 s7, 0, s7
	s_mul_i32 s18, s6, s21
	s_mul_hi_u32 s19, s6, s20
	s_add_i32 s18, s19, s18
	s_mul_i32 s7, s7, s20
	s_add_i32 s7, s18, s7
	v_readlane_b32 s18, v48, 8
	v_readlane_b32 s29, v48, 25
	;; [unrolled: 1-line block ×3, first 2 shown]
	s_mov_b32 s24, s18
	s_mul_i32 s18, s18, s29
	s_mul_hi_u32 s19, s24, s28
	s_add_i32 s19, s19, s18
	s_mul_i32 s18, s24, s28
	s_sub_u32 s18, s30, s18
	s_subb_u32 s19, s31, s19
	v_readlane_b32 s28, v48, 12
	v_readlane_b32 s30, v48, 14
	;; [unrolled: 1-line block ×3, first 2 shown]
	s_mul_i32 s6, s6, s20
	s_mul_i32 s20, s18, s31
	s_mul_hi_u32 s21, s18, s30
	v_readlane_b32 s29, v48, 13
	s_add_i32 s20, s21, s20
	s_mul_i32 s19, s19, s30
	s_add_i32 s19, s20, s19
	s_mul_i32 s20, s24, s29
	s_mul_hi_u32 s21, s24, s28
	s_add_i32 s21, s21, s20
	s_mul_i32 s20, s24, s28
	s_lshl_b64 s[4:5], s[4:5], 1
	v_readlane_b32 s24, v48, 30
	s_mul_i32 s0, s0, s38
	v_readlane_b32 s25, v48, 31
	s_add_u32 s4, s24, s4
	s_addc_u32 s5, s25, s5
	s_lshl_b64 s[0:1], s[0:1], 1
	s_add_u32 s4, s4, s0
	s_addc_u32 s5, s5, s1
	s_lshl_b64 s[0:1], s[6:7], 1
	;; [unrolled: 3-line block ×3, first 2 shown]
	v_readlane_b32 s6, v48, 28
	s_mul_i32 s18, s18, s30
	v_readlane_b32 s7, v48, 29
	s_add_u32 s6, s6, s4
	v_mov_b32_e32 v15, 0xffff
	v_mov_b32_e32 v16, 0x8000
	v_cmp_lt_i16_e32 vcc, -1, v39
	s_addc_u32 s7, s7, s5
	s_lshl_b64 s[4:5], s[18:19], 3
	s_load_dwordx2 s[18:19], s[22:23], 0x368
	s_load_dwordx2 s[20:21], s[22:23], 0x510
	v_cndmask_b32_e32 v2, v15, v16, vcc
	s_add_u32 s4, s6, s4
	v_xor_b32_sdwa v2, v2, v39 dst_sel:DWORD dst_unused:UNUSED_PAD src0_sel:DWORD src1_sel:WORD_0
	v_cmp_o_f16_e32 vcc, v39, v39
	s_addc_u32 s5, s7, s5
	s_lshl_b64 s[2:3], s[2:3], 3
	v_cndmask_b32_e32 v14, v15, v2, vcc
	s_add_u32 s38, s4, s2
	v_cmp_gt_u64_e32 vcc, s[8:9], v[0:1]
	s_addc_u32 s39, s5, s3
	s_mov_b64 s[24:25], -1
	s_mov_b64 s[2:3], 0
	s_mov_b64 s[4:5], 0
	s_and_saveexec_b64 s[22:23], vcc
	s_cbranch_execnz .LBB210_522
; %bb.512:
	s_or_b64 exec, exec, s[22:23]
	s_and_saveexec_b64 s[6:7], s[24:25]
	s_cbranch_execnz .LBB210_539
.LBB210_513:
	s_or_b64 exec, exec, s[6:7]
	s_and_saveexec_b64 s[0:1], s[4:5]
	s_xor_b64 s[0:1], exec, s[0:1]
	s_cbranch_execnz .LBB210_562
.LBB210_514:
	s_or_b64 exec, exec, s[0:1]
	s_and_b64 s[6:7], s[2:3], exec
.LBB210_515:
	s_andn2_saveexec_b64 s[0:1], s[16:17]
	s_cbranch_execnz .LBB210_564
.LBB210_516:
	s_or_b64 exec, exec, s[0:1]
	s_and_b64 s[6:7], s[6:7], exec
.LBB210_517:
	s_andn2_saveexec_b64 s[0:1], s[14:15]
	s_cbranch_execnz .LBB210_563
.LBB210_518:
	s_or_b64 exec, exec, s[0:1]
	s_and_b64 s[6:7], s[6:7], exec
.LBB210_519:
	s_andn2_saveexec_b64 s[0:1], s[12:13]
	s_cbranch_execnz .LBB210_558
.LBB210_520:
	s_or_b64 exec, exec, s[0:1]
	s_and_b64 s[6:7], s[6:7], exec
	s_andn2_saveexec_b64 s[0:1], s[10:11]
	s_cbranch_execz .LBB210_499
.LBB210_521:
	s_or_b64 s[6:7], s[6:7], exec
	s_trap 2
	s_or_b64 exec, exec, s[0:1]
	s_and_saveexec_b64 s[0:1], s[6:7]
	s_cbranch_execnz .LBB210_500
	s_branch .LBB210_501
.LBB210_522:
	v_mov_b32_e32 v9, v1
	s_mov_b64 s[24:25], 0
	v_mov_b32_e32 v3, 0
	v_mov_b32_e32 v8, v0
                                        ; implicit-def: $sgpr26_sgpr27
                                        ; implicit-def: $vgpr6_vgpr7
	s_branch .LBB210_524
.LBB210_523:                            ;   in Loop: Header=BB210_524 Depth=1
	s_or_b64 exec, exec, s[30:31]
	s_xor_b64 s[4:5], s[28:29], -1
	s_and_b64 s[6:7], exec, s[6:7]
	s_or_b64 s[24:25], s[6:7], s[24:25]
	s_andn2_b64 s[6:7], s[26:27], exec
	s_and_b64 s[4:5], s[4:5], exec
	v_mov_b32_e32 v9, v5
	s_or_b64 s[26:27], s[6:7], s[4:5]
	v_mov_b32_e32 v8, v4
	s_waitcnt vmcnt(0)
	v_mov_b32_e32 v17, v18
	s_andn2_b64 exec, exec, s[24:25]
	s_cbranch_execz .LBB210_538
.LBB210_524:                            ; =>This Inner Loop Header: Depth=1
	v_add_co_u32_e64 v4, s[4:5], s83, v8
	v_addc_co_u32_e64 v5, s[4:5], 0, v9, s[4:5]
	v_cmp_gt_u64_e64 s[4:5], s[64:65], v[4:5]
	v_mov_b32_e32 v18, 0
	s_and_saveexec_b64 s[6:7], s[4:5]
	s_cbranch_execz .LBB210_526
; %bb.525:                              ;   in Loop: Header=BB210_524 Depth=1
	v_mul_lo_u32 v2, v5, s62
	v_mul_lo_u32 v18, v4, s63
	v_mad_u64_u32 v[10:11], s[4:5], v4, s62, 0
	v_add3_u32 v11, v11, v18, v2
	v_lshlrev_b64 v[10:11], 1, v[10:11]
	v_mov_b32_e32 v2, s82
	v_add_co_u32_e64 v10, s[4:5], s33, v10
	v_addc_co_u32_e64 v11, s[4:5], v2, v11, s[4:5]
	global_load_ushort v18, v[10:11], off
.LBB210_526:                            ;   in Loop: Header=BB210_524 Depth=1
	s_or_b64 exec, exec, s[6:7]
	v_cmp_gt_u64_e64 s[4:5], s[64:65], v[8:9]
	s_mov_b64 s[28:29], 0
	s_and_saveexec_b64 s[6:7], s[4:5]
	s_cbranch_execz .LBB210_528
; %bb.527:                              ;   in Loop: Header=BB210_524 Depth=1
	s_waitcnt vmcnt(0)
	v_cmp_lt_i16_e64 s[4:5], -1, v17
	v_cndmask_b32_e64 v2, v15, v16, s[4:5]
	v_xor_b32_sdwa v2, v2, v17 dst_sel:DWORD dst_unused:UNUSED_PAD src0_sel:DWORD src1_sel:WORD_0
	v_cmp_o_f16_e64 s[4:5], v17, v17
	v_cndmask_b32_e64 v2, v15, v2, s[4:5]
	v_cmp_gt_u32_e64 s[4:5], v2, v14
	v_cndmask_b32_e64 v10, 0, 1, s[4:5]
	v_cmp_lt_u32_e64 s[4:5], v2, v14
	v_cndmask_b32_e64 v2, 0, 1, s[4:5]
	v_cndmask_b32_e64 v2, v2, v10, s[42:43]
	v_and_b32_e32 v2, 1, v2
	v_cmp_eq_u32_e64 s[4:5], 1, v2
	s_and_b64 s[28:29], s[4:5], exec
.LBB210_528:                            ;   in Loop: Header=BB210_524 Depth=1
	s_or_b64 exec, exec, s[6:7]
	v_cndmask_b32_e64 v2, 0, 1, s[28:29]
	v_cmp_ne_u32_e64 s[4:5], 0, v2
	s_cmp_lg_u64 s[4:5], 0
	s_cselect_b64 s[6:7], -1, 0
	s_and_b64 s[6:7], s[84:85], s[6:7]
	s_and_saveexec_b64 s[30:31], s[6:7]
	s_cbranch_execz .LBB210_532
; %bb.529:                              ;   in Loop: Header=BB210_524 Depth=1
	s_mov_b64 s[36:37], exec
	v_mbcnt_lo_u32_b32 v2, s36, 0
	v_mbcnt_hi_u32_b32 v10, s37, v2
	s_bcnt1_i32_b64 s40, s[4:5]
	v_cmp_eq_u32_e64 s[6:7], 0, v10
                                        ; implicit-def: $vgpr6_vgpr7
	s_and_saveexec_b64 s[34:35], s[6:7]
	s_cbranch_execz .LBB210_531
; %bb.530:                              ;   in Loop: Header=BB210_524 Depth=1
	s_bcnt1_i32_b64 s6, s[36:37]
	s_mul_i32 s6, s40, s6
	v_mov_b32_e32 v2, s6
	s_waitcnt lgkmcnt(0)
	ds_add_rtn_u64 v[6:7], v3, v[2:3] offset:5136
.LBB210_531:                            ;   in Loop: Header=BB210_524 Depth=1
	s_or_b64 exec, exec, s[34:35]
	s_waitcnt lgkmcnt(0)
	v_readfirstlane_b32 s6, v7
	v_readfirstlane_b32 s7, v6
	v_mov_b32_e32 v6, s7
	v_mov_b32_e32 v7, s6
	v_mad_u64_u32 v[6:7], s[6:7], s40, v10, v[6:7]
.LBB210_532:                            ;   in Loop: Header=BB210_524 Depth=1
	s_or_b64 exec, exec, s[30:31]
	s_waitcnt lgkmcnt(0)
	ds_bpermute_b32 v6, v23, v6
	ds_bpermute_b32 v7, v23, v7
	s_mov_b64 s[6:7], -1
	s_mov_b64 s[34:35], -1
	s_and_saveexec_b64 s[30:31], s[28:29]
	s_cbranch_execz .LBB210_536
; %bb.533:                              ;   in Loop: Header=BB210_524 Depth=1
	v_and_b32_e32 v10, s4, v25
	v_and_b32_e32 v2, s5, v24
	v_bcnt_u32_b32 v10, v10, 0
	v_bcnt_u32_b32 v2, v2, v10
	s_waitcnt lgkmcnt(0)
	v_add_co_u32_e64 v10, s[4:5], v6, v2
	v_addc_co_u32_e64 v11, s[4:5], 0, v7, s[4:5]
	v_cmp_gt_u64_e64 s[4:5], s[66:67], v[10:11]
	s_mov_b64 s[28:29], 0
	s_and_saveexec_b64 s[34:35], s[4:5]
	s_cbranch_execz .LBB210_535
; %bb.534:                              ;   in Loop: Header=BB210_524 Depth=1
	v_mul_lo_u32 v2, v11, s18
	v_mul_lo_u32 v21, v10, s19
	v_mad_u64_u32 v[19:20], s[4:5], v10, s18, 0
	v_mul_lo_u32 v22, v11, s20
	v_mul_lo_u32 v26, v10, s21
	v_mad_u64_u32 v[10:11], s[4:5], v10, s20, 0
	v_add3_u32 v20, v20, v21, v2
	v_lshlrev_b64 v[19:20], 1, v[19:20]
	v_add3_u32 v11, v11, v26, v22
	v_mov_b32_e32 v2, s1
	v_add_co_u32_e64 v19, s[4:5], s0, v19
	v_lshlrev_b64 v[10:11], 3, v[10:11]
	v_addc_co_u32_e64 v20, s[4:5], v2, v20, s[4:5]
	v_mov_b32_e32 v2, s39
	v_add_co_u32_e64 v10, s[4:5], s38, v10
	s_mov_b64 s[28:29], exec
	v_addc_co_u32_e64 v11, s[4:5], v2, v11, s[4:5]
	s_waitcnt vmcnt(0)
	global_store_short v[19:20], v17, off
	global_store_dwordx2 v[10:11], v[8:9], off
.LBB210_535:                            ;   in Loop: Header=BB210_524 Depth=1
	s_or_b64 exec, exec, s[34:35]
	s_orn2_b64 s[34:35], s[28:29], exec
.LBB210_536:                            ;   in Loop: Header=BB210_524 Depth=1
	s_or_b64 exec, exec, s[30:31]
	s_mov_b64 s[28:29], -1
	s_and_saveexec_b64 s[30:31], s[34:35]
	s_cbranch_execz .LBB210_523
; %bb.537:                              ;   in Loop: Header=BB210_524 Depth=1
	v_cmp_le_u64_e64 s[4:5], s[8:9], v[4:5]
	s_xor_b64 s[28:29], exec, -1
	s_orn2_b64 s[6:7], s[4:5], exec
	s_branch .LBB210_523
.LBB210_538:
	s_or_b64 exec, exec, s[24:25]
	s_mov_b64 s[4:5], exec
	s_orn2_b64 s[24:25], s[26:27], exec
	s_or_b64 exec, exec, s[22:23]
	s_and_saveexec_b64 s[6:7], s[24:25]
	s_cbranch_execz .LBB210_513
.LBB210_539:
	v_mov_b32_e32 v15, 0
	s_waitcnt vmcnt(0) lgkmcnt(0)
	s_barrier
	s_mov_b64 s[2:3], exec
	v_readlane_b32 s22, v48, 46
	v_readlane_b32 s23, v48, 47
	s_and_b64 s[22:23], s[2:3], s[22:23]
	s_mov_b64 exec, s[22:23]
	s_cbranch_execz .LBB210_541
; %bb.540:
	global_load_ushort v15, v[12:13], off
.LBB210_541:
	s_or_b64 exec, exec, s[2:3]
	s_mov_b64 s[2:3], 0
	s_and_saveexec_b64 s[22:23], vcc
	s_cbranch_execz .LBB210_561
; %bb.542:
	s_mov_b64 s[24:25], 0
	v_mov_b32_e32 v10, 0xffff
	v_mov_b32_e32 v11, 0x8000
	;; [unrolled: 1-line block ×3, first 2 shown]
                                        ; implicit-def: $sgpr26_sgpr27
                                        ; implicit-def: $vgpr6_vgpr7
	s_branch .LBB210_545
.LBB210_543:                            ;   in Loop: Header=BB210_545 Depth=1
	s_or_b64 exec, exec, s[30:31]
	s_orn2_b64 s[34:35], s[36:37], exec
	s_orn2_b64 s[30:31], s[28:29], exec
.LBB210_544:                            ;   in Loop: Header=BB210_545 Depth=1
	s_or_b64 exec, exec, s[2:3]
	s_xor_b64 s[2:3], s[34:35], -1
	s_and_b64 s[28:29], exec, s[30:31]
	s_or_b64 s[24:25], s[28:29], s[24:25]
	s_andn2_b64 s[26:27], s[26:27], exec
	s_and_b64 s[2:3], s[2:3], exec
	v_mov_b32_e32 v0, v4
	s_or_b64 s[26:27], s[26:27], s[2:3]
	v_mov_b32_e32 v1, v5
	v_mov_b32_e32 v15, v12
	s_andn2_b64 exec, exec, s[24:25]
	s_cbranch_execz .LBB210_559
.LBB210_545:                            ; =>This Inner Loop Header: Depth=1
	v_add_co_u32_e32 v4, vcc, s83, v0
	v_addc_co_u32_e32 v5, vcc, 0, v1, vcc
	v_cmp_gt_u64_e32 vcc, s[64:65], v[4:5]
	v_mov_b32_e32 v12, 0
	s_and_saveexec_b64 s[2:3], vcc
	s_cbranch_execz .LBB210_547
; %bb.546:                              ;   in Loop: Header=BB210_545 Depth=1
	v_mul_lo_u32 v2, v5, s62
	v_mul_lo_u32 v12, v4, s63
	v_mad_u64_u32 v[8:9], s[28:29], v4, s62, 0
	v_add3_u32 v9, v9, v12, v2
	v_lshlrev_b64 v[8:9], 1, v[8:9]
	v_mov_b32_e32 v2, s82
	v_add_co_u32_e32 v8, vcc, s33, v8
	v_addc_co_u32_e32 v9, vcc, v2, v9, vcc
	global_load_ushort v12, v[8:9], off
.LBB210_547:                            ;   in Loop: Header=BB210_545 Depth=1
	s_or_b64 exec, exec, s[2:3]
	s_waitcnt vmcnt(0)
	v_cmp_lt_i16_e64 s[2:3], -1, v15
	v_cndmask_b32_e64 v2, v10, v11, s[2:3]
	v_xor_b32_sdwa v2, v2, v15 dst_sel:DWORD dst_unused:UNUSED_PAD src0_sel:DWORD src1_sel:WORD_0
	v_cmp_o_f16_e64 s[2:3], v15, v15
	v_cmp_gt_u64_e32 vcc, s[64:65], v[0:1]
	v_cndmask_b32_e64 v2, v10, v2, s[2:3]
	v_cmp_eq_u32_e64 s[2:3], v2, v14
	s_and_b64 s[28:29], vcc, s[2:3]
	v_cndmask_b32_e64 v2, 0, 1, s[28:29]
	v_cmp_ne_u32_e32 vcc, 0, v2
	s_cmp_lg_u64 vcc, 0
	s_cselect_b64 s[2:3], -1, 0
	s_and_b64 s[2:3], s[84:85], s[2:3]
	s_and_saveexec_b64 s[30:31], s[2:3]
	s_cbranch_execz .LBB210_551
; %bb.548:                              ;   in Loop: Header=BB210_545 Depth=1
	s_mov_b64 s[36:37], exec
	v_mbcnt_lo_u32_b32 v2, s36, 0
	v_mbcnt_hi_u32_b32 v8, s37, v2
	s_bcnt1_i32_b64 s40, vcc
	v_cmp_eq_u32_e64 s[2:3], 0, v8
                                        ; implicit-def: $vgpr6_vgpr7
	s_and_saveexec_b64 s[34:35], s[2:3]
; %bb.549:                              ;   in Loop: Header=BB210_545 Depth=1
	s_bcnt1_i32_b64 s2, s[36:37]
	s_mul_i32 s2, s40, s2
	v_mov_b32_e32 v2, s2
	ds_add_rtn_u64 v[6:7], v3, v[2:3] offset:5136
; %bb.550:                              ;   in Loop: Header=BB210_545 Depth=1
	s_or_b64 exec, exec, s[34:35]
	s_waitcnt lgkmcnt(0)
	v_readfirstlane_b32 s2, v7
	v_readfirstlane_b32 s3, v6
	v_mov_b32_e32 v6, s3
	v_mov_b32_e32 v7, s2
	v_mad_u64_u32 v[6:7], s[2:3], s40, v8, v[6:7]
.LBB210_551:                            ;   in Loop: Header=BB210_545 Depth=1
	s_or_b64 exec, exec, s[30:31]
	ds_bpermute_b32 v6, v23, v6
	ds_bpermute_b32 v7, v23, v7
	s_cmp_eq_u64 vcc, 0
	s_cselect_b64 s[34:35], -1, 0
	s_mov_b64 s[30:31], -1
	s_waitcnt lgkmcnt(0)
	v_cmp_gt_u64_e64 s[2:3], s[66:67], v[6:7]
	s_or_b64 s[36:37], s[34:35], s[2:3]
	s_mov_b64 s[34:35], -1
	s_and_saveexec_b64 s[2:3], s[36:37]
	s_cbranch_execz .LBB210_544
; %bb.552:                              ;   in Loop: Header=BB210_545 Depth=1
	v_and_b32_e32 v8, vcc_lo, v25
	v_and_b32_e32 v2, vcc_hi, v24
	v_bcnt_u32_b32 v8, v8, 0
	v_bcnt_u32_b32 v2, v2, v8
	v_mov_b32_e32 v9, s67
	v_sub_co_u32_e32 v8, vcc, s66, v6
	v_subb_co_u32_e32 v9, vcc, v9, v7, vcc
	v_cmp_gt_u64_e32 vcc, v[8:9], v[2:3]
	s_mov_b64 s[36:37], -1
	s_and_b64 s[40:41], s[28:29], vcc
	s_mov_b64 s[28:29], -1
	s_and_saveexec_b64 s[30:31], s[40:41]
	s_cbranch_execz .LBB210_556
; %bb.553:                              ;   in Loop: Header=BB210_545 Depth=1
	v_add_co_u32_e32 v8, vcc, v6, v2
	v_addc_co_u32_e32 v9, vcc, 0, v7, vcc
	v_cmp_gt_u64_e32 vcc, s[66:67], v[8:9]
	s_mov_b64 s[34:35], 0
	s_and_saveexec_b64 s[36:37], vcc
; %bb.554:                              ;   in Loop: Header=BB210_545 Depth=1
	v_mul_lo_u32 v2, v9, s18
	v_mul_lo_u32 v13, v8, s19
	v_mad_u64_u32 v[16:17], s[40:41], v8, s18, 0
	v_mul_lo_u32 v18, v9, s20
	v_mul_lo_u32 v19, v8, s21
	v_mad_u64_u32 v[8:9], s[40:41], v8, s20, 0
	v_add3_u32 v17, v17, v13, v2
	v_lshlrev_b64 v[16:17], 1, v[16:17]
	v_add3_u32 v9, v9, v19, v18
	v_mov_b32_e32 v2, s1
	v_add_co_u32_e32 v16, vcc, s0, v16
	v_lshlrev_b64 v[8:9], 3, v[8:9]
	v_addc_co_u32_e32 v17, vcc, v2, v17, vcc
	v_mov_b32_e32 v2, s39
	v_add_co_u32_e32 v8, vcc, s38, v8
	s_mov_b64 s[34:35], exec
	v_addc_co_u32_e32 v9, vcc, v2, v9, vcc
	global_store_short v[16:17], v15, off
	global_store_dwordx2 v[8:9], v[0:1], off
; %bb.555:                              ;   in Loop: Header=BB210_545 Depth=1
	s_or_b64 exec, exec, s[36:37]
	s_xor_b64 s[36:37], exec, -1
	s_orn2_b64 s[34:35], s[34:35], exec
.LBB210_556:                            ;   in Loop: Header=BB210_545 Depth=1
	s_or_b64 exec, exec, s[30:31]
	s_and_saveexec_b64 s[30:31], s[34:35]
	s_cbranch_execz .LBB210_543
; %bb.557:                              ;   in Loop: Header=BB210_545 Depth=1
	v_cmp_le_u64_e32 vcc, s[8:9], v[4:5]
	s_or_b64 s[36:37], s[36:37], exec
	s_orn2_b64 s[28:29], vcc, exec
	s_branch .LBB210_543
.LBB210_558:
	s_or_b64 s[6:7], s[6:7], exec
	s_trap 2
	s_branch .LBB210_520
.LBB210_559:
	s_or_b64 exec, exec, s[24:25]
	s_mov_b64 s[0:1], 0
	s_and_saveexec_b64 s[2:3], s[26:27]
	s_xor_b64 s[2:3], exec, s[2:3]
	s_cbranch_execnz .LBB210_565
.LBB210_560:
	s_or_b64 exec, exec, s[2:3]
	s_and_b64 s[2:3], s[0:1], exec
.LBB210_561:
	s_or_b64 exec, exec, s[22:23]
	s_and_b64 s[2:3], s[2:3], exec
	s_andn2_b64 s[4:5], s[4:5], exec
	s_or_b64 exec, exec, s[6:7]
	s_and_saveexec_b64 s[0:1], s[4:5]
	s_xor_b64 s[0:1], exec, s[0:1]
	s_cbranch_execz .LBB210_514
.LBB210_562:
	s_trap 2
	s_or_b64 s[2:3], s[2:3], exec
	s_branch .LBB210_514
.LBB210_563:
	s_or_b64 s[6:7], s[6:7], exec
	s_trap 2
	s_branch .LBB210_518
.LBB210_564:
	s_trap 2
	s_or_b64 s[6:7], s[6:7], exec
	s_branch .LBB210_516
.LBB210_565:
	s_mov_b64 s[0:1], exec
	s_trap 2
	s_branch .LBB210_560
	.section	.rodata,"a",@progbits
	.p2align	6, 0x0
	.amdhsa_kernel _ZN2at6native6sbtopk10gatherTopKIN3c104HalfEmLi3ELb0EEEvNS_4cuda6detail10TensorInfoIKT_T0_EESA_SA_bSA_SA_NS7_IS8_SA_EESA_NS7_IlSA_EESA_PS8_
		.amdhsa_group_segment_fixed_size 5152
		.amdhsa_private_segment_fixed_size 0
		.amdhsa_kernarg_size 1568
		.amdhsa_user_sgpr_count 6
		.amdhsa_user_sgpr_private_segment_buffer 1
		.amdhsa_user_sgpr_dispatch_ptr 0
		.amdhsa_user_sgpr_queue_ptr 0
		.amdhsa_user_sgpr_kernarg_segment_ptr 1
		.amdhsa_user_sgpr_dispatch_id 0
		.amdhsa_user_sgpr_flat_scratch_init 0
		.amdhsa_user_sgpr_private_segment_size 0
		.amdhsa_uses_dynamic_stack 0
		.amdhsa_system_sgpr_private_segment_wavefront_offset 0
		.amdhsa_system_sgpr_workgroup_id_x 1
		.amdhsa_system_sgpr_workgroup_id_y 1
		.amdhsa_system_sgpr_workgroup_id_z 1
		.amdhsa_system_sgpr_workgroup_info 0
		.amdhsa_system_vgpr_workitem_id 0
		.amdhsa_next_free_vgpr 49
		.amdhsa_next_free_sgpr 96
		.amdhsa_reserve_vcc 1
		.amdhsa_reserve_flat_scratch 0
		.amdhsa_float_round_mode_32 0
		.amdhsa_float_round_mode_16_64 0
		.amdhsa_float_denorm_mode_32 3
		.amdhsa_float_denorm_mode_16_64 3
		.amdhsa_dx10_clamp 1
		.amdhsa_ieee_mode 1
		.amdhsa_fp16_overflow 0
		.amdhsa_exception_fp_ieee_invalid_op 0
		.amdhsa_exception_fp_denorm_src 0
		.amdhsa_exception_fp_ieee_div_zero 0
		.amdhsa_exception_fp_ieee_overflow 0
		.amdhsa_exception_fp_ieee_underflow 0
		.amdhsa_exception_fp_ieee_inexact 0
		.amdhsa_exception_int_div_zero 0
	.end_amdhsa_kernel
	.section	.text._ZN2at6native6sbtopk10gatherTopKIN3c104HalfEmLi3ELb0EEEvNS_4cuda6detail10TensorInfoIKT_T0_EESA_SA_bSA_SA_NS7_IS8_SA_EESA_NS7_IlSA_EESA_PS8_,"axG",@progbits,_ZN2at6native6sbtopk10gatherTopKIN3c104HalfEmLi3ELb0EEEvNS_4cuda6detail10TensorInfoIKT_T0_EESA_SA_bSA_SA_NS7_IS8_SA_EESA_NS7_IlSA_EESA_PS8_,comdat
.Lfunc_end210:
	.size	_ZN2at6native6sbtopk10gatherTopKIN3c104HalfEmLi3ELb0EEEvNS_4cuda6detail10TensorInfoIKT_T0_EESA_SA_bSA_SA_NS7_IS8_SA_EESA_NS7_IlSA_EESA_PS8_, .Lfunc_end210-_ZN2at6native6sbtopk10gatherTopKIN3c104HalfEmLi3ELb0EEEvNS_4cuda6detail10TensorInfoIKT_T0_EESA_SA_bSA_SA_NS7_IS8_SA_EESA_NS7_IlSA_EESA_PS8_
                                        ; -- End function
	.set _ZN2at6native6sbtopk10gatherTopKIN3c104HalfEmLi3ELb0EEEvNS_4cuda6detail10TensorInfoIKT_T0_EESA_SA_bSA_SA_NS7_IS8_SA_EESA_NS7_IlSA_EESA_PS8_.num_vgpr, 49
	.set _ZN2at6native6sbtopk10gatherTopKIN3c104HalfEmLi3ELb0EEEvNS_4cuda6detail10TensorInfoIKT_T0_EESA_SA_bSA_SA_NS7_IS8_SA_EESA_NS7_IlSA_EESA_PS8_.num_agpr, 0
	.set _ZN2at6native6sbtopk10gatherTopKIN3c104HalfEmLi3ELb0EEEvNS_4cuda6detail10TensorInfoIKT_T0_EESA_SA_bSA_SA_NS7_IS8_SA_EESA_NS7_IlSA_EESA_PS8_.numbered_sgpr, 96
	.set _ZN2at6native6sbtopk10gatherTopKIN3c104HalfEmLi3ELb0EEEvNS_4cuda6detail10TensorInfoIKT_T0_EESA_SA_bSA_SA_NS7_IS8_SA_EESA_NS7_IlSA_EESA_PS8_.num_named_barrier, 0
	.set _ZN2at6native6sbtopk10gatherTopKIN3c104HalfEmLi3ELb0EEEvNS_4cuda6detail10TensorInfoIKT_T0_EESA_SA_bSA_SA_NS7_IS8_SA_EESA_NS7_IlSA_EESA_PS8_.private_seg_size, 0
	.set _ZN2at6native6sbtopk10gatherTopKIN3c104HalfEmLi3ELb0EEEvNS_4cuda6detail10TensorInfoIKT_T0_EESA_SA_bSA_SA_NS7_IS8_SA_EESA_NS7_IlSA_EESA_PS8_.uses_vcc, 1
	.set _ZN2at6native6sbtopk10gatherTopKIN3c104HalfEmLi3ELb0EEEvNS_4cuda6detail10TensorInfoIKT_T0_EESA_SA_bSA_SA_NS7_IS8_SA_EESA_NS7_IlSA_EESA_PS8_.uses_flat_scratch, 0
	.set _ZN2at6native6sbtopk10gatherTopKIN3c104HalfEmLi3ELb0EEEvNS_4cuda6detail10TensorInfoIKT_T0_EESA_SA_bSA_SA_NS7_IS8_SA_EESA_NS7_IlSA_EESA_PS8_.has_dyn_sized_stack, 0
	.set _ZN2at6native6sbtopk10gatherTopKIN3c104HalfEmLi3ELb0EEEvNS_4cuda6detail10TensorInfoIKT_T0_EESA_SA_bSA_SA_NS7_IS8_SA_EESA_NS7_IlSA_EESA_PS8_.has_recursion, 0
	.set _ZN2at6native6sbtopk10gatherTopKIN3c104HalfEmLi3ELb0EEEvNS_4cuda6detail10TensorInfoIKT_T0_EESA_SA_bSA_SA_NS7_IS8_SA_EESA_NS7_IlSA_EESA_PS8_.has_indirect_call, 0
	.section	.AMDGPU.csdata,"",@progbits
; Kernel info:
; codeLenInByte = 28000
; TotalNumSgprs: 100
; NumVgprs: 49
; ScratchSize: 0
; MemoryBound: 0
; FloatMode: 240
; IeeeMode: 1
; LDSByteSize: 5152 bytes/workgroup (compile time only)
; SGPRBlocks: 12
; VGPRBlocks: 12
; NumSGPRsForWavesPerEU: 100
; NumVGPRsForWavesPerEU: 49
; Occupancy: 4
; WaveLimiterHint : 1
; COMPUTE_PGM_RSRC2:SCRATCH_EN: 0
; COMPUTE_PGM_RSRC2:USER_SGPR: 6
; COMPUTE_PGM_RSRC2:TRAP_HANDLER: 0
; COMPUTE_PGM_RSRC2:TGID_X_EN: 1
; COMPUTE_PGM_RSRC2:TGID_Y_EN: 1
; COMPUTE_PGM_RSRC2:TGID_Z_EN: 1
; COMPUTE_PGM_RSRC2:TIDIG_COMP_CNT: 0
	.section	.text._ZN2at6native6mbtopk23computeBlockDigitCountsIN3c104HalfEmjLin1EEEvNS_4cuda6detail10TensorInfoIKT_T0_EEjPjjSA_iijT1_PSD_Ps,"axG",@progbits,_ZN2at6native6mbtopk23computeBlockDigitCountsIN3c104HalfEmjLin1EEEvNS_4cuda6detail10TensorInfoIKT_T0_EEjPjjSA_iijT1_PSD_Ps,comdat
	.protected	_ZN2at6native6mbtopk23computeBlockDigitCountsIN3c104HalfEmjLin1EEEvNS_4cuda6detail10TensorInfoIKT_T0_EEjPjjSA_iijT1_PSD_Ps ; -- Begin function _ZN2at6native6mbtopk23computeBlockDigitCountsIN3c104HalfEmjLin1EEEvNS_4cuda6detail10TensorInfoIKT_T0_EEjPjjSA_iijT1_PSD_Ps
	.globl	_ZN2at6native6mbtopk23computeBlockDigitCountsIN3c104HalfEmjLin1EEEvNS_4cuda6detail10TensorInfoIKT_T0_EEjPjjSA_iijT1_PSD_Ps
	.p2align	8
	.type	_ZN2at6native6mbtopk23computeBlockDigitCountsIN3c104HalfEmjLin1EEEvNS_4cuda6detail10TensorInfoIKT_T0_EEjPjjSA_iijT1_PSD_Ps,@function
_ZN2at6native6mbtopk23computeBlockDigitCountsIN3c104HalfEmjLin1EEEvNS_4cuda6detail10TensorInfoIKT_T0_EEjPjjSA_iijT1_PSD_Ps: ; @_ZN2at6native6mbtopk23computeBlockDigitCountsIN3c104HalfEmjLin1EEEvNS_4cuda6detail10TensorInfoIKT_T0_EEjPjjSA_iijT1_PSD_Ps
; %bb.0:
	s_load_dwordx4 s[0:3], s[4:5], 0x1c0
	s_load_dword s9, s[4:5], 0x1b0
	s_load_dwordx2 s[10:11], s[4:5], 0x1e0
	s_mov_b32 s13, 0
	s_waitcnt lgkmcnt(0)
	v_cvt_f32_u32_e32 v1, s2
	s_mul_i32 s8, s11, s8
	s_add_i32 s7, s8, s7
	v_rcp_iflag_f32_e32 v1, v1
	s_mul_i32 s24, s7, s10
	s_sub_i32 s11, 0, s2
	s_add_i32 s24, s24, s6
	v_mul_f32_e32 v1, 0x4f7ffffe, v1
	v_cvt_u32_f32_e32 v1, v1
	v_readfirstlane_b32 s6, v1
	s_mul_i32 s11, s11, s6
	s_mul_hi_u32 s7, s6, s11
	s_add_i32 s6, s6, s7
	s_mul_hi_u32 s6, s24, s6
	s_mul_i32 s7, s6, s2
	s_sub_i32 s7, s24, s7
	s_add_i32 s8, s6, 1
	s_sub_i32 s10, s7, s2
	s_cmp_ge_u32 s7, s2
	s_cselect_b32 s6, s8, s6
	s_cselect_b32 s7, s10, s7
	s_add_i32 s8, s6, 1
	s_cmp_ge_u32 s7, s2
	s_cselect_b32 s12, s8, s6
	s_cmp_ge_u32 s12, s9
	s_cbranch_scc1 .LBB211_28
; %bb.1:
	s_load_dwordx4 s[8:11], s[4:5], 0x1d0
	s_load_dword s14, s[4:5], 0x198
	s_lshl_b64 s[6:7], s[12:13], 2
	s_mov_b64 s[20:21], s[12:13]
	s_waitcnt lgkmcnt(0)
	s_add_u32 s8, s8, s6
	s_addc_u32 s9, s9, s7
	s_cmp_lt_i32 s14, 2
	s_mov_b64 s[6:7], 0
	s_cbranch_scc1 .LBB211_7
; %bb.2:
	s_add_i32 s16, s14, -1
	s_mov_b32 s17, 0
	s_add_i32 s13, s14, 1
	s_lshl_b64 s[6:7], s[16:17], 3
	s_add_u32 s6, s4, s6
	s_addc_u32 s7, s5, s7
	s_add_u32 s18, s6, 8
	s_addc_u32 s19, s7, 0
	s_mov_b64 s[6:7], 0
.LBB211_3:                              ; =>This Inner Loop Header: Depth=1
	s_load_dwordx2 s[22:23], s[18:19], 0x0
	s_mov_b64 s[14:15], 0
	s_waitcnt lgkmcnt(0)
	v_mov_b32_e32 v1, s22
	v_mov_b32_e32 v2, s23
	v_cmp_lt_u64_e32 vcc, s[20:21], v[1:2]
	s_cbranch_vccnz .LBB211_5
; %bb.4:                                ;   in Loop: Header=BB211_3 Depth=1
	v_cvt_f32_u32_e32 v1, s22
	s_sub_i32 s14, 0, s22
	v_rcp_iflag_f32_e32 v1, v1
	v_mul_f32_e32 v1, 0x4f7ffffe, v1
	v_cvt_u32_f32_e32 v1, v1
	v_readfirstlane_b32 s15, v1
	s_mul_i32 s14, s14, s15
	s_mul_hi_u32 s14, s15, s14
	s_add_i32 s15, s15, s14
	s_mul_hi_u32 s14, s20, s15
	s_mul_i32 s16, s14, s22
	s_sub_i32 s16, s20, s16
	s_add_i32 s15, s14, 1
	s_sub_i32 s25, s16, s22
	s_cmp_ge_u32 s16, s22
	s_cselect_b32 s14, s15, s14
	s_cselect_b32 s16, s25, s16
	s_add_i32 s15, s14, 1
	s_cmp_ge_u32 s16, s22
	s_cselect_b32 s16, s15, s14
	s_mov_b64 s[14:15], s[16:17]
.LBB211_5:                              ;   in Loop: Header=BB211_3 Depth=1
	s_load_dwordx2 s[26:27], s[18:19], 0xc8
	s_mul_i32 s16, s14, s23
	s_mul_hi_u32 s23, s14, s22
	s_add_i32 s23, s23, s16
	s_mul_i32 s16, s14, s22
	s_sub_u32 s16, s20, s16
	s_subb_u32 s20, s21, s23
	s_waitcnt lgkmcnt(0)
	s_mul_i32 s20, s26, s20
	s_mul_hi_u32 s21, s26, s16
	s_add_i32 s20, s21, s20
	s_mul_i32 s21, s27, s16
	s_add_i32 s20, s20, s21
	s_mul_i32 s16, s26, s16
	s_add_u32 s6, s16, s6
	s_addc_u32 s7, s20, s7
	s_add_i32 s13, s13, -1
	s_add_u32 s18, s18, -8
	s_addc_u32 s19, s19, -1
	s_cmp_gt_u32 s13, 2
	s_cbranch_scc0 .LBB211_8
; %bb.6:                                ;   in Loop: Header=BB211_3 Depth=1
	s_mov_b64 s[20:21], s[14:15]
	s_branch .LBB211_3
.LBB211_7:
	s_mov_b64 s[14:15], s[20:21]
.LBB211_8:
	s_load_dword s13, s[8:9], 0x0
	s_movk_i32 s8, 0x100
	v_cmp_gt_u32_e32 vcc, s8, v0
	v_lshlrev_b32_e32 v1, 2, v0
	s_and_saveexec_b64 s[8:9], vcc
; %bb.9:
	v_mov_b32_e32 v2, 0
	ds_write_b32 v1, v2
; %bb.10:
	s_or_b64 exec, exec, s[8:9]
	s_load_dword s15, s[4:5], 0x1a0
	s_mul_i32 s8, s12, s2
	s_sub_i32 s8, s24, s8
	s_add_i32 s12, s8, 1
	s_mul_i32 s8, s1, s8
	s_lshl_b32 s16, s8, 8
	s_waitcnt lgkmcnt(0)
	s_sub_i32 s8, s15, s16
	s_add_u32 s8, s8, 0xff
	s_addc_u32 s9, 0, 0
	s_lshr_b64 s[8:9], s[8:9], 8
	s_cmp_lt_u32 s12, s2
	s_cselect_b32 s12, s1, s8
	s_cmp_lt_i32 s12, 1
	s_mov_b32 s1, 0
	s_barrier
	s_cbranch_scc1 .LBB211_26
; %bb.11:
	s_load_dwordx2 s[18:19], s[4:5], 0xd0
	s_load_dwordx2 s[8:9], s[4:5], 0x1b8
	s_load_dwordx2 s[20:21], s[4:5], 0x0
	v_add_u32_e32 v2, s16, v0
	s_waitcnt lgkmcnt(0)
	s_mul_i32 s2, s19, s14
	s_mul_hi_u32 s5, s18, s14
	s_mul_i32 s4, s18, s14
	s_add_i32 s5, s5, s2
	s_lshl_b64 s[4:5], s[4:5], 1
	s_add_u32 s2, s20, s4
	s_addc_u32 s14, s21, s5
	s_lshl_b64 s[4:5], s[6:7], 1
	s_add_u32 s6, s2, s4
	s_addc_u32 s7, s14, s5
	s_and_b32 s2, s0, 0xff
	s_cmp_eq_u32 s12, 1
	s_cbranch_scc1 .LBB211_21
; %bb.12:
	s_and_b32 s14, s12, 0x7ffffffe
	s_mov_b32 s16, 0
	v_mov_b32_e32 v3, 1
	v_mov_b32_e32 v4, 0xffff
	;; [unrolled: 1-line block ×4, first 2 shown]
	s_branch .LBB211_14
.LBB211_13:                             ;   in Loop: Header=BB211_14 Depth=1
	s_or_b64 exec, exec, s[4:5]
	s_add_i32 s16, s16, 2
	s_cmp_eq_u32 s14, s16
	v_add_u32_e32 v6, 0x200, v6
	s_cbranch_scc1 .LBB211_20
.LBB211_14:                             ; =>This Inner Loop Header: Depth=1
	v_cmp_gt_u32_e64 s[0:1], s15, v6
	s_and_saveexec_b64 s[4:5], s[0:1]
	s_cbranch_execz .LBB211_17
; %bb.15:                               ;   in Loop: Header=BB211_14 Depth=1
	v_mad_u64_u32 v[7:8], s[0:1], s8, v6, 0
	v_mad_u64_u32 v[8:9], s[0:1], s9, v6, v[8:9]
	v_mov_b32_e32 v9, s7
	v_lshlrev_b64 v[7:8], 1, v[7:8]
	v_add_co_u32_e64 v7, s[0:1], s6, v7
	v_addc_co_u32_e64 v8, s[0:1], v9, v8, s[0:1]
	global_load_ushort v7, v[7:8], off
	s_waitcnt vmcnt(0)
	v_cmp_lt_i16_e64 s[0:1], -1, v7
	v_cndmask_b32_e64 v8, v4, v5, s[0:1]
	v_xor_b32_sdwa v8, v8, v7 dst_sel:DWORD dst_unused:UNUSED_PAD src0_sel:DWORD src1_sel:WORD_0
	v_cmp_o_f16_e64 s[0:1], v7, v7
	v_cndmask_b32_e64 v7, v4, v8, s[0:1]
	v_xor_b32_e32 v8, s13, v7
	v_and_b32_e32 v8, s3, v8
	v_cmp_eq_u32_e64 s[0:1], 0, v8
	s_and_b64 exec, exec, s[0:1]
; %bb.16:                               ;   in Loop: Header=BB211_14 Depth=1
	v_bfe_u32 v7, v7, s2, 8
	v_lshlrev_b32_e32 v7, 2, v7
	ds_add_u32 v7, v3
.LBB211_17:                             ;   in Loop: Header=BB211_14 Depth=1
	s_or_b64 exec, exec, s[4:5]
	v_add_u32_e32 v7, 0x100, v6
	v_cmp_gt_u32_e64 s[0:1], s15, v7
	s_and_saveexec_b64 s[4:5], s[0:1]
	s_cbranch_execz .LBB211_13
; %bb.18:                               ;   in Loop: Header=BB211_14 Depth=1
	v_mad_u64_u32 v[8:9], s[0:1], s8, v7, 0
	v_mad_u64_u32 v[9:10], s[0:1], s9, v7, v[9:10]
	v_mov_b32_e32 v10, s7
	v_lshlrev_b64 v[7:8], 1, v[8:9]
	v_add_co_u32_e64 v7, s[0:1], s6, v7
	v_addc_co_u32_e64 v8, s[0:1], v10, v8, s[0:1]
	global_load_ushort v7, v[7:8], off
	s_waitcnt vmcnt(0)
	v_cmp_lt_i16_e64 s[0:1], -1, v7
	v_cndmask_b32_e64 v8, v4, v5, s[0:1]
	v_xor_b32_sdwa v8, v8, v7 dst_sel:DWORD dst_unused:UNUSED_PAD src0_sel:DWORD src1_sel:WORD_0
	v_cmp_o_f16_e64 s[0:1], v7, v7
	v_cndmask_b32_e64 v7, v4, v8, s[0:1]
	v_xor_b32_e32 v8, s13, v7
	v_and_b32_e32 v8, s3, v8
	v_cmp_eq_u32_e64 s[0:1], 0, v8
	s_and_b64 exec, exec, s[0:1]
	s_cbranch_execz .LBB211_13
; %bb.19:                               ;   in Loop: Header=BB211_14 Depth=1
	v_bfe_u32 v7, v7, s2, 8
	v_lshlrev_b32_e32 v7, 2, v7
	ds_add_u32 v7, v3
	s_branch .LBB211_13
.LBB211_20:
	s_lshl_b32 s1, s14, 8
.LBB211_21:
	s_bitcmp0_b32 s12, 0
	s_cbranch_scc1 .LBB211_26
; %bb.22:
	v_add_u32_e32 v2, s1, v2
	v_cmp_gt_u32_e64 s[0:1], s15, v2
	s_and_saveexec_b64 s[4:5], s[0:1]
	s_cbranch_execz .LBB211_25
; %bb.23:
	v_mad_u64_u32 v[3:4], s[0:1], s8, v2, 0
	v_mad_u64_u32 v[4:5], s[0:1], s9, v2, v[4:5]
	v_mov_b32_e32 v5, s7
	v_lshlrev_b64 v[2:3], 1, v[3:4]
	v_mov_b32_e32 v4, 0x8000
	v_add_co_u32_e64 v2, s[0:1], s6, v2
	v_addc_co_u32_e64 v3, s[0:1], v5, v3, s[0:1]
	global_load_ushort v2, v[2:3], off
	v_mov_b32_e32 v3, 0xffff
	s_waitcnt vmcnt(0)
	v_cmp_lt_i16_e64 s[0:1], -1, v2
	v_cndmask_b32_e64 v4, v3, v4, s[0:1]
	v_xor_b32_sdwa v4, v4, v2 dst_sel:DWORD dst_unused:UNUSED_PAD src0_sel:DWORD src1_sel:WORD_0
	v_cmp_o_f16_e64 s[0:1], v2, v2
	v_cndmask_b32_e64 v2, v3, v4, s[0:1]
	v_xor_b32_e32 v3, s13, v2
	v_and_b32_e32 v3, s3, v3
	v_cmp_eq_u32_e64 s[0:1], 0, v3
	s_and_b64 exec, exec, s[0:1]
; %bb.24:
	v_bfe_u32 v2, v2, s2, 8
	v_lshlrev_b32_e32 v2, 2, v2
	v_mov_b32_e32 v3, 1
	ds_add_u32 v2, v3
.LBB211_25:
	s_or_b64 exec, exec, s[4:5]
.LBB211_26:
	s_waitcnt lgkmcnt(0)
	s_barrier
	s_and_saveexec_b64 s[0:1], vcc
	s_cbranch_execz .LBB211_28
; %bb.27:
	v_lshl_or_b32 v2, s24, 8, v0
	v_mov_b32_e32 v3, 0
	ds_read_b32 v5, v1
	v_lshlrev_b64 v[2:3], 1, v[2:3]
	v_mov_b32_e32 v4, s11
	v_add_co_u32_e32 v0, vcc, s10, v2
	v_addc_co_u32_e32 v1, vcc, v4, v3, vcc
	s_waitcnt lgkmcnt(0)
	global_store_short v[0:1], v5, off
.LBB211_28:
	s_endpgm
	.section	.rodata,"a",@progbits
	.p2align	6, 0x0
	.amdhsa_kernel _ZN2at6native6mbtopk23computeBlockDigitCountsIN3c104HalfEmjLin1EEEvNS_4cuda6detail10TensorInfoIKT_T0_EEjPjjSA_iijT1_PSD_Ps
		.amdhsa_group_segment_fixed_size 1024
		.amdhsa_private_segment_fixed_size 0
		.amdhsa_kernarg_size 736
		.amdhsa_user_sgpr_count 6
		.amdhsa_user_sgpr_private_segment_buffer 1
		.amdhsa_user_sgpr_dispatch_ptr 0
		.amdhsa_user_sgpr_queue_ptr 0
		.amdhsa_user_sgpr_kernarg_segment_ptr 1
		.amdhsa_user_sgpr_dispatch_id 0
		.amdhsa_user_sgpr_flat_scratch_init 0
		.amdhsa_user_sgpr_private_segment_size 0
		.amdhsa_uses_dynamic_stack 0
		.amdhsa_system_sgpr_private_segment_wavefront_offset 0
		.amdhsa_system_sgpr_workgroup_id_x 1
		.amdhsa_system_sgpr_workgroup_id_y 1
		.amdhsa_system_sgpr_workgroup_id_z 1
		.amdhsa_system_sgpr_workgroup_info 0
		.amdhsa_system_vgpr_workitem_id 0
		.amdhsa_next_free_vgpr 11
		.amdhsa_next_free_sgpr 28
		.amdhsa_reserve_vcc 1
		.amdhsa_reserve_flat_scratch 0
		.amdhsa_float_round_mode_32 0
		.amdhsa_float_round_mode_16_64 0
		.amdhsa_float_denorm_mode_32 3
		.amdhsa_float_denorm_mode_16_64 3
		.amdhsa_dx10_clamp 1
		.amdhsa_ieee_mode 1
		.amdhsa_fp16_overflow 0
		.amdhsa_exception_fp_ieee_invalid_op 0
		.amdhsa_exception_fp_denorm_src 0
		.amdhsa_exception_fp_ieee_div_zero 0
		.amdhsa_exception_fp_ieee_overflow 0
		.amdhsa_exception_fp_ieee_underflow 0
		.amdhsa_exception_fp_ieee_inexact 0
		.amdhsa_exception_int_div_zero 0
	.end_amdhsa_kernel
	.section	.text._ZN2at6native6mbtopk23computeBlockDigitCountsIN3c104HalfEmjLin1EEEvNS_4cuda6detail10TensorInfoIKT_T0_EEjPjjSA_iijT1_PSD_Ps,"axG",@progbits,_ZN2at6native6mbtopk23computeBlockDigitCountsIN3c104HalfEmjLin1EEEvNS_4cuda6detail10TensorInfoIKT_T0_EEjPjjSA_iijT1_PSD_Ps,comdat
.Lfunc_end211:
	.size	_ZN2at6native6mbtopk23computeBlockDigitCountsIN3c104HalfEmjLin1EEEvNS_4cuda6detail10TensorInfoIKT_T0_EEjPjjSA_iijT1_PSD_Ps, .Lfunc_end211-_ZN2at6native6mbtopk23computeBlockDigitCountsIN3c104HalfEmjLin1EEEvNS_4cuda6detail10TensorInfoIKT_T0_EEjPjjSA_iijT1_PSD_Ps
                                        ; -- End function
	.set _ZN2at6native6mbtopk23computeBlockDigitCountsIN3c104HalfEmjLin1EEEvNS_4cuda6detail10TensorInfoIKT_T0_EEjPjjSA_iijT1_PSD_Ps.num_vgpr, 11
	.set _ZN2at6native6mbtopk23computeBlockDigitCountsIN3c104HalfEmjLin1EEEvNS_4cuda6detail10TensorInfoIKT_T0_EEjPjjSA_iijT1_PSD_Ps.num_agpr, 0
	.set _ZN2at6native6mbtopk23computeBlockDigitCountsIN3c104HalfEmjLin1EEEvNS_4cuda6detail10TensorInfoIKT_T0_EEjPjjSA_iijT1_PSD_Ps.numbered_sgpr, 28
	.set _ZN2at6native6mbtopk23computeBlockDigitCountsIN3c104HalfEmjLin1EEEvNS_4cuda6detail10TensorInfoIKT_T0_EEjPjjSA_iijT1_PSD_Ps.num_named_barrier, 0
	.set _ZN2at6native6mbtopk23computeBlockDigitCountsIN3c104HalfEmjLin1EEEvNS_4cuda6detail10TensorInfoIKT_T0_EEjPjjSA_iijT1_PSD_Ps.private_seg_size, 0
	.set _ZN2at6native6mbtopk23computeBlockDigitCountsIN3c104HalfEmjLin1EEEvNS_4cuda6detail10TensorInfoIKT_T0_EEjPjjSA_iijT1_PSD_Ps.uses_vcc, 1
	.set _ZN2at6native6mbtopk23computeBlockDigitCountsIN3c104HalfEmjLin1EEEvNS_4cuda6detail10TensorInfoIKT_T0_EEjPjjSA_iijT1_PSD_Ps.uses_flat_scratch, 0
	.set _ZN2at6native6mbtopk23computeBlockDigitCountsIN3c104HalfEmjLin1EEEvNS_4cuda6detail10TensorInfoIKT_T0_EEjPjjSA_iijT1_PSD_Ps.has_dyn_sized_stack, 0
	.set _ZN2at6native6mbtopk23computeBlockDigitCountsIN3c104HalfEmjLin1EEEvNS_4cuda6detail10TensorInfoIKT_T0_EEjPjjSA_iijT1_PSD_Ps.has_recursion, 0
	.set _ZN2at6native6mbtopk23computeBlockDigitCountsIN3c104HalfEmjLin1EEEvNS_4cuda6detail10TensorInfoIKT_T0_EEjPjjSA_iijT1_PSD_Ps.has_indirect_call, 0
	.section	.AMDGPU.csdata,"",@progbits
; Kernel info:
; codeLenInByte = 1300
; TotalNumSgprs: 32
; NumVgprs: 11
; ScratchSize: 0
; MemoryBound: 0
; FloatMode: 240
; IeeeMode: 1
; LDSByteSize: 1024 bytes/workgroup (compile time only)
; SGPRBlocks: 3
; VGPRBlocks: 2
; NumSGPRsForWavesPerEU: 32
; NumVGPRsForWavesPerEU: 11
; Occupancy: 10
; WaveLimiterHint : 0
; COMPUTE_PGM_RSRC2:SCRATCH_EN: 0
; COMPUTE_PGM_RSRC2:USER_SGPR: 6
; COMPUTE_PGM_RSRC2:TRAP_HANDLER: 0
; COMPUTE_PGM_RSRC2:TGID_X_EN: 1
; COMPUTE_PGM_RSRC2:TGID_Y_EN: 1
; COMPUTE_PGM_RSRC2:TGID_Z_EN: 1
; COMPUTE_PGM_RSRC2:TIDIG_COMP_CNT: 0
	.section	.text._ZN2at6native6mbtopk10gatherTopKIN3c104HalfEmLin1EEEvNS_4cuda6detail10TensorInfoIKT_T0_EESA_SA_bjSA_NS7_IS8_SA_EESA_NS7_IlSA_EESA_jjPS8_PjSF_j,"axG",@progbits,_ZN2at6native6mbtopk10gatherTopKIN3c104HalfEmLin1EEEvNS_4cuda6detail10TensorInfoIKT_T0_EESA_SA_bjSA_NS7_IS8_SA_EESA_NS7_IlSA_EESA_jjPS8_PjSF_j,comdat
	.protected	_ZN2at6native6mbtopk10gatherTopKIN3c104HalfEmLin1EEEvNS_4cuda6detail10TensorInfoIKT_T0_EESA_SA_bjSA_NS7_IS8_SA_EESA_NS7_IlSA_EESA_jjPS8_PjSF_j ; -- Begin function _ZN2at6native6mbtopk10gatherTopKIN3c104HalfEmLin1EEEvNS_4cuda6detail10TensorInfoIKT_T0_EESA_SA_bjSA_NS7_IS8_SA_EESA_NS7_IlSA_EESA_jjPS8_PjSF_j
	.globl	_ZN2at6native6mbtopk10gatherTopKIN3c104HalfEmLin1EEEvNS_4cuda6detail10TensorInfoIKT_T0_EESA_SA_bjSA_NS7_IS8_SA_EESA_NS7_IlSA_EESA_jjPS8_PjSF_j
	.p2align	8
	.type	_ZN2at6native6mbtopk10gatherTopKIN3c104HalfEmLin1EEEvNS_4cuda6detail10TensorInfoIKT_T0_EESA_SA_bjSA_NS7_IS8_SA_EESA_NS7_IlSA_EESA_jjPS8_PjSF_j,@function
_ZN2at6native6mbtopk10gatherTopKIN3c104HalfEmLin1EEEvNS_4cuda6detail10TensorInfoIKT_T0_EESA_SA_bjSA_NS7_IS8_SA_EESA_NS7_IlSA_EESA_jjPS8_PjSF_j: ; @_ZN2at6native6mbtopk10gatherTopKIN3c104HalfEmLin1EEEvNS_4cuda6detail10TensorInfoIKT_T0_EESA_SA_bjSA_NS7_IS8_SA_EESA_NS7_IlSA_EESA_jjPS8_PjSF_j
; %bb.0:
	s_load_dwordx2 s[0:1], s[4:5], 0x538
	s_load_dword s3, s[4:5], 0x530
	s_waitcnt lgkmcnt(0)
	s_mul_i32 s1, s1, s8
	s_add_i32 s1, s1, s7
	s_mul_i32 s2, s1, s0
	s_add_i32 s2, s2, s6
	s_cmp_ge_u32 s2, s3
	s_cbranch_scc1 .LBB212_61
; %bb.1:
	s_load_dwordx2 s[20:21], s[4:5], 0x510
	s_load_dwordx4 s[8:11], s[4:5], 0x1a0
	s_mov_b32 s1, 0
	s_waitcnt lgkmcnt(0)
	v_cvt_f32_u32_e32 v1, s21
	s_sub_i32 s0, 0, s21
	s_lshl_b32 s3, s20, 8
	v_rcp_iflag_f32_e32 v1, v1
	v_mul_f32_e32 v1, 0x4f7ffffe, v1
	v_cvt_u32_f32_e32 v1, v1
	v_readfirstlane_b32 s6, v1
	s_mul_i32 s0, s0, s6
	s_mul_hi_u32 s0, s6, s0
	s_add_i32 s6, s6, s0
	s_mul_hi_u32 s0, s2, s6
	s_mul_i32 s6, s0, s21
	s_sub_i32 s6, s2, s6
	s_add_i32 s7, s0, 1
	s_sub_i32 s12, s6, s21
	s_cmp_ge_u32 s6, s21
	s_cselect_b32 s0, s7, s0
	s_cselect_b32 s6, s12, s6
	s_add_i32 s7, s0, 1
	s_cmp_ge_u32 s6, s21
	s_cselect_b32 s0, s7, s0
	s_mul_i32 s6, s0, s21
	s_sub_i32 s54, s2, s6
	s_add_i32 s2, s54, 1
	s_cmp_lt_u32 s2, s21
	s_mul_i32 s33, s54, s3
	s_cbranch_scc1 .LBB212_3
; %bb.2:
	s_sub_u32 s2, s8, s33
	s_subb_u32 s3, s9, 0
	s_add_u32 s2, s2, 0xff
	s_addc_u32 s3, s3, 0
	s_ashr_i32 s7, s3, 31
	s_lshr_b32 s7, s7, 24
	s_add_u32 s2, s2, s7
	s_addc_u32 s3, s3, 0
	s_lshr_b64 s[2:3], s[2:3], 8
	s_mov_b32 s20, s2
.LBB212_3:
	s_load_dword s2, s[4:5], 0x198
	s_mov_b64 s[22:23], 0
	s_mov_b64 s[24:25], s[0:1]
	s_waitcnt lgkmcnt(0)
	s_cmp_lt_i32 s2, 2
	s_cbranch_scc1 .LBB212_9
; %bb.4:
	s_add_i32 s7, s2, 1
	s_add_i32 s2, s2, -1
	s_mov_b32 s3, 0
	s_lshl_b64 s[12:13], s[2:3], 3
	s_add_u32 s2, s4, s12
	s_addc_u32 s13, s5, s13
	s_add_u32 s12, s2, 8
	s_addc_u32 s13, s13, 0
	s_mov_b64 s[14:15], s[0:1]
.LBB212_5:                              ; =>This Inner Loop Header: Depth=1
	s_load_dwordx2 s[16:17], s[12:13], 0x0
	s_mov_b64 s[24:25], 0
	s_waitcnt lgkmcnt(0)
	v_mov_b32_e32 v1, s16
	v_mov_b32_e32 v2, s17
	v_cmp_lt_u64_e32 vcc, s[14:15], v[1:2]
	s_cbranch_vccnz .LBB212_7
; %bb.6:                                ;   in Loop: Header=BB212_5 Depth=1
	v_cvt_f32_u32_e32 v1, s16
	s_sub_i32 s2, 0, s16
	v_rcp_iflag_f32_e32 v1, v1
	v_mul_f32_e32 v1, 0x4f7ffffe, v1
	v_cvt_u32_f32_e32 v1, v1
	v_readfirstlane_b32 s18, v1
	s_mul_i32 s2, s2, s18
	s_mul_hi_u32 s2, s18, s2
	s_add_i32 s18, s18, s2
	s_mul_hi_u32 s2, s14, s18
	s_mul_i32 s19, s2, s16
	s_sub_i32 s19, s14, s19
	s_add_i32 s18, s2, 1
	s_sub_i32 s24, s19, s16
	s_cmp_ge_u32 s19, s16
	s_cselect_b32 s2, s18, s2
	s_cselect_b32 s19, s24, s19
	s_add_i32 s18, s2, 1
	s_cmp_ge_u32 s19, s16
	s_cselect_b32 s2, s18, s2
	s_mov_b64 s[24:25], s[2:3]
.LBB212_7:                              ;   in Loop: Header=BB212_5 Depth=1
	s_load_dwordx2 s[18:19], s[12:13], 0xc8
	s_mul_i32 s2, s24, s17
	s_mul_hi_u32 s17, s24, s16
	s_add_i32 s17, s17, s2
	s_mul_i32 s2, s24, s16
	s_sub_u32 s2, s14, s2
	s_subb_u32 s14, s15, s17
	s_waitcnt lgkmcnt(0)
	s_mul_i32 s14, s18, s14
	s_mul_hi_u32 s15, s18, s2
	s_add_i32 s14, s15, s14
	s_mul_i32 s15, s19, s2
	s_add_i32 s14, s14, s15
	s_mul_i32 s2, s18, s2
	s_add_u32 s22, s2, s22
	s_addc_u32 s23, s14, s23
	s_add_i32 s7, s7, -1
	s_add_u32 s12, s12, -8
	s_addc_u32 s13, s13, -1
	s_cmp_gt_u32 s7, 2
	s_cbranch_scc0 .LBB212_9
; %bb.8:                                ;   in Loop: Header=BB212_5 Depth=1
	s_mov_b64 s[14:15], s[24:25]
	s_branch .LBB212_5
.LBB212_9:
	s_load_dword s12, s[4:5], 0x358
	s_load_dwordx2 s[28:29], s[4:5], 0xd0
	s_add_u32 s2, s4, 0x1c0
	s_addc_u32 s3, s5, 0
	s_mov_b64 s[26:27], 0
	s_waitcnt lgkmcnt(0)
	s_cmp_lt_i32 s12, 2
	s_mov_b64 s[30:31], s[0:1]
	s_cbranch_scc1 .LBB212_15
; %bb.10:
	s_add_i32 s7, s12, 1
	s_add_i32 s12, s12, -1
	s_mov_b32 s13, 0
	s_lshl_b64 s[14:15], s[12:13], 3
	s_add_u32 s12, s2, s14
	s_addc_u32 s15, s3, s15
	s_add_u32 s14, s12, 8
	s_addc_u32 s15, s15, 0
	s_mov_b64 s[16:17], s[0:1]
.LBB212_11:                             ; =>This Inner Loop Header: Depth=1
	s_load_dwordx2 s[18:19], s[14:15], 0x0
	s_mov_b64 s[30:31], 0
	s_waitcnt lgkmcnt(0)
	v_mov_b32_e32 v1, s18
	v_mov_b32_e32 v2, s19
	v_cmp_lt_u64_e32 vcc, s[16:17], v[1:2]
	s_cbranch_vccnz .LBB212_13
; %bb.12:                               ;   in Loop: Header=BB212_11 Depth=1
	v_cvt_f32_u32_e32 v1, s18
	s_sub_i32 s12, 0, s18
	v_rcp_iflag_f32_e32 v1, v1
	v_mul_f32_e32 v1, 0x4f7ffffe, v1
	v_cvt_u32_f32_e32 v1, v1
	v_readfirstlane_b32 s25, v1
	s_mul_i32 s12, s12, s25
	s_mul_hi_u32 s12, s25, s12
	s_add_i32 s25, s25, s12
	s_mul_hi_u32 s12, s16, s25
	s_mul_i32 s30, s12, s18
	s_sub_i32 s30, s16, s30
	s_add_i32 s25, s12, 1
	s_sub_i32 s31, s30, s18
	s_cmp_ge_u32 s30, s18
	s_cselect_b32 s12, s25, s12
	s_cselect_b32 s30, s31, s30
	s_add_i32 s25, s12, 1
	s_cmp_ge_u32 s30, s18
	s_cselect_b32 s12, s25, s12
	s_mov_b64 s[30:31], s[12:13]
.LBB212_13:                             ;   in Loop: Header=BB212_11 Depth=1
	s_load_dwordx2 s[34:35], s[14:15], 0xc8
	s_mul_i32 s12, s30, s19
	s_mul_hi_u32 s19, s30, s18
	s_add_i32 s19, s19, s12
	s_mul_i32 s12, s30, s18
	s_sub_u32 s12, s16, s12
	s_subb_u32 s16, s17, s19
	s_waitcnt lgkmcnt(0)
	s_mul_i32 s16, s34, s16
	s_mul_hi_u32 s17, s34, s12
	s_add_i32 s16, s17, s16
	s_mul_i32 s17, s35, s12
	s_add_i32 s16, s16, s17
	s_mul_i32 s12, s34, s12
	s_add_u32 s26, s12, s26
	s_addc_u32 s27, s16, s27
	s_add_i32 s7, s7, -1
	s_add_u32 s14, s14, -8
	s_addc_u32 s15, s15, -1
	s_cmp_gt_u32 s7, 2
	s_cbranch_scc0 .LBB212_15
; %bb.14:                               ;   in Loop: Header=BB212_11 Depth=1
	s_mov_b64 s[16:17], s[30:31]
	s_branch .LBB212_11
.LBB212_15:
	s_load_dword s14, s[4:5], 0x500
	s_load_dwordx2 s[36:37], s[2:3], 0xd0
	s_add_u32 s12, s4, 0x368
	s_addc_u32 s13, s5, 0
	s_mov_b64 s[34:35], 0
	s_waitcnt lgkmcnt(0)
	s_cmp_lt_i32 s14, 2
	s_cbranch_scc1 .LBB212_21
; %bb.16:
	s_add_i32 s2, s14, -1
	s_mov_b32 s3, 0
	s_add_i32 s7, s14, 1
	s_lshl_b64 s[14:15], s[2:3], 3
	s_add_u32 s2, s12, s14
	s_addc_u32 s13, s13, s15
	s_add_u32 s12, s2, 8
	s_addc_u32 s13, s13, 0
	s_mov_b64 s[14:15], s[0:1]
.LBB212_17:                             ; =>This Inner Loop Header: Depth=1
	s_load_dwordx2 s[16:17], s[12:13], 0x0
	s_mov_b64 s[38:39], 0
	s_waitcnt lgkmcnt(0)
	v_mov_b32_e32 v1, s16
	v_mov_b32_e32 v2, s17
	v_cmp_lt_u64_e32 vcc, s[14:15], v[1:2]
	s_cbranch_vccnz .LBB212_19
; %bb.18:                               ;   in Loop: Header=BB212_17 Depth=1
	v_cvt_f32_u32_e32 v1, s16
	s_sub_i32 s2, 0, s16
	v_rcp_iflag_f32_e32 v1, v1
	v_mul_f32_e32 v1, 0x4f7ffffe, v1
	v_cvt_u32_f32_e32 v1, v1
	v_readfirstlane_b32 s18, v1
	s_mul_i32 s2, s2, s18
	s_mul_hi_u32 s2, s18, s2
	s_add_i32 s18, s18, s2
	s_mul_hi_u32 s2, s14, s18
	s_mul_i32 s19, s2, s16
	s_sub_i32 s19, s14, s19
	s_add_i32 s18, s2, 1
	s_sub_i32 s25, s19, s16
	s_cmp_ge_u32 s19, s16
	s_cselect_b32 s2, s18, s2
	s_cselect_b32 s19, s25, s19
	s_add_i32 s18, s2, 1
	s_cmp_ge_u32 s19, s16
	s_cselect_b32 s2, s18, s2
	s_mov_b64 s[38:39], s[2:3]
.LBB212_19:                             ;   in Loop: Header=BB212_17 Depth=1
	s_load_dwordx2 s[18:19], s[12:13], 0xc8
	s_mul_i32 s2, s38, s17
	s_mul_hi_u32 s17, s38, s16
	s_add_i32 s17, s17, s2
	s_mul_i32 s2, s38, s16
	s_sub_u32 s2, s14, s2
	s_subb_u32 s14, s15, s17
	s_waitcnt lgkmcnt(0)
	s_mul_i32 s14, s18, s14
	s_mul_hi_u32 s15, s18, s2
	s_add_i32 s14, s15, s14
	s_mul_i32 s15, s19, s2
	s_add_i32 s14, s14, s15
	s_mul_i32 s2, s18, s2
	s_add_u32 s34, s2, s34
	s_addc_u32 s35, s14, s35
	s_add_i32 s7, s7, -1
	s_add_u32 s12, s12, -8
	s_addc_u32 s13, s13, -1
	s_cmp_gt_u32 s7, 2
	s_cbranch_scc0 .LBB212_22
; %bb.20:                               ;   in Loop: Header=BB212_17 Depth=1
	s_mov_b64 s[14:15], s[38:39]
	s_branch .LBB212_17
.LBB212_21:
	s_mov_b64 s[38:39], s[0:1]
.LBB212_22:
	s_load_dwordx4 s[12:15], s[4:5], 0x518
	s_lshl_b64 s[0:1], s[0:1], 1
	v_mov_b32_e32 v1, 0
	s_mov_b32 s7, 0
	v_cmp_eq_u32_e64 s[2:3], 0, v0
	s_waitcnt lgkmcnt(0)
	s_add_u32 s0, s12, s0
	s_addc_u32 s1, s13, s1
	global_load_ushort v1, v1, s[0:1]
	s_load_dwordx2 s[44:45], s[4:5], 0x438
	s_load_dwordx2 s[42:43], s[4:5], 0x0
	;; [unrolled: 1-line block ×4, first 2 shown]
	v_cmp_ne_u32_e64 s[0:1], 0, v0
	s_waitcnt vmcnt(0)
	v_readfirstlane_b32 s31, v1
	s_and_saveexec_b64 s[46:47], s[2:3]
	s_cbranch_execz .LBB212_38
; %bb.23:
	s_load_dwordx2 s[48:49], s[4:5], 0x528
	s_lshl_b64 s[50:51], s[6:7], 2
	s_add_u32 s16, s14, s50
	s_addc_u32 s17, s15, s51
	s_mov_b32 s6, 0
	s_waitcnt lgkmcnt(0)
	s_add_u32 s18, s48, s50
	s_addc_u32 s19, s49, s51
	s_mov_b32 s25, 0
	s_cmp_lt_u32 s21, 4
	s_cbranch_scc1 .LBB212_35
; %bb.24:
	s_mov_b32 s39, 0
.LBB212_25:                             ; =>This Inner Loop Header: Depth=1
	s_add_u32 s52, s14, s50
	s_addc_u32 s53, s15, s51
	s_load_dwordx4 s[16:19], s[52:53], 0x0
	s_add_u32 s52, s48, s50
	s_addc_u32 s53, s49, s51
	s_cmp_ge_u32 s39, s54
	s_cbranch_scc0 .LBB212_32
; %bb.26:                               ;   in Loop: Header=BB212_25 Depth=1
	s_add_i32 s55, s39, 1
	s_cmp_ge_u32 s55, s54
	s_cbranch_scc0 .LBB212_33
.LBB212_27:                             ;   in Loop: Header=BB212_25 Depth=1
	s_add_i32 s55, s55, 1
	s_cmp_ge_u32 s55, s54
	s_cbranch_scc0 .LBB212_34
.LBB212_28:                             ;   in Loop: Header=BB212_25 Depth=1
	s_add_i32 s55, s55, 1
	s_cmp_ge_u32 s55, s54
	s_cbranch_scc1 .LBB212_30
.LBB212_29:                             ;   in Loop: Header=BB212_25 Depth=1
	s_load_dword s52, s[52:53], 0xc
	s_waitcnt lgkmcnt(0)
	s_add_i32 s7, s7, s19
	s_add_i32 s6, s52, s6
.LBB212_30:                             ;   in Loop: Header=BB212_25 Depth=1
	s_waitcnt lgkmcnt(0)
	s_add_i32 s16, s16, s25
	s_add_i32 s16, s16, s17
	;; [unrolled: 1-line block ×4, first 2 shown]
	s_add_u32 s14, s14, 16
	s_addc_u32 s15, s15, 0
	s_add_u32 s48, s48, 16
	s_addc_u32 s49, s49, 0
	s_add_i32 s53, s55, 4
	s_add_u32 s18, s48, s50
	s_addc_u32 s19, s49, s51
	s_add_u32 s16, s14, s50
	s_addc_u32 s17, s15, s51
	s_add_i32 s52, s55, 1
	s_cmp_ge_u32 s53, s21
	s_cbranch_scc1 .LBB212_36
; %bb.31:                               ;   in Loop: Header=BB212_25 Depth=1
	s_mov_b32 s39, s52
	s_branch .LBB212_25
.LBB212_32:                             ;   in Loop: Header=BB212_25 Depth=1
	s_load_dword s55, s[52:53], 0x0
	s_waitcnt lgkmcnt(0)
	s_add_i32 s7, s16, s7
	s_add_i32 s6, s55, s6
	;; [unrolled: 1-line block ×3, first 2 shown]
	s_cmp_ge_u32 s55, s54
	s_cbranch_scc1 .LBB212_27
.LBB212_33:                             ;   in Loop: Header=BB212_25 Depth=1
	s_load_dword s56, s[52:53], 0x4
	s_waitcnt lgkmcnt(0)
	s_add_i32 s7, s7, s17
	s_add_i32 s6, s56, s6
	;; [unrolled: 1-line block ×3, first 2 shown]
	s_cmp_ge_u32 s55, s54
	s_cbranch_scc1 .LBB212_28
.LBB212_34:                             ;   in Loop: Header=BB212_25 Depth=1
	s_load_dword s56, s[52:53], 0x8
	s_waitcnt lgkmcnt(0)
	s_add_i32 s7, s7, s18
	s_add_i32 s6, s56, s6
	s_add_i32 s55, s55, 1
	s_cmp_ge_u32 s55, s54
	s_cbranch_scc0 .LBB212_29
	s_branch .LBB212_30
.LBB212_35:
	s_mov_b32 s14, 0
	s_cmp_ge_u32 s14, s21
	s_cbranch_scc0 .LBB212_59
	s_branch .LBB212_37
.LBB212_36:
	s_add_i32 s14, s39, 4
	s_cmp_ge_u32 s14, s21
	s_cbranch_scc0 .LBB212_59
.LBB212_37:
	v_mov_b32_e32 v1, s6
	v_mov_b32_e32 v2, s25
	;; [unrolled: 1-line block ×4, first 2 shown]
	ds_write_b96 v4, v[1:3] offset:1056
.LBB212_38:
	s_or_b64 exec, exec, s[46:47]
	s_cmp_eq_u32 s20, 0
	s_waitcnt lgkmcnt(0)
	s_barrier
	s_cbranch_scc1 .LBB212_61
; %bb.39:
	s_mul_i32 s14, s29, s24
	s_mul_hi_u32 s15, s28, s24
	s_mul_i32 s6, s37, s30
	s_mul_hi_u32 s7, s36, s30
	s_add_i32 s15, s15, s14
	s_mul_i32 s14, s28, s24
	s_mul_i32 s16, s45, s38
	s_mul_hi_u32 s17, s44, s38
	s_add_i32 s7, s7, s6
	s_add_i32 s17, s17, s16
	s_lshl_b64 s[14:15], s[14:15], 1
	s_add_u32 s18, s42, s14
	s_addc_u32 s19, s43, s15
	s_lshl_b64 s[14:15], s[22:23], 1
	s_mul_i32 s6, s36, s30
	s_add_u32 s21, s18, s14
	s_addc_u32 s22, s19, s15
	s_lshl_b64 s[6:7], s[6:7], 1
	s_add_u32 s14, s40, s6
	s_addc_u32 s15, s41, s7
	s_lshl_b64 s[6:7], s[26:27], 1
	s_mul_i32 s16, s44, s38
	s_add_u32 s23, s14, s6
	s_addc_u32 s24, s15, s7
	s_lshl_b64 s[6:7], s[16:17], 3
	s_add_u32 s12, s12, s6
	s_addc_u32 s13, s13, s7
	s_lshl_b64 s[6:7], s[34:35], 3
	v_mov_b32_e32 v5, 0
	s_add_u32 s25, s12, s6
	ds_read_b96 v[1:3], v5 offset:1056
	s_addc_u32 s26, s13, s7
	s_and_b32 s12, 0xffff, s31
	s_sext_i32_i16 s6, s31
	s_cmp_gt_i32 s6, -1
	s_mov_b32 s6, 0x8000
	s_cselect_b32 s13, s6, 0xffff
	v_cmp_o_f16_e64 s[6:7], s31, s31
	s_xor_b32 s12, s13, s12
	s_and_b64 s[6:7], s[6:7], exec
	s_waitcnt lgkmcnt(0)
	v_add_u32_e32 v1, v1, v2
	v_lshrrev_b32_e32 v2, 3, v0
	s_load_dword s6, s[4:5], 0x1b0
	v_and_b32_e32 v2, 28, v2
	s_cselect_b32 s27, s12, 0xffff
	s_load_dwordx2 s[12:13], s[4:5], 0x1b8
	s_load_dwordx2 s[14:15], s[4:5], 0x360
	;; [unrolled: 1-line block ×3, first 2 shown]
	v_lshl_add_u32 v8, v0, 2, v2
	v_lshrrev_b32_e32 v2, 1, v0
	v_and_b32_e32 v9, 0x7c, v2
	v_add_u32_e32 v2, -1, v0
	v_lshrrev_b32_e32 v4, 3, v2
	v_and_b32_e32 v4, 0x1ffffffc, v4
	s_waitcnt lgkmcnt(0)
	s_bitcmp1_b32 s6, 0
	v_lshl_add_u32 v11, v2, 2, v4
	v_mbcnt_lo_u32_b32 v2, -1, 0
	s_cselect_b64 s[4:5], -1, 0
	v_cmp_gt_u32_e64 s[6:7], 64, v0
	v_lshlrev_b32_e32 v10, 4, v0
	v_add_u32_e32 v4, s33, v0
	v_mov_b32_e32 v0, 0xffff
	v_mov_b32_e32 v12, 0x8000
	v_mbcnt_hi_u32_b32 v13, -1, v2
                                        ; implicit-def: $vgpr14
	s_branch .LBB212_42
.LBB212_40:                             ;   in Loop: Header=BB212_42 Depth=1
	s_or_b64 exec, exec, s[18:19]
	v_add_u32_e32 v1, v2, v1
.LBB212_41:                             ;   in Loop: Header=BB212_42 Depth=1
	s_add_i32 s20, s20, -1
	v_add_u32_e32 v3, v15, v3
	s_cmp_lg_u32 s20, 0
	v_add_u32_e32 v4, 0x100, v4
	s_cbranch_scc0 .LBB212_61
.LBB212_42:                             ; =>This Inner Loop Header: Depth=1
	v_cmp_gt_u64_e32 vcc, s[8:9], v[4:5]
	v_mov_b32_e32 v2, v5
	v_mov_b32_e32 v6, v5
	s_and_saveexec_b64 s[18:19], vcc
	s_cbranch_execz .LBB212_44
; %bb.43:                               ;   in Loop: Header=BB212_42 Depth=1
	v_mad_u64_u32 v[6:7], s[28:29], s12, v4, 0
	v_mov_b32_e32 v2, v7
	v_mad_u64_u32 v[14:15], s[28:29], s13, v4, v[2:3]
	v_mov_b32_e32 v2, s22
	v_mov_b32_e32 v7, v14
	v_lshlrev_b64 v[6:7], 1, v[6:7]
	v_add_co_u32_e32 v6, vcc, s21, v6
	v_addc_co_u32_e32 v7, vcc, v2, v7, vcc
	global_load_ushort v14, v[6:7], off
	s_waitcnt vmcnt(0)
	v_cmp_lt_i16_e32 vcc, -1, v14
	v_cndmask_b32_e32 v2, v0, v12, vcc
	v_xor_b32_sdwa v2, v2, v14 dst_sel:DWORD dst_unused:UNUSED_PAD src0_sel:DWORD src1_sel:WORD_0
	v_cmp_o_f16_e32 vcc, v14, v14
	v_cndmask_b32_e32 v6, v0, v2, vcc
	v_cmp_lt_u32_e32 vcc, s27, v6
	v_cndmask_b32_e64 v2, 0, 1, vcc
	v_cmp_gt_u32_e32 vcc, s27, v6
	v_cndmask_b32_e64 v7, 0, 1, vcc
	v_cndmask_b32_e64 v2, v7, v2, s[4:5]
	v_cmp_eq_u32_e32 vcc, s27, v6
	v_and_b32_e32 v2, 1, v2
	v_cndmask_b32_e64 v6, 0, 1, vcc
.LBB212_44:                             ;   in Loop: Header=BB212_42 Depth=1
	s_or_b64 exec, exec, s[18:19]
	ds_write_b32 v8, v2
	s_waitcnt vmcnt(0) lgkmcnt(0)
	s_barrier
	s_and_saveexec_b64 s[18:19], s[6:7]
	s_cbranch_execz .LBB212_46
; %bb.45:                               ;   in Loop: Header=BB212_42 Depth=1
	v_add_u32_e32 v7, v9, v10
	ds_read2_b32 v[15:16], v7 offset1:1
	ds_read2_b32 v[17:18], v7 offset0:2 offset1:3
	v_and_b32_e32 v19, 15, v13
	v_cmp_ne_u32_e32 vcc, 0, v19
	s_waitcnt lgkmcnt(1)
	v_add_u32_e32 v16, v16, v15
	s_waitcnt lgkmcnt(0)
	v_add3_u32 v16, v16, v17, v18
	v_bfe_i32 v18, v13, 4, 1
	; wave barrier
	s_nop 0
	v_mov_b32_dpp v17, v16 row_shr:1 row_mask:0xf bank_mask:0xf
	v_cndmask_b32_e32 v17, 0, v17, vcc
	v_add_u32_e32 v16, v17, v16
	v_cmp_lt_u32_e32 vcc, 1, v19
	s_nop 0
	v_mov_b32_dpp v17, v16 row_shr:2 row_mask:0xf bank_mask:0xf
	v_cndmask_b32_e32 v17, 0, v17, vcc
	v_add_u32_e32 v16, v16, v17
	v_cmp_lt_u32_e32 vcc, 3, v19
	;; [unrolled: 5-line block ×4, first 2 shown]
	s_nop 0
	v_mov_b32_dpp v17, v16 row_bcast:15 row_mask:0xf bank_mask:0xf
	v_and_b32_e32 v17, v18, v17
	v_add_u32_e32 v16, v16, v17
	v_and_b32_e32 v18, 64, v13
	s_nop 0
	v_mov_b32_dpp v17, v16 row_bcast:31 row_mask:0xf bank_mask:0xf
	v_cndmask_b32_e32 v17, 0, v17, vcc
	v_add_u32_e32 v16, v16, v17
	v_add_u32_e32 v17, -1, v13
	v_cmp_lt_i32_e32 vcc, v17, v18
	v_cndmask_b32_e32 v17, v17, v13, vcc
	v_lshlrev_b32_e32 v17, 2, v17
	ds_bpermute_b32 v16, v17, v16
	s_waitcnt lgkmcnt(0)
	v_add_u32_e32 v15, v16, v15
	v_cndmask_b32_e64 v17, v15, v2, s[2:3]
	ds_write_b32 v7, v17
	; wave barrier
	ds_read2_b32 v[15:16], v7 offset0:1 offset1:2
	ds_read_b32 v18, v7 offset:12
	s_waitcnt lgkmcnt(1)
	v_add_u32_e32 v15, v15, v17
	v_add_u32_e32 v16, v16, v15
	ds_write2_b32 v7, v15, v16 offset0:1 offset1:2
	s_waitcnt lgkmcnt(1)
	v_add_u32_e32 v15, v18, v16
	ds_write_b32 v7, v15 offset:12
.LBB212_46:                             ;   in Loop: Header=BB212_42 Depth=1
	s_or_b64 exec, exec, s[18:19]
	v_mov_b32_e32 v7, 0
	s_waitcnt lgkmcnt(0)
	s_barrier
	s_and_saveexec_b64 s[18:19], s[0:1]
; %bb.47:                               ;   in Loop: Header=BB212_42 Depth=1
	ds_read_b32 v7, v11
; %bb.48:                               ;   in Loop: Header=BB212_42 Depth=1
	s_or_b64 exec, exec, s[18:19]
	ds_read_b32 v15, v5 offset:1048
	v_cmp_ne_u32_e32 vcc, 0, v2
	s_waitcnt lgkmcnt(0)
	s_barrier
	s_and_saveexec_b64 s[18:19], vcc
	s_cbranch_execz .LBB212_50
; %bb.49:                               ;   in Loop: Header=BB212_42 Depth=1
	v_add_u32_e32 v7, v7, v3
	v_mad_u64_u32 v[16:17], s[28:29], s14, v7, 0
	v_mad_u64_u32 v[18:19], s[28:29], s16, v7, 0
	v_mov_b32_e32 v2, v17
	v_mad_u64_u32 v[20:21], s[28:29], s15, v7, v[2:3]
	v_mov_b32_e32 v2, v19
	v_mov_b32_e32 v21, s24
	;; [unrolled: 1-line block ×3, first 2 shown]
	v_lshlrev_b64 v[16:17], 1, v[16:17]
	v_mad_u64_u32 v[19:20], s[28:29], s17, v7, v[2:3]
	v_add_co_u32_e32 v16, vcc, s23, v16
	v_addc_co_u32_e32 v17, vcc, v21, v17, vcc
	global_store_short v[16:17], v14, off
	v_lshlrev_b64 v[16:17], 3, v[18:19]
	v_mov_b32_e32 v2, s26
	v_add_co_u32_e32 v16, vcc, s25, v16
	v_addc_co_u32_e32 v17, vcc, v2, v17, vcc
	global_store_dwordx2 v[16:17], v[4:5], off
.LBB212_50:                             ;   in Loop: Header=BB212_42 Depth=1
	s_or_b64 exec, exec, s[18:19]
	v_mov_b32_e32 v2, v5
	v_cmp_le_u64_e32 vcc, s[10:11], v[1:2]
	s_cbranch_vccnz .LBB212_41
; %bb.51:                               ;   in Loop: Header=BB212_42 Depth=1
	ds_write_b32 v8, v6
	s_waitcnt vmcnt(0) lgkmcnt(0)
	s_barrier
	s_and_saveexec_b64 s[18:19], s[6:7]
	s_cbranch_execz .LBB212_53
; %bb.52:                               ;   in Loop: Header=BB212_42 Depth=1
	v_add_u32_e32 v2, v9, v10
	ds_read2_b32 v[16:17], v2 offset1:1
	ds_read2_b32 v[18:19], v2 offset0:2 offset1:3
	v_and_b32_e32 v7, 15, v13
	v_cmp_ne_u32_e32 vcc, 0, v7
	s_waitcnt lgkmcnt(1)
	v_add_u32_e32 v17, v17, v16
	s_waitcnt lgkmcnt(0)
	v_add3_u32 v17, v17, v18, v19
	; wave barrier
	s_nop 1
	v_mov_b32_dpp v18, v17 row_shr:1 row_mask:0xf bank_mask:0xf
	v_cndmask_b32_e32 v18, 0, v18, vcc
	v_add_u32_e32 v17, v18, v17
	v_cmp_lt_u32_e32 vcc, 1, v7
	s_nop 0
	v_mov_b32_dpp v18, v17 row_shr:2 row_mask:0xf bank_mask:0xf
	v_cndmask_b32_e32 v18, 0, v18, vcc
	v_add_u32_e32 v17, v17, v18
	v_cmp_lt_u32_e32 vcc, 3, v7
	;; [unrolled: 5-line block ×3, first 2 shown]
	s_nop 0
	v_mov_b32_dpp v18, v17 row_shr:8 row_mask:0xf bank_mask:0xf
	v_cndmask_b32_e32 v7, 0, v18, vcc
	v_add_u32_e32 v7, v17, v7
	v_bfe_i32 v18, v13, 4, 1
	v_cmp_lt_u32_e32 vcc, 31, v13
	v_mov_b32_dpp v17, v7 row_bcast:15 row_mask:0xf bank_mask:0xf
	v_and_b32_e32 v17, v18, v17
	v_add_u32_e32 v7, v7, v17
	v_and_b32_e32 v18, 64, v13
	s_nop 0
	v_mov_b32_dpp v17, v7 row_bcast:31 row_mask:0xf bank_mask:0xf
	v_cndmask_b32_e32 v17, 0, v17, vcc
	v_add_u32_e32 v7, v7, v17
	v_add_u32_e32 v17, -1, v13
	v_cmp_lt_i32_e32 vcc, v17, v18
	v_cndmask_b32_e32 v17, v17, v13, vcc
	v_lshlrev_b32_e32 v17, 2, v17
	ds_bpermute_b32 v7, v17, v7
	s_waitcnt lgkmcnt(0)
	v_add_u32_e32 v7, v7, v16
	v_cndmask_b32_e64 v7, v7, v6, s[2:3]
	ds_write_b32 v2, v7
	; wave barrier
	ds_read2_b32 v[16:17], v2 offset0:1 offset1:2
	ds_read_b32 v18, v2 offset:12
	s_waitcnt lgkmcnt(1)
	v_add_u32_e32 v7, v16, v7
	v_add_u32_e32 v16, v17, v7
	ds_write2_b32 v2, v7, v16 offset0:1 offset1:2
	s_waitcnt lgkmcnt(1)
	v_add_u32_e32 v7, v18, v16
	ds_write_b32 v2, v7 offset:12
.LBB212_53:                             ;   in Loop: Header=BB212_42 Depth=1
	s_or_b64 exec, exec, s[18:19]
	v_mov_b32_e32 v7, 0
	s_waitcnt lgkmcnt(0)
	s_barrier
	s_and_saveexec_b64 s[18:19], s[0:1]
; %bb.54:                               ;   in Loop: Header=BB212_42 Depth=1
	ds_read_b32 v7, v11
; %bb.55:                               ;   in Loop: Header=BB212_42 Depth=1
	s_or_b64 exec, exec, s[18:19]
	ds_read_b32 v2, v5 offset:1048
	v_cmp_ne_u32_e32 vcc, 0, v6
	s_waitcnt lgkmcnt(0)
	s_barrier
	s_and_saveexec_b64 s[18:19], vcc
	s_cbranch_execz .LBB212_40
; %bb.56:                               ;   in Loop: Header=BB212_42 Depth=1
	v_add_u32_e32 v6, v7, v1
	v_mov_b32_e32 v7, v5
	v_cmp_gt_u64_e32 vcc, s[10:11], v[6:7]
	s_and_b64 exec, exec, vcc
	s_cbranch_execz .LBB212_40
; %bb.57:                               ;   in Loop: Header=BB212_42 Depth=1
	v_mad_u64_u32 v[16:17], s[28:29], s14, v6, 0
	v_mad_u64_u32 v[18:19], s[28:29], s16, v6, 0
	v_mov_b32_e32 v7, v17
	v_mad_u64_u32 v[20:21], s[28:29], s15, v6, v[7:8]
	v_mov_b32_e32 v7, v19
	;; [unrolled: 2-line block ×3, first 2 shown]
	v_lshlrev_b64 v[16:17], 1, v[16:17]
	v_mov_b32_e32 v19, v6
	v_mov_b32_e32 v21, s24
	v_add_co_u32_e32 v16, vcc, s23, v16
	v_lshlrev_b64 v[6:7], 3, v[18:19]
	v_addc_co_u32_e32 v17, vcc, v21, v17, vcc
	global_store_short v[16:17], v14, off
	v_mov_b32_e32 v16, s26
	v_add_co_u32_e32 v6, vcc, s25, v6
	v_addc_co_u32_e32 v7, vcc, v16, v7, vcc
	global_store_dwordx2 v[6:7], v[4:5], off
	s_branch .LBB212_40
.LBB212_58:                             ;   in Loop: Header=BB212_59 Depth=1
	s_add_u32 s16, s16, 4
	s_addc_u32 s17, s17, 0
	s_waitcnt lgkmcnt(0)
	s_add_i32 s25, s15, s25
	s_add_u32 s18, s18, 4
	s_addc_u32 s19, s19, 0
	s_add_i32 s14, s14, 1
	s_cmp_lt_u32 s14, s21
	s_cbranch_scc0 .LBB212_37
.LBB212_59:                             ; =>This Inner Loop Header: Depth=1
	s_load_dword s15, s[16:17], 0x0
	s_cmp_ge_u32 s14, s54
	s_cbranch_scc1 .LBB212_58
; %bb.60:                               ;   in Loop: Header=BB212_59 Depth=1
	s_load_dword s39, s[18:19], 0x0
	s_waitcnt lgkmcnt(0)
	s_add_i32 s7, s15, s7
	s_add_i32 s6, s39, s6
	s_branch .LBB212_58
.LBB212_61:
	s_endpgm
	.section	.rodata,"a",@progbits
	.p2align	6, 0x0
	.amdhsa_kernel _ZN2at6native6mbtopk10gatherTopKIN3c104HalfEmLin1EEEvNS_4cuda6detail10TensorInfoIKT_T0_EESA_SA_bjSA_NS7_IS8_SA_EESA_NS7_IlSA_EESA_jjPS8_PjSF_j
		.amdhsa_group_segment_fixed_size 1068
		.amdhsa_private_segment_fixed_size 0
		.amdhsa_kernarg_size 1592
		.amdhsa_user_sgpr_count 6
		.amdhsa_user_sgpr_private_segment_buffer 1
		.amdhsa_user_sgpr_dispatch_ptr 0
		.amdhsa_user_sgpr_queue_ptr 0
		.amdhsa_user_sgpr_kernarg_segment_ptr 1
		.amdhsa_user_sgpr_dispatch_id 0
		.amdhsa_user_sgpr_flat_scratch_init 0
		.amdhsa_user_sgpr_private_segment_size 0
		.amdhsa_uses_dynamic_stack 0
		.amdhsa_system_sgpr_private_segment_wavefront_offset 0
		.amdhsa_system_sgpr_workgroup_id_x 1
		.amdhsa_system_sgpr_workgroup_id_y 1
		.amdhsa_system_sgpr_workgroup_id_z 1
		.amdhsa_system_sgpr_workgroup_info 0
		.amdhsa_system_vgpr_workitem_id 0
		.amdhsa_next_free_vgpr 22
		.amdhsa_next_free_sgpr 57
		.amdhsa_reserve_vcc 1
		.amdhsa_reserve_flat_scratch 0
		.amdhsa_float_round_mode_32 0
		.amdhsa_float_round_mode_16_64 0
		.amdhsa_float_denorm_mode_32 3
		.amdhsa_float_denorm_mode_16_64 3
		.amdhsa_dx10_clamp 1
		.amdhsa_ieee_mode 1
		.amdhsa_fp16_overflow 0
		.amdhsa_exception_fp_ieee_invalid_op 0
		.amdhsa_exception_fp_denorm_src 0
		.amdhsa_exception_fp_ieee_div_zero 0
		.amdhsa_exception_fp_ieee_overflow 0
		.amdhsa_exception_fp_ieee_underflow 0
		.amdhsa_exception_fp_ieee_inexact 0
		.amdhsa_exception_int_div_zero 0
	.end_amdhsa_kernel
	.section	.text._ZN2at6native6mbtopk10gatherTopKIN3c104HalfEmLin1EEEvNS_4cuda6detail10TensorInfoIKT_T0_EESA_SA_bjSA_NS7_IS8_SA_EESA_NS7_IlSA_EESA_jjPS8_PjSF_j,"axG",@progbits,_ZN2at6native6mbtopk10gatherTopKIN3c104HalfEmLin1EEEvNS_4cuda6detail10TensorInfoIKT_T0_EESA_SA_bjSA_NS7_IS8_SA_EESA_NS7_IlSA_EESA_jjPS8_PjSF_j,comdat
.Lfunc_end212:
	.size	_ZN2at6native6mbtopk10gatherTopKIN3c104HalfEmLin1EEEvNS_4cuda6detail10TensorInfoIKT_T0_EESA_SA_bjSA_NS7_IS8_SA_EESA_NS7_IlSA_EESA_jjPS8_PjSF_j, .Lfunc_end212-_ZN2at6native6mbtopk10gatherTopKIN3c104HalfEmLin1EEEvNS_4cuda6detail10TensorInfoIKT_T0_EESA_SA_bjSA_NS7_IS8_SA_EESA_NS7_IlSA_EESA_jjPS8_PjSF_j
                                        ; -- End function
	.set _ZN2at6native6mbtopk10gatherTopKIN3c104HalfEmLin1EEEvNS_4cuda6detail10TensorInfoIKT_T0_EESA_SA_bjSA_NS7_IS8_SA_EESA_NS7_IlSA_EESA_jjPS8_PjSF_j.num_vgpr, 22
	.set _ZN2at6native6mbtopk10gatherTopKIN3c104HalfEmLin1EEEvNS_4cuda6detail10TensorInfoIKT_T0_EESA_SA_bjSA_NS7_IS8_SA_EESA_NS7_IlSA_EESA_jjPS8_PjSF_j.num_agpr, 0
	.set _ZN2at6native6mbtopk10gatherTopKIN3c104HalfEmLin1EEEvNS_4cuda6detail10TensorInfoIKT_T0_EESA_SA_bjSA_NS7_IS8_SA_EESA_NS7_IlSA_EESA_jjPS8_PjSF_j.numbered_sgpr, 57
	.set _ZN2at6native6mbtopk10gatherTopKIN3c104HalfEmLin1EEEvNS_4cuda6detail10TensorInfoIKT_T0_EESA_SA_bjSA_NS7_IS8_SA_EESA_NS7_IlSA_EESA_jjPS8_PjSF_j.num_named_barrier, 0
	.set _ZN2at6native6mbtopk10gatherTopKIN3c104HalfEmLin1EEEvNS_4cuda6detail10TensorInfoIKT_T0_EESA_SA_bjSA_NS7_IS8_SA_EESA_NS7_IlSA_EESA_jjPS8_PjSF_j.private_seg_size, 0
	.set _ZN2at6native6mbtopk10gatherTopKIN3c104HalfEmLin1EEEvNS_4cuda6detail10TensorInfoIKT_T0_EESA_SA_bjSA_NS7_IS8_SA_EESA_NS7_IlSA_EESA_jjPS8_PjSF_j.uses_vcc, 1
	.set _ZN2at6native6mbtopk10gatherTopKIN3c104HalfEmLin1EEEvNS_4cuda6detail10TensorInfoIKT_T0_EESA_SA_bjSA_NS7_IS8_SA_EESA_NS7_IlSA_EESA_jjPS8_PjSF_j.uses_flat_scratch, 0
	.set _ZN2at6native6mbtopk10gatherTopKIN3c104HalfEmLin1EEEvNS_4cuda6detail10TensorInfoIKT_T0_EESA_SA_bjSA_NS7_IS8_SA_EESA_NS7_IlSA_EESA_jjPS8_PjSF_j.has_dyn_sized_stack, 0
	.set _ZN2at6native6mbtopk10gatherTopKIN3c104HalfEmLin1EEEvNS_4cuda6detail10TensorInfoIKT_T0_EESA_SA_bjSA_NS7_IS8_SA_EESA_NS7_IlSA_EESA_jjPS8_PjSF_j.has_recursion, 0
	.set _ZN2at6native6mbtopk10gatherTopKIN3c104HalfEmLin1EEEvNS_4cuda6detail10TensorInfoIKT_T0_EESA_SA_bjSA_NS7_IS8_SA_EESA_NS7_IlSA_EESA_jjPS8_PjSF_j.has_indirect_call, 0
	.section	.AMDGPU.csdata,"",@progbits
; Kernel info:
; codeLenInByte = 3208
; TotalNumSgprs: 61
; NumVgprs: 22
; ScratchSize: 0
; MemoryBound: 0
; FloatMode: 240
; IeeeMode: 1
; LDSByteSize: 1068 bytes/workgroup (compile time only)
; SGPRBlocks: 7
; VGPRBlocks: 5
; NumSGPRsForWavesPerEU: 61
; NumVGPRsForWavesPerEU: 22
; Occupancy: 10
; WaveLimiterHint : 1
; COMPUTE_PGM_RSRC2:SCRATCH_EN: 0
; COMPUTE_PGM_RSRC2:USER_SGPR: 6
; COMPUTE_PGM_RSRC2:TRAP_HANDLER: 0
; COMPUTE_PGM_RSRC2:TGID_X_EN: 1
; COMPUTE_PGM_RSRC2:TGID_Y_EN: 1
; COMPUTE_PGM_RSRC2:TGID_Z_EN: 1
; COMPUTE_PGM_RSRC2:TIDIG_COMP_CNT: 0
	.section	.text._ZN2at6native6sbtopk10gatherTopKIN3c104HalfEmLin1ELb0EEEvNS_4cuda6detail10TensorInfoIKT_T0_EESA_SA_bSA_SA_NS7_IS8_SA_EESA_NS7_IlSA_EESA_PS8_,"axG",@progbits,_ZN2at6native6sbtopk10gatherTopKIN3c104HalfEmLin1ELb0EEEvNS_4cuda6detail10TensorInfoIKT_T0_EESA_SA_bSA_SA_NS7_IS8_SA_EESA_NS7_IlSA_EESA_PS8_,comdat
	.protected	_ZN2at6native6sbtopk10gatherTopKIN3c104HalfEmLin1ELb0EEEvNS_4cuda6detail10TensorInfoIKT_T0_EESA_SA_bSA_SA_NS7_IS8_SA_EESA_NS7_IlSA_EESA_PS8_ ; -- Begin function _ZN2at6native6sbtopk10gatherTopKIN3c104HalfEmLin1ELb0EEEvNS_4cuda6detail10TensorInfoIKT_T0_EESA_SA_bSA_SA_NS7_IS8_SA_EESA_NS7_IlSA_EESA_PS8_
	.globl	_ZN2at6native6sbtopk10gatherTopKIN3c104HalfEmLin1ELb0EEEvNS_4cuda6detail10TensorInfoIKT_T0_EESA_SA_bSA_SA_NS7_IS8_SA_EESA_NS7_IlSA_EESA_PS8_
	.p2align	8
	.type	_ZN2at6native6sbtopk10gatherTopKIN3c104HalfEmLin1ELb0EEEvNS_4cuda6detail10TensorInfoIKT_T0_EESA_SA_bSA_SA_NS7_IS8_SA_EESA_NS7_IlSA_EESA_PS8_,@function
_ZN2at6native6sbtopk10gatherTopKIN3c104HalfEmLin1ELb0EEEvNS_4cuda6detail10TensorInfoIKT_T0_EESA_SA_bSA_SA_NS7_IS8_SA_EESA_NS7_IlSA_EESA_PS8_: ; @_ZN2at6native6sbtopk10gatherTopKIN3c104HalfEmLin1ELb0EEEvNS_4cuda6detail10TensorInfoIKT_T0_EESA_SA_bSA_SA_NS7_IS8_SA_EESA_NS7_IlSA_EESA_PS8_
; %bb.0:
	s_load_dwordx2 s[12:13], s[4:5], 0x520
	s_load_dwordx4 s[24:27], s[4:5], 0x1b8
	s_mov_b64 s[40:41], s[4:5]
	s_add_u32 s2, s40, 0x520
	s_addc_u32 s3, s41, 0
	s_waitcnt lgkmcnt(0)
	s_mul_i32 s0, s13, s8
	s_add_i32 s0, s0, s7
	s_mul_i32 s0, s0, s12
	s_add_i32 s8, s0, s6
	s_mov_b32 s9, 0
	v_mov_b32_e32 v1, s8
	v_mov_b32_e32 v2, s9
	v_cmp_le_u64_e32 vcc, s[24:25], v[1:2]
	s_cbranch_vccnz .LBB213_517
; %bb.1:
	s_load_dword s10, s[40:41], 0x198
	s_mov_b64 s[0:1], 0
	s_mov_b64 s[4:5], s[8:9]
	s_waitcnt lgkmcnt(0)
	s_cmp_lt_i32 s10, 2
	s_cbranch_scc1 .LBB213_9
; %bb.2:
	s_add_i32 s7, s10, 1
	s_add_i32 s0, s10, -1
	s_mov_b32 s10, 0
	s_mov_b32 s1, s10
	s_lshl_b64 s[0:1], s[0:1], 3
	s_add_u32 s0, s40, s0
	s_addc_u32 s1, s41, s1
	s_add_u32 s14, s0, 8
	s_addc_u32 s15, s1, 0
	s_mov_b64 s[0:1], 0
	s_mov_b64 s[16:17], s[8:9]
.LBB213_3:                              ; =>This Inner Loop Header: Depth=1
	s_load_dwordx2 s[18:19], s[14:15], 0x0
	s_waitcnt lgkmcnt(0)
	s_or_b64 s[4:5], s[16:17], s[18:19]
	s_mov_b32 s11, s5
	s_cmp_lg_u64 s[10:11], 0
	s_cbranch_scc0 .LBB213_8
; %bb.4:                                ;   in Loop: Header=BB213_3 Depth=1
	v_cvt_f32_u32_e32 v1, s18
	v_cvt_f32_u32_e32 v2, s19
	s_sub_u32 s11, 0, s18
	s_subb_u32 s13, 0, s19
	v_mac_f32_e32 v1, 0x4f800000, v2
	v_rcp_f32_e32 v1, v1
	v_mul_f32_e32 v1, 0x5f7ffffc, v1
	v_mul_f32_e32 v2, 0x2f800000, v1
	v_trunc_f32_e32 v2, v2
	v_mac_f32_e32 v1, 0xcf800000, v2
	v_cvt_u32_f32_e32 v2, v2
	v_cvt_u32_f32_e32 v1, v1
	v_readfirstlane_b32 s20, v2
	v_readfirstlane_b32 s4, v1
	s_mul_i32 s5, s11, s20
	s_mul_hi_u32 s22, s11, s4
	s_mul_i32 s21, s13, s4
	s_add_i32 s5, s22, s5
	s_mul_i32 s23, s11, s4
	s_add_i32 s5, s5, s21
	s_mul_i32 s22, s4, s5
	s_mul_hi_u32 s24, s4, s23
	s_mul_hi_u32 s21, s4, s5
	s_add_u32 s22, s24, s22
	s_addc_u32 s21, 0, s21
	s_mul_hi_u32 s25, s20, s23
	s_mul_i32 s23, s20, s23
	s_add_u32 s22, s22, s23
	s_mul_hi_u32 s24, s20, s5
	s_addc_u32 s21, s21, s25
	s_addc_u32 s22, s24, 0
	s_mul_i32 s5, s20, s5
	s_add_u32 s5, s21, s5
	s_addc_u32 s21, 0, s22
	s_add_u32 s22, s4, s5
	s_cselect_b64 s[4:5], -1, 0
	s_cmp_lg_u64 s[4:5], 0
	s_addc_u32 s20, s20, s21
	s_mul_i32 s4, s11, s20
	s_mul_hi_u32 s5, s11, s22
	s_add_i32 s4, s5, s4
	s_mul_i32 s13, s13, s22
	s_add_i32 s4, s4, s13
	s_mul_i32 s11, s11, s22
	s_mul_hi_u32 s13, s20, s11
	s_mul_i32 s21, s20, s11
	s_mul_i32 s24, s22, s4
	s_mul_hi_u32 s11, s22, s11
	s_mul_hi_u32 s23, s22, s4
	s_add_u32 s11, s11, s24
	s_addc_u32 s23, 0, s23
	s_add_u32 s11, s11, s21
	s_mul_hi_u32 s5, s20, s4
	s_addc_u32 s11, s23, s13
	s_addc_u32 s5, s5, 0
	s_mul_i32 s4, s20, s4
	s_add_u32 s4, s11, s4
	s_addc_u32 s11, 0, s5
	s_add_u32 s13, s22, s4
	s_cselect_b64 s[4:5], -1, 0
	s_cmp_lg_u64 s[4:5], 0
	s_addc_u32 s4, s20, s11
	s_mul_i32 s11, s16, s4
	s_mul_hi_u32 s20, s16, s13
	s_mul_hi_u32 s5, s16, s4
	s_add_u32 s11, s20, s11
	s_addc_u32 s5, 0, s5
	s_mul_hi_u32 s21, s17, s13
	s_mul_i32 s13, s17, s13
	s_add_u32 s11, s11, s13
	s_mul_hi_u32 s20, s17, s4
	s_addc_u32 s5, s5, s21
	s_addc_u32 s11, s20, 0
	s_mul_i32 s4, s17, s4
	s_add_u32 s13, s5, s4
	s_addc_u32 s11, 0, s11
	s_mul_i32 s4, s18, s11
	s_mul_hi_u32 s5, s18, s13
	s_add_i32 s4, s5, s4
	s_mul_i32 s5, s19, s13
	s_add_i32 s22, s4, s5
	s_sub_i32 s20, s17, s22
	s_mul_i32 s4, s18, s13
	s_sub_u32 s23, s16, s4
	s_cselect_b64 s[4:5], -1, 0
	s_cmp_lg_u64 s[4:5], 0
	s_subb_u32 s24, s20, s19
	s_sub_u32 s25, s23, s18
	s_cselect_b64 s[20:21], -1, 0
	s_cmp_lg_u64 s[20:21], 0
	s_subb_u32 s20, s24, 0
	s_cmp_ge_u32 s20, s19
	s_cselect_b32 s21, -1, 0
	s_cmp_ge_u32 s25, s18
	s_cselect_b32 s24, -1, 0
	s_cmp_eq_u32 s20, s19
	s_cselect_b32 s20, s24, s21
	s_add_u32 s21, s13, 1
	s_addc_u32 s24, s11, 0
	s_add_u32 s25, s13, 2
	s_addc_u32 s28, s11, 0
	s_cmp_lg_u32 s20, 0
	s_cselect_b32 s20, s25, s21
	s_cselect_b32 s21, s28, s24
	s_cmp_lg_u64 s[4:5], 0
	s_subb_u32 s4, s17, s22
	s_cmp_ge_u32 s4, s19
	s_cselect_b32 s5, -1, 0
	s_cmp_ge_u32 s23, s18
	s_cselect_b32 s22, -1, 0
	s_cmp_eq_u32 s4, s19
	s_cselect_b32 s4, s22, s5
	s_cmp_lg_u32 s4, 0
	s_cselect_b32 s5, s21, s11
	s_cselect_b32 s4, s20, s13
	s_cbranch_execnz .LBB213_6
.LBB213_5:                              ;   in Loop: Header=BB213_3 Depth=1
	v_cvt_f32_u32_e32 v1, s18
	s_sub_i32 s4, 0, s18
	v_rcp_iflag_f32_e32 v1, v1
	v_mul_f32_e32 v1, 0x4f7ffffe, v1
	v_cvt_u32_f32_e32 v1, v1
	v_readfirstlane_b32 s5, v1
	s_mul_i32 s4, s4, s5
	s_mul_hi_u32 s4, s5, s4
	s_add_i32 s5, s5, s4
	s_mul_hi_u32 s4, s16, s5
	s_mul_i32 s11, s4, s18
	s_sub_i32 s11, s16, s11
	s_add_i32 s5, s4, 1
	s_sub_i32 s13, s11, s18
	s_cmp_ge_u32 s11, s18
	s_cselect_b32 s4, s5, s4
	s_cselect_b32 s11, s13, s11
	s_add_i32 s5, s4, 1
	s_cmp_ge_u32 s11, s18
	s_cselect_b32 s4, s5, s4
	s_mov_b32 s5, s10
.LBB213_6:                              ;   in Loop: Header=BB213_3 Depth=1
	s_mul_i32 s11, s4, s19
	s_mul_hi_u32 s13, s4, s18
	s_load_dwordx2 s[20:21], s[14:15], 0xc8
	s_add_i32 s11, s13, s11
	s_mul_i32 s13, s5, s18
	s_add_i32 s11, s11, s13
	s_mul_i32 s13, s4, s18
	s_sub_u32 s13, s16, s13
	s_subb_u32 s11, s17, s11
	s_waitcnt lgkmcnt(0)
	s_mul_i32 s11, s20, s11
	s_mul_hi_u32 s16, s20, s13
	s_add_i32 s11, s16, s11
	s_mul_i32 s16, s21, s13
	s_add_i32 s11, s11, s16
	s_mul_i32 s13, s20, s13
	s_add_u32 s0, s13, s0
	s_addc_u32 s1, s11, s1
	s_add_i32 s7, s7, -1
	s_add_u32 s14, s14, -8
	s_addc_u32 s15, s15, -1
	s_cmp_gt_u32 s7, 2
	s_cbranch_scc0 .LBB213_9
; %bb.7:                                ;   in Loop: Header=BB213_3 Depth=1
	s_mov_b64 s[16:17], s[4:5]
	s_branch .LBB213_3
.LBB213_8:                              ;   in Loop: Header=BB213_3 Depth=1
                                        ; implicit-def: $sgpr4_sgpr5
	s_branch .LBB213_5
.LBB213_9:
	s_load_dword s13, s[40:41], 0x360
	s_load_dwordx2 s[10:11], s[40:41], 0xd0
	s_add_u32 s14, s40, 0x1c8
	s_addc_u32 s15, s41, 0
	s_mov_b64 s[34:35], 0
	s_waitcnt lgkmcnt(0)
	s_cmp_lt_i32 s13, 2
	s_mov_b64 s[38:39], s[8:9]
	s_cbranch_scc1 .LBB213_17
; %bb.10:
	s_mov_b32 s16, 0
	s_add_i32 s18, s13, -1
	s_mov_b32 s19, s16
	s_add_i32 s7, s13, 1
	s_lshl_b64 s[18:19], s[18:19], 3
	s_add_u32 s13, s14, s18
	s_addc_u32 s17, s15, s19
	s_add_u32 s18, s13, 8
	s_addc_u32 s19, s17, 0
	s_mov_b64 s[20:21], s[8:9]
.LBB213_11:                             ; =>This Inner Loop Header: Depth=1
	s_load_dwordx2 s[22:23], s[18:19], 0x0
	s_waitcnt lgkmcnt(0)
	s_or_b64 s[24:25], s[20:21], s[22:23]
	s_mov_b32 s17, s25
	s_cmp_lg_u64 s[16:17], 0
	s_cbranch_scc0 .LBB213_16
; %bb.12:                               ;   in Loop: Header=BB213_11 Depth=1
	v_cvt_f32_u32_e32 v1, s22
	v_cvt_f32_u32_e32 v2, s23
	s_sub_u32 s13, 0, s22
	s_subb_u32 s17, 0, s23
	v_mac_f32_e32 v1, 0x4f800000, v2
	v_rcp_f32_e32 v1, v1
	v_mul_f32_e32 v1, 0x5f7ffffc, v1
	v_mul_f32_e32 v2, 0x2f800000, v1
	v_trunc_f32_e32 v2, v2
	v_mac_f32_e32 v1, 0xcf800000, v2
	v_cvt_u32_f32_e32 v2, v2
	v_cvt_u32_f32_e32 v1, v1
	v_readfirstlane_b32 s28, v2
	v_readfirstlane_b32 s24, v1
	s_mul_i32 s25, s13, s28
	s_mul_hi_u32 s30, s13, s24
	s_mul_i32 s29, s17, s24
	s_add_i32 s25, s30, s25
	s_mul_i32 s31, s13, s24
	s_add_i32 s25, s25, s29
	s_mul_i32 s30, s24, s25
	s_mul_hi_u32 s33, s24, s31
	s_mul_hi_u32 s29, s24, s25
	s_add_u32 s30, s33, s30
	s_addc_u32 s29, 0, s29
	s_mul_hi_u32 s36, s28, s31
	s_mul_i32 s31, s28, s31
	s_add_u32 s30, s30, s31
	s_mul_hi_u32 s33, s28, s25
	s_addc_u32 s29, s29, s36
	s_addc_u32 s30, s33, 0
	s_mul_i32 s25, s28, s25
	s_add_u32 s25, s29, s25
	s_addc_u32 s29, 0, s30
	s_add_u32 s30, s24, s25
	s_cselect_b64 s[24:25], -1, 0
	s_cmp_lg_u64 s[24:25], 0
	s_addc_u32 s28, s28, s29
	s_mul_i32 s24, s13, s28
	s_mul_hi_u32 s25, s13, s30
	s_add_i32 s24, s25, s24
	s_mul_i32 s17, s17, s30
	s_add_i32 s24, s24, s17
	s_mul_i32 s13, s13, s30
	s_mul_hi_u32 s25, s28, s13
	s_mul_i32 s29, s28, s13
	s_mul_i32 s33, s30, s24
	s_mul_hi_u32 s13, s30, s13
	s_mul_hi_u32 s31, s30, s24
	s_add_u32 s13, s13, s33
	s_addc_u32 s31, 0, s31
	s_add_u32 s13, s13, s29
	s_mul_hi_u32 s17, s28, s24
	s_addc_u32 s13, s31, s25
	s_addc_u32 s17, s17, 0
	s_mul_i32 s24, s28, s24
	s_add_u32 s13, s13, s24
	s_addc_u32 s17, 0, s17
	s_add_u32 s13, s30, s13
	s_cselect_b64 s[24:25], -1, 0
	s_cmp_lg_u64 s[24:25], 0
	s_addc_u32 s17, s28, s17
	s_mul_i32 s25, s20, s17
	s_mul_hi_u32 s28, s20, s13
	s_mul_hi_u32 s24, s20, s17
	s_add_u32 s25, s28, s25
	s_addc_u32 s24, 0, s24
	s_mul_hi_u32 s29, s21, s13
	s_mul_i32 s13, s21, s13
	s_add_u32 s13, s25, s13
	s_mul_hi_u32 s28, s21, s17
	s_addc_u32 s13, s24, s29
	s_addc_u32 s24, s28, 0
	s_mul_i32 s17, s21, s17
	s_add_u32 s13, s13, s17
	s_addc_u32 s17, 0, s24
	s_mul_i32 s24, s22, s17
	s_mul_hi_u32 s25, s22, s13
	s_add_i32 s24, s25, s24
	s_mul_i32 s25, s23, s13
	s_add_i32 s30, s24, s25
	s_sub_i32 s28, s21, s30
	s_mul_i32 s24, s22, s13
	s_sub_u32 s31, s20, s24
	s_cselect_b64 s[24:25], -1, 0
	s_cmp_lg_u64 s[24:25], 0
	s_subb_u32 s33, s28, s23
	s_sub_u32 s36, s31, s22
	s_cselect_b64 s[28:29], -1, 0
	s_cmp_lg_u64 s[28:29], 0
	s_subb_u32 s28, s33, 0
	s_cmp_ge_u32 s28, s23
	s_cselect_b32 s29, -1, 0
	s_cmp_ge_u32 s36, s22
	s_cselect_b32 s33, -1, 0
	s_cmp_eq_u32 s28, s23
	s_cselect_b32 s28, s33, s29
	s_add_u32 s29, s13, 1
	s_addc_u32 s33, s17, 0
	s_add_u32 s36, s13, 2
	s_addc_u32 s37, s17, 0
	s_cmp_lg_u32 s28, 0
	s_cselect_b32 s28, s36, s29
	s_cselect_b32 s29, s37, s33
	s_cmp_lg_u64 s[24:25], 0
	s_subb_u32 s24, s21, s30
	s_cmp_ge_u32 s24, s23
	s_cselect_b32 s25, -1, 0
	s_cmp_ge_u32 s31, s22
	s_cselect_b32 s30, -1, 0
	s_cmp_eq_u32 s24, s23
	s_cselect_b32 s24, s30, s25
	s_cmp_lg_u32 s24, 0
	s_cselect_b32 s39, s29, s17
	s_cselect_b32 s38, s28, s13
	s_cbranch_execnz .LBB213_14
.LBB213_13:                             ;   in Loop: Header=BB213_11 Depth=1
	v_cvt_f32_u32_e32 v1, s22
	s_sub_i32 s13, 0, s22
	s_mov_b32 s39, s16
	v_rcp_iflag_f32_e32 v1, v1
	v_mul_f32_e32 v1, 0x4f7ffffe, v1
	v_cvt_u32_f32_e32 v1, v1
	v_readfirstlane_b32 s17, v1
	s_mul_i32 s13, s13, s17
	s_mul_hi_u32 s13, s17, s13
	s_add_i32 s17, s17, s13
	s_mul_hi_u32 s13, s20, s17
	s_mul_i32 s24, s13, s22
	s_sub_i32 s24, s20, s24
	s_add_i32 s17, s13, 1
	s_sub_i32 s25, s24, s22
	s_cmp_ge_u32 s24, s22
	s_cselect_b32 s13, s17, s13
	s_cselect_b32 s24, s25, s24
	s_add_i32 s17, s13, 1
	s_cmp_ge_u32 s24, s22
	s_cselect_b32 s38, s17, s13
.LBB213_14:                             ;   in Loop: Header=BB213_11 Depth=1
	s_mul_i32 s13, s38, s23
	s_mul_hi_u32 s17, s38, s22
	s_load_dwordx2 s[24:25], s[18:19], 0xc8
	s_add_i32 s13, s17, s13
	s_mul_i32 s17, s39, s22
	s_add_i32 s13, s13, s17
	s_mul_i32 s17, s38, s22
	s_sub_u32 s17, s20, s17
	s_subb_u32 s13, s21, s13
	s_waitcnt lgkmcnt(0)
	s_mul_i32 s13, s24, s13
	s_mul_hi_u32 s20, s24, s17
	s_add_i32 s13, s20, s13
	s_mul_i32 s20, s25, s17
	s_add_i32 s13, s13, s20
	s_mul_i32 s17, s24, s17
	s_add_u32 s34, s17, s34
	s_addc_u32 s35, s13, s35
	s_add_i32 s7, s7, -1
	s_add_u32 s18, s18, -8
	s_addc_u32 s19, s19, -1
	s_cmp_gt_u32 s7, 2
	s_cbranch_scc0 .LBB213_17
; %bb.15:                               ;   in Loop: Header=BB213_11 Depth=1
	s_mov_b64 s[20:21], s[38:39]
	s_branch .LBB213_11
.LBB213_16:                             ;   in Loop: Header=BB213_11 Depth=1
                                        ; implicit-def: $sgpr38_sgpr39
	s_branch .LBB213_13
.LBB213_17:
	s_load_dword s16, s[40:41], 0x508
	s_load_dwordx2 s[18:19], s[14:15], 0xd0
	s_add_u32 s13, s40, 0x370
                                        ; implicit-def: $vgpr59 : SGPR spill to VGPR lane
                                        ; kill: killed $sgpr14 killed $sgpr15
	s_addc_u32 s15, s41, 0
	s_mov_b64 s[46:47], 0
	s_waitcnt lgkmcnt(0)
	s_cmp_lt_i32 s16, 2
	v_writelane_b32 v59, s18, 0
	v_writelane_b32 v59, s19, 1
	s_cbranch_scc1 .LBB213_25
; %bb.18:
	s_mov_b32 s14, 0
	s_add_i32 s7, s16, 1
	s_add_i32 s16, s16, -1
	s_mov_b32 s17, s14
	s_lshl_b64 s[16:17], s[16:17], 3
	s_add_u32 s13, s13, s16
	s_addc_u32 s15, s15, s17
	s_add_u32 s16, s13, 8
	s_addc_u32 s17, s15, 0
.LBB213_19:                             ; =>This Inner Loop Header: Depth=1
	s_load_dwordx2 s[18:19], s[16:17], 0x0
	s_waitcnt lgkmcnt(0)
	s_or_b64 s[20:21], s[8:9], s[18:19]
	s_mov_b32 s15, s21
	s_cmp_lg_u64 s[14:15], 0
	s_cbranch_scc0 .LBB213_24
; %bb.20:                               ;   in Loop: Header=BB213_19 Depth=1
	v_cvt_f32_u32_e32 v1, s18
	v_cvt_f32_u32_e32 v2, s19
	s_sub_u32 s13, 0, s18
	s_subb_u32 s15, 0, s19
	v_mac_f32_e32 v1, 0x4f800000, v2
	v_rcp_f32_e32 v1, v1
	v_mul_f32_e32 v1, 0x5f7ffffc, v1
	v_mul_f32_e32 v2, 0x2f800000, v1
	v_trunc_f32_e32 v2, v2
	v_mac_f32_e32 v1, 0xcf800000, v2
	v_cvt_u32_f32_e32 v2, v2
	v_cvt_u32_f32_e32 v1, v1
	v_readfirstlane_b32 s22, v2
	v_readfirstlane_b32 s20, v1
	s_mul_i32 s21, s13, s22
	s_mul_hi_u32 s24, s13, s20
	s_mul_i32 s23, s15, s20
	s_add_i32 s21, s24, s21
	s_mul_i32 s25, s13, s20
	s_add_i32 s21, s21, s23
	s_mul_i32 s24, s20, s21
	s_mul_hi_u32 s28, s20, s25
	s_mul_hi_u32 s23, s20, s21
	s_add_u32 s24, s28, s24
	s_addc_u32 s23, 0, s23
	s_mul_hi_u32 s29, s22, s25
	s_mul_i32 s25, s22, s25
	s_add_u32 s24, s24, s25
	s_mul_hi_u32 s28, s22, s21
	s_addc_u32 s23, s23, s29
	s_addc_u32 s24, s28, 0
	s_mul_i32 s21, s22, s21
	s_add_u32 s21, s23, s21
	s_addc_u32 s23, 0, s24
	s_add_u32 s24, s20, s21
	s_cselect_b64 s[20:21], -1, 0
	s_cmp_lg_u64 s[20:21], 0
	s_addc_u32 s22, s22, s23
	s_mul_i32 s20, s13, s22
	s_mul_hi_u32 s21, s13, s24
	s_add_i32 s20, s21, s20
	s_mul_i32 s15, s15, s24
	s_add_i32 s20, s20, s15
	s_mul_i32 s13, s13, s24
	s_mul_hi_u32 s21, s22, s13
	s_mul_i32 s23, s22, s13
	s_mul_i32 s28, s24, s20
	s_mul_hi_u32 s13, s24, s13
	s_mul_hi_u32 s25, s24, s20
	s_add_u32 s13, s13, s28
	s_addc_u32 s25, 0, s25
	s_add_u32 s13, s13, s23
	s_mul_hi_u32 s15, s22, s20
	s_addc_u32 s13, s25, s21
	s_addc_u32 s15, s15, 0
	s_mul_i32 s20, s22, s20
	s_add_u32 s13, s13, s20
	s_addc_u32 s15, 0, s15
	s_add_u32 s13, s24, s13
	s_cselect_b64 s[20:21], -1, 0
	s_cmp_lg_u64 s[20:21], 0
	s_addc_u32 s15, s22, s15
	s_mul_i32 s21, s8, s15
	s_mul_hi_u32 s22, s8, s13
	s_mul_hi_u32 s20, s8, s15
	s_add_u32 s21, s22, s21
	s_addc_u32 s20, 0, s20
	s_mul_hi_u32 s23, s9, s13
	s_mul_i32 s13, s9, s13
	s_add_u32 s13, s21, s13
	s_mul_hi_u32 s22, s9, s15
	s_addc_u32 s13, s20, s23
	s_addc_u32 s20, s22, 0
	s_mul_i32 s15, s9, s15
	s_add_u32 s13, s13, s15
	s_addc_u32 s15, 0, s20
	s_mul_i32 s20, s18, s15
	s_mul_hi_u32 s21, s18, s13
	s_add_i32 s20, s21, s20
	s_mul_i32 s21, s19, s13
	s_add_i32 s24, s20, s21
	s_sub_i32 s22, s9, s24
	s_mul_i32 s20, s18, s13
	s_sub_u32 s25, s8, s20
	s_cselect_b64 s[20:21], -1, 0
	s_cmp_lg_u64 s[20:21], 0
	s_subb_u32 s28, s22, s19
	s_sub_u32 s29, s25, s18
	s_cselect_b64 s[22:23], -1, 0
	s_cmp_lg_u64 s[22:23], 0
	s_subb_u32 s22, s28, 0
	s_cmp_ge_u32 s22, s19
	s_cselect_b32 s23, -1, 0
	s_cmp_ge_u32 s29, s18
	s_cselect_b32 s28, -1, 0
	s_cmp_eq_u32 s22, s19
	s_cselect_b32 s22, s28, s23
	s_add_u32 s23, s13, 1
	s_addc_u32 s28, s15, 0
	s_add_u32 s29, s13, 2
	s_addc_u32 s30, s15, 0
	s_cmp_lg_u32 s22, 0
	s_cselect_b32 s22, s29, s23
	s_cselect_b32 s23, s30, s28
	s_cmp_lg_u64 s[20:21], 0
	s_subb_u32 s20, s9, s24
	s_cmp_ge_u32 s20, s19
	s_cselect_b32 s21, -1, 0
	s_cmp_ge_u32 s25, s18
	s_cselect_b32 s24, -1, 0
	s_cmp_eq_u32 s20, s19
	s_cselect_b32 s20, s24, s21
	s_cmp_lg_u32 s20, 0
	s_cselect_b32 s51, s23, s15
	s_cselect_b32 s50, s22, s13
	s_cbranch_execnz .LBB213_22
.LBB213_21:                             ;   in Loop: Header=BB213_19 Depth=1
	v_cvt_f32_u32_e32 v1, s18
	s_sub_i32 s13, 0, s18
	s_mov_b32 s51, s14
	v_rcp_iflag_f32_e32 v1, v1
	v_mul_f32_e32 v1, 0x4f7ffffe, v1
	v_cvt_u32_f32_e32 v1, v1
	v_readfirstlane_b32 s15, v1
	s_mul_i32 s13, s13, s15
	s_mul_hi_u32 s13, s15, s13
	s_add_i32 s15, s15, s13
	s_mul_hi_u32 s13, s8, s15
	s_mul_i32 s20, s13, s18
	s_sub_i32 s20, s8, s20
	s_add_i32 s15, s13, 1
	s_sub_i32 s21, s20, s18
	s_cmp_ge_u32 s20, s18
	s_cselect_b32 s13, s15, s13
	s_cselect_b32 s20, s21, s20
	s_add_i32 s15, s13, 1
	s_cmp_ge_u32 s20, s18
	s_cselect_b32 s50, s15, s13
.LBB213_22:                             ;   in Loop: Header=BB213_19 Depth=1
	s_mul_i32 s13, s50, s19
	s_mul_hi_u32 s15, s50, s18
	s_load_dwordx2 s[20:21], s[16:17], 0xc8
	s_add_i32 s13, s15, s13
	s_mul_i32 s15, s51, s18
	s_add_i32 s13, s13, s15
	s_mul_i32 s15, s50, s18
	s_sub_u32 s8, s8, s15
	s_subb_u32 s9, s9, s13
	s_waitcnt lgkmcnt(0)
	s_mul_i32 s9, s20, s9
	s_mul_hi_u32 s13, s20, s8
	s_add_i32 s9, s13, s9
	s_mul_i32 s13, s21, s8
	s_add_i32 s9, s9, s13
	s_mul_i32 s8, s20, s8
	s_add_u32 s46, s8, s46
	s_addc_u32 s47, s9, s47
	s_add_i32 s7, s7, -1
	s_add_u32 s16, s16, -8
	s_addc_u32 s17, s17, -1
	s_cmp_gt_u32 s7, 2
	s_cbranch_scc0 .LBB213_26
; %bb.23:                               ;   in Loop: Header=BB213_19 Depth=1
	s_mov_b64 s[8:9], s[50:51]
	s_branch .LBB213_19
.LBB213_24:                             ;   in Loop: Header=BB213_19 Depth=1
                                        ; implicit-def: $sgpr50_sgpr51
	s_branch .LBB213_21
.LBB213_25:
	s_mov_b64 s[50:51], s[8:9]
.LBB213_26:
	s_load_dwordx4 s[28:31], s[40:41], 0x1a0
	s_load_dwordx2 s[16:17], s[40:41], 0x0
	s_load_dwordx2 s[8:9], s[40:41], 0x440
	s_mov_b32 s59, 0
	v_cmp_eq_u32_e64 s[14:15], 0, v0
	s_waitcnt lgkmcnt(0)
	v_writelane_b32 v59, s8, 2
	v_writelane_b32 v59, s9, 3
	s_load_dwordx2 s[8:9], s[40:41], 0x1c8
	s_waitcnt lgkmcnt(0)
	v_writelane_b32 v59, s8, 4
	v_writelane_b32 v59, s9, 5
	s_load_dwordx2 s[8:9], s[40:41], 0x370
	s_waitcnt lgkmcnt(0)
	v_writelane_b32 v59, s8, 6
	v_writelane_b32 v59, s9, 7
	s_mov_b64 s[8:9], exec
	v_writelane_b32 v59, s14, 8
	v_writelane_b32 v59, s15, 9
	s_and_b64 s[14:15], s[8:9], s[14:15]
	s_mov_b64 exec, s[14:15]
	s_cbranch_execz .LBB213_28
; %bb.27:
	v_mov_b32_e32 v1, 0
	v_mov_b32_e32 v3, s28
	;; [unrolled: 1-line block ×4, first 2 shown]
	ds_write_b32 v1, v1 offset:5144
	ds_write_b128 v1, v[1:4] offset:5120
.LBB213_28:
	s_or_b64 exec, exec, s[8:9]
	s_mul_i32 s5, s10, s5
	s_mul_hi_u32 s7, s10, s4
	s_add_i32 s5, s7, s5
	s_mul_i32 s7, s11, s4
	s_add_i32 s5, s5, s7
	s_mul_i32 s4, s10, s4
	s_lshl_b64 s[8:9], s[4:5], 1
	v_writelane_b32 v59, s40, 10
	s_load_dword s7, s[40:41], 0x1b0
	s_add_u32 s4, s16, s8
	s_addc_u32 s5, s17, s9
	s_lshl_b64 s[44:45], s[0:1], 1
	s_add_u32 s76, s4, s44
	s_addc_u32 s77, s5, s45
	s_waitcnt lgkmcnt(0)
	s_bitcmp1_b32 s7, 0
	v_writelane_b32 v59, s41, 11
	s_cselect_b64 s[0:1], -1, 0
	v_writelane_b32 v59, s0, 12
	v_writelane_b32 v59, s1, 13
	s_xor_b64 s[0:1], s[0:1], -1
	v_mbcnt_lo_u32_b32 v1, -1, 0
	v_writelane_b32 v59, s0, 14
	v_mbcnt_hi_u32_b32 v44, -1, v1
	v_writelane_b32 v59, s1, 15
	v_cmp_eq_u32_e64 s[0:1], 0, v44
	v_writelane_b32 v59, s0, 16
	v_writelane_b32 v59, s1, 17
	v_mad_u64_u32 v[6:7], s[0:1], s26, v0, 0
	v_cmp_gt_u32_e32 vcc, 64, v0
	v_cmp_gt_i32_e64 s[10:11], 4, v44
	s_and_b64 s[0:1], vcc, s[10:11]
	v_writelane_b32 v59, s0, 18
	v_mov_b32_e32 v1, 0x600
	v_mov_b32_e32 v3, v7
	v_writelane_b32 v59, s1, 19
	v_mov_b32_e32 v2, 0
	v_mad_u64_u32 v[4:5], s[0:1], s27, v0, v[3:4]
	v_cmp_gt_u64_e64 s[0:1], s[28:29], v[1:2]
	v_mov_b32_e32 v3, 0
	v_writelane_b32 v59, s0, 20
	v_mov_b32_e32 v1, v3
	v_writelane_b32 v59, s1, 21
	v_cmp_gt_u64_e64 s[0:1], s[28:29], v[0:1]
	v_writelane_b32 v59, s0, 22
	s_barrier
	v_writelane_b32 v59, s1, 23
	s_load_dword s0, s[2:3], 0xc
	v_cmp_gt_u32_e64 s[10:11], 2, v0
	v_writelane_b32 v59, s10, 24
	v_writelane_b32 v59, s11, 25
	v_mov_b32_e32 v7, v4
	s_waitcnt lgkmcnt(0)
	s_and_b32 s33, s0, 0xffff
	s_bfe_u32 s7, s0, 0xa0006
	s_cmp_gt_u32 s33, 63
	s_cselect_b64 s[0:1], -1, 0
	v_writelane_b32 v59, s0, 26
	v_lshlrev_b64 v[4:5], 1, v[6:7]
	v_writelane_b32 v59, s1, 27
	s_add_u32 s0, s33, -1
	s_addc_u32 s1, 0, -1
	v_mov_b32_e32 v2, s77
	v_add_co_u32_e32 v12, vcc, s76, v4
	v_writelane_b32 v59, s0, 28
	s_add_u32 s0, s0, s28
	v_addc_co_u32_e32 v13, vcc, v2, v5, vcc
	v_writelane_b32 v59, s0, 29
	v_add_u32_e32 v2, 2, v0
	v_writelane_b32 v59, s1, 30
	s_addc_u32 s1, s1, s29
	v_cmp_gt_u64_e32 vcc, s[28:29], v[2:3]
	v_writelane_b32 v59, s0, 31
	s_cmp_lt_u32 s6, s12
	v_mov_b32_e32 v9, s29
	v_writelane_b32 v59, s1, 32
	s_cselect_b32 s0, 12, 18
	v_cndmask_b32_e32 v10, 0, v9, vcc
	v_mov_b32_e32 v9, s28
	s_add_u32 s0, s2, s0
	v_cndmask_b32_e32 v2, v2, v9, vcc
	v_not_b32_e32 v9, v0
	s_addc_u32 s1, s3, 0
	v_add_co_u32_e32 v9, vcc, v2, v9
	v_writelane_b32 v59, s0, 33
	v_addc_co_u32_e32 v10, vcc, -1, v10, vcc
	v_writelane_b32 v59, s1, 34
	v_cmp_lt_u64_e64 s[0:1], 1, v[9:10]
	v_and_b32_e32 v16, -2, v9
	v_writelane_b32 v59, s0, 35
	v_mov_b32_e32 v17, v10
	v_writelane_b32 v59, s1, 36
	v_cmp_ne_u64_e64 s[0:1], v[9:10], v[16:17]
	v_lshlrev_b32_e32 v45, 3, v0
	v_writelane_b32 v59, s0, 37
	v_writelane_b32 v59, s1, 38
	s_add_i32 s0, s7, -1
	v_mov_b32_e32 v10, s5
	s_bfe_u32 s2, s33, 0x30006
	s_and_b32 s0, s0, 0xffff
	v_or_b32_e32 v11, 6, v45
	v_mov_b32_e32 v9, s4
	s_cmp_gt_u32 s0, 6
	v_mad_u64_u32 v[18:19], s[0:1], s26, v11, v[9:10]
	s_cselect_b64 s[0:1], -1, 0
	v_writelane_b32 v59, s0, 39
	v_mov_b32_e32 v2, v19
	v_writelane_b32 v59, s1, 40
	v_mad_u64_u32 v[19:20], s[0:1], s27, v11, v[2:3]
	v_or_b32_e32 v11, 4, v45
	v_mad_u64_u32 v[20:21], s[0:1], s26, v11, v[9:10]
	s_and_b32 s66, s7, 0x3f8
	s_cmp_lg_u32 s2, 0
	v_writelane_b32 v59, s2, 41
	s_cselect_b64 s[0:1], -1, 0
	v_writelane_b32 v59, s0, 42
	v_mov_b32_e32 v2, v21
	v_writelane_b32 v59, s1, 43
	v_mad_u64_u32 v[21:22], s[0:1], s27, v11, v[2:3]
	v_or_b32_e32 v11, 2, v45
	v_mad_u64_u32 v[22:23], s[0:1], s26, v11, v[9:10]
	s_add_u32 s2, s8, s44
	s_addc_u32 s3, s9, s45
	s_add_u32 s2, s16, s2
	v_mov_b32_e32 v2, v23
	s_addc_u32 s3, s17, s3
	v_mad_u64_u32 v[9:10], s[0:1], s27, v11, v[2:3]
	v_writelane_b32 v59, s2, 44
	v_writelane_b32 v59, s3, 45
	s_lshl_b64 s[0:1], s[26:27], 3
	v_writelane_b32 v59, s0, 46
	s_lshl_b64 s[20:21], s[26:27], 1
	v_writelane_b32 v59, s1, 47
	v_lshlrev_b64 v[6:7], 3, v[6:7]
	s_lshl_b32 s67, s33, 1
	s_add_u32 s0, s16, s44
	v_writelane_b32 v59, s16, 48
	v_mov_b32_e32 v2, s5
	v_add_co_u32_e32 v24, vcc, s4, v6
	v_writelane_b32 v59, s17, 49
	s_addc_u32 s1, s17, s45
	v_addc_co_u32_e32 v25, vcc, v2, v7, vcc
	s_add_u32 s0, s0, s8
	v_writelane_b32 v59, s8, 50
	v_writelane_b32 v59, s9, 51
	v_add_co_u32_e32 v26, vcc, s0, v4
	s_mov_b32 s0, s26
	s_addc_u32 s1, s1, s9
	v_writelane_b32 v59, s0, 52
	s_mov_b32 s0, s27
	v_mov_b32_e32 v2, s1
	v_writelane_b32 v59, s0, 53
	s_mul_i32 s0, s27, s33
	s_mul_hi_u32 s1, s26, s33
	v_addc_co_u32_e32 v27, vcc, v2, v5, vcc
	v_lshrrev_b32_e32 v2, 1, v0
	s_add_i32 s1, s1, s0
	s_mul_i32 s0, s26, s33
	v_lshlrev_b64 v[4:5], v44, -1
	v_and_b32_e32 v2, 0x1e0, v2
	s_lshl_b64 s[36:37], s[0:1], 1
	s_mov_b32 s1, 0
	v_lshlrev_b32_e32 v8, 2, v44
	v_or_b32_e32 v46, 0xc00, v2
	v_mov_b32_e32 v2, 0xc00
	v_lshlrev_b32_e32 v49, 1, v0
	v_mov_b32_e32 v29, s30
	v_writelane_b32 v59, s1, 54
	v_lshlrev_b32_e32 v14, 2, v0
	v_mov_b32_e32 v15, v3
	v_mov_b32_e32 v23, v9
	v_and_b32_e32 v41, 0x100, v8
	v_not_b32_e32 v42, v5
	v_not_b32_e32 v43, v4
	v_lshl_or_b32 v48, v44, 3, v2
	s_mov_b32 s0, 14
	s_mov_b64 s[80:81], 0
	v_add_u32_e32 v50, 0xc00, v49
	v_mov_b32_e32 v51, 0xffff
	v_mov_b32_e32 v52, 0x8000
	;; [unrolled: 1-line block ×3, first 2 shown]
	v_mov_b32_e32 v54, -1
	v_mov_b32_e32 v55, 0x5040100
	v_mov_b32_e32 v57, 0
	v_mov_b32_e32 v47, 0
	v_mov_b32_e32 v56, 0
	v_add_co_u32_e32 v28, vcc, v16, v0
	v_mov_b32_e32 v30, s31
	v_writelane_b32 v59, s20, 55
                                        ; implicit-def: $sgpr82_sgpr83
                                        ; implicit-def: $sgpr84_sgpr85
                                        ; implicit-def: $sgpr86_sgpr87
                                        ; implicit-def: $sgpr90_sgpr91
                                        ; implicit-def: $sgpr88_sgpr89
                                        ; implicit-def: $sgpr92_sgpr93
                                        ; implicit-def: $sgpr94_sgpr95
                                        ; implicit-def: $sgpr52_sgpr53
                                        ; implicit-def: $sgpr54_sgpr55
                                        ; implicit-def: $sgpr56_sgpr57
	v_writelane_b32 v59, s21, 56
	s_branch .LBB213_31
.LBB213_29:                             ;   in Loop: Header=BB213_31 Depth=1
	s_or_b64 exec, exec, s[8:9]
	s_andn2_b64 s[8:9], s[56:57], exec
	s_and_b64 s[6:7], s[6:7], exec
	v_mov_b32_e32 v30, v5
	s_or_b64 s[56:57], s[8:9], s[6:7]
	s_andn2_b64 s[54:55], s[54:55], exec
	s_andn2_b64 s[52:53], s[52:53], exec
	;; [unrolled: 1-line block ×4, first 2 shown]
	s_orn2_b64 s[4:5], s[4:5], exec
	v_mov_b32_e32 v29, v4
.LBB213_30:                             ;   in Loop: Header=BB213_31 Depth=1
	s_or_b64 exec, exec, s[2:3]
	s_and_b64 s[2:3], exec, s[4:5]
	s_or_b64 s[80:81], s[2:3], s[80:81]
	s_andn2_b64 s[2:3], s[88:89], exec
	s_and_b64 s[4:5], s[56:57], exec
	s_or_b64 s[88:89], s[2:3], s[4:5]
	s_andn2_b64 s[2:3], s[90:91], exec
	s_and_b64 s[4:5], s[54:55], exec
	;; [unrolled: 3-line block ×5, first 2 shown]
	s_or_b64 s[82:83], s[2:3], s[4:5]
	s_andn2_b64 exec, exec, s[80:81]
	s_cbranch_execz .LBB213_513
.LBB213_31:                             ; =>This Loop Header: Depth=1
                                        ;     Child Loop BB213_36 Depth 2
                                        ;     Child Loop BB213_50 Depth 2
	;; [unrolled: 1-line block ×25, first 2 shown]
	ds_read_b128 v[4:7], v3 offset:5120
	s_waitcnt lgkmcnt(0)
	v_readfirstlane_b32 s3, v5
	v_readfirstlane_b32 s2, v4
	s_cmp_lg_u64 s[2:3], 0
	s_cbranch_scc1 .LBB213_63
; %bb.32:                               ;   in Loop: Header=BB213_31 Depth=1
	v_readlane_b32 s2, v59, 20
	v_readlane_b32 s3, v59, 21
	s_and_b64 vcc, exec, s[2:3]
	s_cbranch_vccz .LBB213_44
; %bb.33:                               ;   in Loop: Header=BB213_31 Depth=1
	s_mov_b64 s[2:3], 0x601
	v_cmp_gt_u64_e32 vcc, s[2:3], v[6:7]
	s_mov_b64 s[2:3], 0
	s_mov_b64 s[4:5], 0
	s_cbranch_vccz .LBB213_45
; %bb.34:                               ;   in Loop: Header=BB213_31 Depth=1
	v_readlane_b32 s4, v59, 33
	v_readlane_b32 s5, v59, 34
	s_nop 4
	global_load_ushort v6, v3, s[4:5]
	global_load_ushort v2, v[12:13], off
	v_readlane_b32 s4, v59, 44
	v_readlane_b32 s5, v59, 45
	v_mov_b32_e32 v4, s4
	v_mov_b32_e32 v5, s5
	s_mov_b64 s[4:5], 0
	s_waitcnt vmcnt(1)
	v_and_b32_e32 v8, 0xffff, v6
	v_readfirstlane_b32 s1, v6
	v_add_co_u32_e32 v6, vcc, v0, v8
	v_addc_co_u32_e64 v7, s[6:7], 0, 0, vcc
	v_mul_lo_u32 v7, s20, v7
	v_mul_lo_u32 v9, s21, v6
	v_mad_u64_u32 v[4:5], s[6:7], s20, v6, v[4:5]
	s_and_b32 s1, 0xffff, s1
	s_mul_i32 s6, s21, s1
	s_mul_hi_u32 s7, s20, s1
	v_add3_u32 v5, v9, v5, v7
	v_mov_b32_e32 v7, v1
	s_mul_i32 s1, s20, s1
	s_add_i32 s14, s7, s6
	v_mov_b32_e32 v6, v0
	s_branch .LBB213_36
.LBB213_35:                             ;   in Loop: Header=BB213_36 Depth=2
	s_or_b64 exec, exec, s[6:7]
	v_mov_b32_e32 v2, s14
	v_add_co_u32_e32 v4, vcc, s1, v4
	v_addc_co_u32_e32 v5, vcc, v5, v2, vcc
	v_mov_b32_e32 v2, v9
	s_andn2_b64 exec, exec, s[4:5]
	s_cbranch_execz .LBB213_119
.LBB213_36:                             ;   Parent Loop BB213_31 Depth=1
                                        ; =>  This Inner Loop Header: Depth=2
	v_add_co_u32_e32 v6, vcc, v6, v8
	v_addc_co_u32_e32 v7, vcc, 0, v7, vcc
	v_cmp_gt_u64_e64 s[6:7], s[28:29], v[6:7]
	v_cmp_le_u64_e32 vcc, s[28:29], v[6:7]
	s_waitcnt lgkmcnt(0)
	v_mov_b32_e32 v10, 0
	v_mov_b32_e32 v9, 0
	s_and_saveexec_b64 s[8:9], s[6:7]
	s_cbranch_execz .LBB213_38
; %bb.37:                               ;   in Loop: Header=BB213_36 Depth=2
	global_load_ushort v9, v[4:5], off
.LBB213_38:                             ;   in Loop: Header=BB213_36 Depth=2
	s_or_b64 exec, exec, s[8:9]
	s_waitcnt vmcnt(0)
	v_cmp_lt_i16_e64 s[6:7], -1, v2
	v_cndmask_b32_e64 v11, v51, v52, s[6:7]
	v_xor_b32_sdwa v11, v11, v2 dst_sel:DWORD dst_unused:UNUSED_PAD src0_sel:DWORD src1_sel:WORD_0
	v_cmp_o_f16_e64 s[6:7], v2, v2
	v_cndmask_b32_e64 v11, v51, v11, s[6:7]
	v_and_b32_e32 v11, v11, v56
	v_cmp_eq_u32_e64 s[18:19], v11, v47
	s_cmp_lg_u64 s[18:19], 0
	v_readlane_b32 s8, v59, 16
	s_cselect_b64 s[6:7], -1, 0
	v_readlane_b32 s9, v59, 17
	s_and_b64 s[6:7], s[8:9], s[6:7]
	s_and_saveexec_b64 s[8:9], s[6:7]
	s_cbranch_execz .LBB213_42
; %bb.39:                               ;   in Loop: Header=BB213_36 Depth=2
	s_mov_b64 s[12:13], exec
	v_mbcnt_lo_u32_b32 v10, s12, 0
	v_mbcnt_hi_u32_b32 v10, s13, v10
	s_bcnt1_i32_b64 s15, s[18:19]
	v_cmp_eq_u32_e64 s[6:7], 0, v10
                                        ; implicit-def: $vgpr11
	s_and_saveexec_b64 s[10:11], s[6:7]
; %bb.40:                               ;   in Loop: Header=BB213_36 Depth=2
	s_bcnt1_i32_b64 s6, s[12:13]
	s_mul_i32 s6, s15, s6
	v_mov_b32_e32 v11, s6
	ds_add_rtn_u32 v11, v3, v11 offset:5144
; %bb.41:                               ;   in Loop: Header=BB213_36 Depth=2
	s_or_b64 exec, exec, s[10:11]
	s_waitcnt lgkmcnt(0)
	v_readfirstlane_b32 s6, v11
	v_mov_b32_e32 v11, s6
	v_mad_u32_u24 v10, s15, v10, v11
.LBB213_42:                             ;   in Loop: Header=BB213_36 Depth=2
	s_or_b64 exec, exec, s[8:9]
	ds_bpermute_b32 v10, v41, v10
	s_and_b64 s[6:7], exec, vcc
	s_or_b64 s[4:5], s[6:7], s[4:5]
	s_and_saveexec_b64 s[6:7], s[18:19]
	s_cbranch_execz .LBB213_35
; %bb.43:                               ;   in Loop: Header=BB213_36 Depth=2
	v_and_b32_e32 v31, s18, v43
	v_and_b32_e32 v11, s19, v42
	v_bcnt_u32_b32 v31, v31, 0
	v_bcnt_u32_b32 v11, v11, v31
	v_lshlrev_b32_e32 v11, 1, v11
	s_waitcnt lgkmcnt(0)
	v_lshl_add_u32 v10, v10, 1, v11
	ds_write_b16 v10, v2
	s_branch .LBB213_35
.LBB213_44:                             ;   in Loop: Header=BB213_31 Depth=1
	s_mov_b64 s[2:3], -1
	s_mov_b64 s[4:5], 0
.LBB213_45:                             ;   in Loop: Header=BB213_31 Depth=1
	s_and_b64 vcc, exec, s[2:3]
	s_cbranch_vccz .LBB213_61
.LBB213_46:                             ;   in Loop: Header=BB213_31 Depth=1
	s_mov_b64 s[2:3], exec
	v_readlane_b32 s4, v59, 22
	v_readlane_b32 s5, v59, 23
	s_and_b64 s[4:5], s[2:3], s[4:5]
	s_mov_b64 exec, s[4:5]
	s_cbranch_execz .LBB213_58
; %bb.47:                               ;   in Loop: Header=BB213_31 Depth=1
	v_readlane_b32 s4, v59, 33
	v_readlane_b32 s5, v59, 34
	s_nop 4
	global_load_ushort v2, v3, s[4:5]
	global_load_ushort v11, v[12:13], off
	v_mov_b32_e32 v6, v0
	s_waitcnt vmcnt(1)
	v_readfirstlane_b32 s1, v2
	v_add_u32_sdwa v2, v2, v0 dst_sel:DWORD dst_unused:UNUSED_PAD src0_sel:WORD_0 src1_sel:DWORD
	v_cmp_gt_u64_e32 vcc, s[28:29], v[2:3]
	s_and_saveexec_b64 s[4:5], vcc
	s_cbranch_execz .LBB213_57
; %bb.48:                               ;   in Loop: Header=BB213_31 Depth=1
	s_and_b32 s1, s1, 0xffff
	s_cmp_eq_u32 s1, 1
	v_readlane_b32 s8, v59, 35
                                        ; implicit-def: $vgpr6_vgpr7
	s_cselect_b64 s[6:7], -1, 0
	v_readlane_b32 s9, v59, 36
	v_mov_b32_e32 v8, v1
	v_mov_b32_e32 v5, v3
	s_and_b64 s[8:9], s[8:9], s[6:7]
	s_mov_b64 s[10:11], -1
	v_mov_b32_e32 v7, v0
	v_mov_b32_e32 v4, v2
	s_and_saveexec_b64 s[6:7], s[8:9]
	s_cbranch_execz .LBB213_52
; %bb.49:                               ;   in Loop: Header=BB213_31 Depth=1
	v_add_co_u32_e32 v4, vcc, 1, v2
	v_addc_co_u32_e64 v5, s[8:9], 0, 0, vcc
	v_mov_b32_e32 v8, v16
	v_mov_b32_e32 v7, v5
	s_waitcnt vmcnt(0)
	v_lshlrev_b32_e32 v31, 16, v11
	s_mov_b64 s[8:9], 0
	v_mov_b32_e32 v9, v17
	v_mov_b32_e32 v10, v49
	;; [unrolled: 1-line block ×5, first 2 shown]
	v_readlane_b32 s12, v59, 52
	v_readlane_b32 s13, v59, 53
.LBB213_50:                             ;   Parent Loop BB213_31 Depth=1
                                        ; =>  This Inner Loop Header: Depth=2
	v_mul_lo_u32 v11, v7, s26
	v_mul_lo_u32 v34, v6, s27
	v_mad_u64_u32 v[32:33], s[10:11], v6, s26, 0
	v_mul_lo_u32 v36, v4, s13
	v_add3_u32 v33, v33, v34, v11
	v_mul_lo_u32 v11, v5, s12
	v_mad_u64_u32 v[34:35], s[10:11], v4, s12, 0
	v_lshlrev_b64 v[32:33], 1, v[32:33]
	s_mov_b32 s10, 0x5040100
	v_add3_u32 v35, v35, v36, v11
	v_lshlrev_b64 v[34:35], 1, v[34:35]
	v_mov_b32_e32 v11, s77
	v_add_co_u32_e32 v34, vcc, s76, v34
	v_addc_co_u32_e32 v35, vcc, v11, v35, vcc
	v_add_co_u32_e32 v32, vcc, s76, v32
	v_addc_co_u32_e32 v33, vcc, v11, v33, vcc
	global_load_ushort v34, v[34:35], off
	s_nop 0
	global_load_ushort v11, v[32:33], off
	v_add_co_u32_e32 v6, vcc, 2, v6
	v_addc_co_u32_e32 v7, vcc, 0, v7, vcc
	v_add_co_u32_e32 v4, vcc, 2, v4
	v_addc_co_u32_e32 v5, vcc, 0, v5, vcc
	v_add_co_u32_e32 v8, vcc, -2, v8
	v_addc_co_u32_e32 v9, vcc, -1, v9, vcc
	v_cmp_eq_u64_e32 vcc, 0, v[8:9]
	s_or_b64 s[8:9], vcc, s[8:9]
	s_waitcnt vmcnt(1)
	v_alignbit_b32 v31, v34, v31, 16
	s_waitcnt vmcnt(0)
	v_perm_b32 v32, v11, v34, s10
	ds_write_b32 v10, v31
	v_add_u32_e32 v10, 4, v10
	v_mov_b32_e32 v31, v32
	s_andn2_b64 exec, exec, s[8:9]
	s_cbranch_execnz .LBB213_50
; %bb.51:                               ;   in Loop: Header=BB213_31 Depth=1
	s_or_b64 exec, exec, s[8:9]
	v_readlane_b32 s8, v59, 37
	v_add_co_u32_e32 v4, vcc, v2, v16
	v_readlane_b32 s9, v59, 38
	v_addc_co_u32_e32 v5, vcc, 0, v17, vcc
	v_add_co_u32_e32 v6, vcc, -1, v4
	s_orn2_b64 s[10:11], s[8:9], exec
	v_mov_b32_e32 v7, v28
	v_mov_b32_e32 v8, v29
.LBB213_52:                             ;   in Loop: Header=BB213_31 Depth=1
	s_or_b64 exec, exec, s[6:7]
	s_and_saveexec_b64 s[8:9], s[10:11]
	s_cbranch_execz .LBB213_56
; %bb.53:                               ;   in Loop: Header=BB213_31 Depth=1
	v_readlane_b32 s6, v59, 44
	v_readlane_b32 s7, v59, 45
	v_mov_b32_e32 v9, s7
	v_mov_b32_e32 v8, s6
	v_mad_u64_u32 v[9:10], s[6:7], s20, v4, v[8:9]
	v_mul_lo_u32 v2, s20, v5
	v_mul_lo_u32 v6, s21, v4
	s_mul_i32 s6, s21, s1
	s_mul_hi_u32 s7, s20, s1
	s_mov_b64 s[10:11], 0
	s_sub_u32 s12, 0, s1
	v_add3_u32 v10, v6, v10, v2
	s_add_i32 s13, s7, s6
.LBB213_54:                             ;   Parent Loop BB213_31 Depth=1
                                        ; =>  This Inner Loop Header: Depth=2
	s_waitcnt vmcnt(0)
	v_mov_b32_e32 v2, v11
	global_load_ushort v11, v[9:10], off
	v_mov_b32_e32 v32, v5
	v_mov_b32_e32 v31, v4
	v_lshlrev_b32_e32 v4, 1, v7
	ds_write_b16 v4, v2
	v_add_co_u32_e32 v4, vcc, s1, v31
	v_addc_co_u32_e32 v5, vcc, 0, v32, vcc
	s_mul_i32 s6, s20, s1
	v_mov_b32_e32 v2, s13
	v_add_co_u32_e32 v9, vcc, s6, v9
	v_addc_co_u32_e32 v10, vcc, v10, v2, vcc
	v_cmp_le_u64_e32 vcc, s[28:29], v[4:5]
	v_add_co_u32_e64 v6, s[6:7], s12, v4
	s_or_b64 s[10:11], vcc, s[10:11]
	v_mov_b32_e32 v7, v31
	v_mov_b32_e32 v8, v32
	s_andn2_b64 exec, exec, s[10:11]
	s_cbranch_execnz .LBB213_54
; %bb.55:                               ;   in Loop: Header=BB213_31 Depth=1
	s_or_b64 exec, exec, s[10:11]
.LBB213_56:                             ;   in Loop: Header=BB213_31 Depth=1
	s_or_b64 exec, exec, s[8:9]
.LBB213_57:                             ;   in Loop: Header=BB213_31 Depth=1
	s_or_b64 exec, exec, s[4:5]
	v_lshlrev_b32_e32 v2, 1, v6
	s_waitcnt vmcnt(0)
	ds_write_b16 v2, v11
.LBB213_58:                             ;   in Loop: Header=BB213_31 Depth=1
	s_or_b64 exec, exec, s[2:3]
	s_waitcnt lgkmcnt(0)
	s_barrier
	s_mov_b64 s[2:3], exec
	v_readlane_b32 s4, v59, 8
	v_readlane_b32 s5, v59, 9
	s_and_b64 s[4:5], s[2:3], s[4:5]
	s_mov_b64 exec, s[4:5]
; %bb.59:                               ;   in Loop: Header=BB213_31 Depth=1
	v_mov_b32_e32 v4, s28
	v_mov_b32_e32 v5, s29
	ds_write_b64 v3, v[4:5] offset:5120
; %bb.60:                               ;   in Loop: Header=BB213_31 Depth=1
	s_or_b64 exec, exec, s[2:3]
	s_waitcnt lgkmcnt(0)
	s_barrier
	s_mov_b64 s[4:5], -1
.LBB213_61:                             ;   in Loop: Header=BB213_31 Depth=1
	s_mov_b64 s[2:3], 0
	s_and_b64 vcc, exec, s[4:5]
	s_cbranch_vccz .LBB213_63
; %bb.62:                               ;   in Loop: Header=BB213_31 Depth=1
	ds_read_b64 v[4:5], v3 offset:5120
	s_waitcnt lgkmcnt(0)
	v_readfirstlane_b32 s2, v4
.LBB213_63:                             ;   in Loop: Header=BB213_31 Depth=1
	s_cmp_lt_i32 s2, 1
	s_mov_b64 s[4:5], -1
                                        ; implicit-def: $vgpr4_vgpr5
                                        ; implicit-def: $vgpr8_vgpr9
	s_cbranch_scc0 .LBB213_78
; %bb.64:                               ;   in Loop: Header=BB213_31 Depth=1
	v_readlane_b32 s4, v59, 33
	v_readlane_b32 s5, v59, 34
	s_nop 4
	global_load_ushort v2, v3, s[4:5]
	s_mov_b32 s4, s59
	s_mov_b32 s5, s29
	s_waitcnt vmcnt(0)
	v_readfirstlane_b32 s1, v2
	s_and_b32 s1, s1, 0xffff
	s_lshl_b32 s3, s1, 2
	s_cmp_lg_u64 s[4:5], 0
	s_cbranch_scc0 .LBB213_96
; %bb.65:                               ;   in Loop: Header=BB213_31 Depth=1
	v_cvt_f32_u32_e32 v2, s3
	s_sub_u32 s6, 0, s3
	s_subb_u32 s7, 0, 0
	v_mac_f32_e32 v2, 0, v53
	v_rcp_f32_e32 v2, v2
	v_mul_f32_e32 v2, 0x5f7ffffc, v2
	v_mul_f32_e32 v4, 0x2f800000, v2
	v_trunc_f32_e32 v4, v4
	v_mac_f32_e32 v2, 0xcf800000, v4
	v_cvt_u32_f32_e32 v4, v4
	v_cvt_u32_f32_e32 v2, v2
	v_readfirstlane_b32 s8, v4
	v_readfirstlane_b32 s4, v2
	s_mul_i32 s5, s6, s8
	s_mul_hi_u32 s10, s6, s4
	s_mul_i32 s9, s7, s4
	s_add_i32 s5, s10, s5
	s_mul_i32 s11, s6, s4
	s_add_i32 s5, s5, s9
	s_mul_hi_u32 s10, s4, s11
	s_mul_i32 s12, s4, s5
	s_mul_hi_u32 s9, s4, s5
	s_add_u32 s10, s10, s12
	s_addc_u32 s9, 0, s9
	s_mul_hi_u32 s13, s8, s11
	s_mul_i32 s11, s8, s11
	s_add_u32 s10, s10, s11
	s_mul_hi_u32 s12, s8, s5
	s_addc_u32 s9, s9, s13
	s_addc_u32 s10, s12, 0
	s_mul_i32 s5, s8, s5
	s_add_u32 s5, s9, s5
	s_addc_u32 s9, 0, s10
	s_add_u32 s10, s4, s5
	s_cselect_b64 s[4:5], -1, 0
	s_cmp_lg_u64 s[4:5], 0
	s_addc_u32 s8, s8, s9
	s_mul_i32 s4, s6, s8
	s_mul_hi_u32 s5, s6, s10
	s_add_i32 s4, s5, s4
	s_mul_i32 s7, s7, s10
	s_add_i32 s4, s4, s7
	s_mul_i32 s6, s6, s10
	s_mul_hi_u32 s7, s8, s6
	s_mul_i32 s9, s8, s6
	s_mul_i32 s12, s10, s4
	s_mul_hi_u32 s6, s10, s6
	s_mul_hi_u32 s11, s10, s4
	s_add_u32 s6, s6, s12
	s_addc_u32 s11, 0, s11
	s_add_u32 s6, s6, s9
	s_mul_hi_u32 s5, s8, s4
	s_addc_u32 s6, s11, s7
	s_addc_u32 s5, s5, 0
	s_mul_i32 s4, s8, s4
	s_add_u32 s4, s6, s4
	s_addc_u32 s6, 0, s5
	s_add_u32 s7, s10, s4
	s_cselect_b64 s[4:5], -1, 0
	s_cmp_lg_u64 s[4:5], 0
	s_addc_u32 s4, s8, s6
	s_mul_i32 s6, s28, s4
	s_mul_hi_u32 s8, s28, s7
	s_mul_hi_u32 s5, s28, s4
	s_add_u32 s6, s8, s6
	s_addc_u32 s5, 0, s5
	s_mul_hi_u32 s9, s29, s7
	s_mul_i32 s7, s29, s7
	s_add_u32 s6, s6, s7
	s_mul_hi_u32 s8, s29, s4
	s_addc_u32 s5, s5, s9
	s_addc_u32 s6, s8, 0
	s_mul_i32 s4, s29, s4
	s_add_u32 s4, s5, s4
	s_addc_u32 s5, 0, s6
	s_mul_i32 s5, s3, s5
	s_mul_hi_u32 s6, s3, s4
	s_add_i32 s6, s6, s5
	s_mul_i32 s4, s3, s4
	s_sub_u32 s7, s28, s4
	s_cselect_b64 s[4:5], -1, 0
	s_cmp_lg_u64 s[4:5], 0
	s_subb_u32 s6, s29, s6
	s_sub_u32 s8, s7, s3
	s_cselect_b64 s[4:5], -1, 0
	s_cmp_lg_u64 s[4:5], 0
	s_subb_u32 s9, s6, 0
	;; [unrolled: 4-line block ×3, first 2 shown]
	s_cmp_ge_u32 s8, s3
	s_cselect_b32 s5, -1, 0
	s_cmp_eq_u32 s9, 0
	s_cselect_b32 s5, s5, -1
	s_cmp_lg_u32 s5, 0
	s_cselect_b32 s4, s4, s9
	s_cselect_b32 s8, s10, s8
	s_cmp_ge_u32 s7, s3
	s_cselect_b32 s5, -1, 0
	s_cmp_eq_u32 s6, 0
	s_cselect_b32 s5, s5, -1
	s_cmp_lg_u32 s5, 0
	s_cselect_b32 s5, s4, s6
	s_cselect_b32 s4, s8, s7
	s_cbranch_execnz .LBB213_67
.LBB213_66:                             ;   in Loop: Header=BB213_31 Depth=1
	v_cvt_f32_u32_e32 v2, s3
	s_sub_i32 s4, 0, s3
	v_rcp_iflag_f32_e32 v2, v2
	v_mul_f32_e32 v2, 0x4f7ffffe, v2
	v_cvt_u32_f32_e32 v2, v2
	v_readfirstlane_b32 s5, v2
	s_mul_i32 s4, s4, s5
	s_mul_hi_u32 s4, s5, s4
	s_add_i32 s5, s5, s4
	s_mul_hi_u32 s4, s28, s5
	s_mul_i32 s4, s4, s3
	s_sub_i32 s4, s28, s4
	s_sub_i32 s5, s4, s3
	s_cmp_ge_u32 s4, s3
	s_cselect_b32 s4, s5, s4
	s_sub_i32 s5, s4, s3
	s_cmp_ge_u32 s4, s3
	s_cselect_b32 s58, s5, s4
	s_mov_b64 s[4:5], s[58:59]
.LBB213_67:                             ;   in Loop: Header=BB213_31 Depth=1
	s_sub_u32 s8, s28, s4
	s_subb_u32 s9, s29, s5
	v_cmp_gt_u64_e32 vcc, s[8:9], v[14:15]
	v_mov_b32_e32 v4, 0
	v_mov_b32_e32 v6, 0
	;; [unrolled: 1-line block ×8, first 2 shown]
	s_and_saveexec_b64 s[14:15], vcc
	s_cbranch_execz .LBB213_71
; %bb.68:                               ;   in Loop: Header=BB213_31 Depth=1
	v_readlane_b32 s6, v59, 46
	v_readlane_b32 s7, v59, 47
	s_mul_i32 s4, s7, s1
	s_mul_hi_u32 s5, s6, s1
	v_mov_b32_e32 v32, v25
	v_mov_b32_e32 v34, v23
	;; [unrolled: 1-line block ×5, first 2 shown]
	s_add_i32 s4, s5, s4
	s_mul_i32 s5, s6, s1
	s_mov_b64 s[16:17], 0
	v_mov_b32_e32 v31, v24
	v_mov_b32_e32 v33, v22
	;; [unrolled: 1-line block ×4, first 2 shown]
	s_mov_b64 s[20:21], 0
	s_mov_b64 s[40:41], 0
	;; [unrolled: 1-line block ×4, first 2 shown]
	v_mov_b32_e32 v39, v14
.LBB213_69:                             ;   Parent Loop BB213_31 Depth=1
                                        ; =>  This Inner Loop Header: Depth=2
	v_add_co_u32_e32 v4, vcc, s44, v31
	v_mov_b32_e32 v2, s45
	v_addc_co_u32_e32 v5, vcc, v32, v2, vcc
	global_load_ushort v6, v[4:5], off
	v_add_co_u32_e32 v4, vcc, s44, v33
	v_addc_co_u32_e32 v5, vcc, v34, v2, vcc
	global_load_ushort v7, v[4:5], off
	v_add_co_u32_e32 v4, vcc, s44, v35
	;; [unrolled: 3-line block ×3, first 2 shown]
	v_addc_co_u32_e32 v5, vcc, v38, v2, vcc
	global_load_ushort v2, v[4:5], off
	s_waitcnt vmcnt(3)
	v_cmp_lt_i16_e32 vcc, -1, v6
	v_cndmask_b32_e32 v4, v51, v52, vcc
	v_cmp_o_f16_e32 vcc, v6, v6
	v_xor_b32_sdwa v4, v4, v6 dst_sel:DWORD dst_unused:UNUSED_PAD src0_sel:DWORD src1_sel:WORD_0
	v_cndmask_b32_e32 v4, v51, v4, vcc
	s_waitcnt vmcnt(2)
	v_cmp_lt_i16_e32 vcc, -1, v7
	v_cndmask_b32_e32 v5, v51, v52, vcc
	v_cmp_o_f16_e32 vcc, v7, v7
	v_xor_b32_sdwa v5, v5, v7 dst_sel:DWORD dst_unused:UNUSED_PAD src0_sel:DWORD src1_sel:WORD_0
	v_cndmask_b32_e32 v5, v51, v5, vcc
	;; [unrolled: 6-line block ×3, first 2 shown]
	s_waitcnt vmcnt(0)
	v_cmp_lt_i16_e32 vcc, -1, v2
	v_cndmask_b32_e32 v7, v51, v52, vcc
	v_cmp_o_f16_e32 vcc, v2, v2
	v_xor_b32_sdwa v2, v7, v2 dst_sel:DWORD dst_unused:UNUSED_PAD src0_sel:DWORD src1_sel:WORD_0
	v_and_b32_e32 v7, v4, v56
	v_bfe_u32 v4, v4, s0, 2
	v_cndmask_b32_e32 v2, v51, v2, vcc
	v_cmp_eq_u32_e32 vcc, v7, v47
	v_and_b32_e32 v7, v5, v56
	v_bfe_u32 v5, v5, s0, 2
	v_cmp_eq_u32_e64 s[24:25], 0, v4
	v_cmp_eq_u32_e64 s[6:7], v7, v47
	v_and_b32_e32 v7, v6, v56
	v_bfe_u32 v6, v6, s0, 2
	s_and_b64 s[10:11], vcc, s[24:25]
	v_cmp_eq_u32_e64 s[24:25], 0, v5
	v_cmp_eq_u32_e64 s[18:19], v7, v47
	v_and_b32_e32 v7, v2, v56
	v_bfe_u32 v2, v2, s0, 2
	s_and_b64 s[12:13], s[6:7], s[24:25]
	v_cmp_eq_u32_e64 s[24:25], 0, v6
	v_cmp_eq_u32_e64 s[22:23], v7, v47
	s_and_b64 s[60:61], s[18:19], s[24:25]
	v_cmp_eq_u32_e64 s[24:25], 0, v2
	v_cndmask_b32_e64 v7, 0, 1, s[10:11]
	s_and_b64 s[62:63], s[22:23], s[24:25]
	v_cmp_ne_u32_e64 s[24:25], 0, v7
	v_cndmask_b32_e64 v7, 0, 1, s[12:13]
	s_bcnt1_i32_b64 s10, s[24:25]
	v_cmp_ne_u32_e64 s[24:25], 0, v7
	v_cndmask_b32_e64 v7, 0, 1, s[60:61]
	s_bcnt1_i32_b64 s11, s[24:25]
	;; [unrolled: 3-line block ×3, first 2 shown]
	v_cmp_ne_u32_e64 s[24:25], 0, v7
	s_bcnt1_i32_b64 s13, s[24:25]
	s_add_u32 s10, s10, s48
	s_addc_u32 s24, 0, s49
	s_add_u32 s10, s10, s11
	s_addc_u32 s11, s24, 0
	;; [unrolled: 2-line block ×3, first 2 shown]
	s_add_u32 s48, s10, s13
	v_cmp_eq_u32_e64 s[24:25], 1, v4
	s_addc_u32 s49, s11, 0
	s_and_b64 s[10:11], vcc, s[24:25]
	v_cmp_eq_u32_e64 s[24:25], 1, v5
	s_and_b64 s[12:13], s[6:7], s[24:25]
	v_cmp_eq_u32_e64 s[24:25], 1, v6
	s_and_b64 s[60:61], s[18:19], s[24:25]
	v_cmp_eq_u32_e64 s[24:25], 1, v2
	v_cndmask_b32_e64 v7, 0, 1, s[10:11]
	s_and_b64 s[62:63], s[22:23], s[24:25]
	v_cmp_ne_u32_e64 s[24:25], 0, v7
	v_cndmask_b32_e64 v7, 0, 1, s[12:13]
	s_bcnt1_i32_b64 s10, s[24:25]
	v_cmp_ne_u32_e64 s[24:25], 0, v7
	v_cndmask_b32_e64 v7, 0, 1, s[60:61]
	s_bcnt1_i32_b64 s11, s[24:25]
	;; [unrolled: 3-line block ×3, first 2 shown]
	v_cmp_ne_u32_e64 s[24:25], 0, v7
	s_bcnt1_i32_b64 s13, s[24:25]
	s_add_u32 s10, s10, s42
	s_addc_u32 s24, 0, s43
	s_add_u32 s10, s10, s11
	s_addc_u32 s11, s24, 0
	;; [unrolled: 2-line block ×3, first 2 shown]
	s_add_u32 s42, s10, s13
	v_cmp_eq_u32_e64 s[24:25], 2, v4
	s_addc_u32 s43, s11, 0
	s_and_b64 s[10:11], vcc, s[24:25]
	v_cmp_eq_u32_e64 s[24:25], 2, v5
	s_and_b64 s[12:13], s[6:7], s[24:25]
	v_cmp_eq_u32_e64 s[24:25], 2, v6
	s_and_b64 s[60:61], s[18:19], s[24:25]
	v_cmp_eq_u32_e64 s[24:25], 2, v2
	v_cndmask_b32_e64 v7, 0, 1, s[10:11]
	s_and_b64 s[62:63], s[22:23], s[24:25]
	v_cmp_ne_u32_e64 s[24:25], 0, v7
	v_cndmask_b32_e64 v7, 0, 1, s[12:13]
	s_bcnt1_i32_b64 s10, s[24:25]
	v_cmp_ne_u32_e64 s[24:25], 0, v7
	v_cndmask_b32_e64 v7, 0, 1, s[60:61]
	s_bcnt1_i32_b64 s11, s[24:25]
	;; [unrolled: 3-line block ×3, first 2 shown]
	v_cmp_ne_u32_e64 s[24:25], 0, v7
	s_bcnt1_i32_b64 s13, s[24:25]
	s_add_u32 s10, s10, s40
	s_addc_u32 s24, 0, s41
	s_add_u32 s10, s10, s11
	s_addc_u32 s11, s24, 0
	;; [unrolled: 2-line block ×3, first 2 shown]
	s_add_u32 s40, s10, s13
	v_cmp_eq_u32_e64 s[24:25], 3, v4
	s_addc_u32 s41, s11, 0
	s_and_b64 s[10:11], vcc, s[24:25]
	v_cmp_eq_u32_e32 vcc, 3, v5
	s_and_b64 s[6:7], s[6:7], vcc
	v_cmp_eq_u32_e32 vcc, 3, v6
	s_and_b64 s[12:13], s[18:19], vcc
	v_cmp_eq_u32_e32 vcc, 3, v2
	v_cndmask_b32_e64 v2, 0, 1, s[10:11]
	s_and_b64 s[18:19], s[22:23], vcc
	v_cmp_ne_u32_e32 vcc, 0, v2
	v_cndmask_b32_e64 v2, 0, 1, s[6:7]
	s_bcnt1_i32_b64 s10, vcc
	v_cmp_ne_u32_e32 vcc, 0, v2
	v_cndmask_b32_e64 v2, 0, 1, s[12:13]
	s_bcnt1_i32_b64 s6, vcc
	;; [unrolled: 3-line block ×3, first 2 shown]
	v_cmp_ne_u32_e32 vcc, 0, v2
	s_bcnt1_i32_b64 s11, vcc
	v_add_co_u32_e32 v39, vcc, s3, v39
	v_addc_co_u32_e32 v40, vcc, 0, v40, vcc
	v_add_co_u32_e32 v37, vcc, s5, v37
	v_mov_b32_e32 v2, s4
	v_addc_co_u32_e32 v38, vcc, v38, v2, vcc
	s_add_u32 s10, s10, s20
	v_add_co_u32_e32 v35, vcc, s5, v35
	s_addc_u32 s12, 0, s21
	v_addc_co_u32_e32 v36, vcc, v36, v2, vcc
	s_add_u32 s6, s10, s6
	v_add_co_u32_e32 v33, vcc, s5, v33
	s_addc_u32 s10, s12, 0
	;; [unrolled: 4-line block ×3, first 2 shown]
	v_addc_co_u32_e32 v32, vcc, v32, v2, vcc
	s_add_u32 s20, s6, s11
	v_cmp_le_u64_e32 vcc, s[8:9], v[39:40]
	s_addc_u32 s21, s7, 0
	v_mov_b32_e32 v4, s48
	v_mov_b32_e32 v6, s42
	;; [unrolled: 1-line block ×4, first 2 shown]
	s_or_b64 s[16:17], vcc, s[16:17]
	v_mov_b32_e32 v5, s49
	v_mov_b32_e32 v7, s43
	;; [unrolled: 1-line block ×4, first 2 shown]
	s_andn2_b64 exec, exec, s[16:17]
	s_cbranch_execnz .LBB213_69
; %bb.70:                               ;   in Loop: Header=BB213_31 Depth=1
	s_or_b64 exec, exec, s[16:17]
.LBB213_71:                             ;   in Loop: Header=BB213_31 Depth=1
	s_or_b64 exec, exec, s[14:15]
	v_mov_b32_e32 v2, s9
	v_add_co_u32_e32 v31, vcc, s8, v0
	v_addc_co_u32_e32 v32, vcc, 0, v2, vcc
	v_cmp_gt_u64_e32 vcc, s[28:29], v[31:32]
	s_and_saveexec_b64 s[4:5], vcc
	s_cbranch_execz .LBB213_77
; %bb.72:                               ;   in Loop: Header=BB213_31 Depth=1
	v_mul_lo_u32 v2, v32, s26
	v_mul_lo_u32 v35, v31, s27
	v_mad_u64_u32 v[33:34], s[6:7], v31, s26, 0
	s_mov_b64 s[8:9], 0
	v_add3_u32 v34, v34, v35, v2
	v_lshlrev_b64 v[33:34], 1, v[33:34]
	v_mov_b32_e32 v2, s77
	v_add_co_u32_e32 v33, vcc, s76, v33
	v_addc_co_u32_e32 v34, vcc, v2, v34, vcc
	global_load_ushort v33, v[33:34], off
	s_branch .LBB213_74
.LBB213_73:                             ;   in Loop: Header=BB213_74 Depth=2
	s_or_b64 exec, exec, s[10:11]
	s_and_b64 s[6:7], exec, vcc
	s_waitcnt vmcnt(0)
	v_cmp_lt_i16_e32 vcc, -1, v33
	v_cndmask_b32_e32 v34, v51, v52, vcc
	v_xor_b32_sdwa v34, v34, v33 dst_sel:DWORD dst_unused:UNUSED_PAD src0_sel:DWORD src1_sel:WORD_0
	v_cmp_o_f16_e32 vcc, v33, v33
	v_cndmask_b32_e32 v33, v51, v34, vcc
	v_and_b32_e32 v34, v33, v56
	v_bfe_u32 v33, v33, s0, 2
	s_or_b64 s[8:9], s[6:7], s[8:9]
	v_cmp_eq_u32_e32 vcc, v34, v47
	v_cmp_eq_u32_e64 s[6:7], 0, v33
	s_and_b64 s[6:7], vcc, s[6:7]
	v_cndmask_b32_e64 v34, 0, 1, s[6:7]
	v_cmp_ne_u32_e64 s[6:7], 0, v34
	s_bcnt1_i32_b64 s3, s[6:7]
	v_add_co_u32_e64 v4, s[6:7], s3, v4
	v_addc_co_u32_e64 v5, s[6:7], 0, v5, s[6:7]
	v_cmp_eq_u32_e64 s[6:7], 1, v33
	s_and_b64 s[6:7], vcc, s[6:7]
	v_cndmask_b32_e64 v34, 0, 1, s[6:7]
	v_cmp_ne_u32_e64 s[6:7], 0, v34
	s_bcnt1_i32_b64 s3, s[6:7]
	v_add_co_u32_e64 v6, s[6:7], s3, v6
	v_addc_co_u32_e64 v7, s[6:7], 0, v7, s[6:7]
	;; [unrolled: 7-line block ×3, first 2 shown]
	v_cmp_eq_u32_e64 s[6:7], 3, v33
	s_and_b64 s[6:7], vcc, s[6:7]
	v_cndmask_b32_e64 v33, 0, 1, s[6:7]
	v_cmp_ne_u32_e32 vcc, 0, v33
	s_bcnt1_i32_b64 s3, vcc
	v_add_co_u32_e32 v10, vcc, s3, v10
	v_addc_co_u32_e32 v11, vcc, 0, v11, vcc
	v_mov_b32_e32 v33, v2
	s_andn2_b64 exec, exec, s[8:9]
	s_cbranch_execz .LBB213_76
.LBB213_74:                             ;   Parent Loop BB213_31 Depth=1
                                        ; =>  This Inner Loop Header: Depth=2
	v_add_co_u32_e32 v31, vcc, s1, v31
	v_addc_co_u32_e32 v32, vcc, 0, v32, vcc
	v_cmp_gt_u64_e64 s[6:7], s[28:29], v[31:32]
	v_cmp_le_u64_e32 vcc, s[28:29], v[31:32]
	v_mov_b32_e32 v2, 0
	s_and_saveexec_b64 s[10:11], s[6:7]
	s_cbranch_execz .LBB213_73
; %bb.75:                               ;   in Loop: Header=BB213_74 Depth=2
	v_mul_lo_u32 v2, v32, s26
	v_mul_lo_u32 v36, v31, s27
	v_mad_u64_u32 v[34:35], s[6:7], v31, s26, 0
	v_add3_u32 v35, v35, v36, v2
	v_lshlrev_b64 v[34:35], 1, v[34:35]
	v_mov_b32_e32 v2, s77
	v_add_co_u32_e64 v34, s[6:7], s76, v34
	v_addc_co_u32_e64 v35, s[6:7], v2, v35, s[6:7]
	global_load_ushort v2, v[34:35], off
	s_branch .LBB213_73
.LBB213_76:                             ;   in Loop: Header=BB213_31 Depth=1
	s_or_b64 exec, exec, s[8:9]
.LBB213_77:                             ;   in Loop: Header=BB213_31 Depth=1
	s_or_b64 exec, exec, s[4:5]
	s_mov_b64 s[4:5], 0
.LBB213_78:                             ;   in Loop: Header=BB213_31 Depth=1
	s_and_b64 vcc, exec, s[4:5]
	s_cbranch_vccz .LBB213_88
; %bb.79:                               ;   in Loop: Header=BB213_31 Depth=1
	v_readlane_b32 s4, v59, 33
	v_readlane_b32 s5, v59, 34
	v_mov_b32_e32 v8, 0
	v_mov_b32_e32 v9, 0
	s_nop 2
	global_load_ushort v2, v3, s[4:5]
	s_waitcnt vmcnt(0)
	v_readfirstlane_b32 s1, v2
	s_and_b32 s1, 0xffff, s1
	s_lshl_b32 s3, s1, 2
	v_cvt_f32_u32_e32 v4, s3
	s_sub_i32 s4, 0, s3
	v_rcp_iflag_f32_e32 v6, v4
	v_mov_b32_e32 v4, 0
	v_mov_b32_e32 v5, 0
	v_mul_f32_e32 v6, 0x4f7ffffe, v6
	v_cvt_u32_f32_e32 v10, v6
	v_mov_b32_e32 v6, 0
	v_mov_b32_e32 v7, 0
	v_readfirstlane_b32 s5, v10
	s_mul_i32 s4, s4, s5
	s_mul_hi_u32 s4, s5, s4
	s_add_i32 s5, s5, s4
	s_mul_hi_u32 s4, s2, s5
	s_mul_i32 s5, s4, s3
	s_sub_i32 s5, s2, s5
	s_add_i32 s6, s4, 1
	s_sub_i32 s7, s5, s3
	s_cmp_ge_u32 s5, s3
	s_cselect_b32 s4, s6, s4
	s_cselect_b32 s5, s7, s5
	s_add_i32 s6, s4, 1
	s_cmp_ge_u32 s5, s3
	s_cselect_b32 s4, s6, s4
	s_mul_hi_u32 s9, s1, s4
	s_mul_i32 s8, s1, s4
	s_lshl_b64 s[10:11], s[8:9], 2
	v_cmp_gt_u64_e32 vcc, s[10:11], v[14:15]
	v_mov_b32_e32 v10, 0
	v_mov_b32_e32 v11, 0
	s_and_saveexec_b64 s[14:15], vcc
	s_cbranch_execz .LBB213_83
; %bb.80:                               ;   in Loop: Header=BB213_31 Depth=1
	v_mov_b32_e32 v32, v15
	s_lshl_b32 s4, s1, 3
	s_mov_b64 s[16:17], 0
	v_mov_b32_e32 v33, v45
	s_mov_b64 s[20:21], 0
	s_mov_b64 s[40:41], 0
	;; [unrolled: 1-line block ×4, first 2 shown]
	v_mov_b32_e32 v31, v14
.LBB213_81:                             ;   Parent Loop BB213_31 Depth=1
                                        ; =>  This Inner Loop Header: Depth=2
	ds_read_b64 v[4:5], v33
	v_add_u32_e32 v33, s4, v33
	s_waitcnt lgkmcnt(0)
	v_cmp_lt_i16_e32 vcc, -1, v4
	v_cndmask_b32_e32 v6, v51, v52, vcc
	v_cmp_o_f16_e32 vcc, v4, v4
	v_xor_b32_sdwa v6, v6, v4 dst_sel:DWORD dst_unused:UNUSED_PAD src0_sel:DWORD src1_sel:WORD_0
	v_cndmask_b32_e32 v6, v51, v6, vcc
	v_cmp_gt_i16_sdwa vcc, v4, v54 src0_sel:WORD_1 src1_sel:DWORD
	v_cndmask_b32_e32 v7, v51, v52, vcc
	v_cmp_o_f16_sdwa vcc, v4, v4 src0_sel:WORD_1 src1_sel:WORD_1
	v_xor_b32_sdwa v4, v7, v4 dst_sel:DWORD dst_unused:UNUSED_PAD src0_sel:DWORD src1_sel:WORD_1
	v_cndmask_b32_e32 v4, v51, v4, vcc
	v_cmp_lt_i16_e32 vcc, -1, v5
	v_cndmask_b32_e32 v7, v51, v52, vcc
	v_cmp_o_f16_e32 vcc, v5, v5
	v_xor_b32_sdwa v7, v7, v5 dst_sel:DWORD dst_unused:UNUSED_PAD src0_sel:DWORD src1_sel:WORD_0
	v_cndmask_b32_e32 v7, v51, v7, vcc
	v_cmp_gt_i16_sdwa vcc, v5, v54 src0_sel:WORD_1 src1_sel:DWORD
	v_cndmask_b32_e32 v8, v51, v52, vcc
	v_cmp_o_f16_sdwa vcc, v5, v5 src0_sel:WORD_1 src1_sel:WORD_1
	v_xor_b32_sdwa v5, v8, v5 dst_sel:DWORD dst_unused:UNUSED_PAD src0_sel:DWORD src1_sel:WORD_1
	v_and_b32_e32 v8, v6, v56
	v_bfe_u32 v6, v6, s0, 2
	v_cndmask_b32_e32 v5, v51, v5, vcc
	v_cmp_eq_u32_e32 vcc, v8, v47
	v_and_b32_e32 v8, v4, v56
	v_bfe_u32 v4, v4, s0, 2
	v_cmp_eq_u32_e64 s[24:25], 0, v6
	v_cmp_eq_u32_e64 s[6:7], v8, v47
	v_and_b32_e32 v8, v7, v56
	v_bfe_u32 v7, v7, s0, 2
	s_and_b64 s[12:13], vcc, s[24:25]
	v_cmp_eq_u32_e64 s[24:25], 0, v4
	v_cmp_eq_u32_e64 s[18:19], v8, v47
	v_and_b32_e32 v8, v5, v56
	v_bfe_u32 v5, v5, s0, 2
	s_and_b64 s[60:61], s[6:7], s[24:25]
	v_cmp_eq_u32_e64 s[24:25], 0, v7
	v_cmp_eq_u32_e64 s[22:23], v8, v47
	s_and_b64 s[62:63], s[18:19], s[24:25]
	v_cmp_eq_u32_e64 s[24:25], 0, v5
	v_cndmask_b32_e64 v8, 0, 1, s[12:13]
	s_and_b64 s[64:65], s[22:23], s[24:25]
	v_cmp_ne_u32_e64 s[24:25], 0, v8
	v_cndmask_b32_e64 v8, 0, 1, s[60:61]
	s_bcnt1_i32_b64 s5, s[24:25]
	v_cmp_ne_u32_e64 s[24:25], 0, v8
	v_cndmask_b32_e64 v8, 0, 1, s[62:63]
	s_bcnt1_i32_b64 s9, s[24:25]
	;; [unrolled: 3-line block ×3, first 2 shown]
	v_cmp_ne_u32_e64 s[24:25], 0, v8
	s_bcnt1_i32_b64 s13, s[24:25]
	s_add_u32 s5, s5, s48
	s_addc_u32 s24, 0, s49
	s_add_u32 s5, s5, s9
	s_addc_u32 s9, s24, 0
	;; [unrolled: 2-line block ×3, first 2 shown]
	s_add_u32 s48, s5, s13
	v_cmp_eq_u32_e64 s[24:25], 1, v6
	s_addc_u32 s49, s9, 0
	s_and_b64 s[12:13], vcc, s[24:25]
	v_cmp_eq_u32_e64 s[24:25], 1, v4
	s_and_b64 s[60:61], s[6:7], s[24:25]
	v_cmp_eq_u32_e64 s[24:25], 1, v7
	s_and_b64 s[62:63], s[18:19], s[24:25]
	v_cmp_eq_u32_e64 s[24:25], 1, v5
	v_cndmask_b32_e64 v8, 0, 1, s[12:13]
	s_and_b64 s[64:65], s[22:23], s[24:25]
	v_cmp_ne_u32_e64 s[24:25], 0, v8
	v_cndmask_b32_e64 v8, 0, 1, s[60:61]
	s_bcnt1_i32_b64 s5, s[24:25]
	v_cmp_ne_u32_e64 s[24:25], 0, v8
	v_cndmask_b32_e64 v8, 0, 1, s[62:63]
	s_bcnt1_i32_b64 s9, s[24:25]
	;; [unrolled: 3-line block ×3, first 2 shown]
	v_cmp_ne_u32_e64 s[24:25], 0, v8
	s_bcnt1_i32_b64 s13, s[24:25]
	s_add_u32 s5, s5, s42
	s_addc_u32 s24, 0, s43
	s_add_u32 s5, s5, s9
	s_addc_u32 s9, s24, 0
	;; [unrolled: 2-line block ×3, first 2 shown]
	s_add_u32 s42, s5, s13
	v_cmp_eq_u32_e64 s[24:25], 2, v6
	s_addc_u32 s43, s9, 0
	s_and_b64 s[12:13], vcc, s[24:25]
	v_cmp_eq_u32_e64 s[24:25], 2, v4
	s_and_b64 s[60:61], s[6:7], s[24:25]
	v_cmp_eq_u32_e64 s[24:25], 2, v7
	s_and_b64 s[62:63], s[18:19], s[24:25]
	v_cmp_eq_u32_e64 s[24:25], 2, v5
	v_cndmask_b32_e64 v8, 0, 1, s[12:13]
	s_and_b64 s[64:65], s[22:23], s[24:25]
	v_cmp_ne_u32_e64 s[24:25], 0, v8
	v_cndmask_b32_e64 v8, 0, 1, s[60:61]
	s_bcnt1_i32_b64 s5, s[24:25]
	v_cmp_ne_u32_e64 s[24:25], 0, v8
	v_cndmask_b32_e64 v8, 0, 1, s[62:63]
	s_bcnt1_i32_b64 s9, s[24:25]
	;; [unrolled: 3-line block ×3, first 2 shown]
	v_cmp_ne_u32_e64 s[24:25], 0, v8
	s_bcnt1_i32_b64 s13, s[24:25]
	s_add_u32 s5, s5, s40
	s_addc_u32 s24, 0, s41
	s_add_u32 s5, s5, s9
	s_addc_u32 s9, s24, 0
	;; [unrolled: 2-line block ×3, first 2 shown]
	s_add_u32 s40, s5, s13
	v_cmp_eq_u32_e64 s[24:25], 3, v6
	s_addc_u32 s41, s9, 0
	s_and_b64 s[12:13], vcc, s[24:25]
	v_cmp_eq_u32_e32 vcc, 3, v4
	s_and_b64 s[6:7], s[6:7], vcc
	v_cmp_eq_u32_e32 vcc, 3, v7
	s_and_b64 s[18:19], s[18:19], vcc
	v_cmp_eq_u32_e32 vcc, 3, v5
	v_cndmask_b32_e64 v4, 0, 1, s[12:13]
	s_and_b64 s[22:23], s[22:23], vcc
	v_cmp_ne_u32_e32 vcc, 0, v4
	v_cndmask_b32_e64 v4, 0, 1, s[6:7]
	s_bcnt1_i32_b64 s5, vcc
	v_cmp_ne_u32_e32 vcc, 0, v4
	v_cndmask_b32_e64 v4, 0, 1, s[18:19]
	s_bcnt1_i32_b64 s6, vcc
	;; [unrolled: 3-line block ×3, first 2 shown]
	v_cmp_ne_u32_e32 vcc, 0, v4
	s_bcnt1_i32_b64 s9, vcc
	s_add_u32 s5, s5, s20
	s_addc_u32 s12, 0, s21
	s_add_u32 s5, s5, s6
	s_addc_u32 s6, s12, 0
	s_add_u32 s5, s5, s7
	v_add_co_u32_e32 v31, vcc, s3, v31
	s_addc_u32 s6, s6, 0
	v_addc_co_u32_e32 v32, vcc, 0, v32, vcc
	s_add_u32 s20, s5, s9
	v_cmp_le_u64_e32 vcc, s[10:11], v[31:32]
	s_addc_u32 s21, s6, 0
	v_mov_b32_e32 v4, s48
	v_mov_b32_e32 v6, s42
	;; [unrolled: 1-line block ×4, first 2 shown]
	s_or_b64 s[16:17], vcc, s[16:17]
	v_mov_b32_e32 v5, s49
	v_mov_b32_e32 v7, s43
	;; [unrolled: 1-line block ×4, first 2 shown]
	s_andn2_b64 exec, exec, s[16:17]
	s_cbranch_execnz .LBB213_81
; %bb.82:                               ;   in Loop: Header=BB213_31 Depth=1
	s_or_b64 exec, exec, s[16:17]
.LBB213_83:                             ;   in Loop: Header=BB213_31 Depth=1
	s_or_b64 exec, exec, s[14:15]
	v_mov_b32_e32 v32, s11
	v_add_co_u32_e32 v31, vcc, s10, v0
	s_and_b32 s58, s2, 0x7fffffff
	v_addc_co_u32_e32 v32, vcc, 0, v32, vcc
	v_cmp_gt_u64_e32 vcc, s[58:59], v[31:32]
	s_and_saveexec_b64 s[2:3], vcc
	s_cbranch_execz .LBB213_87
; %bb.84:                               ;   in Loop: Header=BB213_31 Depth=1
	v_lshl_add_u32 v33, s8, 3, v49
	s_lshl_b32 s1, s1, 1
	s_mov_b64 s[8:9], 0
.LBB213_85:                             ;   Parent Loop BB213_31 Depth=1
                                        ; =>  This Inner Loop Header: Depth=2
	ds_read_u16 v34, v33
	v_add_u32_e32 v33, s1, v33
	s_waitcnt lgkmcnt(0)
	v_cmp_lt_i16_e32 vcc, -1, v34
	v_cndmask_b32_e32 v35, v51, v52, vcc
	v_cmp_o_f16_e32 vcc, v34, v34
	v_xor_b32_sdwa v34, v35, v34 dst_sel:DWORD dst_unused:UNUSED_PAD src0_sel:DWORD src1_sel:WORD_0
	v_cndmask_b32_e32 v34, v51, v34, vcc
	v_and_b32_e32 v35, v34, v56
	v_bfe_u32 v34, v34, s0, 2
	v_cmp_eq_u32_e32 vcc, v35, v47
	v_cmp_eq_u32_e64 s[6:7], 0, v34
	s_and_b64 s[4:5], vcc, s[6:7]
	v_cndmask_b32_e64 v35, 0, 1, s[4:5]
	v_cmp_ne_u32_e64 s[6:7], 0, v35
	s_bcnt1_i32_b64 s4, s[6:7]
	v_add_co_u32_e64 v4, s[6:7], s4, v4
	v_addc_co_u32_e64 v5, s[6:7], 0, v5, s[6:7]
	v_cmp_eq_u32_e64 s[6:7], 1, v34
	s_and_b64 s[4:5], vcc, s[6:7]
	v_cndmask_b32_e64 v35, 0, 1, s[4:5]
	v_cmp_ne_u32_e64 s[6:7], 0, v35
	s_bcnt1_i32_b64 s4, s[6:7]
	v_add_co_u32_e64 v6, s[6:7], s4, v6
	v_addc_co_u32_e64 v7, s[6:7], 0, v7, s[6:7]
	;; [unrolled: 7-line block ×3, first 2 shown]
	v_cmp_eq_u32_e64 s[6:7], 3, v34
	s_and_b64 s[4:5], vcc, s[6:7]
	v_cndmask_b32_e64 v34, 0, 1, s[4:5]
	v_cmp_ne_u32_e32 vcc, 0, v34
	s_bcnt1_i32_b64 s4, vcc
	v_add_co_u32_e32 v10, vcc, s4, v10
	v_addc_co_u32_e32 v11, vcc, 0, v11, vcc
	v_add_co_u32_sdwa v31, vcc, v31, v2 dst_sel:DWORD dst_unused:UNUSED_PAD src0_sel:DWORD src1_sel:WORD_0
	v_addc_co_u32_e32 v32, vcc, 0, v32, vcc
	v_cmp_le_u64_e32 vcc, s[58:59], v[31:32]
	s_or_b64 s[8:9], vcc, s[8:9]
	s_andn2_b64 exec, exec, s[8:9]
	s_cbranch_execnz .LBB213_85
; %bb.86:                               ;   in Loop: Header=BB213_31 Depth=1
	s_or_b64 exec, exec, s[8:9]
.LBB213_87:                             ;   in Loop: Header=BB213_31 Depth=1
	s_or_b64 exec, exec, s[2:3]
.LBB213_88:                             ;   in Loop: Header=BB213_31 Depth=1
	v_readlane_b32 s1, v59, 54
	s_lshl_b32 s1, s1, 6
	s_mov_b64 s[2:3], exec
	v_readlane_b32 s4, v59, 16
	v_readlane_b32 s5, v59, 17
	s_and_b64 s[4:5], s[2:3], s[4:5]
	s_mov_b64 exec, s[4:5]
	s_cbranch_execz .LBB213_90
; %bb.89:                               ;   in Loop: Header=BB213_31 Depth=1
	v_lshl_add_u32 v2, s1, 3, v46
	ds_write_b128 v2, v[4:7]
	ds_write_b128 v2, v[8:11] offset:16
.LBB213_90:                             ;   in Loop: Header=BB213_31 Depth=1
	s_or_b64 exec, exec, s[2:3]
	s_waitcnt lgkmcnt(0)
	s_barrier
	s_mov_b64 s[2:3], exec
	v_readlane_b32 s4, v59, 18
	v_readlane_b32 s5, v59, 19
	s_and_b64 s[4:5], s[2:3], s[4:5]
	s_mov_b64 exec, s[4:5]
	s_cbranch_execz .LBB213_102
; %bb.91:                               ;   in Loop: Header=BB213_31 Depth=1
	v_readlane_b32 s4, v59, 26
	v_mov_b32_e32 v4, 0
	v_readlane_b32 s5, v59, 27
	v_mov_b32_e32 v5, 0
	s_andn2_b64 vcc, exec, s[4:5]
	s_cbranch_vccnz .LBB213_101
; %bb.92:                               ;   in Loop: Header=BB213_31 Depth=1
	v_readlane_b32 s4, v59, 39
	v_readlane_b32 s5, v59, 40
	s_andn2_b64 vcc, exec, s[4:5]
	s_cbranch_vccnz .LBB213_97
; %bb.93:                               ;   in Loop: Header=BB213_31 Depth=1
	v_readlane_b32 s4, v59, 54
	v_mov_b32_e32 v4, 0
	v_lshl_add_u32 v2, s4, 9, v48
	v_mov_b32_e32 v5, 0
	s_mov_b32 s4, 0
.LBB213_94:                             ;   Parent Loop BB213_31 Depth=1
                                        ; =>  This Inner Loop Header: Depth=2
	ds_read2_b64 v[6:9], v2 offset1:4
	s_add_i32 s4, s4, 8
	s_cmp_eq_u32 s66, s4
	s_waitcnt lgkmcnt(0)
	v_add_co_u32_e32 v4, vcc, v6, v4
	v_addc_co_u32_e32 v5, vcc, v7, v5, vcc
	v_add_co_u32_e32 v8, vcc, v8, v4
	v_addc_co_u32_e32 v9, vcc, v9, v5, vcc
	ds_read2_b64 v[4:7], v2 offset0:8 offset1:12
	s_waitcnt lgkmcnt(0)
	v_add_co_u32_e32 v4, vcc, v4, v8
	v_addc_co_u32_e32 v5, vcc, v5, v9, vcc
	v_add_co_u32_e32 v8, vcc, v6, v4
	v_addc_co_u32_e32 v9, vcc, v7, v5, vcc
	ds_read2_b64 v[4:7], v2 offset0:16 offset1:20
	;; [unrolled: 6-line block ×3, first 2 shown]
	v_add_u32_e32 v2, 0x100, v2
	s_waitcnt lgkmcnt(0)
	v_add_co_u32_e32 v4, vcc, v4, v8
	v_addc_co_u32_e32 v5, vcc, v5, v9, vcc
	v_add_co_u32_e32 v4, vcc, v6, v4
	v_addc_co_u32_e32 v5, vcc, v7, v5, vcc
	s_cbranch_scc0 .LBB213_94
; %bb.95:                               ;   in Loop: Header=BB213_31 Depth=1
	s_mov_b32 s4, s66
	s_branch .LBB213_98
.LBB213_96:                             ;   in Loop: Header=BB213_31 Depth=1
                                        ; implicit-def: $sgpr4_sgpr5
	s_branch .LBB213_66
.LBB213_97:                             ;   in Loop: Header=BB213_31 Depth=1
	v_mov_b32_e32 v4, 0
	v_mov_b32_e32 v5, 0
	s_mov_b32 s4, 0
.LBB213_98:                             ;   in Loop: Header=BB213_31 Depth=1
	v_readlane_b32 s6, v59, 42
	v_readlane_b32 s7, v59, 43
	s_andn2_b64 vcc, exec, s[6:7]
	s_cbranch_vccnz .LBB213_101
; %bb.99:                               ;   in Loop: Header=BB213_31 Depth=1
	v_readlane_b32 s5, v59, 54
	s_lshl_b32 s5, s5, 9
	s_lshl_b32 s4, s4, 5
	s_add_i32 s5, s5, s4
	v_add_u32_e32 v2, s5, v48
	v_readlane_b32 s4, v59, 41
.LBB213_100:                            ;   Parent Loop BB213_31 Depth=1
                                        ; =>  This Inner Loop Header: Depth=2
	ds_read_b64 v[6:7], v2
	s_add_i32 s4, s4, -1
	v_add_u32_e32 v2, 32, v2
	s_cmp_lg_u32 s4, 0
	s_waitcnt lgkmcnt(0)
	v_add_co_u32_e32 v4, vcc, v6, v4
	v_addc_co_u32_e32 v5, vcc, v7, v5, vcc
	s_cbranch_scc1 .LBB213_100
.LBB213_101:                            ;   in Loop: Header=BB213_31 Depth=1
	v_add_lshl_u32 v2, s1, v44, 3
	ds_write_b64 v2, v[4:5] offset:3072
.LBB213_102:                            ;   in Loop: Header=BB213_31 Depth=1
	s_or_b64 exec, exec, s[2:3]
	s_lshl_b32 s1, s1, 3
	v_mov_b32_e32 v2, s1
	s_waitcnt lgkmcnt(0)
	s_barrier
	ds_read_b128 v[4:7], v2 offset:3072
	ds_read_b128 v[8:11], v2 offset:3088
	s_lshl_b32 s1, 3, s0
	s_not_b32 s4, s1
	v_writelane_b32 v59, s4, 57
	v_readlane_b32 s4, v59, 14
	v_cmp_eq_u64_e64 s[18:19], 1, v[29:30]
	v_readlane_b32 s5, v59, 15
	s_waitcnt lgkmcnt(1)
	v_readfirstlane_b32 s23, v5
	v_readfirstlane_b32 s22, v4
	;; [unrolled: 1-line block ×4, first 2 shown]
	s_waitcnt lgkmcnt(0)
	v_readfirstlane_b32 s17, v9
	v_readfirstlane_b32 s16, v8
	;; [unrolled: 1-line block ×4, first 2 shown]
	s_mov_b64 s[74:75], -1
	s_mov_b64 s[24:25], 0
	s_andn2_b64 vcc, exec, s[4:5]
	s_mov_b64 s[40:41], 0
	s_mov_b64 s[14:15], 0
                                        ; implicit-def: $sgpr42_sgpr43
                                        ; implicit-def: $sgpr20_sgpr21
                                        ; implicit-def: $vgpr4_vgpr5
                                        ; implicit-def: $vgpr2
                                        ; implicit-def: $vgpr11
                                        ; implicit-def: $vgpr10
                                        ; implicit-def: $vgpr8
	s_cbranch_vccnz .LBB213_307
; %bb.103:                              ;   in Loop: Header=BB213_31 Depth=1
	s_cmp_eq_u64 s[22:23], 1
	s_cselect_b64 s[4:5], -1, 0
	s_and_b64 s[6:7], s[4:5], s[18:19]
	s_mov_b64 s[4:5], -1
	v_mov_b32_e32 v11, v47
	v_mov_b32_e32 v10, v56
	;; [unrolled: 1-line block ×3, first 2 shown]
                                        ; implicit-def: $sgpr20_sgpr21
                                        ; implicit-def: $sgpr42_sgpr43
	s_and_saveexec_b64 s[8:9], s[6:7]
	s_cbranch_execz .LBB213_140
; %bb.104:                              ;   in Loop: Header=BB213_31 Depth=1
	ds_read_b64 v[4:5], v3 offset:5120
	s_waitcnt lgkmcnt(0)
	s_barrier
	v_readfirstlane_b32 s10, v4
	v_readfirstlane_b32 s11, v5
	s_mov_b64 s[4:5], exec
	v_readlane_b32 s12, v59, 24
	v_readlane_b32 s13, v59, 25
	s_and_b64 s[12:13], s[4:5], s[12:13]
	s_mov_b64 exec, s[12:13]
; %bb.105:                              ;   in Loop: Header=BB213_31 Depth=1
	ds_write_b16 v50, v3
; %bb.106:                              ;   in Loop: Header=BB213_31 Depth=1
	s_or_b64 exec, exec, s[4:5]
	v_readlane_b32 s4, v59, 57
	v_and_b32_e32 v11, s4, v47
	v_or_b32_e32 v10, s1, v56
	s_mov_b64 s[42:43], -1
	s_mov_b64 s[20:21], 0
	s_cmp_eq_u64 s[10:11], 0
	s_mov_b64 s[4:5], 0
	s_mov_b64 s[12:13], -1
	s_waitcnt lgkmcnt(0)
	s_barrier
                                        ; implicit-def: $vgpr8
	s_cbranch_scc1 .LBB213_124
; %bb.107:                              ;   in Loop: Header=BB213_31 Depth=1
	v_readlane_b32 s4, v59, 28
	s_add_u32 s40, s10, s4
	v_readlane_b32 s4, v59, 30
	s_addc_u32 s5, s11, s4
	s_mov_b32 s4, s59
	s_cmp_lg_u64 s[4:5], 0
	s_cbranch_scc0 .LBB213_167
; %bb.108:                              ;   in Loop: Header=BB213_31 Depth=1
	v_cvt_f32_u32_e32 v2, s33
	s_sub_u32 s4, 0, s33
	s_subb_u32 s14, 0, 0
	v_mac_f32_e32 v2, 0, v53
	v_rcp_f32_e32 v2, v2
	v_mul_f32_e32 v2, 0x5f7ffffc, v2
	v_mul_f32_e32 v4, 0x2f800000, v2
	v_trunc_f32_e32 v4, v4
	v_mac_f32_e32 v2, 0xcf800000, v4
	v_cvt_u32_f32_e32 v4, v4
	v_cvt_u32_f32_e32 v2, v2
	v_readfirstlane_b32 s15, v4
	v_readfirstlane_b32 s12, v2
	s_mul_i32 s13, s4, s15
	s_mul_hi_u32 s58, s4, s12
	s_mul_i32 s41, s14, s12
	s_add_i32 s13, s58, s13
	s_mul_i32 s60, s4, s12
	s_add_i32 s13, s13, s41
	s_mul_hi_u32 s58, s12, s60
	s_mul_i32 s61, s12, s13
	s_mul_hi_u32 s41, s12, s13
	s_add_u32 s58, s58, s61
	s_addc_u32 s41, 0, s41
	s_mul_hi_u32 s62, s15, s60
	s_mul_i32 s60, s15, s60
	s_add_u32 s58, s58, s60
	s_mul_hi_u32 s61, s15, s13
	s_addc_u32 s41, s41, s62
	s_addc_u32 s58, s61, 0
	s_mul_i32 s13, s15, s13
	s_add_u32 s13, s41, s13
	s_addc_u32 s41, 0, s58
	s_add_u32 s58, s12, s13
	s_cselect_b64 s[12:13], -1, 0
	s_cmp_lg_u64 s[12:13], 0
	s_addc_u32 s15, s15, s41
	s_mul_i32 s12, s4, s15
	s_mul_hi_u32 s13, s4, s58
	s_add_i32 s12, s13, s12
	s_mul_i32 s14, s14, s58
	s_add_i32 s12, s12, s14
	s_mul_i32 s4, s4, s58
	s_mul_hi_u32 s14, s15, s4
	s_mul_i32 s41, s15, s4
	s_mul_i32 s61, s58, s12
	s_mul_hi_u32 s4, s58, s4
	s_mul_hi_u32 s60, s58, s12
	s_add_u32 s4, s4, s61
	s_addc_u32 s60, 0, s60
	s_add_u32 s4, s4, s41
	s_mul_hi_u32 s13, s15, s12
	s_addc_u32 s4, s60, s14
	s_addc_u32 s13, s13, 0
	s_mul_i32 s12, s15, s12
	s_add_u32 s4, s4, s12
	s_addc_u32 s14, 0, s13
	s_add_u32 s4, s58, s4
	s_cselect_b64 s[12:13], -1, 0
	s_cmp_lg_u64 s[12:13], 0
	s_addc_u32 s12, s15, s14
	s_mul_i32 s14, s40, s12
	s_mul_hi_u32 s15, s40, s4
	s_mul_hi_u32 s13, s40, s12
	s_add_u32 s14, s15, s14
	s_addc_u32 s13, 0, s13
	s_mul_hi_u32 s41, s5, s4
	s_mul_i32 s4, s5, s4
	s_add_u32 s4, s14, s4
	s_mul_hi_u32 s15, s5, s12
	s_addc_u32 s4, s13, s41
	s_addc_u32 s13, s15, 0
	s_mul_i32 s12, s5, s12
	s_add_u32 s4, s4, s12
	s_addc_u32 s12, 0, s13
	s_mul_i32 s12, s33, s12
	s_mul_hi_u32 s13, s33, s4
	s_add_i32 s14, s13, s12
	s_mul_i32 s4, s33, s4
	s_sub_u32 s4, s40, s4
	s_cselect_b64 s[12:13], -1, 0
	s_cmp_lg_u64 s[12:13], 0
	s_subb_u32 s14, s5, s14
	s_sub_u32 s15, s4, s33
	s_cselect_b64 s[12:13], -1, 0
	s_cmp_lg_u64 s[12:13], 0
	s_subb_u32 s41, s14, 0
	;; [unrolled: 4-line block ×3, first 2 shown]
	s_cmp_ge_u32 s15, s33
	s_cselect_b32 s13, -1, 0
	s_cmp_eq_u32 s41, 0
	s_cselect_b32 s13, s13, -1
	s_cmp_lg_u32 s13, 0
	s_cselect_b32 s12, s12, s41
	s_cselect_b32 s15, s58, s15
	s_cmp_ge_u32 s4, s33
	s_cselect_b32 s13, -1, 0
	s_cmp_eq_u32 s14, 0
	s_cselect_b32 s13, s13, -1
	s_cmp_lg_u32 s13, 0
	s_cselect_b32 s13, s12, s14
	s_cselect_b32 s12, s15, s4
	s_cbranch_execnz .LBB213_110
.LBB213_109:                            ;   in Loop: Header=BB213_31 Depth=1
	v_cvt_f32_u32_e32 v2, s33
	s_sub_i32 s4, 0, s33
	v_rcp_iflag_f32_e32 v2, v2
	v_mul_f32_e32 v2, 0x4f7ffffe, v2
	v_cvt_u32_f32_e32 v2, v2
	v_readfirstlane_b32 s12, v2
	s_mul_i32 s4, s4, s12
	s_mul_hi_u32 s4, s12, s4
	s_add_i32 s12, s12, s4
	s_mul_hi_u32 s4, s40, s12
	s_mul_i32 s4, s4, s33
	s_sub_i32 s4, s40, s4
	s_sub_i32 s12, s4, s33
	s_cmp_ge_u32 s4, s33
	s_cselect_b32 s4, s12, s4
	s_sub_i32 s12, s4, s33
	s_cmp_ge_u32 s4, s33
	s_cselect_b32 s58, s12, s4
	s_mov_b64 s[12:13], s[58:59]
.LBB213_110:                            ;   in Loop: Header=BB213_31 Depth=1
	s_sub_u32 s40, s40, s12
	s_subb_u32 s41, s5, s13
	v_cmp_gt_u64_e32 vcc, s[40:41], v[0:1]
	s_mov_b64 s[12:13], 0
	s_mov_b64 s[4:5], 0
                                        ; implicit-def: $vgpr8
	s_and_saveexec_b64 s[14:15], vcc
	s_cbranch_execz .LBB213_123
; %bb.111:                              ;   in Loop: Header=BB213_31 Depth=1
	v_mov_b32_e32 v5, v1
	v_mov_b32_e32 v2, v49
	;; [unrolled: 1-line block ×3, first 2 shown]
                                        ; implicit-def: $sgpr60_sgpr61
	s_branch .LBB213_115
.LBB213_112:                            ;   in Loop: Header=BB213_115 Depth=2
	s_or_b64 exec, exec, s[62:63]
	s_waitcnt lgkmcnt(0)
	s_barrier
	ds_read_b32 v6, v3 offset:3072
	s_waitcnt lgkmcnt(0)
	s_barrier
	v_cmp_neq_f16_e32 vcc, 0, v6
	s_cbranch_vccnz .LBB213_118
; %bb.113:                              ;   in Loop: Header=BB213_115 Depth=2
	v_add_co_u32_e32 v4, vcc, s33, v4
	v_addc_co_u32_e32 v5, vcc, 0, v5, vcc
	v_cmp_le_u64_e32 vcc, s[40:41], v[4:5]
	v_add_u32_e32 v2, s67, v2
	s_mov_b64 s[62:63], 0
	s_orn2_b64 s[64:65], vcc, exec
.LBB213_114:                            ;   in Loop: Header=BB213_115 Depth=2
	s_and_b64 s[64:65], exec, s[64:65]
	s_or_b64 s[4:5], s[64:65], s[4:5]
	s_andn2_b64 s[60:61], s[60:61], exec
	s_and_b64 s[62:63], s[62:63], exec
	s_or_b64 s[60:61], s[60:61], s[62:63]
	s_andn2_b64 exec, exec, s[4:5]
	s_cbranch_execz .LBB213_122
.LBB213_115:                            ;   Parent Loop BB213_31 Depth=1
                                        ; =>  This Inner Loop Header: Depth=2
	v_cmp_gt_u64_e32 vcc, s[10:11], v[4:5]
	s_and_saveexec_b64 s[62:63], vcc
	s_cbranch_execz .LBB213_112
; %bb.116:                              ;   in Loop: Header=BB213_115 Depth=2
	ds_read_u16 v6, v2
	s_waitcnt lgkmcnt(0)
	v_cmp_lt_i16_e32 vcc, -1, v6
	v_cndmask_b32_e32 v7, v51, v52, vcc
	v_xor_b32_sdwa v7, v7, v6 dst_sel:DWORD dst_unused:UNUSED_PAD src0_sel:DWORD src1_sel:WORD_0
	v_cmp_o_f16_e32 vcc, v6, v6
	v_cndmask_b32_e32 v7, v51, v7, vcc
	v_and_b32_e32 v7, v7, v10
	v_cmp_eq_u32_e32 vcc, v7, v11
	s_and_b64 exec, exec, vcc
	s_cbranch_execz .LBB213_112
; %bb.117:                              ;   in Loop: Header=BB213_115 Depth=2
	s_movk_i32 s58, 0x3c00
	v_perm_b32 v6, v6, s58, v55
	ds_write_b32 v3, v6 offset:3072
	s_branch .LBB213_112
.LBB213_118:                            ;   in Loop: Header=BB213_115 Depth=2
	s_mov_b64 s[64:65], -1
                                        ; implicit-def: $vgpr4_vgpr5
                                        ; implicit-def: $vgpr2
	s_mov_b64 s[62:63], -1
	s_branch .LBB213_114
.LBB213_119:                            ;   in Loop: Header=BB213_31 Depth=1
	s_or_b64 exec, exec, s[4:5]
	s_waitcnt lgkmcnt(0)
	s_barrier
	s_mov_b64 s[4:5], exec
	v_readlane_b32 s6, v59, 8
	v_readlane_b32 s7, v59, 9
	s_and_b64 s[6:7], s[4:5], s[6:7]
	s_mov_b64 exec, s[6:7]
	s_cbranch_execz .LBB213_121
; %bb.120:                              ;   in Loop: Header=BB213_31 Depth=1
	ds_read_b32 v4, v3 offset:5144
	s_waitcnt lgkmcnt(0)
	v_ashrrev_i32_e32 v5, 31, v4
	ds_write_b64 v3, v[4:5] offset:5120
.LBB213_121:                            ;   in Loop: Header=BB213_31 Depth=1
	s_or_b64 exec, exec, s[4:5]
	s_waitcnt lgkmcnt(0)
	s_barrier
	s_mov_b64 s[4:5], -1
	s_and_b64 vcc, exec, s[2:3]
	s_cbranch_vccnz .LBB213_46
	s_branch .LBB213_61
.LBB213_122:                            ;   in Loop: Header=BB213_31 Depth=1
	s_or_b64 exec, exec, s[4:5]
	v_lshrrev_b32_e32 v8, 16, v6
	s_and_b64 s[4:5], s[60:61], exec
.LBB213_123:                            ;   in Loop: Header=BB213_31 Depth=1
	s_or_b64 exec, exec, s[14:15]
.LBB213_124:                            ;   in Loop: Header=BB213_31 Depth=1
	s_and_b64 vcc, exec, s[12:13]
	s_cbranch_vccz .LBB213_139
; %bb.125:                              ;   in Loop: Header=BB213_31 Depth=1
	v_readlane_b32 s42, v59, 31
	v_readlane_b32 s43, v59, 32
	s_mov_b32 s42, s59
	s_cmp_lg_u64 s[42:43], 0
	v_writelane_b32 v59, s42, 31
	v_writelane_b32 v59, s43, 32
	s_cbranch_scc0 .LBB213_168
; %bb.126:                              ;   in Loop: Header=BB213_31 Depth=1
	v_cvt_f32_u32_e32 v2, s33
	s_sub_u32 s12, 0, s33
	s_subb_u32 s13, 0, 0
	v_mac_f32_e32 v2, 0, v53
	v_rcp_f32_e32 v2, v2
	v_mul_f32_e32 v2, 0x5f7ffffc, v2
	v_mul_f32_e32 v4, 0x2f800000, v2
	v_trunc_f32_e32 v4, v4
	v_mac_f32_e32 v2, 0xcf800000, v4
	v_cvt_u32_f32_e32 v4, v4
	v_cvt_u32_f32_e32 v2, v2
	v_readfirstlane_b32 s14, v4
	v_readfirstlane_b32 s10, v2
	s_mul_i32 s11, s12, s14
	s_mul_hi_u32 s20, s12, s10
	s_mul_i32 s15, s13, s10
	s_add_i32 s11, s20, s11
	s_mul_i32 s21, s12, s10
	s_add_i32 s11, s11, s15
	s_mul_hi_u32 s20, s10, s21
	s_mul_i32 s40, s10, s11
	s_mul_hi_u32 s15, s10, s11
	s_add_u32 s20, s20, s40
	s_addc_u32 s15, 0, s15
	s_mul_hi_u32 s41, s14, s21
	s_mul_i32 s21, s14, s21
	s_add_u32 s20, s20, s21
	s_mul_hi_u32 s40, s14, s11
	s_addc_u32 s15, s15, s41
	s_addc_u32 s20, s40, 0
	s_mul_i32 s11, s14, s11
	s_add_u32 s11, s15, s11
	s_addc_u32 s15, 0, s20
	s_add_u32 s20, s10, s11
	s_cselect_b64 s[10:11], -1, 0
	s_cmp_lg_u64 s[10:11], 0
	s_addc_u32 s14, s14, s15
	s_mul_i32 s10, s12, s14
	s_mul_hi_u32 s11, s12, s20
	s_add_i32 s10, s11, s10
	s_mul_i32 s13, s13, s20
	s_add_i32 s10, s10, s13
	s_mul_i32 s12, s12, s20
	s_mul_hi_u32 s13, s14, s12
	s_mul_i32 s15, s14, s12
	s_mul_i32 s40, s20, s10
	s_mul_hi_u32 s12, s20, s12
	s_mul_hi_u32 s21, s20, s10
	s_add_u32 s12, s12, s40
	s_addc_u32 s21, 0, s21
	s_add_u32 s12, s12, s15
	s_mul_hi_u32 s11, s14, s10
	s_addc_u32 s12, s21, s13
	s_addc_u32 s11, s11, 0
	s_mul_i32 s10, s14, s10
	s_add_u32 s10, s12, s10
	s_addc_u32 s12, 0, s11
	s_add_u32 s13, s20, s10
	s_cselect_b64 s[10:11], -1, 0
	s_cmp_lg_u64 s[10:11], 0
	s_addc_u32 s10, s14, s12
	v_readlane_b32 s20, v59, 29
	s_mul_i32 s12, s20, s10
	s_mul_hi_u32 s14, s20, s13
	s_mul_hi_u32 s11, s20, s10
	s_add_u32 s12, s14, s12
	s_addc_u32 s11, 0, s11
	s_mul_hi_u32 s15, s43, s13
	s_mul_i32 s13, s43, s13
	s_add_u32 s12, s12, s13
	s_mul_hi_u32 s14, s43, s10
	s_addc_u32 s11, s11, s15
	s_addc_u32 s12, s14, 0
	s_mul_i32 s10, s43, s10
	s_add_u32 s10, s11, s10
	s_addc_u32 s11, 0, s12
	s_mul_i32 s11, s33, s11
	s_mul_hi_u32 s12, s33, s10
	s_add_i32 s12, s12, s11
	s_mul_i32 s10, s33, s10
	s_sub_u32 s13, s20, s10
	s_cselect_b64 s[10:11], -1, 0
	s_cmp_lg_u64 s[10:11], 0
	s_subb_u32 s12, s43, s12
	s_sub_u32 s14, s13, s33
	s_cselect_b64 s[10:11], -1, 0
	s_cmp_lg_u64 s[10:11], 0
	s_subb_u32 s15, s12, 0
	;; [unrolled: 4-line block ×3, first 2 shown]
	s_cmp_ge_u32 s14, s33
	s_cselect_b32 s11, -1, 0
	s_cmp_eq_u32 s15, 0
	s_cselect_b32 s11, s11, -1
	s_cmp_lg_u32 s11, 0
	s_cselect_b32 s10, s10, s15
	s_cselect_b32 s14, s20, s14
	s_cmp_ge_u32 s13, s33
	s_cselect_b32 s11, -1, 0
	s_cmp_eq_u32 s12, 0
	s_cselect_b32 s11, s11, -1
	s_cmp_lg_u32 s11, 0
	s_cselect_b32 s11, s10, s12
	s_cselect_b32 s10, s14, s13
	s_cbranch_execnz .LBB213_128
.LBB213_127:                            ;   in Loop: Header=BB213_31 Depth=1
	v_cvt_f32_u32_e32 v2, s33
	s_sub_i32 s10, 0, s33
	v_readlane_b32 s12, v59, 29
	v_rcp_iflag_f32_e32 v2, v2
	v_mul_f32_e32 v2, 0x4f7ffffe, v2
	v_cvt_u32_f32_e32 v2, v2
	v_readfirstlane_b32 s11, v2
	s_mul_i32 s10, s10, s11
	s_mul_hi_u32 s10, s11, s10
	s_add_i32 s11, s11, s10
	s_mul_hi_u32 s10, s12, s11
	s_mul_i32 s10, s10, s33
	s_sub_i32 s10, s12, s10
	s_sub_i32 s11, s10, s33
	s_cmp_ge_u32 s10, s33
	s_cselect_b32 s10, s11, s10
	s_sub_i32 s11, s10, s33
	s_cmp_ge_u32 s10, s33
	s_cselect_b32 s58, s11, s10
	s_mov_b64 s[10:11], s[58:59]
.LBB213_128:                            ;   in Loop: Header=BB213_31 Depth=1
	v_readlane_b32 s12, v59, 29
	v_readlane_b32 s14, v59, 31
	s_sub_u32 s12, s12, s10
	v_readlane_b32 s15, v59, 32
	s_subb_u32 s13, s15, s11
	v_cmp_gt_u64_e32 vcc, s[12:13], v[0:1]
                                        ; implicit-def: $vgpr8
	s_and_saveexec_b64 s[10:11], vcc
	s_cbranch_execz .LBB213_138
; %bb.129:                              ;   in Loop: Header=BB213_31 Depth=1
	v_mov_b32_e32 v4, v26
	v_mov_b32_e32 v7, v1
	s_mov_b64 s[14:15], 0
	v_mov_b32_e32 v5, v27
	v_mov_b32_e32 v6, v0
                                        ; implicit-def: $sgpr20_sgpr21
	s_branch .LBB213_133
.LBB213_130:                            ;   in Loop: Header=BB213_133 Depth=2
	s_or_b64 exec, exec, s[40:41]
	s_waitcnt lgkmcnt(0)
	s_barrier
	ds_read_b32 v2, v3 offset:3072
	s_waitcnt lgkmcnt(0)
	s_barrier
	v_cmp_neq_f16_e32 vcc, 0, v2
	s_cbranch_vccnz .LBB213_136
; %bb.131:                              ;   in Loop: Header=BB213_133 Depth=2
	v_add_co_u32_e32 v6, vcc, s33, v6
	v_addc_co_u32_e32 v7, vcc, 0, v7, vcc
	v_mov_b32_e32 v8, s37
	v_add_co_u32_e32 v4, vcc, s36, v4
	v_addc_co_u32_e32 v5, vcc, v5, v8, vcc
	v_cmp_le_u64_e32 vcc, s[12:13], v[6:7]
	s_mov_b64 s[40:41], 0
	s_orn2_b64 s[42:43], vcc, exec
.LBB213_132:                            ;   in Loop: Header=BB213_133 Depth=2
	s_and_b64 s[42:43], exec, s[42:43]
	s_or_b64 s[14:15], s[42:43], s[14:15]
	s_andn2_b64 s[20:21], s[20:21], exec
	s_and_b64 s[40:41], s[40:41], exec
	s_or_b64 s[20:21], s[20:21], s[40:41]
	s_andn2_b64 exec, exec, s[14:15]
	s_cbranch_execz .LBB213_137
.LBB213_133:                            ;   Parent Loop BB213_31 Depth=1
                                        ; =>  This Inner Loop Header: Depth=2
	v_cmp_gt_u64_e32 vcc, s[28:29], v[6:7]
	s_and_saveexec_b64 s[40:41], vcc
	s_cbranch_execz .LBB213_130
; %bb.134:                              ;   in Loop: Header=BB213_133 Depth=2
	global_load_ushort v2, v[4:5], off
	s_waitcnt vmcnt(0)
	v_cmp_lt_i16_e32 vcc, -1, v2
	v_cndmask_b32_e32 v8, v51, v52, vcc
	v_xor_b32_sdwa v8, v8, v2 dst_sel:DWORD dst_unused:UNUSED_PAD src0_sel:DWORD src1_sel:WORD_0
	v_cmp_o_f16_e32 vcc, v2, v2
	v_cndmask_b32_e32 v8, v51, v8, vcc
	v_and_b32_e32 v8, v8, v10
	v_cmp_eq_u32_e32 vcc, v8, v11
	s_and_b64 exec, exec, vcc
	s_cbranch_execz .LBB213_130
; %bb.135:                              ;   in Loop: Header=BB213_133 Depth=2
	s_movk_i32 s42, 0x3c00
	v_perm_b32 v2, v2, s42, v55
	ds_write_b32 v3, v2 offset:3072
	s_branch .LBB213_130
.LBB213_136:                            ;   in Loop: Header=BB213_133 Depth=2
	s_mov_b64 s[42:43], -1
                                        ; implicit-def: $vgpr6_vgpr7
                                        ; implicit-def: $vgpr4_vgpr5
	s_mov_b64 s[40:41], -1
	s_branch .LBB213_132
.LBB213_137:                            ;   in Loop: Header=BB213_31 Depth=1
	s_or_b64 exec, exec, s[14:15]
	s_andn2_b64 s[4:5], s[4:5], exec
	s_and_b64 s[12:13], s[20:21], exec
	v_lshrrev_b32_e32 v8, 16, v2
	s_or_b64 s[4:5], s[4:5], s[12:13]
.LBB213_138:                            ;   in Loop: Header=BB213_31 Depth=1
	s_or_b64 exec, exec, s[10:11]
	s_mov_b64 s[42:43], 0
	s_mov_b64 s[20:21], -1
.LBB213_139:                            ;   in Loop: Header=BB213_31 Depth=1
	s_orn2_b64 s[4:5], s[4:5], exec
.LBB213_140:                            ;   in Loop: Header=BB213_31 Depth=1
	s_or_b64 exec, exec, s[8:9]
	s_mov_b64 s[74:75], 0
	s_mov_b64 s[40:41], 0
	;; [unrolled: 1-line block ×3, first 2 shown]
                                        ; implicit-def: $vgpr4_vgpr5
                                        ; implicit-def: $vgpr2
	s_and_saveexec_b64 s[70:71], s[4:5]
	s_cbranch_execz .LBB213_306
; %bb.141:                              ;   in Loop: Header=BB213_31 Depth=1
	v_mov_b32_e32 v4, 1
	s_xor_b64 s[8:9], s[6:7], -1
	v_mov_b32_e32 v2, 1
	v_mov_b32_e32 v5, 0
	s_mov_b64 s[6:7], 0
	s_and_saveexec_b64 s[4:5], s[8:9]
	s_cbranch_execz .LBB213_150
; %bb.142:                              ;   in Loop: Header=BB213_31 Depth=1
	v_cmp_ge_u64_e32 vcc, s[22:23], v[29:30]
	s_and_saveexec_b64 s[6:7], vcc
	s_xor_b64 s[6:7], exec, s[6:7]
	s_cbranch_execz .LBB213_147
; %bb.143:                              ;   in Loop: Header=BB213_31 Depth=1
	ds_read_b64 v[4:5], v3 offset:5120
	v_readlane_b32 s8, v59, 57
	v_and_b32_e32 v11, s8, v11
	v_or_b32_e32 v10, s1, v10
	s_waitcnt lgkmcnt(0)
	v_cmp_ne_u64_e32 vcc, 0, v[4:5]
	s_cbranch_vccnz .LBB213_147
; %bb.144:                              ;   in Loop: Header=BB213_31 Depth=1
	s_mov_b64 s[8:9], exec
	v_readlane_b32 s10, v59, 8
	v_readlane_b32 s11, v59, 9
	s_and_b64 s[10:11], s[8:9], s[10:11]
	s_mov_b64 exec, s[10:11]
; %bb.145:                              ;   in Loop: Header=BB213_31 Depth=1
	v_mov_b32_e32 v4, s22
	v_mov_b32_e32 v5, s23
	ds_write_b64 v3, v[4:5] offset:5128
; %bb.146:                              ;   in Loop: Header=BB213_31 Depth=1
	s_or_b64 exec, exec, s[8:9]
	s_waitcnt lgkmcnt(0)
	s_barrier
.LBB213_147:                            ;   in Loop: Header=BB213_31 Depth=1
	s_or_saveexec_b64 s[6:7], s[6:7]
	v_mov_b32_e32 v4, v29
	s_mov_b64 s[8:9], 0
	v_mov_b32_e32 v2, 8
	v_mov_b32_e32 v5, v30
	s_xor_b64 exec, exec, s[6:7]
; %bb.148:                              ;   in Loop: Header=BB213_31 Depth=1
	v_subrev_co_u32_e32 v4, vcc, s22, v29
	v_mov_b32_e32 v2, s23
	v_subb_co_u32_e32 v5, vcc, v30, v2, vcc
	v_mov_b32_e32 v2, 0
	s_mov_b64 s[8:9], exec
; %bb.149:                              ;   in Loop: Header=BB213_31 Depth=1
	s_or_b64 exec, exec, s[6:7]
	s_and_b64 s[6:7], s[8:9], exec
.LBB213_150:                            ;   in Loop: Header=BB213_31 Depth=1
	s_or_b64 exec, exec, s[4:5]
	s_mov_b64 s[4:5], -1
                                        ; implicit-def: $sgpr14_sgpr15
                                        ; implicit-def: $sgpr40_sgpr41
	s_and_saveexec_b64 s[8:9], s[6:7]
	s_xor_b64 s[6:7], exec, s[8:9]
	s_cbranch_execz .LBB213_303
; %bb.151:                              ;   in Loop: Header=BB213_31 Depth=1
	s_cmp_eq_u64 s[48:49], 1
	v_cmp_eq_u64_e32 vcc, 1, v[4:5]
	s_cselect_b64 s[4:5], -1, 0
	s_and_b64 s[8:9], s[4:5], vcc
	s_mov_b64 s[4:5], -1
                                        ; implicit-def: $sgpr40_sgpr41
                                        ; implicit-def: $sgpr14_sgpr15
	s_and_saveexec_b64 s[10:11], s[8:9]
	s_cbranch_execz .LBB213_187
; %bb.152:                              ;   in Loop: Header=BB213_31 Depth=1
	ds_read_b64 v[6:7], v3 offset:5120
	s_waitcnt lgkmcnt(0)
	s_barrier
	v_readfirstlane_b32 s4, v6
	v_readfirstlane_b32 s5, v7
	s_mov_b64 s[12:13], exec
	v_readlane_b32 s14, v59, 24
	v_readlane_b32 s15, v59, 25
	s_and_b64 s[14:15], s[12:13], s[14:15]
	s_mov_b64 exec, s[14:15]
; %bb.153:                              ;   in Loop: Header=BB213_31 Depth=1
	ds_write_b16 v50, v3
; %bb.154:                              ;   in Loop: Header=BB213_31 Depth=1
	s_or_b64 exec, exec, s[12:13]
	v_readlane_b32 s12, v59, 57
	v_and_b32_e32 v6, s12, v11
	v_lshl_or_b32 v11, 1, s0, v6
	v_or_b32_e32 v10, s1, v10
	s_mov_b64 s[14:15], -1
	s_mov_b64 s[40:41], 0
	s_cmp_eq_u64 s[4:5], 0
	s_mov_b64 s[12:13], 0
	s_mov_b64 s[64:65], -1
	s_waitcnt lgkmcnt(0)
	s_barrier
                                        ; implicit-def: $vgpr8
	s_cbranch_scc1 .LBB213_171
; %bb.155:                              ;   in Loop: Header=BB213_31 Depth=1
	v_readlane_b32 s12, v59, 28
	s_add_u32 s64, s4, s12
	v_readlane_b32 s12, v59, 30
	s_addc_u32 s13, s5, s12
	s_mov_b32 s12, s59
	s_cmp_lg_u64 s[12:13], 0
	s_cbranch_scc0 .LBB213_214
; %bb.156:                              ;   in Loop: Header=BB213_31 Depth=1
	v_cvt_f32_u32_e32 v6, s33
	s_sub_u32 s12, 0, s33
	s_subb_u32 s58, 0, 0
	v_mac_f32_e32 v6, 0, v53
	v_rcp_f32_e32 v6, v6
	v_mul_f32_e32 v6, 0x5f7ffffc, v6
	v_mul_f32_e32 v7, 0x2f800000, v6
	v_trunc_f32_e32 v7, v7
	v_mac_f32_e32 v6, 0xcf800000, v7
	v_cvt_u32_f32_e32 v7, v7
	v_cvt_u32_f32_e32 v6, v6
	v_readfirstlane_b32 s62, v7
	v_readfirstlane_b32 s60, v6
	s_mul_i32 s61, s12, s62
	s_mul_hi_u32 s65, s12, s60
	s_mul_i32 s63, s58, s60
	s_add_i32 s61, s65, s61
	s_mul_i32 s68, s12, s60
	s_add_i32 s61, s61, s63
	s_mul_hi_u32 s65, s60, s68
	s_mul_i32 s69, s60, s61
	s_mul_hi_u32 s63, s60, s61
	s_add_u32 s65, s65, s69
	s_addc_u32 s63, 0, s63
	s_mul_hi_u32 s72, s62, s68
	s_mul_i32 s68, s62, s68
	s_add_u32 s65, s65, s68
	s_mul_hi_u32 s69, s62, s61
	s_addc_u32 s63, s63, s72
	s_addc_u32 s65, s69, 0
	s_mul_i32 s61, s62, s61
	s_add_u32 s61, s63, s61
	s_addc_u32 s63, 0, s65
	s_add_u32 s65, s60, s61
	s_cselect_b64 s[60:61], -1, 0
	s_cmp_lg_u64 s[60:61], 0
	s_addc_u32 s62, s62, s63
	s_mul_i32 s60, s12, s62
	s_mul_hi_u32 s61, s12, s65
	s_add_i32 s60, s61, s60
	s_mul_i32 s58, s58, s65
	s_add_i32 s60, s60, s58
	s_mul_i32 s12, s12, s65
	s_mul_hi_u32 s61, s62, s12
	s_mul_i32 s63, s62, s12
	s_mul_i32 s69, s65, s60
	s_mul_hi_u32 s12, s65, s12
	s_mul_hi_u32 s68, s65, s60
	s_add_u32 s12, s12, s69
	s_addc_u32 s68, 0, s68
	s_add_u32 s12, s12, s63
	s_mul_hi_u32 s58, s62, s60
	s_addc_u32 s12, s68, s61
	s_addc_u32 s58, s58, 0
	s_mul_i32 s60, s62, s60
	s_add_u32 s12, s12, s60
	s_addc_u32 s58, 0, s58
	s_add_u32 s12, s65, s12
	s_cselect_b64 s[60:61], -1, 0
	s_cmp_lg_u64 s[60:61], 0
	s_addc_u32 s58, s62, s58
	s_mul_i32 s61, s64, s58
	s_mul_hi_u32 s62, s64, s12
	s_mul_hi_u32 s60, s64, s58
	s_add_u32 s61, s62, s61
	s_addc_u32 s60, 0, s60
	s_mul_hi_u32 s63, s13, s12
	s_mul_i32 s12, s13, s12
	s_add_u32 s12, s61, s12
	s_mul_hi_u32 s62, s13, s58
	s_addc_u32 s12, s60, s63
	s_addc_u32 s60, s62, 0
	s_mul_i32 s58, s13, s58
	s_add_u32 s12, s12, s58
	s_addc_u32 s58, 0, s60
	s_mul_i32 s58, s33, s58
	s_mul_hi_u32 s60, s33, s12
	s_add_i32 s58, s60, s58
	s_mul_i32 s12, s33, s12
	s_sub_u32 s12, s64, s12
	s_cselect_b64 s[60:61], -1, 0
	s_cmp_lg_u64 s[60:61], 0
	s_subb_u32 s58, s13, s58
	s_sub_u32 s62, s12, s33
	s_cselect_b64 s[60:61], -1, 0
	s_cmp_lg_u64 s[60:61], 0
	s_subb_u32 s63, s58, 0
	s_sub_u32 s65, s62, s33
	s_cselect_b64 s[60:61], -1, 0
	s_cmp_lg_u64 s[60:61], 0
	s_subb_u32 s60, s63, 0
	s_cmp_ge_u32 s62, s33
	s_cselect_b32 s61, -1, 0
	s_cmp_eq_u32 s63, 0
	s_cselect_b32 s61, s61, -1
	s_cmp_lg_u32 s61, 0
	s_cselect_b32 s60, s60, s63
	s_cselect_b32 s62, s65, s62
	s_cmp_ge_u32 s12, s33
	s_cselect_b32 s61, -1, 0
	s_cmp_eq_u32 s58, 0
	s_cselect_b32 s61, s61, -1
	s_cmp_lg_u32 s61, 0
	s_cselect_b32 s61, s60, s58
	s_cselect_b32 s60, s62, s12
	s_cbranch_execnz .LBB213_158
.LBB213_157:                            ;   in Loop: Header=BB213_31 Depth=1
	v_cvt_f32_u32_e32 v6, s33
	s_sub_i32 s12, 0, s33
	v_rcp_iflag_f32_e32 v6, v6
	v_mul_f32_e32 v6, 0x4f7ffffe, v6
	v_cvt_u32_f32_e32 v6, v6
	v_readfirstlane_b32 s58, v6
	s_mul_i32 s12, s12, s58
	s_mul_hi_u32 s12, s58, s12
	s_add_i32 s58, s58, s12
	s_mul_hi_u32 s12, s64, s58
	s_mul_i32 s12, s12, s33
	s_sub_i32 s12, s64, s12
	s_sub_i32 s58, s12, s33
	s_cmp_ge_u32 s12, s33
	s_cselect_b32 s12, s58, s12
	s_sub_i32 s58, s12, s33
	s_cmp_ge_u32 s12, s33
	s_cselect_b32 s58, s58, s12
	s_mov_b64 s[60:61], s[58:59]
.LBB213_158:                            ;   in Loop: Header=BB213_31 Depth=1
	s_sub_u32 s60, s64, s60
	s_subb_u32 s61, s13, s61
	v_cmp_gt_u64_e32 vcc, s[60:61], v[0:1]
	s_mov_b64 s[64:65], 0
	s_mov_b64 s[12:13], 0
                                        ; implicit-def: $vgpr8
	s_and_saveexec_b64 s[72:73], vcc
	s_cbranch_execz .LBB213_170
; %bb.159:                              ;   in Loop: Header=BB213_31 Depth=1
	v_mov_b32_e32 v7, v1
	v_mov_b32_e32 v8, v49
	v_mov_b32_e32 v6, v0
                                        ; implicit-def: $sgpr62_sgpr63
	s_branch .LBB213_163
.LBB213_160:                            ;   in Loop: Header=BB213_163 Depth=2
	s_or_b64 exec, exec, s[68:69]
	s_waitcnt lgkmcnt(0)
	s_barrier
	ds_read_b32 v9, v3 offset:3072
	s_waitcnt lgkmcnt(0)
	s_barrier
	v_cmp_neq_f16_e32 vcc, 0, v9
	s_cbranch_vccnz .LBB213_166
; %bb.161:                              ;   in Loop: Header=BB213_163 Depth=2
	v_add_co_u32_e32 v6, vcc, s33, v6
	v_addc_co_u32_e32 v7, vcc, 0, v7, vcc
	v_cmp_le_u64_e32 vcc, s[60:61], v[6:7]
	v_add_u32_e32 v8, s67, v8
	s_mov_b64 s[68:69], 0
	s_orn2_b64 s[78:79], vcc, exec
.LBB213_162:                            ;   in Loop: Header=BB213_163 Depth=2
	s_and_b64 s[78:79], exec, s[78:79]
	s_or_b64 s[12:13], s[78:79], s[12:13]
	s_andn2_b64 s[62:63], s[62:63], exec
	s_and_b64 s[68:69], s[68:69], exec
	s_or_b64 s[62:63], s[62:63], s[68:69]
	s_andn2_b64 exec, exec, s[12:13]
	s_cbranch_execz .LBB213_169
.LBB213_163:                            ;   Parent Loop BB213_31 Depth=1
                                        ; =>  This Inner Loop Header: Depth=2
	v_cmp_gt_u64_e32 vcc, s[4:5], v[6:7]
	s_and_saveexec_b64 s[68:69], vcc
	s_cbranch_execz .LBB213_160
; %bb.164:                              ;   in Loop: Header=BB213_163 Depth=2
	ds_read_u16 v9, v8
	s_waitcnt lgkmcnt(0)
	v_cmp_lt_i16_e32 vcc, -1, v9
	v_cndmask_b32_e32 v31, v51, v52, vcc
	v_xor_b32_sdwa v31, v31, v9 dst_sel:DWORD dst_unused:UNUSED_PAD src0_sel:DWORD src1_sel:WORD_0
	v_cmp_o_f16_e32 vcc, v9, v9
	v_cndmask_b32_e32 v31, v51, v31, vcc
	v_and_b32_e32 v31, v31, v10
	v_cmp_eq_u32_e32 vcc, v31, v11
	s_and_b64 exec, exec, vcc
	s_cbranch_execz .LBB213_160
; %bb.165:                              ;   in Loop: Header=BB213_163 Depth=2
	s_movk_i32 s58, 0x3c00
	v_perm_b32 v9, v9, s58, v55
	ds_write_b32 v3, v9 offset:3072
	s_branch .LBB213_160
.LBB213_166:                            ;   in Loop: Header=BB213_163 Depth=2
	s_mov_b64 s[78:79], -1
                                        ; implicit-def: $vgpr6_vgpr7
                                        ; implicit-def: $vgpr8
	s_mov_b64 s[68:69], -1
	s_branch .LBB213_162
.LBB213_167:                            ;   in Loop: Header=BB213_31 Depth=1
                                        ; implicit-def: $sgpr12_sgpr13
	s_branch .LBB213_109
.LBB213_168:                            ;   in Loop: Header=BB213_31 Depth=1
                                        ; implicit-def: $sgpr10_sgpr11
	s_branch .LBB213_127
.LBB213_169:                            ;   in Loop: Header=BB213_31 Depth=1
	s_or_b64 exec, exec, s[12:13]
	v_lshrrev_b32_e32 v8, 16, v9
	s_and_b64 s[12:13], s[62:63], exec
.LBB213_170:                            ;   in Loop: Header=BB213_31 Depth=1
	s_or_b64 exec, exec, s[72:73]
.LBB213_171:                            ;   in Loop: Header=BB213_31 Depth=1
	s_and_b64 vcc, exec, s[64:65]
	s_cbranch_vccz .LBB213_186
; %bb.172:                              ;   in Loop: Header=BB213_31 Depth=1
	v_readlane_b32 s62, v59, 31
	v_readlane_b32 s63, v59, 32
	s_mov_b32 s62, s59
	s_cmp_lg_u64 s[62:63], 0
	v_writelane_b32 v59, s62, 31
	v_writelane_b32 v59, s63, 32
	s_cbranch_scc0 .LBB213_215
; %bb.173:                              ;   in Loop: Header=BB213_31 Depth=1
	v_cvt_f32_u32_e32 v6, s33
	s_sub_u32 s14, 0, s33
	s_subb_u32 s15, 0, 0
	v_mac_f32_e32 v6, 0, v53
	v_rcp_f32_e32 v6, v6
	v_mul_f32_e32 v6, 0x5f7ffffc, v6
	v_mul_f32_e32 v7, 0x2f800000, v6
	v_trunc_f32_e32 v7, v7
	v_mac_f32_e32 v6, 0xcf800000, v7
	v_cvt_u32_f32_e32 v7, v7
	v_cvt_u32_f32_e32 v6, v6
	v_readfirstlane_b32 s40, v7
	v_readfirstlane_b32 s4, v6
	s_mul_i32 s5, s14, s40
	s_mul_hi_u32 s58, s14, s4
	s_mul_i32 s41, s15, s4
	s_add_i32 s5, s58, s5
	s_mul_i32 s60, s14, s4
	s_add_i32 s5, s5, s41
	s_mul_hi_u32 s58, s4, s60
	s_mul_i32 s61, s4, s5
	s_mul_hi_u32 s41, s4, s5
	s_add_u32 s58, s58, s61
	s_addc_u32 s41, 0, s41
	s_mul_hi_u32 s62, s40, s60
	s_mul_i32 s60, s40, s60
	s_add_u32 s58, s58, s60
	s_mul_hi_u32 s61, s40, s5
	s_addc_u32 s41, s41, s62
	s_addc_u32 s58, s61, 0
	s_mul_i32 s5, s40, s5
	s_add_u32 s5, s41, s5
	s_addc_u32 s41, 0, s58
	s_add_u32 s58, s4, s5
	s_cselect_b64 s[4:5], -1, 0
	s_cmp_lg_u64 s[4:5], 0
	s_addc_u32 s40, s40, s41
	s_mul_i32 s4, s14, s40
	s_mul_hi_u32 s5, s14, s58
	s_add_i32 s4, s5, s4
	s_mul_i32 s15, s15, s58
	s_add_i32 s4, s4, s15
	s_mul_i32 s14, s14, s58
	s_mul_hi_u32 s15, s40, s14
	s_mul_i32 s41, s40, s14
	s_mul_i32 s61, s58, s4
	s_mul_hi_u32 s14, s58, s14
	s_mul_hi_u32 s60, s58, s4
	s_add_u32 s14, s14, s61
	s_addc_u32 s60, 0, s60
	s_add_u32 s14, s14, s41
	s_mul_hi_u32 s5, s40, s4
	s_addc_u32 s14, s60, s15
	s_addc_u32 s5, s5, 0
	s_mul_i32 s4, s40, s4
	s_add_u32 s4, s14, s4
	s_addc_u32 s14, 0, s5
	s_add_u32 s15, s58, s4
	s_cselect_b64 s[4:5], -1, 0
	s_cmp_lg_u64 s[4:5], 0
	s_addc_u32 s4, s40, s14
	v_readlane_b32 s58, v59, 29
	s_mul_i32 s14, s58, s4
	s_mul_hi_u32 s40, s58, s15
	s_mul_hi_u32 s5, s58, s4
	s_add_u32 s14, s40, s14
	s_addc_u32 s5, 0, s5
	s_mul_hi_u32 s41, s63, s15
	s_mul_i32 s15, s63, s15
	s_add_u32 s14, s14, s15
	s_mul_hi_u32 s40, s63, s4
	s_addc_u32 s5, s5, s41
	s_addc_u32 s14, s40, 0
	s_mul_i32 s4, s63, s4
	s_add_u32 s4, s5, s4
	s_addc_u32 s5, 0, s14
	s_mul_i32 s5, s33, s5
	s_mul_hi_u32 s14, s33, s4
	s_add_i32 s14, s14, s5
	s_mul_i32 s4, s33, s4
	s_sub_u32 s15, s58, s4
	s_cselect_b64 s[4:5], -1, 0
	s_cmp_lg_u64 s[4:5], 0
	s_subb_u32 s14, s63, s14
	s_sub_u32 s40, s15, s33
	s_cselect_b64 s[4:5], -1, 0
	s_cmp_lg_u64 s[4:5], 0
	s_subb_u32 s41, s14, 0
	s_sub_u32 s58, s40, s33
	s_cselect_b64 s[4:5], -1, 0
	s_cmp_lg_u64 s[4:5], 0
	s_subb_u32 s4, s41, 0
	s_cmp_ge_u32 s40, s33
	s_cselect_b32 s5, -1, 0
	s_cmp_eq_u32 s41, 0
	s_cselect_b32 s5, s5, -1
	s_cmp_lg_u32 s5, 0
	s_cselect_b32 s4, s4, s41
	s_cselect_b32 s40, s58, s40
	s_cmp_ge_u32 s15, s33
	s_cselect_b32 s5, -1, 0
	s_cmp_eq_u32 s14, 0
	s_cselect_b32 s5, s5, -1
	s_cmp_lg_u32 s5, 0
	s_cselect_b32 s5, s4, s14
	s_cselect_b32 s4, s40, s15
	s_cbranch_execnz .LBB213_175
.LBB213_174:                            ;   in Loop: Header=BB213_31 Depth=1
	v_cvt_f32_u32_e32 v6, s33
	s_sub_i32 s4, 0, s33
	v_readlane_b32 s14, v59, 29
	v_rcp_iflag_f32_e32 v6, v6
	v_mul_f32_e32 v6, 0x4f7ffffe, v6
	v_cvt_u32_f32_e32 v6, v6
	v_readfirstlane_b32 s5, v6
	s_mul_i32 s4, s4, s5
	s_mul_hi_u32 s4, s5, s4
	s_add_i32 s5, s5, s4
	s_mul_hi_u32 s4, s14, s5
	s_mul_i32 s4, s4, s33
	s_sub_i32 s4, s14, s4
	s_sub_i32 s5, s4, s33
	s_cmp_ge_u32 s4, s33
	s_cselect_b32 s4, s5, s4
	s_sub_i32 s5, s4, s33
	s_cmp_ge_u32 s4, s33
	s_cselect_b32 s58, s5, s4
	s_mov_b64 s[4:5], s[58:59]
.LBB213_175:                            ;   in Loop: Header=BB213_31 Depth=1
	v_readlane_b32 s14, v59, 29
	v_readlane_b32 s40, v59, 31
	s_sub_u32 s14, s14, s4
	v_readlane_b32 s41, v59, 32
	s_subb_u32 s15, s41, s5
	v_cmp_gt_u64_e32 vcc, s[14:15], v[0:1]
                                        ; implicit-def: $vgpr8
	s_and_saveexec_b64 s[4:5], vcc
	s_cbranch_execz .LBB213_185
; %bb.176:                              ;   in Loop: Header=BB213_31 Depth=1
	v_mov_b32_e32 v6, v26
	v_mov_b32_e32 v9, v1
	s_mov_b64 s[40:41], 0
	v_mov_b32_e32 v7, v27
	v_mov_b32_e32 v8, v0
                                        ; implicit-def: $sgpr60_sgpr61
	s_branch .LBB213_180
.LBB213_177:                            ;   in Loop: Header=BB213_180 Depth=2
	s_or_b64 exec, exec, s[62:63]
	s_waitcnt lgkmcnt(0)
	s_barrier
	ds_read_b32 v31, v3 offset:3072
	s_waitcnt lgkmcnt(0)
	s_barrier
	v_cmp_eq_f16_e32 vcc, 0, v31
	s_cbranch_vccz .LBB213_183
; %bb.178:                              ;   in Loop: Header=BB213_180 Depth=2
	v_add_co_u32_e32 v8, vcc, s33, v8
	v_addc_co_u32_e32 v9, vcc, 0, v9, vcc
	v_mov_b32_e32 v32, s37
	v_add_co_u32_e32 v6, vcc, s36, v6
	v_addc_co_u32_e32 v7, vcc, v7, v32, vcc
	v_cmp_le_u64_e32 vcc, s[14:15], v[8:9]
	s_mov_b64 s[62:63], 0
	s_orn2_b64 s[64:65], vcc, exec
.LBB213_179:                            ;   in Loop: Header=BB213_180 Depth=2
	s_and_b64 s[64:65], exec, s[64:65]
	s_or_b64 s[40:41], s[64:65], s[40:41]
	s_andn2_b64 s[60:61], s[60:61], exec
	s_and_b64 s[62:63], s[62:63], exec
	s_or_b64 s[60:61], s[60:61], s[62:63]
	s_andn2_b64 exec, exec, s[40:41]
	s_cbranch_execz .LBB213_184
.LBB213_180:                            ;   Parent Loop BB213_31 Depth=1
                                        ; =>  This Inner Loop Header: Depth=2
	v_cmp_gt_u64_e32 vcc, s[28:29], v[8:9]
	s_and_saveexec_b64 s[62:63], vcc
	s_cbranch_execz .LBB213_177
; %bb.181:                              ;   in Loop: Header=BB213_180 Depth=2
	global_load_ushort v31, v[6:7], off
	s_waitcnt vmcnt(0)
	v_cmp_lt_i16_e32 vcc, -1, v31
	v_cndmask_b32_e32 v32, v51, v52, vcc
	v_xor_b32_sdwa v32, v32, v31 dst_sel:DWORD dst_unused:UNUSED_PAD src0_sel:DWORD src1_sel:WORD_0
	v_cmp_o_f16_e32 vcc, v31, v31
	v_cndmask_b32_e32 v32, v51, v32, vcc
	v_and_b32_e32 v32, v32, v10
	v_cmp_eq_u32_e32 vcc, v32, v11
	s_and_b64 exec, exec, vcc
	s_cbranch_execz .LBB213_177
; %bb.182:                              ;   in Loop: Header=BB213_180 Depth=2
	s_movk_i32 s58, 0x3c00
	v_perm_b32 v31, v31, s58, v55
	ds_write_b32 v3, v31 offset:3072
	s_branch .LBB213_177
.LBB213_183:                            ;   in Loop: Header=BB213_180 Depth=2
	s_mov_b64 s[64:65], -1
                                        ; implicit-def: $vgpr8_vgpr9
                                        ; implicit-def: $vgpr6_vgpr7
	s_mov_b64 s[62:63], -1
	s_branch .LBB213_179
.LBB213_184:                            ;   in Loop: Header=BB213_31 Depth=1
	s_or_b64 exec, exec, s[40:41]
	s_andn2_b64 s[12:13], s[12:13], exec
	s_and_b64 s[14:15], s[60:61], exec
	v_lshrrev_b32_e32 v8, 16, v31
	s_or_b64 s[12:13], s[12:13], s[14:15]
.LBB213_185:                            ;   in Loop: Header=BB213_31 Depth=1
	s_or_b64 exec, exec, s[4:5]
	s_mov_b64 s[14:15], 0
	s_mov_b64 s[40:41], -1
.LBB213_186:                            ;   in Loop: Header=BB213_31 Depth=1
	s_orn2_b64 s[4:5], s[12:13], exec
.LBB213_187:                            ;   in Loop: Header=BB213_31 Depth=1
	s_or_b64 exec, exec, s[10:11]
	s_mov_b64 s[10:11], 0
	s_and_saveexec_b64 s[72:73], s[4:5]
	s_cbranch_execz .LBB213_302
; %bb.188:                              ;   in Loop: Header=BB213_31 Depth=1
	v_mov_b32_e32 v6, 1
	s_xor_b64 s[8:9], s[8:9], -1
	v_mov_b32_e32 v2, 1
	v_mov_b32_e32 v7, 0
	s_and_saveexec_b64 s[4:5], s[8:9]
	s_cbranch_execz .LBB213_197
; %bb.189:                              ;   in Loop: Header=BB213_31 Depth=1
	v_cmp_ge_u64_e32 vcc, s[48:49], v[4:5]
	s_and_saveexec_b64 s[8:9], vcc
	s_xor_b64 s[8:9], exec, s[8:9]
	s_cbranch_execz .LBB213_194
; %bb.190:                              ;   in Loop: Header=BB213_31 Depth=1
	ds_read_b64 v[6:7], v3 offset:5120
	v_readlane_b32 s10, v59, 57
	v_and_b32_e32 v2, s10, v11
	v_lshl_or_b32 v11, 1, s0, v2
	v_or_b32_e32 v10, s1, v10
	s_waitcnt lgkmcnt(0)
	v_cmp_ne_u64_e32 vcc, 0, v[6:7]
	s_cbranch_vccnz .LBB213_194
; %bb.191:                              ;   in Loop: Header=BB213_31 Depth=1
	s_mov_b64 s[10:11], exec
	v_readlane_b32 s12, v59, 8
	v_readlane_b32 s13, v59, 9
	s_and_b64 s[12:13], s[10:11], s[12:13]
	s_mov_b64 exec, s[12:13]
; %bb.192:                              ;   in Loop: Header=BB213_31 Depth=1
	v_mov_b32_e32 v6, s48
	v_mov_b32_e32 v7, s49
	ds_write_b64 v3, v[6:7] offset:5128
; %bb.193:                              ;   in Loop: Header=BB213_31 Depth=1
	s_or_b64 exec, exec, s[10:11]
	s_waitcnt lgkmcnt(0)
	s_barrier
.LBB213_194:                            ;   in Loop: Header=BB213_31 Depth=1
	s_or_saveexec_b64 s[8:9], s[8:9]
	s_mov_b64 s[10:11], 0
	v_mov_b32_e32 v2, 8
	s_xor_b64 exec, exec, s[8:9]
; %bb.195:                              ;   in Loop: Header=BB213_31 Depth=1
	v_subrev_co_u32_e32 v4, vcc, s48, v4
	v_mov_b32_e32 v2, s49
	v_subb_co_u32_e32 v5, vcc, v5, v2, vcc
	v_mov_b32_e32 v2, 0
	s_mov_b64 s[10:11], exec
; %bb.196:                              ;   in Loop: Header=BB213_31 Depth=1
	s_or_b64 exec, exec, s[8:9]
	v_mov_b32_e32 v7, v5
	s_and_b64 s[10:11], s[10:11], exec
	v_mov_b32_e32 v6, v4
.LBB213_197:                            ;   in Loop: Header=BB213_31 Depth=1
	s_or_b64 exec, exec, s[4:5]
	s_mov_b64 s[4:5], -1
                                        ; implicit-def: $sgpr62_sgpr63
                                        ; implicit-def: $sgpr8_sgpr9
                                        ; kill: killed $sgpr8_sgpr9
	s_and_saveexec_b64 s[60:61], s[10:11]
	s_cbranch_execz .LBB213_301
; %bb.198:                              ;   in Loop: Header=BB213_31 Depth=1
	s_cmp_eq_u64 s[16:17], 1
	v_cmp_eq_u64_e32 vcc, 1, v[6:7]
	s_cselect_b64 s[4:5], -1, 0
	v_writelane_b32 v59, s60, 60
	s_and_b64 s[78:79], s[4:5], vcc
	s_mov_b64 s[4:5], -1
	v_writelane_b32 v59, s61, 61
                                        ; implicit-def: $sgpr8_sgpr9
                                        ; kill: killed $sgpr8_sgpr9
                                        ; implicit-def: $sgpr62_sgpr63
	s_and_saveexec_b64 s[12:13], s[78:79]
	s_cbranch_execz .LBB213_235
; %bb.199:                              ;   in Loop: Header=BB213_31 Depth=1
	ds_read_b64 v[4:5], v3 offset:5120
	s_waitcnt lgkmcnt(0)
	s_barrier
	v_readfirstlane_b32 s10, v4
	v_readfirstlane_b32 s11, v5
	s_mov_b64 s[4:5], exec
	v_readlane_b32 s8, v59, 24
	v_readlane_b32 s9, v59, 25
	s_and_b64 s[8:9], s[4:5], s[8:9]
	s_mov_b64 exec, s[8:9]
; %bb.200:                              ;   in Loop: Header=BB213_31 Depth=1
	ds_write_b16 v50, v3
; %bb.201:                              ;   in Loop: Header=BB213_31 Depth=1
	s_or_b64 exec, exec, s[4:5]
	v_readlane_b32 s4, v59, 57
	v_and_b32_e32 v4, s4, v11
	s_mov_b64 s[4:5], 0
	v_writelane_b32 v59, s4, 58
	v_lshl_or_b32 v11, 2, s0, v4
	v_or_b32_e32 v10, s1, v10
	v_writelane_b32 v59, s5, 59
	s_cmp_eq_u64 s[10:11], 0
	s_mov_b64 s[4:5], 0
	s_mov_b64 s[64:65], -1
	s_waitcnt lgkmcnt(0)
	s_barrier
                                        ; implicit-def: $vgpr8
	s_cbranch_scc1 .LBB213_218
; %bb.202:                              ;   in Loop: Header=BB213_31 Depth=1
	v_readlane_b32 s4, v59, 28
	s_add_u32 s62, s10, s4
	v_readlane_b32 s4, v59, 30
	s_addc_u32 s5, s11, s4
	s_mov_b32 s4, s59
	s_cmp_lg_u64 s[4:5], 0
	s_cbranch_scc0 .LBB213_252
; %bb.203:                              ;   in Loop: Header=BB213_31 Depth=1
	v_cvt_f32_u32_e32 v4, s33
	s_sub_u32 s4, 0, s33
	s_subb_u32 s58, 0, 0
	v_mac_f32_e32 v4, 0, v53
	v_rcp_f32_e32 v4, v4
	v_mul_f32_e32 v4, 0x5f7ffffc, v4
	v_mul_f32_e32 v5, 0x2f800000, v4
	v_trunc_f32_e32 v5, v5
	v_mac_f32_e32 v4, 0xcf800000, v5
	v_cvt_u32_f32_e32 v5, v5
	v_cvt_u32_f32_e32 v4, v4
	v_readfirstlane_b32 s60, v5
	v_readfirstlane_b32 s8, v4
	s_mul_i32 s9, s4, s60
	s_mul_hi_u32 s63, s4, s8
	s_mul_i32 s61, s58, s8
	s_add_i32 s9, s63, s9
	s_mul_i32 s64, s4, s8
	s_add_i32 s9, s9, s61
	s_mul_hi_u32 s63, s8, s64
	s_mul_i32 s65, s8, s9
	s_mul_hi_u32 s61, s8, s9
	s_add_u32 s63, s63, s65
	s_addc_u32 s61, 0, s61
	s_mul_hi_u32 s68, s60, s64
	s_mul_i32 s64, s60, s64
	s_add_u32 s63, s63, s64
	s_mul_hi_u32 s65, s60, s9
	s_addc_u32 s61, s61, s68
	s_addc_u32 s63, s65, 0
	s_mul_i32 s9, s60, s9
	s_add_u32 s9, s61, s9
	s_addc_u32 s61, 0, s63
	s_add_u32 s63, s8, s9
	s_cselect_b64 s[8:9], -1, 0
	s_cmp_lg_u64 s[8:9], 0
	s_addc_u32 s60, s60, s61
	s_mul_i32 s8, s4, s60
	s_mul_hi_u32 s9, s4, s63
	s_add_i32 s8, s9, s8
	s_mul_i32 s58, s58, s63
	s_add_i32 s8, s8, s58
	s_mul_i32 s4, s4, s63
	s_mul_hi_u32 s58, s60, s4
	s_mul_i32 s61, s60, s4
	s_mul_i32 s65, s63, s8
	s_mul_hi_u32 s4, s63, s4
	s_mul_hi_u32 s64, s63, s8
	s_add_u32 s4, s4, s65
	s_addc_u32 s64, 0, s64
	s_add_u32 s4, s4, s61
	s_mul_hi_u32 s9, s60, s8
	s_addc_u32 s4, s64, s58
	s_addc_u32 s9, s9, 0
	s_mul_i32 s8, s60, s8
	s_add_u32 s4, s4, s8
	s_addc_u32 s58, 0, s9
	s_add_u32 s4, s63, s4
	s_cselect_b64 s[8:9], -1, 0
	s_cmp_lg_u64 s[8:9], 0
	s_addc_u32 s8, s60, s58
	s_mul_i32 s58, s62, s8
	s_mul_hi_u32 s60, s62, s4
	s_mul_hi_u32 s9, s62, s8
	s_add_u32 s58, s60, s58
	s_addc_u32 s9, 0, s9
	s_mul_hi_u32 s61, s5, s4
	s_mul_i32 s4, s5, s4
	s_add_u32 s4, s58, s4
	s_mul_hi_u32 s60, s5, s8
	s_addc_u32 s4, s9, s61
	s_addc_u32 s9, s60, 0
	s_mul_i32 s8, s5, s8
	s_add_u32 s4, s4, s8
	s_addc_u32 s8, 0, s9
	s_mul_i32 s8, s33, s8
	s_mul_hi_u32 s9, s33, s4
	s_add_i32 s58, s9, s8
	s_mul_i32 s4, s33, s4
	s_sub_u32 s4, s62, s4
	s_cselect_b64 s[8:9], -1, 0
	s_cmp_lg_u64 s[8:9], 0
	s_subb_u32 s58, s5, s58
	s_sub_u32 s60, s4, s33
	s_cselect_b64 s[8:9], -1, 0
	s_cmp_lg_u64 s[8:9], 0
	s_subb_u32 s61, s58, 0
	;; [unrolled: 4-line block ×3, first 2 shown]
	s_cmp_ge_u32 s60, s33
	s_cselect_b32 s9, -1, 0
	s_cmp_eq_u32 s61, 0
	s_cselect_b32 s9, s9, -1
	s_cmp_lg_u32 s9, 0
	s_cselect_b32 s8, s8, s61
	s_cselect_b32 s9, s63, s60
	s_cmp_ge_u32 s4, s33
	s_cselect_b32 s60, -1, 0
	s_cmp_eq_u32 s58, 0
	s_cselect_b32 s60, s60, -1
	s_cmp_lg_u32 s60, 0
	s_cselect_b32 s61, s8, s58
	s_cselect_b32 s60, s9, s4
	s_cbranch_execnz .LBB213_205
.LBB213_204:                            ;   in Loop: Header=BB213_31 Depth=1
	v_cvt_f32_u32_e32 v4, s33
	s_sub_i32 s4, 0, s33
	v_rcp_iflag_f32_e32 v4, v4
	v_mul_f32_e32 v4, 0x4f7ffffe, v4
	v_cvt_u32_f32_e32 v4, v4
	v_readfirstlane_b32 s8, v4
	s_mul_i32 s4, s4, s8
	s_mul_hi_u32 s4, s8, s4
	s_add_i32 s8, s8, s4
	s_mul_hi_u32 s4, s62, s8
	s_mul_i32 s4, s4, s33
	s_sub_i32 s4, s62, s4
	s_sub_i32 s8, s4, s33
	s_cmp_ge_u32 s4, s33
	s_cselect_b32 s4, s8, s4
	s_sub_i32 s8, s4, s33
	s_cmp_ge_u32 s4, s33
	s_cselect_b32 s58, s8, s4
	s_mov_b64 s[60:61], s[58:59]
.LBB213_205:                            ;   in Loop: Header=BB213_31 Depth=1
	s_sub_u32 s62, s62, s60
	s_subb_u32 s63, s5, s61
	v_cmp_gt_u64_e32 vcc, s[62:63], v[0:1]
	s_mov_b64 s[64:65], 0
	s_mov_b64 s[4:5], 0
                                        ; implicit-def: $vgpr8
	s_and_saveexec_b64 s[60:61], vcc
	s_cbranch_execz .LBB213_217
; %bb.206:                              ;   in Loop: Header=BB213_31 Depth=1
	v_mov_b32_e32 v5, v1
	v_mov_b32_e32 v8, v49
	;; [unrolled: 1-line block ×3, first 2 shown]
                                        ; implicit-def: $sgpr68_sgpr69
	s_branch .LBB213_210
.LBB213_207:                            ;   in Loop: Header=BB213_210 Depth=2
	s_or_b64 exec, exec, s[8:9]
	s_waitcnt lgkmcnt(0)
	s_barrier
	ds_read_b32 v9, v3 offset:3072
	s_waitcnt lgkmcnt(0)
	s_barrier
	v_cmp_neq_f16_e32 vcc, 0, v9
	s_cbranch_vccnz .LBB213_213
; %bb.208:                              ;   in Loop: Header=BB213_210 Depth=2
	v_add_co_u32_e32 v4, vcc, s33, v4
	v_addc_co_u32_e32 v5, vcc, 0, v5, vcc
	v_cmp_le_u64_e32 vcc, s[62:63], v[4:5]
	v_add_u32_e32 v8, s67, v8
	s_mov_b64 s[8:9], 0
	s_orn2_b64 vcc, vcc, exec
.LBB213_209:                            ;   in Loop: Header=BB213_210 Depth=2
	s_and_b64 vcc, exec, vcc
	s_or_b64 s[4:5], vcc, s[4:5]
	s_andn2_b64 s[68:69], s[68:69], exec
	s_and_b64 s[8:9], s[8:9], exec
	s_or_b64 s[68:69], s[68:69], s[8:9]
	s_andn2_b64 exec, exec, s[4:5]
	s_cbranch_execz .LBB213_216
.LBB213_210:                            ;   Parent Loop BB213_31 Depth=1
                                        ; =>  This Inner Loop Header: Depth=2
	v_cmp_gt_u64_e32 vcc, s[10:11], v[4:5]
	s_and_saveexec_b64 s[8:9], vcc
	s_cbranch_execz .LBB213_207
; %bb.211:                              ;   in Loop: Header=BB213_210 Depth=2
	ds_read_u16 v9, v8
	s_waitcnt lgkmcnt(0)
	v_cmp_lt_i16_e32 vcc, -1, v9
	v_cndmask_b32_e32 v31, v51, v52, vcc
	v_xor_b32_sdwa v31, v31, v9 dst_sel:DWORD dst_unused:UNUSED_PAD src0_sel:DWORD src1_sel:WORD_0
	v_cmp_o_f16_e32 vcc, v9, v9
	v_cndmask_b32_e32 v31, v51, v31, vcc
	v_and_b32_e32 v31, v31, v10
	v_cmp_eq_u32_e32 vcc, v31, v11
	s_and_b64 exec, exec, vcc
	s_cbranch_execz .LBB213_207
; %bb.212:                              ;   in Loop: Header=BB213_210 Depth=2
	s_movk_i32 s58, 0x3c00
	v_perm_b32 v9, v9, s58, v55
	ds_write_b32 v3, v9 offset:3072
	s_branch .LBB213_207
.LBB213_213:                            ;   in Loop: Header=BB213_210 Depth=2
	s_mov_b64 vcc, -1
                                        ; implicit-def: $vgpr4_vgpr5
                                        ; implicit-def: $vgpr8
	s_mov_b64 s[8:9], -1
	s_branch .LBB213_209
.LBB213_214:                            ;   in Loop: Header=BB213_31 Depth=1
                                        ; implicit-def: $sgpr60_sgpr61
	s_branch .LBB213_157
.LBB213_215:                            ;   in Loop: Header=BB213_31 Depth=1
                                        ; implicit-def: $sgpr4_sgpr5
	s_branch .LBB213_174
.LBB213_216:                            ;   in Loop: Header=BB213_31 Depth=1
	s_or_b64 exec, exec, s[4:5]
	v_lshrrev_b32_e32 v8, 16, v9
	s_and_b64 s[4:5], s[68:69], exec
.LBB213_217:                            ;   in Loop: Header=BB213_31 Depth=1
	s_or_b64 exec, exec, s[60:61]
.LBB213_218:                            ;   in Loop: Header=BB213_31 Depth=1
	s_and_b64 vcc, exec, s[64:65]
	s_cbranch_vccz .LBB213_231
; %bb.219:                              ;   in Loop: Header=BB213_31 Depth=1
	v_readlane_b32 s64, v59, 31
	v_readlane_b32 s65, v59, 32
	s_mov_b32 s64, s59
	s_cmp_lg_u64 s[64:65], 0
	v_writelane_b32 v59, s64, 31
	v_writelane_b32 v59, s65, 32
	s_cbranch_scc0 .LBB213_253
; %bb.220:                              ;   in Loop: Header=BB213_31 Depth=1
	v_cvt_f32_u32_e32 v4, s33
	s_sub_u32 s10, 0, s33
	s_subb_u32 s11, 0, 0
	v_mac_f32_e32 v4, 0, v53
	v_rcp_f32_e32 v4, v4
	v_mul_f32_e32 v4, 0x5f7ffffc, v4
	v_mul_f32_e32 v5, 0x2f800000, v4
	v_trunc_f32_e32 v5, v5
	v_mac_f32_e32 v4, 0xcf800000, v5
	v_cvt_u32_f32_e32 v5, v5
	v_cvt_u32_f32_e32 v4, v4
	v_readfirstlane_b32 s58, v5
	v_readfirstlane_b32 s8, v4
	s_mul_i32 s9, s10, s58
	s_mul_hi_u32 s61, s10, s8
	s_mul_i32 s60, s11, s8
	s_add_i32 s9, s61, s9
	s_mul_i32 s62, s10, s8
	s_add_i32 s9, s9, s60
	s_mul_hi_u32 s61, s8, s62
	s_mul_i32 s63, s8, s9
	s_mul_hi_u32 s60, s8, s9
	s_add_u32 s61, s61, s63
	s_addc_u32 s60, 0, s60
	s_mul_hi_u32 s64, s58, s62
	s_mul_i32 s62, s58, s62
	s_add_u32 s61, s61, s62
	s_mul_hi_u32 s63, s58, s9
	s_addc_u32 s60, s60, s64
	s_addc_u32 s61, s63, 0
	s_mul_i32 s9, s58, s9
	s_add_u32 s9, s60, s9
	s_addc_u32 s60, 0, s61
	s_add_u32 s61, s8, s9
	s_cselect_b64 s[8:9], -1, 0
	s_cmp_lg_u64 s[8:9], 0
	s_addc_u32 s58, s58, s60
	s_mul_i32 s8, s10, s58
	s_mul_hi_u32 s9, s10, s61
	s_add_i32 s8, s9, s8
	s_mul_i32 s11, s11, s61
	s_add_i32 s8, s8, s11
	s_mul_i32 s10, s10, s61
	s_mul_hi_u32 s11, s58, s10
	s_mul_i32 s60, s58, s10
	s_mul_i32 s63, s61, s8
	s_mul_hi_u32 s10, s61, s10
	s_mul_hi_u32 s62, s61, s8
	s_add_u32 s10, s10, s63
	s_addc_u32 s62, 0, s62
	s_add_u32 s10, s10, s60
	s_mul_hi_u32 s9, s58, s8
	s_addc_u32 s10, s62, s11
	s_addc_u32 s9, s9, 0
	s_mul_i32 s8, s58, s8
	s_add_u32 s8, s10, s8
	s_addc_u32 s10, 0, s9
	s_add_u32 s11, s61, s8
	s_cselect_b64 s[8:9], -1, 0
	s_cmp_lg_u64 s[8:9], 0
	s_addc_u32 s8, s58, s10
	v_readlane_b32 s61, v59, 29
	s_mul_i32 s10, s61, s8
	s_mul_hi_u32 s58, s61, s11
	s_mul_hi_u32 s9, s61, s8
	s_add_u32 s10, s58, s10
	s_addc_u32 s9, 0, s9
	s_mul_hi_u32 s60, s65, s11
	s_mul_i32 s11, s65, s11
	s_add_u32 s10, s10, s11
	s_mul_hi_u32 s58, s65, s8
	s_addc_u32 s9, s9, s60
	s_addc_u32 s10, s58, 0
	s_mul_i32 s8, s65, s8
	s_add_u32 s8, s9, s8
	s_addc_u32 s9, 0, s10
	s_mul_i32 s9, s33, s9
	s_mul_hi_u32 s10, s33, s8
	s_add_i32 s10, s10, s9
	s_mul_i32 s8, s33, s8
	s_sub_u32 s58, s61, s8
	s_cselect_b64 s[8:9], -1, 0
	s_cmp_lg_u64 s[8:9], 0
	s_subb_u32 s10, s65, s10
	s_sub_u32 s11, s58, s33
	s_cselect_b64 s[8:9], -1, 0
	s_cmp_lg_u64 s[8:9], 0
	s_subb_u32 s60, s10, 0
	;; [unrolled: 4-line block ×3, first 2 shown]
	s_cmp_ge_u32 s11, s33
	s_cselect_b32 s9, -1, 0
	s_cmp_eq_u32 s60, 0
	s_cselect_b32 s9, s9, -1
	s_cmp_lg_u32 s9, 0
	s_cselect_b32 s8, s8, s60
	s_cselect_b32 s9, s61, s11
	s_cmp_ge_u32 s58, s33
	s_cselect_b32 s11, -1, 0
	s_cmp_eq_u32 s10, 0
	s_cselect_b32 s11, s11, -1
	s_cmp_lg_u32 s11, 0
	s_cselect_b32 s11, s8, s10
	s_cselect_b32 s10, s9, s58
	s_cbranch_execnz .LBB213_222
.LBB213_221:                            ;   in Loop: Header=BB213_31 Depth=1
	v_cvt_f32_u32_e32 v4, s33
	s_sub_i32 s8, 0, s33
	v_readlane_b32 s10, v59, 29
	v_rcp_iflag_f32_e32 v4, v4
	v_mul_f32_e32 v4, 0x4f7ffffe, v4
	v_cvt_u32_f32_e32 v4, v4
	v_readfirstlane_b32 s9, v4
	s_mul_i32 s8, s8, s9
	s_mul_hi_u32 s8, s9, s8
	s_add_i32 s9, s9, s8
	s_mul_hi_u32 s8, s10, s9
	s_mul_i32 s8, s8, s33
	s_sub_i32 s8, s10, s8
	s_sub_i32 s9, s8, s33
	s_cmp_ge_u32 s8, s33
	s_cselect_b32 s8, s9, s8
	s_sub_i32 s9, s8, s33
	s_cmp_ge_u32 s8, s33
	s_cselect_b32 s58, s9, s8
	s_mov_b64 s[10:11], s[58:59]
.LBB213_222:                            ;   in Loop: Header=BB213_31 Depth=1
	v_readlane_b32 s8, v59, 29
	s_sub_u32 s64, s8, s10
	v_readlane_b32 s8, v59, 31
	v_readlane_b32 s9, v59, 32
	s_subb_u32 s65, s9, s11
	v_cmp_gt_u64_e32 vcc, s[64:65], v[0:1]
                                        ; implicit-def: $vgpr8
	s_and_saveexec_b64 s[10:11], vcc
	s_cbranch_execz .LBB213_233
; %bb.223:                              ;   in Loop: Header=BB213_31 Depth=1
	v_mov_b32_e32 v4, v26
	v_mov_b32_e32 v9, v1
	s_mov_b64 s[60:61], 0
	v_mov_b32_e32 v5, v27
	v_mov_b32_e32 v8, v0
                                        ; implicit-def: $sgpr62_sgpr63
	s_branch .LBB213_227
.LBB213_224:                            ;   in Loop: Header=BB213_227 Depth=2
	s_or_b64 exec, exec, s[8:9]
	s_waitcnt lgkmcnt(0)
	s_barrier
	ds_read_b32 v31, v3 offset:3072
	s_waitcnt lgkmcnt(0)
	s_barrier
	v_cmp_eq_f16_e32 vcc, 0, v31
	s_cbranch_vccz .LBB213_230
; %bb.225:                              ;   in Loop: Header=BB213_227 Depth=2
	v_add_co_u32_e32 v8, vcc, s33, v8
	v_addc_co_u32_e32 v9, vcc, 0, v9, vcc
	v_mov_b32_e32 v32, s37
	v_add_co_u32_e32 v4, vcc, s36, v4
	v_addc_co_u32_e32 v5, vcc, v5, v32, vcc
	v_cmp_le_u64_e32 vcc, s[64:65], v[8:9]
	s_mov_b64 s[8:9], 0
	s_orn2_b64 s[68:69], vcc, exec
.LBB213_226:                            ;   in Loop: Header=BB213_227 Depth=2
	s_and_b64 s[68:69], exec, s[68:69]
	s_or_b64 s[60:61], s[68:69], s[60:61]
	s_andn2_b64 s[62:63], s[62:63], exec
	s_and_b64 s[8:9], s[8:9], exec
	s_or_b64 s[62:63], s[62:63], s[8:9]
	s_andn2_b64 exec, exec, s[60:61]
	s_cbranch_execz .LBB213_232
.LBB213_227:                            ;   Parent Loop BB213_31 Depth=1
                                        ; =>  This Inner Loop Header: Depth=2
	v_cmp_gt_u64_e32 vcc, s[28:29], v[8:9]
	s_and_saveexec_b64 s[8:9], vcc
	s_cbranch_execz .LBB213_224
; %bb.228:                              ;   in Loop: Header=BB213_227 Depth=2
	global_load_ushort v31, v[4:5], off
	s_waitcnt vmcnt(0)
	v_cmp_lt_i16_e32 vcc, -1, v31
	v_cndmask_b32_e32 v32, v51, v52, vcc
	v_xor_b32_sdwa v32, v32, v31 dst_sel:DWORD dst_unused:UNUSED_PAD src0_sel:DWORD src1_sel:WORD_0
	v_cmp_o_f16_e32 vcc, v31, v31
	v_cndmask_b32_e32 v32, v51, v32, vcc
	v_and_b32_e32 v32, v32, v10
	v_cmp_eq_u32_e32 vcc, v32, v11
	s_and_b64 exec, exec, vcc
	s_cbranch_execz .LBB213_224
; %bb.229:                              ;   in Loop: Header=BB213_227 Depth=2
	s_movk_i32 s58, 0x3c00
	v_perm_b32 v31, v31, s58, v55
	ds_write_b32 v3, v31 offset:3072
	s_branch .LBB213_224
.LBB213_230:                            ;   in Loop: Header=BB213_227 Depth=2
	s_mov_b64 s[68:69], -1
                                        ; implicit-def: $vgpr8_vgpr9
                                        ; implicit-def: $vgpr4_vgpr5
	s_mov_b64 s[8:9], -1
	s_branch .LBB213_226
.LBB213_231:                            ;   in Loop: Header=BB213_31 Depth=1
	s_mov_b64 s[62:63], -1
	s_branch .LBB213_234
.LBB213_232:                            ;   in Loop: Header=BB213_31 Depth=1
	s_or_b64 exec, exec, s[60:61]
	s_andn2_b64 s[4:5], s[4:5], exec
	s_and_b64 s[8:9], s[62:63], exec
	v_lshrrev_b32_e32 v8, 16, v31
	s_or_b64 s[4:5], s[4:5], s[8:9]
.LBB213_233:                            ;   in Loop: Header=BB213_31 Depth=1
	s_or_b64 exec, exec, s[10:11]
	s_mov_b64 s[8:9], -1
	v_writelane_b32 v59, s8, 58
	s_mov_b64 s[62:63], 0
	v_writelane_b32 v59, s9, 59
.LBB213_234:                            ;   in Loop: Header=BB213_31 Depth=1
	s_orn2_b64 s[4:5], s[4:5], exec
.LBB213_235:                            ;   in Loop: Header=BB213_31 Depth=1
	s_or_b64 exec, exec, s[12:13]
	s_mov_b64 s[10:11], 0
	s_and_saveexec_b64 s[12:13], s[4:5]
	v_readlane_b32 s60, v59, 60
	v_readlane_b32 s61, v59, 61
	s_cbranch_execz .LBB213_300
; %bb.236:                              ;   in Loop: Header=BB213_31 Depth=1
	v_mov_b32_e32 v4, 1
	s_xor_b64 s[8:9], s[78:79], -1
	v_mov_b32_e32 v2, 1
	v_mov_b32_e32 v5, 0
	s_and_saveexec_b64 s[4:5], s[8:9]
	s_cbranch_execz .LBB213_245
; %bb.237:                              ;   in Loop: Header=BB213_31 Depth=1
	v_cmp_ge_u64_e32 vcc, s[16:17], v[6:7]
	s_and_saveexec_b64 s[8:9], vcc
	s_xor_b64 s[10:11], exec, s[8:9]
	s_cbranch_execz .LBB213_242
; %bb.238:                              ;   in Loop: Header=BB213_31 Depth=1
	ds_read_b64 v[4:5], v3 offset:5120
	v_readlane_b32 s8, v59, 57
	v_and_b32_e32 v2, s8, v11
	v_lshl_or_b32 v11, 2, s0, v2
	v_or_b32_e32 v10, s1, v10
	s_waitcnt lgkmcnt(0)
	v_cmp_ne_u64_e32 vcc, 0, v[4:5]
	s_cbranch_vccnz .LBB213_242
; %bb.239:                              ;   in Loop: Header=BB213_31 Depth=1
	s_mov_b64 s[8:9], exec
	v_readlane_b32 s60, v59, 8
	v_readlane_b32 s61, v59, 9
	s_and_b64 s[60:61], s[8:9], s[60:61]
	s_mov_b64 exec, s[60:61]
; %bb.240:                              ;   in Loop: Header=BB213_31 Depth=1
	v_mov_b32_e32 v4, s16
	v_mov_b32_e32 v5, s17
	ds_write_b64 v3, v[4:5] offset:5128
; %bb.241:                              ;   in Loop: Header=BB213_31 Depth=1
	s_or_b64 exec, exec, s[8:9]
	s_waitcnt lgkmcnt(0)
	s_barrier
.LBB213_242:                            ;   in Loop: Header=BB213_31 Depth=1
	s_or_saveexec_b64 s[10:11], s[10:11]
	s_mov_b64 s[60:61], 0
	v_mov_b32_e32 v2, 8
	s_xor_b64 exec, exec, s[10:11]
; %bb.243:                              ;   in Loop: Header=BB213_31 Depth=1
	v_subrev_co_u32_e32 v6, vcc, s16, v6
	v_mov_b32_e32 v2, s17
	v_subb_co_u32_e32 v7, vcc, v7, v2, vcc
	v_mov_b32_e32 v2, 0
	s_mov_b64 s[60:61], exec
; %bb.244:                              ;   in Loop: Header=BB213_31 Depth=1
	s_or_b64 exec, exec, s[10:11]
	s_and_b64 s[10:11], s[60:61], exec
	v_mov_b32_e32 v4, v6
	v_readlane_b32 s60, v59, 60
	v_mov_b32_e32 v5, v7
	v_readlane_b32 s61, v59, 61
.LBB213_245:                            ;   in Loop: Header=BB213_31 Depth=1
	s_or_b64 exec, exec, s[4:5]
	s_mov_b64 s[4:5], -1
                                        ; implicit-def: $sgpr78_sgpr79
                                        ; implicit-def: $sgpr64_sgpr65
	s_mov_b64 s[8:9], exec
	v_writelane_b32 v59, s8, 62
	v_writelane_b32 v59, s9, 63
	s_and_b64 s[8:9], s[8:9], s[10:11]
	s_mov_b64 exec, s[8:9]
	s_cbranch_execz .LBB213_299
; %bb.246:                              ;   in Loop: Header=BB213_31 Depth=1
                                        ; implicit-def: $vgpr58 : SGPR spill to VGPR lane
	s_cmp_eq_u64 s[2:3], 1
	v_cmp_eq_u64_e32 vcc, 1, v[4:5]
	v_writelane_b32 v58, s62, 0
	s_cselect_b64 s[4:5], -1, 0
	s_mov_b64 s[10:11], -1
	v_writelane_b32 v58, s63, 1
	s_and_b64 s[4:5], s[4:5], vcc
                                        ; implicit-def: $sgpr78_sgpr79
                                        ; implicit-def: $sgpr64_sgpr65
	s_mov_b64 s[8:9], exec
	v_writelane_b32 v58, s4, 2
	v_writelane_b32 v58, s5, 3
	;; [unrolled: 1-line block ×3, first 2 shown]
	s_and_b64 s[4:5], s[8:9], s[4:5]
	v_writelane_b32 v58, s9, 5
	s_mov_b64 exec, s[4:5]
	s_cbranch_execz .LBB213_287
; %bb.247:                              ;   in Loop: Header=BB213_31 Depth=1
	ds_read_b64 v[6:7], v3 offset:5120
	s_waitcnt lgkmcnt(0)
	s_barrier
	v_readfirstlane_b32 s10, v6
	v_readfirstlane_b32 s11, v7
	s_mov_b64 s[4:5], exec
	v_readlane_b32 s8, v59, 24
	v_readlane_b32 s9, v59, 25
	s_and_b64 s[8:9], s[4:5], s[8:9]
	s_mov_b64 exec, s[8:9]
; %bb.248:                              ;   in Loop: Header=BB213_31 Depth=1
	ds_write_b16 v50, v3
; %bb.249:                              ;   in Loop: Header=BB213_31 Depth=1
	s_or_b64 exec, exec, s[4:5]
	v_or_b32_e32 v11, s1, v11
	v_or_b32_e32 v10, s1, v10
	s_mov_b64 s[78:79], 0
	s_cmp_eq_u64 s[10:11], 0
	s_mov_b64 s[4:5], 0
	s_mov_b64 s[64:65], -1
	s_waitcnt lgkmcnt(0)
	s_barrier
                                        ; implicit-def: $vgpr8
	s_cbranch_scc1 .LBB213_268
; %bb.250:                              ;   in Loop: Header=BB213_31 Depth=1
	v_readlane_b32 s4, v59, 28
	s_add_u32 s62, s10, s4
	v_readlane_b32 s4, v59, 30
	s_addc_u32 s5, s11, s4
	s_mov_b32 s4, s59
	s_cmp_lg_u64 s[4:5], 0
	s_cbranch_scc0 .LBB213_254
; %bb.251:                              ;   in Loop: Header=BB213_31 Depth=1
	v_cvt_f32_u32_e32 v6, s33
	s_sub_u32 s4, 0, s33
	s_subb_u32 s58, 0, 0
	v_mac_f32_e32 v6, 0, v53
	v_rcp_f32_e32 v6, v6
	v_mul_f32_e32 v6, 0x5f7ffffc, v6
	v_mul_f32_e32 v7, 0x2f800000, v6
	v_trunc_f32_e32 v7, v7
	v_mac_f32_e32 v6, 0xcf800000, v7
	v_cvt_u32_f32_e32 v7, v7
	v_cvt_u32_f32_e32 v6, v6
	v_readfirstlane_b32 s60, v7
	v_readfirstlane_b32 s8, v6
	s_mul_i32 s9, s4, s60
	s_mul_hi_u32 s63, s4, s8
	s_mul_i32 s61, s58, s8
	s_add_i32 s9, s63, s9
	s_mul_i32 s64, s4, s8
	s_add_i32 s9, s9, s61
	s_mul_hi_u32 s63, s8, s64
	s_mul_i32 s65, s8, s9
	s_mul_hi_u32 s61, s8, s9
	s_add_u32 s63, s63, s65
	s_addc_u32 s61, 0, s61
	s_mul_hi_u32 s68, s60, s64
	s_mul_i32 s64, s60, s64
	s_add_u32 s63, s63, s64
	s_mul_hi_u32 s65, s60, s9
	s_addc_u32 s61, s61, s68
	s_addc_u32 s63, s65, 0
	s_mul_i32 s9, s60, s9
	s_add_u32 s9, s61, s9
	s_addc_u32 s61, 0, s63
	s_add_u32 s63, s8, s9
	s_cselect_b64 s[8:9], -1, 0
	s_cmp_lg_u64 s[8:9], 0
	s_addc_u32 s60, s60, s61
	s_mul_i32 s8, s4, s60
	s_mul_hi_u32 s9, s4, s63
	s_add_i32 s8, s9, s8
	s_mul_i32 s58, s58, s63
	s_add_i32 s8, s8, s58
	s_mul_i32 s4, s4, s63
	s_mul_hi_u32 s58, s60, s4
	s_mul_i32 s61, s60, s4
	s_mul_i32 s65, s63, s8
	s_mul_hi_u32 s4, s63, s4
	s_mul_hi_u32 s64, s63, s8
	s_add_u32 s4, s4, s65
	s_addc_u32 s64, 0, s64
	s_add_u32 s4, s4, s61
	s_mul_hi_u32 s9, s60, s8
	s_addc_u32 s4, s64, s58
	s_addc_u32 s9, s9, 0
	s_mul_i32 s8, s60, s8
	s_add_u32 s4, s4, s8
	s_addc_u32 s58, 0, s9
	s_add_u32 s4, s63, s4
	s_cselect_b64 s[8:9], -1, 0
	s_cmp_lg_u64 s[8:9], 0
	s_addc_u32 s8, s60, s58
	s_mul_i32 s58, s62, s8
	s_mul_hi_u32 s60, s62, s4
	s_mul_hi_u32 s9, s62, s8
	s_add_u32 s58, s60, s58
	s_addc_u32 s9, 0, s9
	s_mul_hi_u32 s61, s5, s4
	s_mul_i32 s4, s5, s4
	s_add_u32 s4, s58, s4
	s_mul_hi_u32 s60, s5, s8
	s_addc_u32 s4, s9, s61
	s_addc_u32 s9, s60, 0
	s_mul_i32 s8, s5, s8
	s_add_u32 s4, s4, s8
	s_addc_u32 s8, 0, s9
	s_mul_i32 s8, s33, s8
	s_mul_hi_u32 s9, s33, s4
	s_add_i32 s58, s9, s8
	s_mul_i32 s4, s33, s4
	s_sub_u32 s4, s62, s4
	s_cselect_b64 s[8:9], -1, 0
	s_cmp_lg_u64 s[8:9], 0
	s_subb_u32 s58, s5, s58
	s_sub_u32 s60, s4, s33
	s_cselect_b64 s[8:9], -1, 0
	s_cmp_lg_u64 s[8:9], 0
	s_subb_u32 s61, s58, 0
	;; [unrolled: 4-line block ×3, first 2 shown]
	s_cmp_ge_u32 s60, s33
	s_cselect_b32 s9, -1, 0
	s_cmp_eq_u32 s61, 0
	s_cselect_b32 s9, s9, -1
	s_cmp_lg_u32 s9, 0
	s_cselect_b32 s8, s8, s61
	s_cselect_b32 s9, s63, s60
	s_cmp_ge_u32 s4, s33
	s_cselect_b32 s60, -1, 0
	s_cmp_eq_u32 s58, 0
	s_cselect_b32 s60, s60, -1
	s_cmp_lg_u32 s60, 0
	s_cselect_b32 s61, s8, s58
	s_cselect_b32 s60, s9, s4
	s_mov_b64 s[8:9], 0
	s_branch .LBB213_255
.LBB213_252:                            ;   in Loop: Header=BB213_31 Depth=1
                                        ; implicit-def: $sgpr60_sgpr61
	s_branch .LBB213_204
.LBB213_253:                            ;   in Loop: Header=BB213_31 Depth=1
                                        ; implicit-def: $sgpr10_sgpr11
	s_branch .LBB213_221
.LBB213_254:                            ;   in Loop: Header=BB213_31 Depth=1
	s_mov_b64 s[8:9], -1
                                        ; implicit-def: $sgpr60_sgpr61
.LBB213_255:                            ;   in Loop: Header=BB213_31 Depth=1
	s_andn2_b64 vcc, exec, s[8:9]
	s_cbranch_vccnz .LBB213_257
; %bb.256:                              ;   in Loop: Header=BB213_31 Depth=1
	v_cvt_f32_u32_e32 v6, s33
	s_sub_i32 s4, 0, s33
	v_rcp_iflag_f32_e32 v6, v6
	v_mul_f32_e32 v6, 0x4f7ffffe, v6
	v_cvt_u32_f32_e32 v6, v6
	v_readfirstlane_b32 s8, v6
	s_mul_i32 s4, s4, s8
	s_mul_hi_u32 s4, s8, s4
	s_add_i32 s8, s8, s4
	s_mul_hi_u32 s4, s62, s8
	s_mul_i32 s4, s4, s33
	s_sub_i32 s4, s62, s4
	s_sub_i32 s8, s4, s33
	s_cmp_ge_u32 s4, s33
	s_cselect_b32 s4, s8, s4
	s_sub_i32 s8, s4, s33
	s_cmp_ge_u32 s4, s33
	s_cselect_b32 s58, s8, s4
	s_mov_b64 s[60:61], s[58:59]
.LBB213_257:                            ;   in Loop: Header=BB213_31 Depth=1
	s_sub_u32 s62, s62, s60
	s_subb_u32 s63, s5, s61
	v_cmp_gt_u64_e32 vcc, s[62:63], v[0:1]
	s_mov_b64 s[64:65], 0
	s_mov_b64 s[4:5], 0
                                        ; implicit-def: $vgpr8
	s_and_saveexec_b64 s[60:61], vcc
	s_cbranch_execz .LBB213_267
; %bb.258:                              ;   in Loop: Header=BB213_31 Depth=1
	v_mov_b32_e32 v7, v1
	v_mov_b32_e32 v8, v49
	;; [unrolled: 1-line block ×3, first 2 shown]
                                        ; implicit-def: $sgpr68_sgpr69
	s_branch .LBB213_262
.LBB213_259:                            ;   in Loop: Header=BB213_262 Depth=2
	s_or_b64 exec, exec, s[8:9]
	s_waitcnt lgkmcnt(0)
	s_barrier
	ds_read_b32 v9, v3 offset:3072
	s_waitcnt lgkmcnt(0)
	s_barrier
	v_cmp_neq_f16_e32 vcc, 0, v9
	s_cbranch_vccnz .LBB213_265
; %bb.260:                              ;   in Loop: Header=BB213_262 Depth=2
	v_add_co_u32_e32 v6, vcc, s33, v6
	v_addc_co_u32_e32 v7, vcc, 0, v7, vcc
	v_cmp_le_u64_e32 vcc, s[62:63], v[6:7]
	v_add_u32_e32 v8, s67, v8
	s_mov_b64 s[8:9], 0
	s_orn2_b64 vcc, vcc, exec
.LBB213_261:                            ;   in Loop: Header=BB213_262 Depth=2
	s_and_b64 vcc, exec, vcc
	s_or_b64 s[4:5], vcc, s[4:5]
	s_andn2_b64 s[68:69], s[68:69], exec
	s_and_b64 s[8:9], s[8:9], exec
	s_or_b64 s[68:69], s[68:69], s[8:9]
	s_andn2_b64 exec, exec, s[4:5]
	s_cbranch_execz .LBB213_266
.LBB213_262:                            ;   Parent Loop BB213_31 Depth=1
                                        ; =>  This Inner Loop Header: Depth=2
	v_cmp_gt_u64_e32 vcc, s[10:11], v[6:7]
	s_and_saveexec_b64 s[8:9], vcc
	s_cbranch_execz .LBB213_259
; %bb.263:                              ;   in Loop: Header=BB213_262 Depth=2
	ds_read_u16 v9, v8
	s_waitcnt lgkmcnt(0)
	v_cmp_lt_i16_e32 vcc, -1, v9
	v_cndmask_b32_e32 v31, v51, v52, vcc
	v_xor_b32_sdwa v31, v31, v9 dst_sel:DWORD dst_unused:UNUSED_PAD src0_sel:DWORD src1_sel:WORD_0
	v_cmp_o_f16_e32 vcc, v9, v9
	v_cndmask_b32_e32 v31, v51, v31, vcc
	v_and_b32_e32 v31, v31, v10
	v_cmp_eq_u32_e32 vcc, v31, v11
	s_and_b64 exec, exec, vcc
	s_cbranch_execz .LBB213_259
; %bb.264:                              ;   in Loop: Header=BB213_262 Depth=2
	s_movk_i32 s58, 0x3c00
	v_perm_b32 v9, v9, s58, v55
	ds_write_b32 v3, v9 offset:3072
	s_branch .LBB213_259
.LBB213_265:                            ;   in Loop: Header=BB213_262 Depth=2
	s_mov_b64 vcc, -1
                                        ; implicit-def: $vgpr6_vgpr7
                                        ; implicit-def: $vgpr8
	s_mov_b64 s[8:9], -1
	s_branch .LBB213_261
.LBB213_266:                            ;   in Loop: Header=BB213_31 Depth=1
	s_or_b64 exec, exec, s[4:5]
	v_lshrrev_b32_e32 v8, 16, v9
	s_and_b64 s[4:5], s[68:69], exec
.LBB213_267:                            ;   in Loop: Header=BB213_31 Depth=1
	s_or_b64 exec, exec, s[60:61]
.LBB213_268:                            ;   in Loop: Header=BB213_31 Depth=1
	s_and_b64 vcc, exec, s[64:65]
	s_cbranch_vccz .LBB213_271
; %bb.269:                              ;   in Loop: Header=BB213_31 Depth=1
	v_readlane_b32 s64, v59, 31
	v_readlane_b32 s65, v59, 32
	s_mov_b32 s64, s59
	s_cmp_lg_u64 s[64:65], 0
	v_writelane_b32 v59, s64, 31
	v_writelane_b32 v59, s65, 32
	s_cbranch_scc0 .LBB213_272
; %bb.270:                              ;   in Loop: Header=BB213_31 Depth=1
	v_cvt_f32_u32_e32 v6, s33
	s_sub_u32 s10, 0, s33
	s_subb_u32 s11, 0, 0
	v_mac_f32_e32 v6, 0, v53
	v_rcp_f32_e32 v6, v6
	v_mul_f32_e32 v6, 0x5f7ffffc, v6
	v_mul_f32_e32 v7, 0x2f800000, v6
	v_trunc_f32_e32 v7, v7
	v_mac_f32_e32 v6, 0xcf800000, v7
	v_cvt_u32_f32_e32 v7, v7
	v_cvt_u32_f32_e32 v6, v6
	v_readfirstlane_b32 s58, v7
	v_readfirstlane_b32 s8, v6
	s_mul_i32 s9, s10, s58
	s_mul_hi_u32 s61, s10, s8
	s_mul_i32 s60, s11, s8
	s_add_i32 s9, s61, s9
	s_mul_i32 s62, s10, s8
	s_add_i32 s9, s9, s60
	s_mul_hi_u32 s61, s8, s62
	s_mul_i32 s63, s8, s9
	s_mul_hi_u32 s60, s8, s9
	s_add_u32 s61, s61, s63
	s_addc_u32 s60, 0, s60
	s_mul_hi_u32 s64, s58, s62
	s_mul_i32 s62, s58, s62
	s_add_u32 s61, s61, s62
	s_mul_hi_u32 s63, s58, s9
	s_addc_u32 s60, s60, s64
	s_addc_u32 s61, s63, 0
	s_mul_i32 s9, s58, s9
	s_add_u32 s9, s60, s9
	s_addc_u32 s60, 0, s61
	s_add_u32 s61, s8, s9
	s_cselect_b64 s[8:9], -1, 0
	s_cmp_lg_u64 s[8:9], 0
	s_addc_u32 s58, s58, s60
	s_mul_i32 s8, s10, s58
	s_mul_hi_u32 s9, s10, s61
	s_add_i32 s8, s9, s8
	s_mul_i32 s11, s11, s61
	s_add_i32 s8, s8, s11
	s_mul_i32 s10, s10, s61
	s_mul_hi_u32 s11, s58, s10
	s_mul_i32 s60, s58, s10
	s_mul_i32 s63, s61, s8
	s_mul_hi_u32 s10, s61, s10
	s_mul_hi_u32 s62, s61, s8
	s_add_u32 s10, s10, s63
	s_addc_u32 s62, 0, s62
	s_add_u32 s10, s10, s60
	s_mul_hi_u32 s9, s58, s8
	s_addc_u32 s10, s62, s11
	s_addc_u32 s9, s9, 0
	s_mul_i32 s8, s58, s8
	s_add_u32 s8, s10, s8
	s_addc_u32 s10, 0, s9
	s_add_u32 s11, s61, s8
	s_cselect_b64 s[8:9], -1, 0
	s_cmp_lg_u64 s[8:9], 0
	s_addc_u32 s8, s58, s10
	v_readlane_b32 s61, v59, 29
	s_mul_i32 s10, s61, s8
	s_mul_hi_u32 s58, s61, s11
	s_mul_hi_u32 s9, s61, s8
	s_add_u32 s10, s58, s10
	s_addc_u32 s9, 0, s9
	s_mul_hi_u32 s60, s65, s11
	s_mul_i32 s11, s65, s11
	s_add_u32 s10, s10, s11
	s_mul_hi_u32 s58, s65, s8
	s_addc_u32 s9, s9, s60
	s_addc_u32 s10, s58, 0
	s_mul_i32 s8, s65, s8
	s_add_u32 s8, s9, s8
	s_addc_u32 s9, 0, s10
	s_mul_i32 s9, s33, s9
	s_mul_hi_u32 s10, s33, s8
	s_add_i32 s10, s10, s9
	s_mul_i32 s8, s33, s8
	s_sub_u32 s58, s61, s8
	s_cselect_b64 s[8:9], -1, 0
	s_cmp_lg_u64 s[8:9], 0
	s_subb_u32 s10, s65, s10
	s_sub_u32 s11, s58, s33
	s_cselect_b64 s[8:9], -1, 0
	s_cmp_lg_u64 s[8:9], 0
	s_subb_u32 s60, s10, 0
	;; [unrolled: 4-line block ×3, first 2 shown]
	s_cmp_ge_u32 s11, s33
	s_cselect_b32 s9, -1, 0
	s_cmp_eq_u32 s60, 0
	s_cselect_b32 s9, s9, -1
	s_cmp_lg_u32 s9, 0
	s_cselect_b32 s8, s8, s60
	s_cselect_b32 s9, s61, s11
	s_cmp_ge_u32 s58, s33
	s_cselect_b32 s11, -1, 0
	s_cmp_eq_u32 s10, 0
	s_cselect_b32 s11, s11, -1
	s_cmp_lg_u32 s11, 0
	s_cselect_b32 s11, s8, s10
	s_cselect_b32 s10, s9, s58
	s_mov_b64 s[8:9], 0
	s_branch .LBB213_273
.LBB213_271:                            ;   in Loop: Header=BB213_31 Depth=1
	s_mov_b64 s[64:65], -1
	s_branch .LBB213_286
.LBB213_272:                            ;   in Loop: Header=BB213_31 Depth=1
	s_mov_b64 s[8:9], -1
                                        ; implicit-def: $sgpr10_sgpr11
.LBB213_273:                            ;   in Loop: Header=BB213_31 Depth=1
	s_andn2_b64 vcc, exec, s[8:9]
	s_cbranch_vccnz .LBB213_275
; %bb.274:                              ;   in Loop: Header=BB213_31 Depth=1
	v_cvt_f32_u32_e32 v6, s33
	s_sub_i32 s8, 0, s33
	v_readlane_b32 s10, v59, 29
	v_rcp_iflag_f32_e32 v6, v6
	v_mul_f32_e32 v6, 0x4f7ffffe, v6
	v_cvt_u32_f32_e32 v6, v6
	v_readfirstlane_b32 s9, v6
	s_mul_i32 s8, s8, s9
	s_mul_hi_u32 s8, s9, s8
	s_add_i32 s9, s9, s8
	s_mul_hi_u32 s8, s10, s9
	s_mul_i32 s8, s8, s33
	s_sub_i32 s8, s10, s8
	s_sub_i32 s9, s8, s33
	s_cmp_ge_u32 s8, s33
	s_cselect_b32 s8, s9, s8
	s_sub_i32 s9, s8, s33
	s_cmp_ge_u32 s8, s33
	s_cselect_b32 s58, s9, s8
	s_mov_b64 s[10:11], s[58:59]
.LBB213_275:                            ;   in Loop: Header=BB213_31 Depth=1
	v_readlane_b32 s8, v59, 29
	s_sub_u32 s64, s8, s10
	v_readlane_b32 s8, v59, 31
	v_readlane_b32 s9, v59, 32
	s_subb_u32 s65, s9, s11
	v_cmp_gt_u64_e32 vcc, s[64:65], v[0:1]
                                        ; implicit-def: $vgpr8
	s_and_saveexec_b64 s[10:11], vcc
	s_cbranch_execz .LBB213_285
; %bb.276:                              ;   in Loop: Header=BB213_31 Depth=1
	v_mov_b32_e32 v6, v26
	v_mov_b32_e32 v9, v1
	s_mov_b64 s[60:61], 0
	v_mov_b32_e32 v7, v27
	v_mov_b32_e32 v8, v0
                                        ; implicit-def: $sgpr62_sgpr63
	s_branch .LBB213_280
.LBB213_277:                            ;   in Loop: Header=BB213_280 Depth=2
	s_or_b64 exec, exec, s[8:9]
	s_waitcnt lgkmcnt(0)
	s_barrier
	ds_read_b32 v31, v3 offset:3072
	s_waitcnt lgkmcnt(0)
	s_barrier
	v_cmp_eq_f16_e32 vcc, 0, v31
	s_cbranch_vccz .LBB213_283
; %bb.278:                              ;   in Loop: Header=BB213_280 Depth=2
	v_add_co_u32_e32 v8, vcc, s33, v8
	v_addc_co_u32_e32 v9, vcc, 0, v9, vcc
	v_mov_b32_e32 v32, s37
	v_add_co_u32_e32 v6, vcc, s36, v6
	v_addc_co_u32_e32 v7, vcc, v7, v32, vcc
	v_cmp_le_u64_e32 vcc, s[64:65], v[8:9]
	s_mov_b64 s[8:9], 0
	s_orn2_b64 s[68:69], vcc, exec
.LBB213_279:                            ;   in Loop: Header=BB213_280 Depth=2
	s_and_b64 s[68:69], exec, s[68:69]
	s_or_b64 s[60:61], s[68:69], s[60:61]
	s_andn2_b64 s[62:63], s[62:63], exec
	s_and_b64 s[8:9], s[8:9], exec
	s_or_b64 s[62:63], s[62:63], s[8:9]
	s_andn2_b64 exec, exec, s[60:61]
	s_cbranch_execz .LBB213_284
.LBB213_280:                            ;   Parent Loop BB213_31 Depth=1
                                        ; =>  This Inner Loop Header: Depth=2
	v_cmp_gt_u64_e32 vcc, s[28:29], v[8:9]
	s_and_saveexec_b64 s[8:9], vcc
	s_cbranch_execz .LBB213_277
; %bb.281:                              ;   in Loop: Header=BB213_280 Depth=2
	global_load_ushort v31, v[6:7], off
	s_waitcnt vmcnt(0)
	v_cmp_lt_i16_e32 vcc, -1, v31
	v_cndmask_b32_e32 v32, v51, v52, vcc
	v_xor_b32_sdwa v32, v32, v31 dst_sel:DWORD dst_unused:UNUSED_PAD src0_sel:DWORD src1_sel:WORD_0
	v_cmp_o_f16_e32 vcc, v31, v31
	v_cndmask_b32_e32 v32, v51, v32, vcc
	v_and_b32_e32 v32, v32, v10
	v_cmp_eq_u32_e32 vcc, v32, v11
	s_and_b64 exec, exec, vcc
	s_cbranch_execz .LBB213_277
; %bb.282:                              ;   in Loop: Header=BB213_280 Depth=2
	s_movk_i32 s58, 0x3c00
	v_perm_b32 v31, v31, s58, v55
	ds_write_b32 v3, v31 offset:3072
	s_branch .LBB213_277
.LBB213_283:                            ;   in Loop: Header=BB213_280 Depth=2
	s_mov_b64 s[68:69], -1
                                        ; implicit-def: $vgpr8_vgpr9
                                        ; implicit-def: $vgpr6_vgpr7
	s_mov_b64 s[8:9], -1
	s_branch .LBB213_279
.LBB213_284:                            ;   in Loop: Header=BB213_31 Depth=1
	s_or_b64 exec, exec, s[60:61]
	s_andn2_b64 s[4:5], s[4:5], exec
	s_and_b64 s[8:9], s[62:63], exec
	v_lshrrev_b32_e32 v8, 16, v31
	s_or_b64 s[4:5], s[4:5], s[8:9]
.LBB213_285:                            ;   in Loop: Header=BB213_31 Depth=1
	s_or_b64 exec, exec, s[10:11]
	s_mov_b64 s[64:65], 0
	s_mov_b64 s[78:79], -1
.LBB213_286:                            ;   in Loop: Header=BB213_31 Depth=1
	s_orn2_b64 s[10:11], s[4:5], exec
.LBB213_287:                            ;   in Loop: Header=BB213_31 Depth=1
	v_readlane_b32 s4, v58, 4
	v_readlane_b32 s5, v58, 5
	s_or_b64 exec, exec, s[4:5]
	s_mov_b64 s[8:9], 0
	s_and_saveexec_b64 s[4:5], s[10:11]
	v_readlane_b32 s60, v59, 60
	v_readlane_b32 s62, v58, 0
	;; [unrolled: 1-line block ×4, first 2 shown]
	s_cbranch_execz .LBB213_298
; %bb.288:                              ;   in Loop: Header=BB213_31 Depth=1
	v_readlane_b32 s8, v58, 2
	v_readlane_b32 s9, v58, 3
	v_mov_b32_e32 v6, 1
	s_xor_b64 s[8:9], s[8:9], -1
	v_mov_b32_e32 v7, 0
	v_mov_b32_e32 v2, 1
	s_and_saveexec_b64 s[10:11], s[8:9]
	s_cbranch_execz .LBB213_297
; %bb.289:                              ;   in Loop: Header=BB213_31 Depth=1
	v_cmp_ge_u64_e32 vcc, s[2:3], v[4:5]
	s_and_saveexec_b64 s[8:9], vcc
	s_xor_b64 s[60:61], exec, s[8:9]
	s_cbranch_execz .LBB213_294
; %bb.290:                              ;   in Loop: Header=BB213_31 Depth=1
	ds_read_b64 v[6:7], v3 offset:5120
	v_or_b32_e32 v11, s1, v11
	v_or_b32_e32 v10, s1, v10
	s_waitcnt lgkmcnt(0)
	v_cmp_ne_u64_e32 vcc, 0, v[6:7]
	s_cbranch_vccnz .LBB213_294
; %bb.291:                              ;   in Loop: Header=BB213_31 Depth=1
	s_mov_b64 s[8:9], exec
	v_readlane_b32 s62, v59, 8
	v_readlane_b32 s63, v59, 9
	s_and_b64 s[62:63], s[8:9], s[62:63]
	s_mov_b64 exec, s[62:63]
; %bb.292:                              ;   in Loop: Header=BB213_31 Depth=1
	v_mov_b32_e32 v7, s3
	v_mov_b32_e32 v6, s2
	ds_write_b64 v3, v[6:7] offset:5128
; %bb.293:                              ;   in Loop: Header=BB213_31 Depth=1
	s_or_b64 exec, exec, s[8:9]
	s_waitcnt lgkmcnt(0)
	s_barrier
.LBB213_294:                            ;   in Loop: Header=BB213_31 Depth=1
	s_andn2_saveexec_b64 s[8:9], s[60:61]
; %bb.295:                              ;   in Loop: Header=BB213_31 Depth=1
	v_mov_b32_e32 v2, s3
	v_subrev_co_u32_e32 v4, vcc, s2, v4
	v_subb_co_u32_e32 v5, vcc, v5, v2, vcc
; %bb.296:                              ;   in Loop: Header=BB213_31 Depth=1
	s_or_b64 exec, exec, s[8:9]
	v_mov_b32_e32 v7, v5
	v_readlane_b32 s60, v59, 60
	v_readlane_b32 s62, v58, 0
	v_mov_b32_e32 v2, 8
	v_mov_b32_e32 v6, v4
	v_readlane_b32 s61, v59, 61
	v_readlane_b32 s63, v58, 1
.LBB213_297:                            ;   in Loop: Header=BB213_31 Depth=1
	s_or_b64 exec, exec, s[10:11]
	v_mov_b32_e32 v4, v6
	s_mov_b64 s[8:9], exec
	v_mov_b32_e32 v5, v7
.LBB213_298:                            ;   in Loop: Header=BB213_31 Depth=1
	s_or_b64 exec, exec, s[4:5]
	s_orn2_b64 s[4:5], s[8:9], exec
.LBB213_299:                            ;   in Loop: Header=BB213_31 Depth=1
	v_readlane_b32 s8, v59, 62
	v_readlane_b32 s9, v59, 63
	s_or_b64 exec, exec, s[8:9]
	v_readlane_b32 s8, v59, 58
	v_readlane_b32 s9, v59, 59
	s_andn2_b64 s[8:9], s[8:9], exec
	s_and_b64 s[10:11], s[78:79], exec
	s_or_b64 s[8:9], s[8:9], s[10:11]
	v_writelane_b32 v59, s8, 58
	v_writelane_b32 v59, s9, 59
	s_andn2_b64 s[8:9], s[62:63], exec
	s_and_b64 s[10:11], s[64:65], exec
	v_mov_b32_e32 v7, v5
	s_or_b64 s[62:63], s[8:9], s[10:11]
	s_and_b64 s[10:11], s[4:5], exec
	v_mov_b32_e32 v6, v4
.LBB213_300:                            ;   in Loop: Header=BB213_31 Depth=1
	s_or_b64 exec, exec, s[12:13]
	s_orn2_b64 s[4:5], s[10:11], exec
.LBB213_301:                            ;   in Loop: Header=BB213_31 Depth=1
	s_or_b64 exec, exec, s[60:61]
	v_readlane_b32 s10, v59, 58
	v_readlane_b32 s11, v59, 59
	s_andn2_b64 s[8:9], s[40:41], exec
	s_and_b64 s[10:11], s[10:11], exec
	s_or_b64 s[40:41], s[8:9], s[10:11]
	s_andn2_b64 s[8:9], s[14:15], exec
	s_and_b64 s[10:11], s[62:63], exec
	v_mov_b32_e32 v4, v6
	s_or_b64 s[14:15], s[8:9], s[10:11]
	s_and_b64 s[10:11], s[4:5], exec
	v_mov_b32_e32 v5, v7
.LBB213_302:                            ;   in Loop: Header=BB213_31 Depth=1
	s_or_b64 exec, exec, s[72:73]
	s_orn2_b64 s[4:5], s[10:11], exec
.LBB213_303:                            ;   in Loop: Header=BB213_31 Depth=1
	s_or_b64 exec, exec, s[6:7]
	s_mov_b64 s[6:7], 0
	s_mov_b64 s[8:9], 0
	s_and_saveexec_b64 s[10:11], s[4:5]
	s_xor_b64 s[4:5], exec, s[10:11]
; %bb.304:                              ;   in Loop: Header=BB213_31 Depth=1
	v_cmp_eq_u32_e32 vcc, 8, v2
	v_cmp_ne_u32_e64 s[6:7], 8, v2
	s_and_b64 s[8:9], s[6:7], exec
	s_and_b64 s[6:7], vcc, exec
; %bb.305:                              ;   in Loop: Header=BB213_31 Depth=1
	s_or_b64 exec, exec, s[4:5]
	s_andn2_b64 s[4:5], s[20:21], exec
	s_and_b64 s[10:11], s[40:41], exec
	s_or_b64 s[20:21], s[4:5], s[10:11]
	s_andn2_b64 s[4:5], s[42:43], exec
	s_and_b64 s[10:11], s[14:15], exec
	s_or_b64 s[42:43], s[4:5], s[10:11]
	s_and_b64 s[14:15], s[8:9], exec
	s_and_b64 s[40:41], s[6:7], exec
.LBB213_306:                            ;   in Loop: Header=BB213_31 Depth=1
	s_or_b64 exec, exec, s[70:71]
.LBB213_307:                            ;   in Loop: Header=BB213_31 Depth=1
	s_and_b64 vcc, exec, s[74:75]
	s_cbranch_vccz .LBB213_324
; %bb.308:                              ;   in Loop: Header=BB213_31 Depth=1
	s_cmp_eq_u64 s[2:3], 1
	s_cselect_b64 s[4:5], -1, 0
	s_and_b64 s[6:7], s[4:5], s[18:19]
	s_mov_b64 s[4:5], -1
                                        ; implicit-def: $sgpr18_sgpr19
                                        ; implicit-def: $sgpr24_sgpr25
	s_and_saveexec_b64 s[8:9], s[6:7]
	s_cbranch_execz .LBB213_343
; %bb.309:                              ;   in Loop: Header=BB213_31 Depth=1
	ds_read_b64 v[4:5], v3 offset:5120
	s_waitcnt lgkmcnt(0)
	s_barrier
	v_readfirstlane_b32 s4, v4
	v_readfirstlane_b32 s5, v5
	s_mov_b64 s[10:11], exec
	v_readlane_b32 s12, v59, 24
	v_readlane_b32 s13, v59, 25
	s_and_b64 s[12:13], s[10:11], s[12:13]
	s_mov_b64 exec, s[12:13]
; %bb.310:                              ;   in Loop: Header=BB213_31 Depth=1
	ds_write_b16 v50, v3
; %bb.311:                              ;   in Loop: Header=BB213_31 Depth=1
	s_or_b64 exec, exec, s[10:11]
	v_or_b32_e32 v47, s1, v47
	v_or_b32_e32 v56, s1, v56
	s_mov_b64 s[24:25], -1
	s_mov_b64 s[18:19], 0
	s_cmp_eq_u64 s[4:5], 0
	s_mov_b64 s[10:11], 0
	s_mov_b64 s[12:13], -1
	s_waitcnt lgkmcnt(0)
	s_barrier
                                        ; implicit-def: $vgpr57
	s_cbranch_scc1 .LBB213_327
; %bb.312:                              ;   in Loop: Header=BB213_31 Depth=1
	v_readlane_b32 s10, v59, 28
	s_add_u32 s42, s4, s10
	v_readlane_b32 s10, v59, 30
	s_addc_u32 s11, s5, s10
	s_mov_b32 s10, s59
	s_cmp_lg_u64 s[10:11], 0
	s_cbranch_scc0 .LBB213_370
; %bb.313:                              ;   in Loop: Header=BB213_31 Depth=1
	v_cvt_f32_u32_e32 v2, s33
	s_sub_u32 s10, 0, s33
	s_subb_u32 s20, 0, 0
	v_mac_f32_e32 v2, 0, v53
	v_rcp_f32_e32 v2, v2
	v_mul_f32_e32 v2, 0x5f7ffffc, v2
	v_mul_f32_e32 v4, 0x2f800000, v2
	v_trunc_f32_e32 v4, v4
	v_mac_f32_e32 v2, 0xcf800000, v4
	v_cvt_u32_f32_e32 v4, v4
	v_cvt_u32_f32_e32 v2, v2
	v_readfirstlane_b32 s21, v4
	v_readfirstlane_b32 s12, v2
	s_mul_i32 s13, s10, s21
	s_mul_hi_u32 s58, s10, s12
	s_mul_i32 s43, s20, s12
	s_add_i32 s13, s58, s13
	s_mul_i32 s60, s10, s12
	s_add_i32 s13, s13, s43
	s_mul_hi_u32 s58, s12, s60
	s_mul_i32 s61, s12, s13
	s_mul_hi_u32 s43, s12, s13
	s_add_u32 s58, s58, s61
	s_addc_u32 s43, 0, s43
	s_mul_hi_u32 s62, s21, s60
	s_mul_i32 s60, s21, s60
	s_add_u32 s58, s58, s60
	s_mul_hi_u32 s61, s21, s13
	s_addc_u32 s43, s43, s62
	s_addc_u32 s58, s61, 0
	s_mul_i32 s13, s21, s13
	s_add_u32 s13, s43, s13
	s_addc_u32 s43, 0, s58
	s_add_u32 s58, s12, s13
	s_cselect_b64 s[12:13], -1, 0
	s_cmp_lg_u64 s[12:13], 0
	s_addc_u32 s21, s21, s43
	s_mul_i32 s12, s10, s21
	s_mul_hi_u32 s13, s10, s58
	s_add_i32 s12, s13, s12
	s_mul_i32 s20, s20, s58
	s_add_i32 s12, s12, s20
	s_mul_i32 s10, s10, s58
	s_mul_hi_u32 s20, s21, s10
	s_mul_i32 s43, s21, s10
	s_mul_i32 s61, s58, s12
	s_mul_hi_u32 s10, s58, s10
	s_mul_hi_u32 s60, s58, s12
	s_add_u32 s10, s10, s61
	s_addc_u32 s60, 0, s60
	s_add_u32 s10, s10, s43
	s_mul_hi_u32 s13, s21, s12
	s_addc_u32 s10, s60, s20
	s_addc_u32 s13, s13, 0
	s_mul_i32 s12, s21, s12
	s_add_u32 s10, s10, s12
	s_addc_u32 s20, 0, s13
	s_add_u32 s10, s58, s10
	s_cselect_b64 s[12:13], -1, 0
	s_cmp_lg_u64 s[12:13], 0
	s_addc_u32 s12, s21, s20
	s_mul_i32 s20, s42, s12
	s_mul_hi_u32 s21, s42, s10
	s_mul_hi_u32 s13, s42, s12
	s_add_u32 s20, s21, s20
	s_addc_u32 s13, 0, s13
	s_mul_hi_u32 s43, s11, s10
	s_mul_i32 s10, s11, s10
	s_add_u32 s10, s20, s10
	s_mul_hi_u32 s21, s11, s12
	s_addc_u32 s10, s13, s43
	s_addc_u32 s13, s21, 0
	s_mul_i32 s12, s11, s12
	s_add_u32 s10, s10, s12
	s_addc_u32 s12, 0, s13
	s_mul_i32 s12, s33, s12
	s_mul_hi_u32 s13, s33, s10
	s_add_i32 s20, s13, s12
	s_mul_i32 s10, s33, s10
	s_sub_u32 s10, s42, s10
	s_cselect_b64 s[12:13], -1, 0
	s_cmp_lg_u64 s[12:13], 0
	s_subb_u32 s20, s11, s20
	s_sub_u32 s21, s10, s33
	s_cselect_b64 s[12:13], -1, 0
	s_cmp_lg_u64 s[12:13], 0
	s_subb_u32 s43, s20, 0
	;; [unrolled: 4-line block ×3, first 2 shown]
	s_cmp_ge_u32 s21, s33
	s_cselect_b32 s13, -1, 0
	s_cmp_eq_u32 s43, 0
	s_cselect_b32 s13, s13, -1
	s_cmp_lg_u32 s13, 0
	s_cselect_b32 s12, s12, s43
	s_cselect_b32 s21, s58, s21
	s_cmp_ge_u32 s10, s33
	s_cselect_b32 s13, -1, 0
	s_cmp_eq_u32 s20, 0
	s_cselect_b32 s13, s13, -1
	s_cmp_lg_u32 s13, 0
	s_cselect_b32 s13, s12, s20
	s_cselect_b32 s12, s21, s10
	s_cbranch_execnz .LBB213_315
.LBB213_314:                            ;   in Loop: Header=BB213_31 Depth=1
	v_cvt_f32_u32_e32 v2, s33
	s_sub_i32 s10, 0, s33
	v_rcp_iflag_f32_e32 v2, v2
	v_mul_f32_e32 v2, 0x4f7ffffe, v2
	v_cvt_u32_f32_e32 v2, v2
	v_readfirstlane_b32 s12, v2
	s_mul_i32 s10, s10, s12
	s_mul_hi_u32 s10, s12, s10
	s_add_i32 s12, s12, s10
	s_mul_hi_u32 s10, s42, s12
	s_mul_i32 s10, s10, s33
	s_sub_i32 s10, s42, s10
	s_sub_i32 s12, s10, s33
	s_cmp_ge_u32 s10, s33
	s_cselect_b32 s10, s12, s10
	s_sub_i32 s12, s10, s33
	s_cmp_ge_u32 s10, s33
	s_cselect_b32 s58, s12, s10
	s_mov_b64 s[12:13], s[58:59]
.LBB213_315:                            ;   in Loop: Header=BB213_31 Depth=1
	s_sub_u32 s42, s42, s12
	s_subb_u32 s43, s11, s13
	v_cmp_gt_u64_e32 vcc, s[42:43], v[0:1]
	s_mov_b64 s[12:13], 0
	s_mov_b64 s[10:11], 0
                                        ; implicit-def: $vgpr57
	s_and_saveexec_b64 s[20:21], vcc
	s_cbranch_execz .LBB213_326
; %bb.316:                              ;   in Loop: Header=BB213_31 Depth=1
	v_mov_b32_e32 v5, v1
	v_mov_b32_e32 v2, v49
	;; [unrolled: 1-line block ×3, first 2 shown]
                                        ; implicit-def: $sgpr60_sgpr61
	s_branch .LBB213_320
.LBB213_317:                            ;   in Loop: Header=BB213_320 Depth=2
	s_or_b64 exec, exec, s[62:63]
	s_waitcnt lgkmcnt(0)
	s_barrier
	ds_read_b32 v6, v3 offset:3072
	s_waitcnt lgkmcnt(0)
	s_barrier
	v_cmp_neq_f16_e32 vcc, 0, v6
	s_cbranch_vccnz .LBB213_323
; %bb.318:                              ;   in Loop: Header=BB213_320 Depth=2
	v_add_co_u32_e32 v4, vcc, s33, v4
	v_addc_co_u32_e32 v5, vcc, 0, v5, vcc
	v_cmp_le_u64_e32 vcc, s[42:43], v[4:5]
	v_add_u32_e32 v2, s67, v2
	s_mov_b64 s[62:63], 0
	s_orn2_b64 s[64:65], vcc, exec
.LBB213_319:                            ;   in Loop: Header=BB213_320 Depth=2
	s_and_b64 s[64:65], exec, s[64:65]
	s_or_b64 s[10:11], s[64:65], s[10:11]
	s_andn2_b64 s[60:61], s[60:61], exec
	s_and_b64 s[62:63], s[62:63], exec
	s_or_b64 s[60:61], s[60:61], s[62:63]
	s_andn2_b64 exec, exec, s[10:11]
	s_cbranch_execz .LBB213_325
.LBB213_320:                            ;   Parent Loop BB213_31 Depth=1
                                        ; =>  This Inner Loop Header: Depth=2
	v_cmp_gt_u64_e32 vcc, s[4:5], v[4:5]
	s_and_saveexec_b64 s[62:63], vcc
	s_cbranch_execz .LBB213_317
; %bb.321:                              ;   in Loop: Header=BB213_320 Depth=2
	ds_read_u16 v6, v2
	s_waitcnt lgkmcnt(0)
	v_cmp_lt_i16_e32 vcc, -1, v6
	v_cndmask_b32_e32 v7, v51, v52, vcc
	v_xor_b32_sdwa v7, v7, v6 dst_sel:DWORD dst_unused:UNUSED_PAD src0_sel:DWORD src1_sel:WORD_0
	v_cmp_o_f16_e32 vcc, v6, v6
	v_cndmask_b32_e32 v7, v51, v7, vcc
	v_and_b32_e32 v7, v7, v56
	v_cmp_eq_u32_e32 vcc, v7, v47
	s_and_b64 exec, exec, vcc
	s_cbranch_execz .LBB213_317
; %bb.322:                              ;   in Loop: Header=BB213_320 Depth=2
	s_movk_i32 s58, 0x3c00
	v_perm_b32 v6, v6, s58, v55
	ds_write_b32 v3, v6 offset:3072
	s_branch .LBB213_317
.LBB213_323:                            ;   in Loop: Header=BB213_320 Depth=2
	s_mov_b64 s[64:65], -1
                                        ; implicit-def: $vgpr4_vgpr5
                                        ; implicit-def: $vgpr2
	s_mov_b64 s[62:63], -1
	s_branch .LBB213_319
.LBB213_324:                            ;   in Loop: Header=BB213_31 Depth=1
	s_mov_b64 s[18:19], 0
	v_mov_b32_e32 v47, v11
	v_mov_b32_e32 v56, v10
	;; [unrolled: 1-line block ×3, first 2 shown]
	s_and_saveexec_b64 s[2:3], s[40:41]
	s_cbranch_execnz .LBB213_509
	s_branch .LBB213_510
.LBB213_325:                            ;   in Loop: Header=BB213_31 Depth=1
	s_or_b64 exec, exec, s[10:11]
	v_lshrrev_b32_e32 v57, 16, v6
	s_and_b64 s[10:11], s[60:61], exec
.LBB213_326:                            ;   in Loop: Header=BB213_31 Depth=1
	s_or_b64 exec, exec, s[20:21]
.LBB213_327:                            ;   in Loop: Header=BB213_31 Depth=1
	s_and_b64 vcc, exec, s[12:13]
	s_cbranch_vccz .LBB213_342
; %bb.328:                              ;   in Loop: Header=BB213_31 Depth=1
	v_readlane_b32 s42, v59, 31
	v_readlane_b32 s43, v59, 32
	s_mov_b32 s42, s59
	s_cmp_lg_u64 s[42:43], 0
	v_writelane_b32 v59, s42, 31
	v_writelane_b32 v59, s43, 32
	s_cbranch_scc0 .LBB213_371
; %bb.329:                              ;   in Loop: Header=BB213_31 Depth=1
	v_cvt_f32_u32_e32 v2, s33
	s_sub_u32 s12, 0, s33
	s_subb_u32 s13, 0, 0
	v_mac_f32_e32 v2, 0, v53
	v_rcp_f32_e32 v2, v2
	v_mul_f32_e32 v2, 0x5f7ffffc, v2
	v_mul_f32_e32 v4, 0x2f800000, v2
	v_trunc_f32_e32 v4, v4
	v_mac_f32_e32 v2, 0xcf800000, v4
	v_cvt_u32_f32_e32 v4, v4
	v_cvt_u32_f32_e32 v2, v2
	v_readfirstlane_b32 s18, v4
	v_readfirstlane_b32 s4, v2
	s_mul_i32 s5, s12, s18
	s_mul_hi_u32 s20, s12, s4
	s_mul_i32 s19, s13, s4
	s_add_i32 s5, s20, s5
	s_mul_i32 s21, s12, s4
	s_add_i32 s5, s5, s19
	s_mul_hi_u32 s20, s4, s21
	s_mul_i32 s24, s4, s5
	s_mul_hi_u32 s19, s4, s5
	s_add_u32 s20, s20, s24
	s_addc_u32 s19, 0, s19
	s_mul_hi_u32 s25, s18, s21
	s_mul_i32 s21, s18, s21
	s_add_u32 s20, s20, s21
	s_mul_hi_u32 s24, s18, s5
	s_addc_u32 s19, s19, s25
	s_addc_u32 s20, s24, 0
	s_mul_i32 s5, s18, s5
	s_add_u32 s5, s19, s5
	s_addc_u32 s19, 0, s20
	s_add_u32 s20, s4, s5
	s_cselect_b64 s[4:5], -1, 0
	s_cmp_lg_u64 s[4:5], 0
	s_addc_u32 s18, s18, s19
	s_mul_i32 s4, s12, s18
	s_mul_hi_u32 s5, s12, s20
	s_add_i32 s4, s5, s4
	s_mul_i32 s13, s13, s20
	s_add_i32 s4, s4, s13
	s_mul_i32 s12, s12, s20
	s_mul_hi_u32 s13, s18, s12
	s_mul_i32 s19, s18, s12
	s_mul_i32 s24, s20, s4
	s_mul_hi_u32 s12, s20, s12
	s_mul_hi_u32 s21, s20, s4
	s_add_u32 s12, s12, s24
	s_addc_u32 s21, 0, s21
	s_add_u32 s12, s12, s19
	s_mul_hi_u32 s5, s18, s4
	s_addc_u32 s12, s21, s13
	s_addc_u32 s5, s5, 0
	s_mul_i32 s4, s18, s4
	s_add_u32 s4, s12, s4
	s_addc_u32 s12, 0, s5
	s_add_u32 s13, s20, s4
	s_cselect_b64 s[4:5], -1, 0
	s_cmp_lg_u64 s[4:5], 0
	s_addc_u32 s4, s18, s12
	v_readlane_b32 s20, v59, 29
	s_mul_i32 s12, s20, s4
	s_mul_hi_u32 s18, s20, s13
	s_mul_hi_u32 s5, s20, s4
	s_add_u32 s12, s18, s12
	s_addc_u32 s5, 0, s5
	s_mul_hi_u32 s19, s43, s13
	s_mul_i32 s13, s43, s13
	s_add_u32 s12, s12, s13
	s_mul_hi_u32 s18, s43, s4
	s_addc_u32 s5, s5, s19
	s_addc_u32 s12, s18, 0
	s_mul_i32 s4, s43, s4
	s_add_u32 s4, s5, s4
	s_addc_u32 s5, 0, s12
	s_mul_i32 s5, s33, s5
	s_mul_hi_u32 s12, s33, s4
	s_add_i32 s12, s12, s5
	s_mul_i32 s4, s33, s4
	s_sub_u32 s13, s20, s4
	s_cselect_b64 s[4:5], -1, 0
	s_cmp_lg_u64 s[4:5], 0
	s_subb_u32 s12, s43, s12
	s_sub_u32 s18, s13, s33
	s_cselect_b64 s[4:5], -1, 0
	s_cmp_lg_u64 s[4:5], 0
	s_subb_u32 s19, s12, 0
	;; [unrolled: 4-line block ×3, first 2 shown]
	s_cmp_ge_u32 s18, s33
	s_cselect_b32 s5, -1, 0
	s_cmp_eq_u32 s19, 0
	s_cselect_b32 s5, s5, -1
	s_cmp_lg_u32 s5, 0
	s_cselect_b32 s4, s4, s19
	s_cselect_b32 s18, s20, s18
	s_cmp_ge_u32 s13, s33
	s_cselect_b32 s5, -1, 0
	s_cmp_eq_u32 s12, 0
	s_cselect_b32 s5, s5, -1
	s_cmp_lg_u32 s5, 0
	s_cselect_b32 s5, s4, s12
	s_cselect_b32 s4, s18, s13
	s_cbranch_execnz .LBB213_331
.LBB213_330:                            ;   in Loop: Header=BB213_31 Depth=1
	v_cvt_f32_u32_e32 v2, s33
	s_sub_i32 s4, 0, s33
	v_readlane_b32 s12, v59, 29
	v_rcp_iflag_f32_e32 v2, v2
	v_mul_f32_e32 v2, 0x4f7ffffe, v2
	v_cvt_u32_f32_e32 v2, v2
	v_readfirstlane_b32 s5, v2
	s_mul_i32 s4, s4, s5
	s_mul_hi_u32 s4, s5, s4
	s_add_i32 s5, s5, s4
	s_mul_hi_u32 s4, s12, s5
	s_mul_i32 s4, s4, s33
	s_sub_i32 s4, s12, s4
	s_sub_i32 s5, s4, s33
	s_cmp_ge_u32 s4, s33
	s_cselect_b32 s4, s5, s4
	s_sub_i32 s5, s4, s33
	s_cmp_ge_u32 s4, s33
	s_cselect_b32 s58, s5, s4
	s_mov_b64 s[4:5], s[58:59]
.LBB213_331:                            ;   in Loop: Header=BB213_31 Depth=1
	v_readlane_b32 s12, v59, 29
	v_readlane_b32 s18, v59, 31
	s_sub_u32 s12, s12, s4
	v_readlane_b32 s19, v59, 32
	s_subb_u32 s13, s19, s5
	v_cmp_gt_u64_e32 vcc, s[12:13], v[0:1]
                                        ; implicit-def: $vgpr57
	s_and_saveexec_b64 s[4:5], vcc
	s_cbranch_execz .LBB213_341
; %bb.332:                              ;   in Loop: Header=BB213_31 Depth=1
	v_mov_b32_e32 v4, v26
	v_mov_b32_e32 v7, v1
	s_mov_b64 s[18:19], 0
	v_mov_b32_e32 v5, v27
	v_mov_b32_e32 v6, v0
                                        ; implicit-def: $sgpr20_sgpr21
	s_branch .LBB213_336
.LBB213_333:                            ;   in Loop: Header=BB213_336 Depth=2
	s_or_b64 exec, exec, s[24:25]
	s_waitcnt lgkmcnt(0)
	s_barrier
	ds_read_b32 v2, v3 offset:3072
	s_waitcnt lgkmcnt(0)
	s_barrier
	v_cmp_neq_f16_e32 vcc, 0, v2
	s_cbranch_vccnz .LBB213_339
; %bb.334:                              ;   in Loop: Header=BB213_336 Depth=2
	v_add_co_u32_e32 v6, vcc, s33, v6
	v_addc_co_u32_e32 v7, vcc, 0, v7, vcc
	v_mov_b32_e32 v8, s37
	v_add_co_u32_e32 v4, vcc, s36, v4
	v_addc_co_u32_e32 v5, vcc, v5, v8, vcc
	v_cmp_le_u64_e32 vcc, s[12:13], v[6:7]
	s_mov_b64 s[24:25], 0
	s_orn2_b64 s[42:43], vcc, exec
.LBB213_335:                            ;   in Loop: Header=BB213_336 Depth=2
	s_and_b64 s[42:43], exec, s[42:43]
	s_or_b64 s[18:19], s[42:43], s[18:19]
	s_andn2_b64 s[20:21], s[20:21], exec
	s_and_b64 s[24:25], s[24:25], exec
	s_or_b64 s[20:21], s[20:21], s[24:25]
	s_andn2_b64 exec, exec, s[18:19]
	s_cbranch_execz .LBB213_340
.LBB213_336:                            ;   Parent Loop BB213_31 Depth=1
                                        ; =>  This Inner Loop Header: Depth=2
	v_cmp_gt_u64_e32 vcc, s[28:29], v[6:7]
	s_and_saveexec_b64 s[24:25], vcc
	s_cbranch_execz .LBB213_333
; %bb.337:                              ;   in Loop: Header=BB213_336 Depth=2
	global_load_ushort v2, v[4:5], off
	s_waitcnt vmcnt(0)
	v_cmp_lt_i16_e32 vcc, -1, v2
	v_cndmask_b32_e32 v8, v51, v52, vcc
	v_xor_b32_sdwa v8, v8, v2 dst_sel:DWORD dst_unused:UNUSED_PAD src0_sel:DWORD src1_sel:WORD_0
	v_cmp_o_f16_e32 vcc, v2, v2
	v_cndmask_b32_e32 v8, v51, v8, vcc
	v_and_b32_e32 v8, v8, v56
	v_cmp_eq_u32_e32 vcc, v8, v47
	s_and_b64 exec, exec, vcc
	s_cbranch_execz .LBB213_333
; %bb.338:                              ;   in Loop: Header=BB213_336 Depth=2
	s_movk_i32 s42, 0x3c00
	v_perm_b32 v2, v2, s42, v55
	ds_write_b32 v3, v2 offset:3072
	s_branch .LBB213_333
.LBB213_339:                            ;   in Loop: Header=BB213_336 Depth=2
	s_mov_b64 s[42:43], -1
                                        ; implicit-def: $vgpr6_vgpr7
                                        ; implicit-def: $vgpr4_vgpr5
	s_mov_b64 s[24:25], -1
	s_branch .LBB213_335
.LBB213_340:                            ;   in Loop: Header=BB213_31 Depth=1
	s_or_b64 exec, exec, s[18:19]
	s_andn2_b64 s[10:11], s[10:11], exec
	s_and_b64 s[12:13], s[20:21], exec
	v_lshrrev_b32_e32 v57, 16, v2
	s_or_b64 s[10:11], s[10:11], s[12:13]
.LBB213_341:                            ;   in Loop: Header=BB213_31 Depth=1
	s_or_b64 exec, exec, s[4:5]
	s_mov_b64 s[24:25], 0
	s_mov_b64 s[18:19], -1
.LBB213_342:                            ;   in Loop: Header=BB213_31 Depth=1
	s_orn2_b64 s[4:5], s[10:11], exec
.LBB213_343:                            ;   in Loop: Header=BB213_31 Depth=1
	s_or_b64 exec, exec, s[8:9]
                                        ; implicit-def: $vgpr4_vgpr5
                                        ; implicit-def: $vgpr2
	s_and_saveexec_b64 s[20:21], s[4:5]
	s_cbranch_execz .LBB213_508
; %bb.344:                              ;   in Loop: Header=BB213_31 Depth=1
	v_mov_b32_e32 v4, 1
	s_xor_b64 s[8:9], s[6:7], -1
	v_mov_b32_e32 v2, 1
	v_mov_b32_e32 v5, 0
	s_mov_b64 s[6:7], 0
	s_and_saveexec_b64 s[4:5], s[8:9]
	s_cbranch_execz .LBB213_353
; %bb.345:                              ;   in Loop: Header=BB213_31 Depth=1
	v_cmp_ge_u64_e32 vcc, s[2:3], v[29:30]
	s_and_saveexec_b64 s[6:7], vcc
	s_xor_b64 s[6:7], exec, s[6:7]
	s_cbranch_execz .LBB213_350
; %bb.346:                              ;   in Loop: Header=BB213_31 Depth=1
	ds_read_b64 v[4:5], v3 offset:5120
	v_or_b32_e32 v47, s1, v47
	v_or_b32_e32 v56, s1, v56
	s_waitcnt lgkmcnt(0)
	v_cmp_ne_u64_e32 vcc, 0, v[4:5]
	s_cbranch_vccnz .LBB213_350
; %bb.347:                              ;   in Loop: Header=BB213_31 Depth=1
	s_mov_b64 s[8:9], exec
	v_readlane_b32 s10, v59, 8
	v_readlane_b32 s11, v59, 9
	s_and_b64 s[10:11], s[8:9], s[10:11]
	s_mov_b64 exec, s[10:11]
; %bb.348:                              ;   in Loop: Header=BB213_31 Depth=1
	v_mov_b32_e32 v5, s3
	v_mov_b32_e32 v4, s2
	ds_write_b64 v3, v[4:5] offset:5128
; %bb.349:                              ;   in Loop: Header=BB213_31 Depth=1
	s_or_b64 exec, exec, s[8:9]
	s_waitcnt lgkmcnt(0)
	s_barrier
.LBB213_350:                            ;   in Loop: Header=BB213_31 Depth=1
	s_or_saveexec_b64 s[6:7], s[6:7]
	s_mov_b64 s[8:9], 0
	v_mov_b32_e32 v2, 5
	s_xor_b64 exec, exec, s[6:7]
; %bb.351:                              ;   in Loop: Header=BB213_31 Depth=1
	v_subrev_co_u32_e32 v29, vcc, s2, v29
	v_mov_b32_e32 v2, s3
	v_subb_co_u32_e32 v30, vcc, v30, v2, vcc
	v_mov_b32_e32 v2, 0
	s_mov_b64 s[8:9], exec
; %bb.352:                              ;   in Loop: Header=BB213_31 Depth=1
	s_or_b64 exec, exec, s[6:7]
	v_mov_b32_e32 v4, v29
	s_and_b64 s[6:7], s[8:9], exec
	v_mov_b32_e32 v5, v30
.LBB213_353:                            ;   in Loop: Header=BB213_31 Depth=1
	s_or_b64 exec, exec, s[4:5]
	s_mov_b64 s[4:5], -1
                                        ; implicit-def: $sgpr42_sgpr43
                                        ; implicit-def: $sgpr70_sgpr71
	s_and_saveexec_b64 s[2:3], s[6:7]
	s_xor_b64 s[2:3], exec, s[2:3]
	s_cbranch_execz .LBB213_505
; %bb.354:                              ;   in Loop: Header=BB213_31 Depth=1
	s_cmp_eq_u64 s[16:17], 1
	v_cmp_eq_u64_e32 vcc, 1, v[4:5]
	s_cselect_b64 s[4:5], -1, 0
	s_and_b64 s[8:9], s[4:5], vcc
	s_mov_b64 s[4:5], -1
                                        ; implicit-def: $sgpr70_sgpr71
                                        ; implicit-def: $sgpr42_sgpr43
	s_and_saveexec_b64 s[6:7], s[8:9]
	s_cbranch_execz .LBB213_390
; %bb.355:                              ;   in Loop: Header=BB213_31 Depth=1
	ds_read_b64 v[6:7], v3 offset:5120
	s_waitcnt lgkmcnt(0)
	s_barrier
	v_readfirstlane_b32 s4, v6
	v_readfirstlane_b32 s5, v7
	s_mov_b64 s[10:11], exec
	v_readlane_b32 s12, v59, 24
	v_readlane_b32 s13, v59, 25
	s_and_b64 s[12:13], s[10:11], s[12:13]
	s_mov_b64 exec, s[12:13]
; %bb.356:                              ;   in Loop: Header=BB213_31 Depth=1
	ds_write_b16 v50, v3
; %bb.357:                              ;   in Loop: Header=BB213_31 Depth=1
	s_or_b64 exec, exec, s[10:11]
	v_readlane_b32 s10, v59, 57
	v_and_b32_e32 v6, s10, v47
	v_lshl_or_b32 v47, 2, s0, v6
	v_or_b32_e32 v56, s1, v56
	s_mov_b64 s[42:43], -1
	s_mov_b64 s[70:71], 0
	s_cmp_eq_u64 s[4:5], 0
	s_mov_b64 s[10:11], 0
	s_mov_b64 s[12:13], -1
	s_waitcnt lgkmcnt(0)
	s_barrier
                                        ; implicit-def: $vgpr57
	s_cbranch_scc1 .LBB213_374
; %bb.358:                              ;   in Loop: Header=BB213_31 Depth=1
	v_readlane_b32 s10, v59, 28
	s_add_u32 s62, s4, s10
	v_readlane_b32 s10, v59, 30
	s_addc_u32 s11, s5, s10
	s_mov_b32 s10, s59
	s_cmp_lg_u64 s[10:11], 0
	s_cbranch_scc0 .LBB213_417
; %bb.359:                              ;   in Loop: Header=BB213_31 Depth=1
	v_cvt_f32_u32_e32 v6, s33
	s_sub_u32 s10, 0, s33
	s_subb_u32 s58, 0, 0
	v_mac_f32_e32 v6, 0, v53
	v_rcp_f32_e32 v6, v6
	v_mul_f32_e32 v6, 0x5f7ffffc, v6
	v_mul_f32_e32 v7, 0x2f800000, v6
	v_trunc_f32_e32 v7, v7
	v_mac_f32_e32 v6, 0xcf800000, v7
	v_cvt_u32_f32_e32 v7, v7
	v_cvt_u32_f32_e32 v6, v6
	v_readfirstlane_b32 s60, v7
	v_readfirstlane_b32 s12, v6
	s_mul_i32 s13, s10, s60
	s_mul_hi_u32 s63, s10, s12
	s_mul_i32 s61, s58, s12
	s_add_i32 s13, s63, s13
	s_mul_i32 s64, s10, s12
	s_add_i32 s13, s13, s61
	s_mul_hi_u32 s63, s12, s64
	s_mul_i32 s65, s12, s13
	s_mul_hi_u32 s61, s12, s13
	s_add_u32 s63, s63, s65
	s_addc_u32 s61, 0, s61
	s_mul_hi_u32 s68, s60, s64
	s_mul_i32 s64, s60, s64
	s_add_u32 s63, s63, s64
	s_mul_hi_u32 s65, s60, s13
	s_addc_u32 s61, s61, s68
	s_addc_u32 s63, s65, 0
	s_mul_i32 s13, s60, s13
	s_add_u32 s13, s61, s13
	s_addc_u32 s61, 0, s63
	s_add_u32 s63, s12, s13
	s_cselect_b64 s[12:13], -1, 0
	s_cmp_lg_u64 s[12:13], 0
	s_addc_u32 s60, s60, s61
	s_mul_i32 s12, s10, s60
	s_mul_hi_u32 s13, s10, s63
	s_add_i32 s12, s13, s12
	s_mul_i32 s58, s58, s63
	s_add_i32 s12, s12, s58
	s_mul_i32 s10, s10, s63
	s_mul_hi_u32 s58, s60, s10
	s_mul_i32 s61, s60, s10
	s_mul_i32 s65, s63, s12
	s_mul_hi_u32 s10, s63, s10
	s_mul_hi_u32 s64, s63, s12
	s_add_u32 s10, s10, s65
	s_addc_u32 s64, 0, s64
	s_add_u32 s10, s10, s61
	s_mul_hi_u32 s13, s60, s12
	s_addc_u32 s10, s64, s58
	s_addc_u32 s13, s13, 0
	s_mul_i32 s12, s60, s12
	s_add_u32 s10, s10, s12
	s_addc_u32 s58, 0, s13
	s_add_u32 s10, s63, s10
	s_cselect_b64 s[12:13], -1, 0
	s_cmp_lg_u64 s[12:13], 0
	s_addc_u32 s12, s60, s58
	s_mul_i32 s58, s62, s12
	s_mul_hi_u32 s60, s62, s10
	s_mul_hi_u32 s13, s62, s12
	s_add_u32 s58, s60, s58
	s_addc_u32 s13, 0, s13
	s_mul_hi_u32 s61, s11, s10
	s_mul_i32 s10, s11, s10
	s_add_u32 s10, s58, s10
	s_mul_hi_u32 s60, s11, s12
	s_addc_u32 s10, s13, s61
	s_addc_u32 s13, s60, 0
	s_mul_i32 s12, s11, s12
	s_add_u32 s10, s10, s12
	s_addc_u32 s12, 0, s13
	s_mul_i32 s12, s33, s12
	s_mul_hi_u32 s13, s33, s10
	s_add_i32 s58, s13, s12
	s_mul_i32 s10, s33, s10
	s_sub_u32 s10, s62, s10
	s_cselect_b64 s[12:13], -1, 0
	s_cmp_lg_u64 s[12:13], 0
	s_subb_u32 s58, s11, s58
	s_sub_u32 s60, s10, s33
	s_cselect_b64 s[12:13], -1, 0
	s_cmp_lg_u64 s[12:13], 0
	s_subb_u32 s61, s58, 0
	;; [unrolled: 4-line block ×3, first 2 shown]
	s_cmp_ge_u32 s60, s33
	s_cselect_b32 s13, -1, 0
	s_cmp_eq_u32 s61, 0
	s_cselect_b32 s13, s13, -1
	s_cmp_lg_u32 s13, 0
	s_cselect_b32 s12, s12, s61
	s_cselect_b32 s60, s63, s60
	s_cmp_ge_u32 s10, s33
	s_cselect_b32 s13, -1, 0
	s_cmp_eq_u32 s58, 0
	s_cselect_b32 s13, s13, -1
	s_cmp_lg_u32 s13, 0
	s_cselect_b32 s13, s12, s58
	s_cselect_b32 s12, s60, s10
	s_cbranch_execnz .LBB213_361
.LBB213_360:                            ;   in Loop: Header=BB213_31 Depth=1
	v_cvt_f32_u32_e32 v6, s33
	s_sub_i32 s10, 0, s33
	v_rcp_iflag_f32_e32 v6, v6
	v_mul_f32_e32 v6, 0x4f7ffffe, v6
	v_cvt_u32_f32_e32 v6, v6
	v_readfirstlane_b32 s12, v6
	s_mul_i32 s10, s10, s12
	s_mul_hi_u32 s10, s12, s10
	s_add_i32 s12, s12, s10
	s_mul_hi_u32 s10, s62, s12
	s_mul_i32 s10, s10, s33
	s_sub_i32 s10, s62, s10
	s_sub_i32 s12, s10, s33
	s_cmp_ge_u32 s10, s33
	s_cselect_b32 s10, s12, s10
	s_sub_i32 s12, s10, s33
	s_cmp_ge_u32 s10, s33
	s_cselect_b32 s58, s12, s10
	s_mov_b64 s[12:13], s[58:59]
.LBB213_361:                            ;   in Loop: Header=BB213_31 Depth=1
	s_sub_u32 s60, s62, s12
	s_subb_u32 s61, s11, s13
	v_cmp_gt_u64_e32 vcc, s[60:61], v[0:1]
	s_mov_b64 s[12:13], 0
	s_mov_b64 s[10:11], 0
                                        ; implicit-def: $vgpr57
	s_and_saveexec_b64 s[64:65], vcc
	s_cbranch_execz .LBB213_373
; %bb.362:                              ;   in Loop: Header=BB213_31 Depth=1
	v_mov_b32_e32 v7, v1
	v_mov_b32_e32 v8, v49
	;; [unrolled: 1-line block ×3, first 2 shown]
                                        ; implicit-def: $sgpr62_sgpr63
	s_branch .LBB213_366
.LBB213_363:                            ;   in Loop: Header=BB213_366 Depth=2
	s_or_b64 exec, exec, s[68:69]
	s_waitcnt lgkmcnt(0)
	s_barrier
	ds_read_b32 v9, v3 offset:3072
	s_waitcnt lgkmcnt(0)
	s_barrier
	v_cmp_neq_f16_e32 vcc, 0, v9
	s_cbranch_vccnz .LBB213_369
; %bb.364:                              ;   in Loop: Header=BB213_366 Depth=2
	v_add_co_u32_e32 v6, vcc, s33, v6
	v_addc_co_u32_e32 v7, vcc, 0, v7, vcc
	v_cmp_le_u64_e32 vcc, s[60:61], v[6:7]
	v_add_u32_e32 v8, s67, v8
	s_mov_b64 s[68:69], 0
	s_orn2_b64 s[72:73], vcc, exec
.LBB213_365:                            ;   in Loop: Header=BB213_366 Depth=2
	s_and_b64 s[72:73], exec, s[72:73]
	s_or_b64 s[10:11], s[72:73], s[10:11]
	s_andn2_b64 s[62:63], s[62:63], exec
	s_and_b64 s[68:69], s[68:69], exec
	s_or_b64 s[62:63], s[62:63], s[68:69]
	s_andn2_b64 exec, exec, s[10:11]
	s_cbranch_execz .LBB213_372
.LBB213_366:                            ;   Parent Loop BB213_31 Depth=1
                                        ; =>  This Inner Loop Header: Depth=2
	v_cmp_gt_u64_e32 vcc, s[4:5], v[6:7]
	s_and_saveexec_b64 s[68:69], vcc
	s_cbranch_execz .LBB213_363
; %bb.367:                              ;   in Loop: Header=BB213_366 Depth=2
	ds_read_u16 v9, v8
	s_waitcnt lgkmcnt(0)
	v_cmp_lt_i16_e32 vcc, -1, v9
	v_cndmask_b32_e32 v10, v51, v52, vcc
	v_xor_b32_sdwa v10, v10, v9 dst_sel:DWORD dst_unused:UNUSED_PAD src0_sel:DWORD src1_sel:WORD_0
	v_cmp_o_f16_e32 vcc, v9, v9
	v_cndmask_b32_e32 v10, v51, v10, vcc
	v_and_b32_e32 v10, v10, v56
	v_cmp_eq_u32_e32 vcc, v10, v47
	s_and_b64 exec, exec, vcc
	s_cbranch_execz .LBB213_363
; %bb.368:                              ;   in Loop: Header=BB213_366 Depth=2
	s_movk_i32 s58, 0x3c00
	v_perm_b32 v9, v9, s58, v55
	ds_write_b32 v3, v9 offset:3072
	s_branch .LBB213_363
.LBB213_369:                            ;   in Loop: Header=BB213_366 Depth=2
	s_mov_b64 s[72:73], -1
                                        ; implicit-def: $vgpr6_vgpr7
                                        ; implicit-def: $vgpr8
	s_mov_b64 s[68:69], -1
	s_branch .LBB213_365
.LBB213_370:                            ;   in Loop: Header=BB213_31 Depth=1
                                        ; implicit-def: $sgpr12_sgpr13
	s_branch .LBB213_314
.LBB213_371:                            ;   in Loop: Header=BB213_31 Depth=1
                                        ; implicit-def: $sgpr4_sgpr5
	s_branch .LBB213_330
.LBB213_372:                            ;   in Loop: Header=BB213_31 Depth=1
	s_or_b64 exec, exec, s[10:11]
	v_lshrrev_b32_e32 v57, 16, v9
	s_and_b64 s[10:11], s[62:63], exec
.LBB213_373:                            ;   in Loop: Header=BB213_31 Depth=1
	s_or_b64 exec, exec, s[64:65]
.LBB213_374:                            ;   in Loop: Header=BB213_31 Depth=1
	s_and_b64 vcc, exec, s[12:13]
	s_cbranch_vccz .LBB213_389
; %bb.375:                              ;   in Loop: Header=BB213_31 Depth=1
	v_readlane_b32 s62, v59, 31
	v_readlane_b32 s63, v59, 32
	s_mov_b32 s62, s59
	s_cmp_lg_u64 s[62:63], 0
	v_writelane_b32 v59, s62, 31
	v_writelane_b32 v59, s63, 32
	s_cbranch_scc0 .LBB213_418
; %bb.376:                              ;   in Loop: Header=BB213_31 Depth=1
	v_cvt_f32_u32_e32 v6, s33
	s_sub_u32 s12, 0, s33
	s_subb_u32 s13, 0, 0
	v_mac_f32_e32 v6, 0, v53
	v_rcp_f32_e32 v6, v6
	v_mul_f32_e32 v6, 0x5f7ffffc, v6
	v_mul_f32_e32 v7, 0x2f800000, v6
	v_trunc_f32_e32 v7, v7
	v_mac_f32_e32 v6, 0xcf800000, v7
	v_cvt_u32_f32_e32 v7, v7
	v_cvt_u32_f32_e32 v6, v6
	v_readfirstlane_b32 s42, v7
	v_readfirstlane_b32 s4, v6
	s_mul_i32 s5, s12, s42
	s_mul_hi_u32 s58, s12, s4
	s_mul_i32 s43, s13, s4
	s_add_i32 s5, s58, s5
	s_mul_i32 s60, s12, s4
	s_add_i32 s5, s5, s43
	s_mul_hi_u32 s58, s4, s60
	s_mul_i32 s61, s4, s5
	s_mul_hi_u32 s43, s4, s5
	s_add_u32 s58, s58, s61
	s_addc_u32 s43, 0, s43
	s_mul_hi_u32 s62, s42, s60
	s_mul_i32 s60, s42, s60
	s_add_u32 s58, s58, s60
	s_mul_hi_u32 s61, s42, s5
	s_addc_u32 s43, s43, s62
	s_addc_u32 s58, s61, 0
	s_mul_i32 s5, s42, s5
	s_add_u32 s5, s43, s5
	s_addc_u32 s43, 0, s58
	s_add_u32 s58, s4, s5
	s_cselect_b64 s[4:5], -1, 0
	s_cmp_lg_u64 s[4:5], 0
	s_addc_u32 s42, s42, s43
	s_mul_i32 s4, s12, s42
	s_mul_hi_u32 s5, s12, s58
	s_add_i32 s4, s5, s4
	s_mul_i32 s13, s13, s58
	s_add_i32 s4, s4, s13
	s_mul_i32 s12, s12, s58
	s_mul_hi_u32 s13, s42, s12
	s_mul_i32 s43, s42, s12
	s_mul_i32 s61, s58, s4
	s_mul_hi_u32 s12, s58, s12
	s_mul_hi_u32 s60, s58, s4
	s_add_u32 s12, s12, s61
	s_addc_u32 s60, 0, s60
	s_add_u32 s12, s12, s43
	s_mul_hi_u32 s5, s42, s4
	s_addc_u32 s12, s60, s13
	s_addc_u32 s5, s5, 0
	s_mul_i32 s4, s42, s4
	s_add_u32 s4, s12, s4
	s_addc_u32 s12, 0, s5
	s_add_u32 s13, s58, s4
	s_cselect_b64 s[4:5], -1, 0
	s_cmp_lg_u64 s[4:5], 0
	s_addc_u32 s4, s42, s12
	v_readlane_b32 s58, v59, 29
	s_mul_i32 s12, s58, s4
	s_mul_hi_u32 s42, s58, s13
	s_mul_hi_u32 s5, s58, s4
	s_add_u32 s12, s42, s12
	s_addc_u32 s5, 0, s5
	s_mul_hi_u32 s43, s63, s13
	s_mul_i32 s13, s63, s13
	s_add_u32 s12, s12, s13
	s_mul_hi_u32 s42, s63, s4
	s_addc_u32 s5, s5, s43
	s_addc_u32 s12, s42, 0
	s_mul_i32 s4, s63, s4
	s_add_u32 s4, s5, s4
	s_addc_u32 s5, 0, s12
	s_mul_i32 s5, s33, s5
	s_mul_hi_u32 s12, s33, s4
	s_add_i32 s12, s12, s5
	s_mul_i32 s4, s33, s4
	s_sub_u32 s13, s58, s4
	s_cselect_b64 s[4:5], -1, 0
	s_cmp_lg_u64 s[4:5], 0
	s_subb_u32 s12, s63, s12
	s_sub_u32 s42, s13, s33
	s_cselect_b64 s[4:5], -1, 0
	s_cmp_lg_u64 s[4:5], 0
	s_subb_u32 s43, s12, 0
	s_sub_u32 s58, s42, s33
	s_cselect_b64 s[4:5], -1, 0
	s_cmp_lg_u64 s[4:5], 0
	s_subb_u32 s4, s43, 0
	s_cmp_ge_u32 s42, s33
	s_cselect_b32 s5, -1, 0
	s_cmp_eq_u32 s43, 0
	s_cselect_b32 s5, s5, -1
	s_cmp_lg_u32 s5, 0
	s_cselect_b32 s4, s4, s43
	s_cselect_b32 s42, s58, s42
	s_cmp_ge_u32 s13, s33
	s_cselect_b32 s5, -1, 0
	s_cmp_eq_u32 s12, 0
	s_cselect_b32 s5, s5, -1
	s_cmp_lg_u32 s5, 0
	s_cselect_b32 s5, s4, s12
	s_cselect_b32 s4, s42, s13
	s_cbranch_execnz .LBB213_378
.LBB213_377:                            ;   in Loop: Header=BB213_31 Depth=1
	v_cvt_f32_u32_e32 v6, s33
	s_sub_i32 s4, 0, s33
	v_readlane_b32 s12, v59, 29
	v_rcp_iflag_f32_e32 v6, v6
	v_mul_f32_e32 v6, 0x4f7ffffe, v6
	v_cvt_u32_f32_e32 v6, v6
	v_readfirstlane_b32 s5, v6
	s_mul_i32 s4, s4, s5
	s_mul_hi_u32 s4, s5, s4
	s_add_i32 s5, s5, s4
	s_mul_hi_u32 s4, s12, s5
	s_mul_i32 s4, s4, s33
	s_sub_i32 s4, s12, s4
	s_sub_i32 s5, s4, s33
	s_cmp_ge_u32 s4, s33
	s_cselect_b32 s4, s5, s4
	s_sub_i32 s5, s4, s33
	s_cmp_ge_u32 s4, s33
	s_cselect_b32 s58, s5, s4
	s_mov_b64 s[4:5], s[58:59]
.LBB213_378:                            ;   in Loop: Header=BB213_31 Depth=1
	v_readlane_b32 s12, v59, 29
	v_readlane_b32 s42, v59, 31
	s_sub_u32 s12, s12, s4
	v_readlane_b32 s43, v59, 32
	s_subb_u32 s13, s43, s5
	v_cmp_gt_u64_e32 vcc, s[12:13], v[0:1]
                                        ; implicit-def: $vgpr57
	s_and_saveexec_b64 s[4:5], vcc
	s_cbranch_execz .LBB213_388
; %bb.379:                              ;   in Loop: Header=BB213_31 Depth=1
	v_mov_b32_e32 v6, v26
	v_mov_b32_e32 v9, v1
	s_mov_b64 s[42:43], 0
	v_mov_b32_e32 v7, v27
	v_mov_b32_e32 v8, v0
                                        ; implicit-def: $sgpr60_sgpr61
	s_branch .LBB213_383
.LBB213_380:                            ;   in Loop: Header=BB213_383 Depth=2
	s_or_b64 exec, exec, s[62:63]
	s_waitcnt lgkmcnt(0)
	s_barrier
	ds_read_b32 v10, v3 offset:3072
	s_waitcnt lgkmcnt(0)
	s_barrier
	v_cmp_eq_f16_e32 vcc, 0, v10
	s_cbranch_vccz .LBB213_386
; %bb.381:                              ;   in Loop: Header=BB213_383 Depth=2
	v_add_co_u32_e32 v8, vcc, s33, v8
	v_addc_co_u32_e32 v9, vcc, 0, v9, vcc
	v_mov_b32_e32 v11, s37
	v_add_co_u32_e32 v6, vcc, s36, v6
	v_addc_co_u32_e32 v7, vcc, v7, v11, vcc
	v_cmp_le_u64_e32 vcc, s[12:13], v[8:9]
	s_mov_b64 s[62:63], 0
	s_orn2_b64 s[64:65], vcc, exec
.LBB213_382:                            ;   in Loop: Header=BB213_383 Depth=2
	s_and_b64 s[64:65], exec, s[64:65]
	s_or_b64 s[42:43], s[64:65], s[42:43]
	s_andn2_b64 s[60:61], s[60:61], exec
	s_and_b64 s[62:63], s[62:63], exec
	s_or_b64 s[60:61], s[60:61], s[62:63]
	s_andn2_b64 exec, exec, s[42:43]
	s_cbranch_execz .LBB213_387
.LBB213_383:                            ;   Parent Loop BB213_31 Depth=1
                                        ; =>  This Inner Loop Header: Depth=2
	v_cmp_gt_u64_e32 vcc, s[28:29], v[8:9]
	s_and_saveexec_b64 s[62:63], vcc
	s_cbranch_execz .LBB213_380
; %bb.384:                              ;   in Loop: Header=BB213_383 Depth=2
	global_load_ushort v10, v[6:7], off
	s_waitcnt vmcnt(0)
	v_cmp_lt_i16_e32 vcc, -1, v10
	v_cndmask_b32_e32 v11, v51, v52, vcc
	v_xor_b32_sdwa v11, v11, v10 dst_sel:DWORD dst_unused:UNUSED_PAD src0_sel:DWORD src1_sel:WORD_0
	v_cmp_o_f16_e32 vcc, v10, v10
	v_cndmask_b32_e32 v11, v51, v11, vcc
	v_and_b32_e32 v11, v11, v56
	v_cmp_eq_u32_e32 vcc, v11, v47
	s_and_b64 exec, exec, vcc
	s_cbranch_execz .LBB213_380
; %bb.385:                              ;   in Loop: Header=BB213_383 Depth=2
	s_movk_i32 s58, 0x3c00
	v_perm_b32 v10, v10, s58, v55
	ds_write_b32 v3, v10 offset:3072
	s_branch .LBB213_380
.LBB213_386:                            ;   in Loop: Header=BB213_383 Depth=2
	s_mov_b64 s[64:65], -1
                                        ; implicit-def: $vgpr8_vgpr9
                                        ; implicit-def: $vgpr6_vgpr7
	s_mov_b64 s[62:63], -1
	s_branch .LBB213_382
.LBB213_387:                            ;   in Loop: Header=BB213_31 Depth=1
	s_or_b64 exec, exec, s[42:43]
	s_andn2_b64 s[10:11], s[10:11], exec
	s_and_b64 s[12:13], s[60:61], exec
	v_lshrrev_b32_e32 v57, 16, v10
	s_or_b64 s[10:11], s[10:11], s[12:13]
.LBB213_388:                            ;   in Loop: Header=BB213_31 Depth=1
	s_or_b64 exec, exec, s[4:5]
	s_mov_b64 s[42:43], 0
	s_mov_b64 s[70:71], -1
.LBB213_389:                            ;   in Loop: Header=BB213_31 Depth=1
	s_orn2_b64 s[4:5], s[10:11], exec
.LBB213_390:                            ;   in Loop: Header=BB213_31 Depth=1
	s_or_b64 exec, exec, s[6:7]
	s_mov_b64 s[10:11], 0
	s_and_saveexec_b64 s[6:7], s[4:5]
	s_cbranch_execz .LBB213_504
; %bb.391:                              ;   in Loop: Header=BB213_31 Depth=1
	v_mov_b32_e32 v6, 1
	s_xor_b64 s[8:9], s[8:9], -1
	v_mov_b32_e32 v2, 1
	v_mov_b32_e32 v7, 0
	s_and_saveexec_b64 s[4:5], s[8:9]
	s_cbranch_execz .LBB213_400
; %bb.392:                              ;   in Loop: Header=BB213_31 Depth=1
	v_cmp_ge_u64_e32 vcc, s[16:17], v[4:5]
	s_and_saveexec_b64 s[8:9], vcc
	s_xor_b64 s[8:9], exec, s[8:9]
	s_cbranch_execz .LBB213_397
; %bb.393:                              ;   in Loop: Header=BB213_31 Depth=1
	ds_read_b64 v[6:7], v3 offset:5120
	v_readlane_b32 s10, v59, 57
	v_and_b32_e32 v2, s10, v47
	v_lshl_or_b32 v47, 2, s0, v2
	v_or_b32_e32 v56, s1, v56
	s_waitcnt lgkmcnt(0)
	v_cmp_ne_u64_e32 vcc, 0, v[6:7]
	s_cbranch_vccnz .LBB213_397
; %bb.394:                              ;   in Loop: Header=BB213_31 Depth=1
	s_mov_b64 s[10:11], exec
	v_readlane_b32 s12, v59, 8
	v_readlane_b32 s13, v59, 9
	s_and_b64 s[12:13], s[10:11], s[12:13]
	s_mov_b64 exec, s[12:13]
; %bb.395:                              ;   in Loop: Header=BB213_31 Depth=1
	v_mov_b32_e32 v6, s16
	v_mov_b32_e32 v7, s17
	ds_write_b64 v3, v[6:7] offset:5128
; %bb.396:                              ;   in Loop: Header=BB213_31 Depth=1
	s_or_b64 exec, exec, s[10:11]
	s_waitcnt lgkmcnt(0)
	s_barrier
.LBB213_397:                            ;   in Loop: Header=BB213_31 Depth=1
	s_or_saveexec_b64 s[8:9], s[8:9]
	s_mov_b64 s[10:11], 0
	v_mov_b32_e32 v2, 5
	s_xor_b64 exec, exec, s[8:9]
; %bb.398:                              ;   in Loop: Header=BB213_31 Depth=1
	v_subrev_co_u32_e32 v4, vcc, s16, v4
	v_mov_b32_e32 v2, s17
	v_subb_co_u32_e32 v5, vcc, v5, v2, vcc
	v_mov_b32_e32 v2, 0
	s_mov_b64 s[10:11], exec
; %bb.399:                              ;   in Loop: Header=BB213_31 Depth=1
	s_or_b64 exec, exec, s[8:9]
	v_mov_b32_e32 v7, v5
	s_and_b64 s[10:11], s[10:11], exec
	v_mov_b32_e32 v6, v4
.LBB213_400:                            ;   in Loop: Header=BB213_31 Depth=1
	s_or_b64 exec, exec, s[4:5]
	s_mov_b64 s[4:5], -1
                                        ; implicit-def: $sgpr8_sgpr9
                                        ; implicit-def: $sgpr72_sgpr73
	s_and_saveexec_b64 s[16:17], s[10:11]
	s_cbranch_execz .LBB213_503
; %bb.401:                              ;   in Loop: Header=BB213_31 Depth=1
	s_cmp_eq_u64 s[48:49], 1
	v_cmp_eq_u64_e32 vcc, 1, v[6:7]
	s_cselect_b64 s[4:5], -1, 0
	s_and_b64 s[12:13], s[4:5], vcc
	s_mov_b64 s[4:5], -1
                                        ; implicit-def: $sgpr72_sgpr73
                                        ; implicit-def: $sgpr8_sgpr9
	s_and_saveexec_b64 s[10:11], s[12:13]
	s_cbranch_execz .LBB213_437
; %bb.402:                              ;   in Loop: Header=BB213_31 Depth=1
	ds_read_b64 v[4:5], v3 offset:5120
	s_waitcnt lgkmcnt(0)
	s_barrier
	v_readfirstlane_b32 s4, v4
	v_readfirstlane_b32 s5, v5
	s_mov_b64 s[8:9], exec
	v_readlane_b32 s60, v59, 24
	v_readlane_b32 s61, v59, 25
	s_and_b64 s[60:61], s[8:9], s[60:61]
	s_mov_b64 exec, s[60:61]
; %bb.403:                              ;   in Loop: Header=BB213_31 Depth=1
	ds_write_b16 v50, v3
; %bb.404:                              ;   in Loop: Header=BB213_31 Depth=1
	s_or_b64 exec, exec, s[8:9]
	v_readlane_b32 s8, v59, 57
	v_and_b32_e32 v4, s8, v47
	v_lshl_or_b32 v47, 1, s0, v4
	v_or_b32_e32 v56, s1, v56
	s_mov_b64 s[8:9], -1
	s_mov_b64 s[72:73], 0
	s_cmp_eq_u64 s[4:5], 0
	s_mov_b64 s[64:65], 0
	s_mov_b64 s[74:75], -1
	s_waitcnt lgkmcnt(0)
	s_barrier
                                        ; implicit-def: $vgpr57
	s_cbranch_scc1 .LBB213_421
; %bb.405:                              ;   in Loop: Header=BB213_31 Depth=1
	v_readlane_b32 s58, v59, 28
	s_add_u32 s68, s4, s58
	v_readlane_b32 s58, v59, 30
	s_addc_u32 s65, s5, s58
	s_mov_b32 s64, s59
	s_cmp_lg_u64 s[64:65], 0
	s_cbranch_scc0 .LBB213_454
; %bb.406:                              ;   in Loop: Header=BB213_31 Depth=1
	v_cvt_f32_u32_e32 v4, s33
	s_sub_u32 s58, 0, s33
	s_subb_u32 s62, 0, 0
	v_mac_f32_e32 v4, 0, v53
	v_rcp_f32_e32 v4, v4
	v_mul_f32_e32 v4, 0x5f7ffffc, v4
	v_mul_f32_e32 v5, 0x2f800000, v4
	v_trunc_f32_e32 v5, v5
	v_mac_f32_e32 v4, 0xcf800000, v5
	v_cvt_u32_f32_e32 v5, v5
	v_cvt_u32_f32_e32 v4, v4
	v_readfirstlane_b32 s63, v5
	v_readfirstlane_b32 s60, v4
	s_mul_i32 s61, s58, s63
	s_mul_hi_u32 s69, s58, s60
	s_mul_i32 s64, s62, s60
	s_add_i32 s61, s69, s61
	s_mul_i32 s74, s58, s60
	s_add_i32 s61, s61, s64
	s_mul_hi_u32 s69, s60, s74
	s_mul_i32 s75, s60, s61
	s_mul_hi_u32 s64, s60, s61
	s_add_u32 s69, s69, s75
	s_addc_u32 s64, 0, s64
	s_mul_hi_u32 s78, s63, s74
	s_mul_i32 s74, s63, s74
	s_add_u32 s69, s69, s74
	s_mul_hi_u32 s75, s63, s61
	s_addc_u32 s64, s64, s78
	s_addc_u32 s69, s75, 0
	s_mul_i32 s61, s63, s61
	s_add_u32 s61, s64, s61
	s_addc_u32 s64, 0, s69
	s_add_u32 s69, s60, s61
	s_cselect_b64 s[60:61], -1, 0
	s_cmp_lg_u64 s[60:61], 0
	s_addc_u32 s63, s63, s64
	s_mul_i32 s60, s58, s63
	s_mul_hi_u32 s61, s58, s69
	s_add_i32 s60, s61, s60
	s_mul_i32 s62, s62, s69
	s_add_i32 s60, s60, s62
	s_mul_i32 s58, s58, s69
	s_mul_hi_u32 s62, s63, s58
	s_mul_i32 s64, s63, s58
	s_mul_i32 s75, s69, s60
	s_mul_hi_u32 s58, s69, s58
	s_mul_hi_u32 s74, s69, s60
	s_add_u32 s58, s58, s75
	s_addc_u32 s74, 0, s74
	s_add_u32 s58, s58, s64
	s_mul_hi_u32 s61, s63, s60
	s_addc_u32 s58, s74, s62
	s_addc_u32 s61, s61, 0
	s_mul_i32 s60, s63, s60
	s_add_u32 s58, s58, s60
	s_addc_u32 s62, 0, s61
	s_add_u32 s58, s69, s58
	s_cselect_b64 s[60:61], -1, 0
	s_cmp_lg_u64 s[60:61], 0
	s_addc_u32 s60, s63, s62
	s_mul_i32 s62, s68, s60
	s_mul_hi_u32 s63, s68, s58
	s_mul_hi_u32 s61, s68, s60
	s_add_u32 s62, s63, s62
	s_addc_u32 s61, 0, s61
	s_mul_hi_u32 s64, s65, s58
	s_mul_i32 s58, s65, s58
	s_add_u32 s58, s62, s58
	s_mul_hi_u32 s63, s65, s60
	s_addc_u32 s58, s61, s64
	s_addc_u32 s61, s63, 0
	s_mul_i32 s60, s65, s60
	s_add_u32 s58, s58, s60
	s_addc_u32 s60, 0, s61
	s_mul_i32 s60, s33, s60
	s_mul_hi_u32 s61, s33, s58
	s_add_i32 s62, s61, s60
	s_mul_i32 s58, s33, s58
	s_sub_u32 s58, s68, s58
	s_cselect_b64 s[60:61], -1, 0
	s_cmp_lg_u64 s[60:61], 0
	s_subb_u32 s62, s65, s62
	s_sub_u32 s63, s58, s33
	s_cselect_b64 s[60:61], -1, 0
	s_cmp_lg_u64 s[60:61], 0
	s_subb_u32 s64, s62, 0
	s_sub_u32 s69, s63, s33
	s_cselect_b64 s[60:61], -1, 0
	s_cmp_lg_u64 s[60:61], 0
	s_subb_u32 s60, s64, 0
	s_cmp_ge_u32 s63, s33
	s_cselect_b32 s61, -1, 0
	s_cmp_eq_u32 s64, 0
	s_cselect_b32 s61, s61, -1
	s_cmp_lg_u32 s61, 0
	s_cselect_b32 s60, s60, s64
	s_cselect_b32 s63, s69, s63
	s_cmp_ge_u32 s58, s33
	s_cselect_b32 s61, -1, 0
	s_cmp_eq_u32 s62, 0
	s_cselect_b32 s61, s61, -1
	s_cmp_lg_u32 s61, 0
	s_cselect_b32 s61, s60, s62
	s_cselect_b32 s60, s63, s58
	s_cbranch_execnz .LBB213_408
.LBB213_407:                            ;   in Loop: Header=BB213_31 Depth=1
	v_cvt_f32_u32_e32 v4, s33
	s_sub_i32 s58, 0, s33
	v_rcp_iflag_f32_e32 v4, v4
	v_mul_f32_e32 v4, 0x4f7ffffe, v4
	v_cvt_u32_f32_e32 v4, v4
	v_readfirstlane_b32 s60, v4
	s_mul_i32 s58, s58, s60
	s_mul_hi_u32 s58, s60, s58
	s_add_i32 s60, s60, s58
	s_mul_hi_u32 s58, s68, s60
	s_mul_i32 s58, s58, s33
	s_sub_i32 s58, s68, s58
	s_sub_i32 s60, s58, s33
	s_cmp_ge_u32 s58, s33
	s_cselect_b32 s58, s60, s58
	s_sub_i32 s60, s58, s33
	s_cmp_ge_u32 s58, s33
	s_cselect_b32 s58, s60, s58
	s_mov_b64 s[60:61], s[58:59]
.LBB213_408:                            ;   in Loop: Header=BB213_31 Depth=1
	s_sub_u32 s60, s68, s60
	s_subb_u32 s61, s65, s61
	v_cmp_gt_u64_e32 vcc, s[60:61], v[0:1]
	s_mov_b64 s[74:75], 0
	s_mov_b64 s[64:65], 0
                                        ; implicit-def: $vgpr57
	s_and_saveexec_b64 s[78:79], vcc
	s_cbranch_execz .LBB213_420
; %bb.409:                              ;   in Loop: Header=BB213_31 Depth=1
	v_mov_b32_e32 v5, v1
	s_mov_b64 s[62:63], 0
	v_mov_b32_e32 v8, v49
	v_mov_b32_e32 v4, v0
                                        ; implicit-def: $sgpr64_sgpr65
	s_branch .LBB213_413
.LBB213_410:                            ;   in Loop: Header=BB213_413 Depth=2
	s_or_b64 exec, exec, s[68:69]
	s_waitcnt lgkmcnt(0)
	s_barrier
	ds_read_b32 v9, v3 offset:3072
	s_waitcnt lgkmcnt(0)
	s_barrier
	v_cmp_neq_f16_e32 vcc, 0, v9
	s_cbranch_vccnz .LBB213_416
; %bb.411:                              ;   in Loop: Header=BB213_413 Depth=2
	v_add_co_u32_e32 v4, vcc, s33, v4
	v_addc_co_u32_e32 v5, vcc, 0, v5, vcc
	v_cmp_le_u64_e32 vcc, s[60:61], v[4:5]
	v_add_u32_e32 v8, s67, v8
	s_mov_b64 s[68:69], 0
	s_orn2_b64 vcc, vcc, exec
.LBB213_412:                            ;   in Loop: Header=BB213_413 Depth=2
	s_and_b64 vcc, exec, vcc
	s_or_b64 s[62:63], vcc, s[62:63]
	s_andn2_b64 s[64:65], s[64:65], exec
	s_and_b64 s[68:69], s[68:69], exec
	s_or_b64 s[64:65], s[64:65], s[68:69]
	s_andn2_b64 exec, exec, s[62:63]
	s_cbranch_execz .LBB213_419
.LBB213_413:                            ;   Parent Loop BB213_31 Depth=1
                                        ; =>  This Inner Loop Header: Depth=2
	v_cmp_gt_u64_e32 vcc, s[4:5], v[4:5]
	s_and_saveexec_b64 s[68:69], vcc
	s_cbranch_execz .LBB213_410
; %bb.414:                              ;   in Loop: Header=BB213_413 Depth=2
	ds_read_u16 v9, v8
	s_waitcnt lgkmcnt(0)
	v_cmp_lt_i16_e32 vcc, -1, v9
	v_cndmask_b32_e32 v10, v51, v52, vcc
	v_xor_b32_sdwa v10, v10, v9 dst_sel:DWORD dst_unused:UNUSED_PAD src0_sel:DWORD src1_sel:WORD_0
	v_cmp_o_f16_e32 vcc, v9, v9
	v_cndmask_b32_e32 v10, v51, v10, vcc
	v_and_b32_e32 v10, v10, v56
	v_cmp_eq_u32_e32 vcc, v10, v47
	s_and_b64 exec, exec, vcc
	s_cbranch_execz .LBB213_410
; %bb.415:                              ;   in Loop: Header=BB213_413 Depth=2
	s_movk_i32 s58, 0x3c00
	v_perm_b32 v9, v9, s58, v55
	ds_write_b32 v3, v9 offset:3072
	s_branch .LBB213_410
.LBB213_416:                            ;   in Loop: Header=BB213_413 Depth=2
	s_mov_b64 vcc, -1
                                        ; implicit-def: $vgpr4_vgpr5
                                        ; implicit-def: $vgpr8
	s_mov_b64 s[68:69], -1
	s_branch .LBB213_412
.LBB213_417:                            ;   in Loop: Header=BB213_31 Depth=1
                                        ; implicit-def: $sgpr12_sgpr13
	s_branch .LBB213_360
.LBB213_418:                            ;   in Loop: Header=BB213_31 Depth=1
                                        ; implicit-def: $sgpr4_sgpr5
	s_branch .LBB213_377
.LBB213_419:                            ;   in Loop: Header=BB213_31 Depth=1
	s_or_b64 exec, exec, s[62:63]
	v_lshrrev_b32_e32 v57, 16, v9
	s_and_b64 s[64:65], s[64:65], exec
.LBB213_420:                            ;   in Loop: Header=BB213_31 Depth=1
	s_or_b64 exec, exec, s[78:79]
.LBB213_421:                            ;   in Loop: Header=BB213_31 Depth=1
	s_and_b64 vcc, exec, s[74:75]
	s_cbranch_vccz .LBB213_436
; %bb.422:                              ;   in Loop: Header=BB213_31 Depth=1
	v_readlane_b32 s68, v59, 31
	v_readlane_b32 s69, v59, 32
	s_mov_b32 s68, s59
	s_cmp_lg_u64 s[68:69], 0
	v_writelane_b32 v59, s68, 31
	v_writelane_b32 v59, s69, 32
	s_cbranch_scc0 .LBB213_455
; %bb.423:                              ;   in Loop: Header=BB213_31 Depth=1
	v_cvt_f32_u32_e32 v4, s33
	s_sub_u32 s8, 0, s33
	s_subb_u32 s9, 0, 0
	v_mac_f32_e32 v4, 0, v53
	v_rcp_f32_e32 v4, v4
	v_mul_f32_e32 v4, 0x5f7ffffc, v4
	v_mul_f32_e32 v5, 0x2f800000, v4
	v_trunc_f32_e32 v5, v5
	v_mac_f32_e32 v4, 0xcf800000, v5
	v_cvt_u32_f32_e32 v5, v5
	v_cvt_u32_f32_e32 v4, v4
	v_readfirstlane_b32 s58, v5
	v_readfirstlane_b32 s4, v4
	s_mul_i32 s5, s8, s58
	s_mul_hi_u32 s61, s8, s4
	s_mul_i32 s60, s9, s4
	s_add_i32 s5, s61, s5
	s_mul_i32 s62, s8, s4
	s_add_i32 s5, s5, s60
	s_mul_hi_u32 s61, s4, s62
	s_mul_i32 s63, s4, s5
	s_mul_hi_u32 s60, s4, s5
	s_add_u32 s61, s61, s63
	s_addc_u32 s60, 0, s60
	s_mul_hi_u32 s68, s58, s62
	s_mul_i32 s62, s58, s62
	s_add_u32 s61, s61, s62
	s_mul_hi_u32 s63, s58, s5
	s_addc_u32 s60, s60, s68
	s_addc_u32 s61, s63, 0
	s_mul_i32 s5, s58, s5
	s_add_u32 s5, s60, s5
	s_addc_u32 s60, 0, s61
	s_add_u32 s61, s4, s5
	s_cselect_b64 s[4:5], -1, 0
	s_cmp_lg_u64 s[4:5], 0
	s_addc_u32 s58, s58, s60
	s_mul_i32 s4, s8, s58
	s_mul_hi_u32 s5, s8, s61
	s_add_i32 s4, s5, s4
	s_mul_i32 s9, s9, s61
	s_add_i32 s4, s4, s9
	s_mul_i32 s8, s8, s61
	s_mul_hi_u32 s9, s58, s8
	s_mul_i32 s60, s58, s8
	s_mul_i32 s63, s61, s4
	s_mul_hi_u32 s8, s61, s8
	s_mul_hi_u32 s62, s61, s4
	s_add_u32 s8, s8, s63
	s_addc_u32 s62, 0, s62
	s_add_u32 s8, s8, s60
	s_mul_hi_u32 s5, s58, s4
	s_addc_u32 s8, s62, s9
	s_addc_u32 s5, s5, 0
	s_mul_i32 s4, s58, s4
	s_add_u32 s4, s8, s4
	s_addc_u32 s8, 0, s5
	s_add_u32 s9, s61, s4
	s_cselect_b64 s[4:5], -1, 0
	s_cmp_lg_u64 s[4:5], 0
	s_addc_u32 s4, s58, s8
	v_readlane_b32 s61, v59, 29
	s_mul_i32 s8, s61, s4
	s_mul_hi_u32 s58, s61, s9
	s_mul_hi_u32 s5, s61, s4
	s_add_u32 s8, s58, s8
	s_addc_u32 s5, 0, s5
	s_mul_hi_u32 s60, s69, s9
	s_mul_i32 s9, s69, s9
	s_add_u32 s8, s8, s9
	s_mul_hi_u32 s58, s69, s4
	s_addc_u32 s5, s5, s60
	s_addc_u32 s8, s58, 0
	s_mul_i32 s4, s69, s4
	s_add_u32 s4, s5, s4
	s_addc_u32 s5, 0, s8
	s_mul_i32 s5, s33, s5
	s_mul_hi_u32 s8, s33, s4
	s_add_i32 s8, s8, s5
	s_mul_i32 s4, s33, s4
	s_sub_u32 s9, s61, s4
	s_cselect_b64 s[4:5], -1, 0
	s_cmp_lg_u64 s[4:5], 0
	s_subb_u32 s8, s69, s8
	s_sub_u32 s58, s9, s33
	s_cselect_b64 s[4:5], -1, 0
	s_cmp_lg_u64 s[4:5], 0
	s_subb_u32 s60, s8, 0
	;; [unrolled: 4-line block ×3, first 2 shown]
	s_cmp_ge_u32 s58, s33
	s_cselect_b32 s5, -1, 0
	s_cmp_eq_u32 s60, 0
	s_cselect_b32 s5, s5, -1
	s_cmp_lg_u32 s5, 0
	s_cselect_b32 s4, s4, s60
	s_cselect_b32 s58, s61, s58
	s_cmp_ge_u32 s9, s33
	s_cselect_b32 s5, -1, 0
	s_cmp_eq_u32 s8, 0
	s_cselect_b32 s5, s5, -1
	s_cmp_lg_u32 s5, 0
	s_cselect_b32 s5, s4, s8
	s_cselect_b32 s4, s58, s9
	s_cbranch_execnz .LBB213_425
.LBB213_424:                            ;   in Loop: Header=BB213_31 Depth=1
	v_cvt_f32_u32_e32 v4, s33
	s_sub_i32 s4, 0, s33
	v_readlane_b32 s8, v59, 29
	v_rcp_iflag_f32_e32 v4, v4
	v_mul_f32_e32 v4, 0x4f7ffffe, v4
	v_cvt_u32_f32_e32 v4, v4
	v_readfirstlane_b32 s5, v4
	s_mul_i32 s4, s4, s5
	s_mul_hi_u32 s4, s5, s4
	s_add_i32 s5, s5, s4
	s_mul_hi_u32 s4, s8, s5
	s_mul_i32 s4, s4, s33
	s_sub_i32 s4, s8, s4
	s_sub_i32 s5, s4, s33
	s_cmp_ge_u32 s4, s33
	s_cselect_b32 s4, s5, s4
	s_sub_i32 s5, s4, s33
	s_cmp_ge_u32 s4, s33
	s_cselect_b32 s58, s5, s4
	s_mov_b64 s[4:5], s[58:59]
.LBB213_425:                            ;   in Loop: Header=BB213_31 Depth=1
	v_readlane_b32 s8, v59, 29
	v_readlane_b32 s60, v59, 31
	s_sub_u32 s8, s8, s4
	v_readlane_b32 s61, v59, 32
	s_subb_u32 s9, s61, s5
	v_cmp_gt_u64_e32 vcc, s[8:9], v[0:1]
                                        ; implicit-def: $vgpr57
	s_and_saveexec_b64 s[4:5], vcc
	s_cbranch_execz .LBB213_435
; %bb.426:                              ;   in Loop: Header=BB213_31 Depth=1
	v_mov_b32_e32 v4, v26
	v_mov_b32_e32 v9, v1
	s_mov_b64 s[60:61], 0
	v_mov_b32_e32 v5, v27
	v_mov_b32_e32 v8, v0
                                        ; implicit-def: $sgpr62_sgpr63
	s_branch .LBB213_430
.LBB213_427:                            ;   in Loop: Header=BB213_430 Depth=2
	s_or_b64 exec, exec, s[68:69]
	s_waitcnt lgkmcnt(0)
	s_barrier
	ds_read_b32 v10, v3 offset:3072
	s_waitcnt lgkmcnt(0)
	s_barrier
	v_cmp_eq_f16_e32 vcc, 0, v10
	s_cbranch_vccz .LBB213_433
; %bb.428:                              ;   in Loop: Header=BB213_430 Depth=2
	v_add_co_u32_e32 v8, vcc, s33, v8
	v_addc_co_u32_e32 v9, vcc, 0, v9, vcc
	v_mov_b32_e32 v11, s37
	v_add_co_u32_e32 v4, vcc, s36, v4
	v_addc_co_u32_e32 v5, vcc, v5, v11, vcc
	v_cmp_le_u64_e32 vcc, s[8:9], v[8:9]
	s_mov_b64 s[68:69], 0
	s_orn2_b64 s[72:73], vcc, exec
.LBB213_429:                            ;   in Loop: Header=BB213_430 Depth=2
	s_and_b64 s[72:73], exec, s[72:73]
	s_or_b64 s[60:61], s[72:73], s[60:61]
	s_andn2_b64 s[62:63], s[62:63], exec
	s_and_b64 s[68:69], s[68:69], exec
	s_or_b64 s[62:63], s[62:63], s[68:69]
	s_andn2_b64 exec, exec, s[60:61]
	s_cbranch_execz .LBB213_434
.LBB213_430:                            ;   Parent Loop BB213_31 Depth=1
                                        ; =>  This Inner Loop Header: Depth=2
	v_cmp_gt_u64_e32 vcc, s[28:29], v[8:9]
	s_and_saveexec_b64 s[68:69], vcc
	s_cbranch_execz .LBB213_427
; %bb.431:                              ;   in Loop: Header=BB213_430 Depth=2
	global_load_ushort v10, v[4:5], off
	s_waitcnt vmcnt(0)
	v_cmp_lt_i16_e32 vcc, -1, v10
	v_cndmask_b32_e32 v11, v51, v52, vcc
	v_xor_b32_sdwa v11, v11, v10 dst_sel:DWORD dst_unused:UNUSED_PAD src0_sel:DWORD src1_sel:WORD_0
	v_cmp_o_f16_e32 vcc, v10, v10
	v_cndmask_b32_e32 v11, v51, v11, vcc
	v_and_b32_e32 v11, v11, v56
	v_cmp_eq_u32_e32 vcc, v11, v47
	s_and_b64 exec, exec, vcc
	s_cbranch_execz .LBB213_427
; %bb.432:                              ;   in Loop: Header=BB213_430 Depth=2
	s_movk_i32 s58, 0x3c00
	v_perm_b32 v10, v10, s58, v55
	ds_write_b32 v3, v10 offset:3072
	s_branch .LBB213_427
.LBB213_433:                            ;   in Loop: Header=BB213_430 Depth=2
	s_mov_b64 s[72:73], -1
                                        ; implicit-def: $vgpr8_vgpr9
                                        ; implicit-def: $vgpr4_vgpr5
	s_mov_b64 s[68:69], -1
	s_branch .LBB213_429
.LBB213_434:                            ;   in Loop: Header=BB213_31 Depth=1
	s_or_b64 exec, exec, s[60:61]
	s_andn2_b64 s[8:9], s[64:65], exec
	s_and_b64 s[60:61], s[62:63], exec
	v_lshrrev_b32_e32 v57, 16, v10
	s_or_b64 s[64:65], s[8:9], s[60:61]
.LBB213_435:                            ;   in Loop: Header=BB213_31 Depth=1
	s_or_b64 exec, exec, s[4:5]
	s_mov_b64 s[8:9], 0
	s_mov_b64 s[72:73], -1
.LBB213_436:                            ;   in Loop: Header=BB213_31 Depth=1
	s_orn2_b64 s[4:5], s[64:65], exec
.LBB213_437:                            ;   in Loop: Header=BB213_31 Depth=1
	s_or_b64 exec, exec, s[10:11]
	s_mov_b64 s[60:61], 0
	s_and_saveexec_b64 s[10:11], s[4:5]
	s_cbranch_execz .LBB213_502
; %bb.438:                              ;   in Loop: Header=BB213_31 Depth=1
	v_mov_b32_e32 v4, 1
	s_xor_b64 s[12:13], s[12:13], -1
	v_mov_b32_e32 v2, 1
	v_mov_b32_e32 v5, 0
	s_and_saveexec_b64 s[4:5], s[12:13]
	s_cbranch_execz .LBB213_447
; %bb.439:                              ;   in Loop: Header=BB213_31 Depth=1
	v_cmp_ge_u64_e32 vcc, s[48:49], v[6:7]
	s_and_saveexec_b64 s[12:13], vcc
	s_xor_b64 s[12:13], exec, s[12:13]
	s_cbranch_execz .LBB213_444
; %bb.440:                              ;   in Loop: Header=BB213_31 Depth=1
	ds_read_b64 v[4:5], v3 offset:5120
	v_readlane_b32 s58, v59, 57
	v_and_b32_e32 v2, s58, v47
	v_lshl_or_b32 v47, 1, s0, v2
	v_or_b32_e32 v56, s1, v56
	s_waitcnt lgkmcnt(0)
	v_cmp_ne_u64_e32 vcc, 0, v[4:5]
	s_cbranch_vccnz .LBB213_444
; %bb.441:                              ;   in Loop: Header=BB213_31 Depth=1
	s_mov_b64 s[60:61], exec
	v_readlane_b32 s62, v59, 8
	v_readlane_b32 s63, v59, 9
	s_and_b64 s[62:63], s[60:61], s[62:63]
	s_mov_b64 exec, s[62:63]
; %bb.442:                              ;   in Loop: Header=BB213_31 Depth=1
	v_mov_b32_e32 v4, s48
	v_mov_b32_e32 v5, s49
	ds_write_b64 v3, v[4:5] offset:5128
; %bb.443:                              ;   in Loop: Header=BB213_31 Depth=1
	s_or_b64 exec, exec, s[60:61]
	s_waitcnt lgkmcnt(0)
	s_barrier
.LBB213_444:                            ;   in Loop: Header=BB213_31 Depth=1
	s_or_saveexec_b64 s[12:13], s[12:13]
	s_mov_b64 s[60:61], 0
	v_mov_b32_e32 v2, 5
	s_xor_b64 exec, exec, s[12:13]
; %bb.445:                              ;   in Loop: Header=BB213_31 Depth=1
	v_subrev_co_u32_e32 v6, vcc, s48, v6
	v_mov_b32_e32 v2, s49
	v_subb_co_u32_e32 v7, vcc, v7, v2, vcc
	v_mov_b32_e32 v2, 0
	s_mov_b64 s[60:61], exec
; %bb.446:                              ;   in Loop: Header=BB213_31 Depth=1
	s_or_b64 exec, exec, s[12:13]
	v_mov_b32_e32 v4, v6
	s_and_b64 s[60:61], s[60:61], exec
	v_mov_b32_e32 v5, v7
.LBB213_447:                            ;   in Loop: Header=BB213_31 Depth=1
	s_or_b64 exec, exec, s[4:5]
	s_mov_b64 s[4:5], -1
                                        ; implicit-def: $sgpr78_sgpr79
                                        ; implicit-def: $sgpr64_sgpr65
	s_and_saveexec_b64 s[12:13], s[60:61]
	s_cbranch_execz .LBB213_501
; %bb.448:                              ;   in Loop: Header=BB213_31 Depth=1
	s_cmp_eq_u64 s[22:23], 1
	v_cmp_eq_u64_e32 vcc, 1, v[4:5]
	s_cselect_b64 s[4:5], -1, 0
	s_and_b64 s[68:69], s[4:5], vcc
	s_mov_b64 s[48:49], -1
                                        ; implicit-def: $sgpr78_sgpr79
                                        ; implicit-def: $sgpr64_sgpr65
	s_mov_b64 s[4:5], exec
	v_writelane_b32 v59, s4, 58
	v_writelane_b32 v59, s5, 59
	s_and_b64 s[4:5], s[4:5], s[68:69]
	s_mov_b64 exec, s[4:5]
	s_cbranch_execz .LBB213_489
; %bb.449:                              ;   in Loop: Header=BB213_31 Depth=1
	ds_read_b64 v[6:7], v3 offset:5120
	s_waitcnt lgkmcnt(0)
	s_barrier
	v_readfirstlane_b32 s4, v6
	v_readfirstlane_b32 s5, v7
	s_mov_b64 s[48:49], exec
	v_readlane_b32 s60, v59, 24
	v_readlane_b32 s61, v59, 25
	s_and_b64 s[60:61], s[48:49], s[60:61]
	s_mov_b64 exec, s[60:61]
; %bb.450:                              ;   in Loop: Header=BB213_31 Depth=1
	ds_write_b16 v50, v3
; %bb.451:                              ;   in Loop: Header=BB213_31 Depth=1
	s_or_b64 exec, exec, s[48:49]
	v_readlane_b32 s48, v59, 57
	v_and_b32_e32 v47, s48, v47
	v_or_b32_e32 v56, s1, v56
	s_mov_b64 s[78:79], 0
	s_cmp_eq_u64 s[4:5], 0
	s_mov_b64 s[74:75], 0
	s_mov_b64 s[64:65], -1
	s_waitcnt lgkmcnt(0)
	s_barrier
                                        ; implicit-def: $vgpr57
	s_cbranch_scc1 .LBB213_470
; %bb.452:                              ;   in Loop: Header=BB213_31 Depth=1
	v_writelane_b32 v59, s68, 60
	v_writelane_b32 v59, s69, 61
	v_readlane_b32 s48, v59, 28
	s_add_u32 s64, s4, s48
	v_readlane_b32 s48, v59, 30
	s_addc_u32 s49, s5, s48
	s_mov_b32 s48, s59
	s_cmp_lg_u64 s[48:49], 0
	s_cbranch_scc0 .LBB213_456
; %bb.453:                              ;   in Loop: Header=BB213_31 Depth=1
	v_cvt_f32_u32_e32 v6, s33
	s_sub_u32 s48, 0, s33
	s_subb_u32 s58, 0, 0
	v_mac_f32_e32 v6, 0, v53
	v_rcp_f32_e32 v6, v6
	v_mul_f32_e32 v6, 0x5f7ffffc, v6
	v_mul_f32_e32 v7, 0x2f800000, v6
	v_trunc_f32_e32 v7, v7
	v_mac_f32_e32 v6, 0xcf800000, v7
	v_cvt_u32_f32_e32 v7, v7
	v_cvt_u32_f32_e32 v6, v6
	v_readfirstlane_b32 s62, v7
	v_readfirstlane_b32 s60, v6
	s_mul_i32 s61, s48, s62
	s_mul_hi_u32 s65, s48, s60
	s_mul_i32 s63, s58, s60
	s_add_i32 s61, s65, s61
	s_mul_i32 s68, s48, s60
	s_add_i32 s61, s61, s63
	s_mul_hi_u32 s65, s60, s68
	s_mul_i32 s69, s60, s61
	s_mul_hi_u32 s63, s60, s61
	s_add_u32 s65, s65, s69
	s_addc_u32 s63, 0, s63
	s_mul_hi_u32 s74, s62, s68
	s_mul_i32 s68, s62, s68
	s_add_u32 s65, s65, s68
	s_mul_hi_u32 s69, s62, s61
	s_addc_u32 s63, s63, s74
	s_addc_u32 s65, s69, 0
	s_mul_i32 s61, s62, s61
	s_add_u32 s61, s63, s61
	s_addc_u32 s63, 0, s65
	s_add_u32 s65, s60, s61
	s_cselect_b64 s[60:61], -1, 0
	s_cmp_lg_u64 s[60:61], 0
	s_addc_u32 s62, s62, s63
	s_mul_i32 s60, s48, s62
	s_mul_hi_u32 s61, s48, s65
	s_add_i32 s60, s61, s60
	s_mul_i32 s58, s58, s65
	s_add_i32 s60, s60, s58
	s_mul_i32 s48, s48, s65
	s_mul_hi_u32 s61, s62, s48
	s_mul_i32 s63, s62, s48
	s_mul_i32 s69, s65, s60
	s_mul_hi_u32 s48, s65, s48
	s_mul_hi_u32 s68, s65, s60
	s_add_u32 s48, s48, s69
	s_addc_u32 s68, 0, s68
	s_add_u32 s48, s48, s63
	s_mul_hi_u32 s58, s62, s60
	s_addc_u32 s48, s68, s61
	s_addc_u32 s58, s58, 0
	s_mul_i32 s60, s62, s60
	s_add_u32 s48, s48, s60
	s_addc_u32 s58, 0, s58
	s_add_u32 s48, s65, s48
	s_cselect_b64 s[60:61], -1, 0
	s_cmp_lg_u64 s[60:61], 0
	s_addc_u32 s58, s62, s58
	s_mul_i32 s61, s64, s58
	s_mul_hi_u32 s62, s64, s48
	s_mul_hi_u32 s60, s64, s58
	s_add_u32 s61, s62, s61
	s_addc_u32 s60, 0, s60
	s_mul_hi_u32 s63, s49, s48
	s_mul_i32 s48, s49, s48
	s_add_u32 s48, s61, s48
	s_mul_hi_u32 s62, s49, s58
	s_addc_u32 s48, s60, s63
	s_addc_u32 s60, s62, 0
	s_mul_i32 s58, s49, s58
	s_add_u32 s48, s48, s58
	s_addc_u32 s58, 0, s60
	s_mul_i32 s58, s33, s58
	s_mul_hi_u32 s60, s33, s48
	s_add_i32 s58, s60, s58
	s_mul_i32 s48, s33, s48
	s_sub_u32 s48, s64, s48
	s_cselect_b64 s[60:61], -1, 0
	s_cmp_lg_u64 s[60:61], 0
	s_subb_u32 s58, s49, s58
	s_sub_u32 s62, s48, s33
	s_cselect_b64 s[60:61], -1, 0
	s_cmp_lg_u64 s[60:61], 0
	s_subb_u32 s63, s58, 0
	;; [unrolled: 4-line block ×3, first 2 shown]
	s_cmp_ge_u32 s62, s33
	s_cselect_b32 s61, -1, 0
	s_cmp_eq_u32 s63, 0
	s_cselect_b32 s61, s61, -1
	s_cmp_lg_u32 s61, 0
	s_cselect_b32 s60, s60, s63
	s_cselect_b32 s62, s65, s62
	s_cmp_ge_u32 s48, s33
	s_cselect_b32 s61, -1, 0
	s_cmp_eq_u32 s58, 0
	s_cselect_b32 s61, s61, -1
	s_cmp_lg_u32 s61, 0
	s_cselect_b32 s61, s60, s58
	s_cselect_b32 s60, s62, s48
	s_mov_b64 s[62:63], 0
	s_branch .LBB213_457
.LBB213_454:                            ;   in Loop: Header=BB213_31 Depth=1
                                        ; implicit-def: $sgpr60_sgpr61
	s_branch .LBB213_407
.LBB213_455:                            ;   in Loop: Header=BB213_31 Depth=1
                                        ; implicit-def: $sgpr4_sgpr5
	s_branch .LBB213_424
.LBB213_456:                            ;   in Loop: Header=BB213_31 Depth=1
	s_mov_b64 s[62:63], -1
                                        ; implicit-def: $sgpr60_sgpr61
.LBB213_457:                            ;   in Loop: Header=BB213_31 Depth=1
	s_andn2_b64 vcc, exec, s[62:63]
	s_cbranch_vccnz .LBB213_459
; %bb.458:                              ;   in Loop: Header=BB213_31 Depth=1
	v_cvt_f32_u32_e32 v6, s33
	s_sub_i32 s48, 0, s33
	v_rcp_iflag_f32_e32 v6, v6
	v_mul_f32_e32 v6, 0x4f7ffffe, v6
	v_cvt_u32_f32_e32 v6, v6
	v_readfirstlane_b32 s58, v6
	s_mul_i32 s48, s48, s58
	s_mul_hi_u32 s48, s58, s48
	s_add_i32 s58, s58, s48
	s_mul_hi_u32 s48, s64, s58
	s_mul_i32 s48, s48, s33
	s_sub_i32 s48, s64, s48
	s_sub_i32 s58, s48, s33
	s_cmp_ge_u32 s48, s33
	s_cselect_b32 s48, s58, s48
	s_sub_i32 s58, s48, s33
	s_cmp_ge_u32 s48, s33
	s_cselect_b32 s58, s58, s48
	s_mov_b64 s[60:61], s[58:59]
.LBB213_459:                            ;   in Loop: Header=BB213_31 Depth=1
	s_sub_u32 s60, s64, s60
	s_subb_u32 s61, s49, s61
	v_cmp_gt_u64_e32 vcc, s[60:61], v[0:1]
	s_mov_b64 s[64:65], 0
	s_mov_b64 s[74:75], 0
                                        ; implicit-def: $vgpr57
	s_and_saveexec_b64 s[48:49], vcc
	s_cbranch_execz .LBB213_469
; %bb.460:                              ;   in Loop: Header=BB213_31 Depth=1
	v_mov_b32_e32 v7, v1
	s_mov_b64 s[62:63], 0
	v_mov_b32_e32 v8, v49
	v_mov_b32_e32 v6, v0
                                        ; implicit-def: $sgpr74_sgpr75
	s_branch .LBB213_464
.LBB213_461:                            ;   in Loop: Header=BB213_464 Depth=2
	s_or_b64 exec, exec, s[68:69]
	s_waitcnt lgkmcnt(0)
	s_barrier
	ds_read_b32 v9, v3 offset:3072
	s_waitcnt lgkmcnt(0)
	s_barrier
	v_cmp_neq_f16_e32 vcc, 0, v9
	s_cbranch_vccnz .LBB213_467
; %bb.462:                              ;   in Loop: Header=BB213_464 Depth=2
	v_add_co_u32_e32 v6, vcc, s33, v6
	v_addc_co_u32_e32 v7, vcc, 0, v7, vcc
	v_cmp_le_u64_e32 vcc, s[60:61], v[6:7]
	v_add_u32_e32 v8, s67, v8
	s_mov_b64 s[68:69], 0
	s_orn2_b64 vcc, vcc, exec
.LBB213_463:                            ;   in Loop: Header=BB213_464 Depth=2
	s_and_b64 vcc, exec, vcc
	s_or_b64 s[62:63], vcc, s[62:63]
	s_andn2_b64 s[74:75], s[74:75], exec
	s_and_b64 s[68:69], s[68:69], exec
	s_or_b64 s[74:75], s[74:75], s[68:69]
	s_andn2_b64 exec, exec, s[62:63]
	s_cbranch_execz .LBB213_468
.LBB213_464:                            ;   Parent Loop BB213_31 Depth=1
                                        ; =>  This Inner Loop Header: Depth=2
	v_cmp_gt_u64_e32 vcc, s[4:5], v[6:7]
	s_and_saveexec_b64 s[68:69], vcc
	s_cbranch_execz .LBB213_461
; %bb.465:                              ;   in Loop: Header=BB213_464 Depth=2
	ds_read_u16 v9, v8
	s_waitcnt lgkmcnt(0)
	v_cmp_lt_i16_e32 vcc, -1, v9
	v_cndmask_b32_e32 v10, v51, v52, vcc
	v_xor_b32_sdwa v10, v10, v9 dst_sel:DWORD dst_unused:UNUSED_PAD src0_sel:DWORD src1_sel:WORD_0
	v_cmp_o_f16_e32 vcc, v9, v9
	v_cndmask_b32_e32 v10, v51, v10, vcc
	v_and_b32_e32 v10, v10, v56
	v_cmp_eq_u32_e32 vcc, v10, v47
	s_and_b64 exec, exec, vcc
	s_cbranch_execz .LBB213_461
; %bb.466:                              ;   in Loop: Header=BB213_464 Depth=2
	s_movk_i32 s58, 0x3c00
	v_perm_b32 v9, v9, s58, v55
	ds_write_b32 v3, v9 offset:3072
	s_branch .LBB213_461
.LBB213_467:                            ;   in Loop: Header=BB213_464 Depth=2
	s_mov_b64 vcc, -1
                                        ; implicit-def: $vgpr6_vgpr7
                                        ; implicit-def: $vgpr8
	s_mov_b64 s[68:69], -1
	s_branch .LBB213_463
.LBB213_468:                            ;   in Loop: Header=BB213_31 Depth=1
	s_or_b64 exec, exec, s[62:63]
	v_lshrrev_b32_e32 v57, 16, v9
	s_and_b64 s[74:75], s[74:75], exec
.LBB213_469:                            ;   in Loop: Header=BB213_31 Depth=1
	s_or_b64 exec, exec, s[48:49]
	v_readlane_b32 s68, v59, 60
	v_readlane_b32 s69, v59, 61
.LBB213_470:                            ;   in Loop: Header=BB213_31 Depth=1
	s_and_b64 vcc, exec, s[64:65]
	s_cbranch_vccz .LBB213_473
; %bb.471:                              ;   in Loop: Header=BB213_31 Depth=1
	v_readlane_b32 s64, v59, 31
	v_readlane_b32 s65, v59, 32
	s_mov_b32 s64, s59
	s_cmp_lg_u64 s[64:65], 0
	v_writelane_b32 v59, s64, 31
	v_writelane_b32 v59, s65, 32
	s_cbranch_scc0 .LBB213_474
; %bb.472:                              ;   in Loop: Header=BB213_31 Depth=1
	v_cvt_f32_u32_e32 v6, s33
	s_sub_u32 s48, 0, s33
	s_subb_u32 s49, 0, 0
	v_mac_f32_e32 v6, 0, v53
	v_rcp_f32_e32 v6, v6
	v_mul_f32_e32 v6, 0x5f7ffffc, v6
	v_mul_f32_e32 v7, 0x2f800000, v6
	v_trunc_f32_e32 v7, v7
	v_mac_f32_e32 v6, 0xcf800000, v7
	v_cvt_u32_f32_e32 v7, v7
	v_cvt_u32_f32_e32 v6, v6
	v_readfirstlane_b32 s58, v7
	v_readfirstlane_b32 s4, v6
	s_mul_i32 s5, s48, s58
	s_mul_hi_u32 s61, s48, s4
	s_mul_i32 s60, s49, s4
	s_add_i32 s5, s61, s5
	s_mul_i32 s62, s48, s4
	s_add_i32 s5, s5, s60
	s_mul_hi_u32 s61, s4, s62
	s_mul_i32 s63, s4, s5
	s_mul_hi_u32 s60, s4, s5
	s_add_u32 s61, s61, s63
	s_addc_u32 s60, 0, s60
	s_mul_hi_u32 s64, s58, s62
	s_mul_i32 s62, s58, s62
	s_add_u32 s61, s61, s62
	s_mul_hi_u32 s63, s58, s5
	s_addc_u32 s60, s60, s64
	s_addc_u32 s61, s63, 0
	s_mul_i32 s5, s58, s5
	s_add_u32 s5, s60, s5
	s_addc_u32 s60, 0, s61
	s_add_u32 s61, s4, s5
	s_cselect_b64 s[4:5], -1, 0
	s_cmp_lg_u64 s[4:5], 0
	s_addc_u32 s58, s58, s60
	s_mul_i32 s4, s48, s58
	s_mul_hi_u32 s5, s48, s61
	s_add_i32 s4, s5, s4
	s_mul_i32 s49, s49, s61
	s_add_i32 s4, s4, s49
	s_mul_i32 s48, s48, s61
	s_mul_hi_u32 s49, s58, s48
	s_mul_i32 s60, s58, s48
	s_mul_i32 s63, s61, s4
	s_mul_hi_u32 s48, s61, s48
	s_mul_hi_u32 s62, s61, s4
	s_add_u32 s48, s48, s63
	s_addc_u32 s62, 0, s62
	s_add_u32 s48, s48, s60
	s_mul_hi_u32 s5, s58, s4
	s_addc_u32 s48, s62, s49
	s_addc_u32 s5, s5, 0
	s_mul_i32 s4, s58, s4
	s_add_u32 s4, s48, s4
	s_addc_u32 s48, 0, s5
	s_add_u32 s49, s61, s4
	s_cselect_b64 s[4:5], -1, 0
	s_cmp_lg_u64 s[4:5], 0
	s_addc_u32 s4, s58, s48
	v_readlane_b32 s61, v59, 29
	s_mul_i32 s48, s61, s4
	s_mul_hi_u32 s58, s61, s49
	s_mul_hi_u32 s5, s61, s4
	s_add_u32 s48, s58, s48
	s_addc_u32 s5, 0, s5
	s_mul_hi_u32 s60, s65, s49
	s_mul_i32 s49, s65, s49
	s_add_u32 s48, s48, s49
	s_mul_hi_u32 s58, s65, s4
	s_addc_u32 s5, s5, s60
	s_addc_u32 s48, s58, 0
	s_mul_i32 s4, s65, s4
	s_add_u32 s4, s5, s4
	s_addc_u32 s5, 0, s48
	s_mul_i32 s5, s33, s5
	s_mul_hi_u32 s48, s33, s4
	s_add_i32 s48, s48, s5
	s_mul_i32 s4, s33, s4
	s_sub_u32 s49, s61, s4
	s_cselect_b64 s[4:5], -1, 0
	s_cmp_lg_u64 s[4:5], 0
	s_subb_u32 s48, s65, s48
	s_sub_u32 s58, s49, s33
	s_cselect_b64 s[4:5], -1, 0
	s_cmp_lg_u64 s[4:5], 0
	s_subb_u32 s60, s48, 0
	;; [unrolled: 4-line block ×3, first 2 shown]
	s_cmp_ge_u32 s58, s33
	s_cselect_b32 s5, -1, 0
	s_cmp_eq_u32 s60, 0
	s_cselect_b32 s5, s5, -1
	s_cmp_lg_u32 s5, 0
	s_cselect_b32 s4, s4, s60
	s_cselect_b32 s58, s61, s58
	s_cmp_ge_u32 s49, s33
	s_cselect_b32 s5, -1, 0
	s_cmp_eq_u32 s48, 0
	s_cselect_b32 s5, s5, -1
	s_cmp_lg_u32 s5, 0
	s_cselect_b32 s5, s4, s48
	s_cselect_b32 s4, s58, s49
	s_mov_b64 s[48:49], 0
	s_branch .LBB213_475
.LBB213_473:                            ;   in Loop: Header=BB213_31 Depth=1
	s_mov_b64 s[64:65], -1
	s_branch .LBB213_488
.LBB213_474:                            ;   in Loop: Header=BB213_31 Depth=1
	s_mov_b64 s[48:49], -1
                                        ; implicit-def: $sgpr4_sgpr5
.LBB213_475:                            ;   in Loop: Header=BB213_31 Depth=1
	s_andn2_b64 vcc, exec, s[48:49]
	s_cbranch_vccnz .LBB213_477
; %bb.476:                              ;   in Loop: Header=BB213_31 Depth=1
	v_cvt_f32_u32_e32 v6, s33
	s_sub_i32 s4, 0, s33
	v_readlane_b32 s48, v59, 29
	v_rcp_iflag_f32_e32 v6, v6
	v_mul_f32_e32 v6, 0x4f7ffffe, v6
	v_cvt_u32_f32_e32 v6, v6
	v_readfirstlane_b32 s5, v6
	s_mul_i32 s4, s4, s5
	s_mul_hi_u32 s4, s5, s4
	s_add_i32 s5, s5, s4
	s_mul_hi_u32 s4, s48, s5
	s_mul_i32 s4, s4, s33
	s_sub_i32 s4, s48, s4
	s_sub_i32 s5, s4, s33
	s_cmp_ge_u32 s4, s33
	s_cselect_b32 s4, s5, s4
	s_sub_i32 s5, s4, s33
	s_cmp_ge_u32 s4, s33
	s_cselect_b32 s58, s5, s4
	s_mov_b64 s[4:5], s[58:59]
.LBB213_477:                            ;   in Loop: Header=BB213_31 Depth=1
	v_readlane_b32 s48, v59, 29
	s_sub_u32 s64, s48, s4
	v_readlane_b32 s48, v59, 31
	v_readlane_b32 s49, v59, 32
	s_subb_u32 s65, s49, s5
	v_cmp_gt_u64_e32 vcc, s[64:65], v[0:1]
                                        ; implicit-def: $vgpr57
	s_and_saveexec_b64 s[4:5], vcc
	s_cbranch_execz .LBB213_487
; %bb.478:                              ;   in Loop: Header=BB213_31 Depth=1
	v_mov_b32_e32 v6, v26
	v_mov_b32_e32 v9, v1
	s_mov_b64 s[78:79], s[74:75]
	s_mov_b64 s[74:75], s[68:69]
	;; [unrolled: 1-line block ×3, first 2 shown]
	v_mov_b32_e32 v7, v27
	v_mov_b32_e32 v8, v0
                                        ; implicit-def: $sgpr60_sgpr61
	s_branch .LBB213_482
.LBB213_479:                            ;   in Loop: Header=BB213_482 Depth=2
	s_or_b64 exec, exec, s[62:63]
	s_waitcnt lgkmcnt(0)
	s_barrier
	ds_read_b32 v10, v3 offset:3072
	s_waitcnt lgkmcnt(0)
	s_barrier
	v_cmp_eq_f16_e32 vcc, 0, v10
	s_cbranch_vccz .LBB213_485
; %bb.480:                              ;   in Loop: Header=BB213_482 Depth=2
	v_add_co_u32_e32 v8, vcc, s33, v8
	v_addc_co_u32_e32 v9, vcc, 0, v9, vcc
	v_mov_b32_e32 v11, s37
	v_add_co_u32_e32 v6, vcc, s36, v6
	v_addc_co_u32_e32 v7, vcc, v7, v11, vcc
	v_cmp_le_u64_e32 vcc, s[64:65], v[8:9]
	s_mov_b64 s[62:63], 0
	s_orn2_b64 s[68:69], vcc, exec
.LBB213_481:                            ;   in Loop: Header=BB213_482 Depth=2
	s_and_b64 s[68:69], exec, s[68:69]
	s_or_b64 s[48:49], s[68:69], s[48:49]
	s_andn2_b64 s[60:61], s[60:61], exec
	s_and_b64 s[62:63], s[62:63], exec
	s_or_b64 s[60:61], s[60:61], s[62:63]
	s_andn2_b64 exec, exec, s[48:49]
	s_cbranch_execz .LBB213_486
.LBB213_482:                            ;   Parent Loop BB213_31 Depth=1
                                        ; =>  This Inner Loop Header: Depth=2
	v_cmp_gt_u64_e32 vcc, s[28:29], v[8:9]
	s_and_saveexec_b64 s[62:63], vcc
	s_cbranch_execz .LBB213_479
; %bb.483:                              ;   in Loop: Header=BB213_482 Depth=2
	global_load_ushort v10, v[6:7], off
	s_waitcnt vmcnt(0)
	v_cmp_lt_i16_e32 vcc, -1, v10
	v_cndmask_b32_e32 v11, v51, v52, vcc
	v_xor_b32_sdwa v11, v11, v10 dst_sel:DWORD dst_unused:UNUSED_PAD src0_sel:DWORD src1_sel:WORD_0
	v_cmp_o_f16_e32 vcc, v10, v10
	v_cndmask_b32_e32 v11, v51, v11, vcc
	v_and_b32_e32 v11, v11, v56
	v_cmp_eq_u32_e32 vcc, v11, v47
	s_and_b64 exec, exec, vcc
	s_cbranch_execz .LBB213_479
; %bb.484:                              ;   in Loop: Header=BB213_482 Depth=2
	s_movk_i32 s58, 0x3c00
	v_perm_b32 v10, v10, s58, v55
	ds_write_b32 v3, v10 offset:3072
	s_branch .LBB213_479
.LBB213_485:                            ;   in Loop: Header=BB213_482 Depth=2
	s_mov_b64 s[68:69], -1
                                        ; implicit-def: $vgpr8_vgpr9
                                        ; implicit-def: $vgpr6_vgpr7
	s_mov_b64 s[62:63], -1
	s_branch .LBB213_481
.LBB213_486:                            ;   in Loop: Header=BB213_31 Depth=1
	s_or_b64 exec, exec, s[48:49]
	s_andn2_b64 s[48:49], s[78:79], exec
	s_and_b64 s[60:61], s[60:61], exec
	s_or_b64 s[48:49], s[48:49], s[60:61]
	v_lshrrev_b32_e32 v57, 16, v10
	s_mov_b64 s[68:69], s[74:75]
	s_mov_b64 s[74:75], s[48:49]
.LBB213_487:                            ;   in Loop: Header=BB213_31 Depth=1
	s_or_b64 exec, exec, s[4:5]
	s_mov_b64 s[64:65], 0
	s_mov_b64 s[78:79], -1
.LBB213_488:                            ;   in Loop: Header=BB213_31 Depth=1
	s_orn2_b64 s[48:49], s[74:75], exec
.LBB213_489:                            ;   in Loop: Header=BB213_31 Depth=1
	v_readlane_b32 s4, v59, 58
	v_readlane_b32 s5, v59, 59
	s_or_b64 exec, exec, s[4:5]
	s_mov_b64 s[60:61], 0
	s_and_saveexec_b64 s[4:5], s[48:49]
	s_cbranch_execz .LBB213_500
; %bb.490:                              ;   in Loop: Header=BB213_31 Depth=1
	v_mov_b32_e32 v6, 1
	s_xor_b64 s[60:61], s[68:69], -1
	v_mov_b32_e32 v7, 0
	v_mov_b32_e32 v2, 1
	s_and_saveexec_b64 s[48:49], s[60:61]
	s_cbranch_execz .LBB213_499
; %bb.491:                              ;   in Loop: Header=BB213_31 Depth=1
	v_cmp_ge_u64_e32 vcc, s[22:23], v[4:5]
	s_and_saveexec_b64 s[60:61], vcc
	s_xor_b64 s[60:61], exec, s[60:61]
	s_cbranch_execz .LBB213_496
; %bb.492:                              ;   in Loop: Header=BB213_31 Depth=1
	ds_read_b64 v[6:7], v3 offset:5120
	v_readlane_b32 s58, v59, 57
	v_and_b32_e32 v47, s58, v47
	v_or_b32_e32 v56, s1, v56
	s_waitcnt lgkmcnt(0)
	v_cmp_ne_u64_e32 vcc, 0, v[6:7]
	s_cbranch_vccnz .LBB213_496
; %bb.493:                              ;   in Loop: Header=BB213_31 Depth=1
	s_mov_b64 s[68:69], s[64:65]
	s_mov_b64 s[62:63], exec
	v_readlane_b32 s64, v59, 8
	v_readlane_b32 s65, v59, 9
	s_and_b64 s[64:65], s[62:63], s[64:65]
	s_mov_b64 exec, s[64:65]
; %bb.494:                              ;   in Loop: Header=BB213_31 Depth=1
	v_mov_b32_e32 v6, s22
	v_mov_b32_e32 v7, s23
	ds_write_b64 v3, v[6:7] offset:5128
; %bb.495:                              ;   in Loop: Header=BB213_31 Depth=1
	s_or_b64 exec, exec, s[62:63]
	s_mov_b64 s[64:65], s[68:69]
	s_waitcnt lgkmcnt(0)
	s_barrier
.LBB213_496:                            ;   in Loop: Header=BB213_31 Depth=1
	s_andn2_saveexec_b64 s[60:61], s[60:61]
; %bb.497:                              ;   in Loop: Header=BB213_31 Depth=1
	v_mov_b32_e32 v2, s23
	v_subrev_co_u32_e32 v4, vcc, s22, v4
	v_subb_co_u32_e32 v5, vcc, v5, v2, vcc
; %bb.498:                              ;   in Loop: Header=BB213_31 Depth=1
	s_or_b64 exec, exec, s[60:61]
	v_mov_b32_e32 v7, v5
	v_mov_b32_e32 v2, 5
	;; [unrolled: 1-line block ×3, first 2 shown]
.LBB213_499:                            ;   in Loop: Header=BB213_31 Depth=1
	s_or_b64 exec, exec, s[48:49]
	v_mov_b32_e32 v4, v6
	s_mov_b64 s[60:61], exec
	v_mov_b32_e32 v5, v7
.LBB213_500:                            ;   in Loop: Header=BB213_31 Depth=1
	s_or_b64 exec, exec, s[4:5]
	s_orn2_b64 s[4:5], s[60:61], exec
.LBB213_501:                            ;   in Loop: Header=BB213_31 Depth=1
	s_or_b64 exec, exec, s[12:13]
	s_andn2_b64 s[12:13], s[72:73], exec
	s_and_b64 s[22:23], s[78:79], exec
	s_or_b64 s[72:73], s[12:13], s[22:23]
	s_andn2_b64 s[8:9], s[8:9], exec
	s_and_b64 s[12:13], s[64:65], exec
	v_mov_b32_e32 v7, v5
	s_or_b64 s[8:9], s[8:9], s[12:13]
	s_and_b64 s[60:61], s[4:5], exec
	v_mov_b32_e32 v6, v4
.LBB213_502:                            ;   in Loop: Header=BB213_31 Depth=1
	s_or_b64 exec, exec, s[10:11]
	s_orn2_b64 s[4:5], s[60:61], exec
.LBB213_503:                            ;   in Loop: Header=BB213_31 Depth=1
	s_or_b64 exec, exec, s[16:17]
	s_andn2_b64 s[10:11], s[70:71], exec
	s_and_b64 s[12:13], s[72:73], exec
	s_or_b64 s[70:71], s[10:11], s[12:13]
	s_andn2_b64 s[10:11], s[42:43], exec
	s_and_b64 s[8:9], s[8:9], exec
	v_mov_b32_e32 v4, v6
	s_or_b64 s[42:43], s[10:11], s[8:9]
	s_and_b64 s[10:11], s[4:5], exec
	v_mov_b32_e32 v5, v7
.LBB213_504:                            ;   in Loop: Header=BB213_31 Depth=1
	s_or_b64 exec, exec, s[6:7]
	s_orn2_b64 s[4:5], s[10:11], exec
.LBB213_505:                            ;   in Loop: Header=BB213_31 Depth=1
	s_or_b64 exec, exec, s[2:3]
	s_mov_b64 s[2:3], s[40:41]
	s_mov_b64 s[6:7], s[14:15]
	s_and_saveexec_b64 s[8:9], s[4:5]
; %bb.506:                              ;   in Loop: Header=BB213_31 Depth=1
	v_cmp_ne_u32_e64 s[6:7], 5, v2
	v_cmp_eq_u32_e32 vcc, 5, v2
	s_andn2_b64 s[2:3], s[14:15], exec
	s_and_b64 s[4:5], s[6:7], exec
	s_or_b64 s[6:7], s[2:3], s[4:5]
	s_andn2_b64 s[2:3], s[40:41], exec
	s_and_b64 s[4:5], vcc, exec
	s_or_b64 s[2:3], s[2:3], s[4:5]
; %bb.507:                              ;   in Loop: Header=BB213_31 Depth=1
	s_or_b64 exec, exec, s[8:9]
	s_andn2_b64 s[4:5], s[18:19], exec
	s_and_b64 s[8:9], s[70:71], exec
	s_or_b64 s[18:19], s[4:5], s[8:9]
	s_andn2_b64 s[4:5], s[24:25], exec
	s_and_b64 s[8:9], s[42:43], exec
	s_or_b64 s[24:25], s[4:5], s[8:9]
	;; [unrolled: 3-line block ×4, first 2 shown]
.LBB213_508:                            ;   in Loop: Header=BB213_31 Depth=1
	s_or_b64 exec, exec, s[20:21]
	s_mov_b64 s[42:43], 0
	s_mov_b64 s[20:21], 0
	s_and_saveexec_b64 s[2:3], s[40:41]
.LBB213_509:                            ;   in Loop: Header=BB213_31 Depth=1
	v_mov_b32_e32 v2, 0
	s_or_b64 s[14:15], s[14:15], exec
.LBB213_510:                            ;   in Loop: Header=BB213_31 Depth=1
	s_or_b64 exec, exec, s[2:3]
	s_andn2_b64 s[2:3], s[54:55], exec
	s_and_b64 s[6:7], s[18:19], exec
	s_or_b64 s[54:55], s[2:3], s[6:7]
	s_andn2_b64 s[2:3], s[52:53], exec
	s_and_b64 s[6:7], s[24:25], exec
	s_or_b64 s[52:53], s[2:3], s[6:7]
	s_andn2_b64 s[2:3], s[94:95], exec
	s_and_b64 s[6:7], s[20:21], exec
	s_or_b64 s[94:95], s[2:3], s[6:7]
	s_andn2_b64 s[2:3], s[92:93], exec
	s_and_b64 s[6:7], s[42:43], exec
	v_mov_b32_e32 v30, v5
	s_mov_b64 s[4:5], -1
	s_andn2_b64 s[56:57], s[56:57], exec
	s_or_b64 s[92:93], s[2:3], s[6:7]
	v_mov_b32_e32 v29, v4
	s_and_saveexec_b64 s[2:3], s[14:15]
	v_readlane_b32 s20, v59, 55
	s_xor_b64 s[2:3], exec, s[2:3]
	v_readlane_b32 s21, v59, 56
	s_cbranch_execz .LBB213_30
; %bb.511:                              ;   in Loop: Header=BB213_31 Depth=1
	v_cmp_eq_u32_e32 vcc, 0, v2
	s_mov_b64 s[6:7], -1
	s_and_saveexec_b64 s[8:9], vcc
	s_cbranch_execz .LBB213_29
; %bb.512:                              ;   in Loop: Header=BB213_31 Depth=1
	v_readlane_b32 s1, v59, 54
	s_xor_b32 s1, s1, 1
	s_add_i32 s10, s0, -2
	s_cmp_eq_u32 s0, 0
	v_writelane_b32 v59, s1, 54
	s_cselect_b64 s[0:1], -1, 0
	s_xor_b64 s[6:7], exec, -1
	s_orn2_b64 s[4:5], s[0:1], exec
	s_mov_b32 s0, s10
	s_branch .LBB213_29
.LBB213_513:
	s_or_b64 exec, exec, s[80:81]
	s_xor_b64 s[4:5], s[90:91], -1
	s_xor_b64 s[12:13], s[86:87], -1
	;; [unrolled: 1-line block ×5, first 2 shown]
	s_mov_b64 s[6:7], 0
	s_and_saveexec_b64 s[8:9], s[0:1]
	s_xor_b64 s[8:9], exec, s[8:9]
	s_cbranch_execnz .LBB213_518
; %bb.514:
	s_andn2_saveexec_b64 s[0:1], s[8:9]
	s_cbranch_execnz .LBB213_537
.LBB213_515:
	s_or_b64 exec, exec, s[0:1]
	s_and_saveexec_b64 s[0:1], s[6:7]
.LBB213_516:
	; divergent unreachable
.LBB213_517:
	s_endpgm
.LBB213_518:
	s_and_saveexec_b64 s[0:1], s[10:11]
	s_xor_b64 s[10:11], exec, s[0:1]
	s_cbranch_execz .LBB213_535
; %bb.519:
	s_and_saveexec_b64 s[0:1], s[12:13]
	s_xor_b64 s[12:13], exec, s[0:1]
	s_cbranch_execz .LBB213_533
; %bb.520:
	;; [unrolled: 4-line block ×3, first 2 shown]
	s_and_saveexec_b64 s[0:1], s[2:3]
	s_xor_b64 s[2:3], exec, s[0:1]
; %bb.522:
	v_and_b32_e32 v2, 0x8000, v47
	v_mov_b32_e32 v3, 0x8000
	v_mov_b32_e32 v4, 0xffff
	v_cmp_eq_u32_e32 vcc, 0, v2
	v_cndmask_b32_e32 v2, v3, v4, vcc
	v_xor_b32_e32 v57, v2, v47
; %bb.523:
	s_or_b64 exec, exec, s[2:3]
	s_mov_b64 s[2:3], exec
	v_readlane_b32 s0, v59, 8
	v_readlane_b32 s1, v59, 9
	;; [unrolled: 1-line block ×4, first 2 shown]
	s_and_b64 s[0:1], s[2:3], s[0:1]
	v_readlane_b32 s53, v59, 49
	v_readlane_b32 s55, v59, 13
	s_mov_b64 exec, s[0:1]
; %bb.524:
	v_mov_b32_e32 v2, 0
	v_mov_b32_e32 v3, v2
	ds_write_b64 v2, v[2:3] offset:5136
; %bb.525:
	s_or_b64 exec, exec, s[2:3]
	v_mov_b32_e32 v19, 0
	s_waitcnt lgkmcnt(0)
	s_barrier
	s_mov_b64 s[2:3], exec
	v_readlane_b32 s0, v59, 22
	v_readlane_b32 s1, v59, 23
	s_and_b64 s[0:1], s[2:3], s[0:1]
	s_mov_b64 exec, s[0:1]
	s_cbranch_execz .LBB213_527
; %bb.526:
	global_load_ushort v19, v[12:13], off
.LBB213_527:
	s_or_b64 exec, exec, s[2:3]
	s_add_u32 s0, s28, 63
	v_readlane_b32 s2, v59, 0
	s_addc_u32 s17, s29, 0
	s_and_b32 s16, s0, 0xffffffc0
	v_readlane_b32 s3, v59, 1
	s_mul_i32 s0, s2, s39
	s_mul_hi_u32 s1, s2, s38
	s_add_i32 s0, s1, s0
	s_mul_i32 s1, s3, s38
	v_readlane_b32 s4, v59, 2
	s_add_i32 s1, s0, s1
	s_mul_i32 s0, s2, s38
	v_readlane_b32 s5, v59, 3
	s_mul_i32 s2, s4, s51
	s_mul_hi_u32 s3, s4, s50
	s_add_i32 s2, s3, s2
	s_mul_i32 s3, s5, s50
	s_add_i32 s3, s2, s3
	s_mul_i32 s2, s4, s50
	s_lshl_b64 s[0:1], s[0:1], 1
	v_readlane_b32 s4, v59, 4
	v_readlane_b32 s5, v59, 5
	s_add_u32 s4, s4, s0
	s_addc_u32 s5, s5, s1
	s_lshl_b64 s[0:1], s[34:35], 1
	s_add_u32 s0, s4, s0
	s_addc_u32 s1, s5, s1
	s_lshl_b64 s[2:3], s[2:3], 3
	v_readlane_b32 s4, v59, 6
	v_readlane_b32 s5, v59, 7
	s_add_u32 s4, s4, s2
	s_addc_u32 s5, s5, s3
	s_lshl_b64 s[2:3], s[46:47], 3
	s_add_u32 s48, s4, s2
	s_addc_u32 s49, s5, s3
	v_readlane_b32 s2, v59, 10
	v_readlane_b32 s3, v59, 11
	v_mov_b32_e32 v17, 0xffff
	v_mov_b32_e32 v18, 0x8000
	v_cmp_lt_i16_e32 vcc, -1, v57
	s_load_dwordx2 s[18:19], s[2:3], 0x368
	s_load_dwordx2 s[20:21], s[2:3], 0x510
	v_cndmask_b32_e32 v2, v17, v18, vcc
	v_xor_b32_sdwa v2, v2, v57 dst_sel:DWORD dst_unused:UNUSED_PAD src0_sel:DWORD src1_sel:WORD_0
	v_cmp_o_f16_e32 vcc, v57, v57
	v_cndmask_b32_e32 v16, v17, v2, vcc
	v_cmp_gt_u64_e32 vcc, s[16:17], v[0:1]
	s_mov_b64 s[24:25], -1
	s_mov_b64 s[2:3], 0
	s_mov_b64 s[4:5], 0
	s_and_saveexec_b64 s[22:23], vcc
	s_cbranch_execnz .LBB213_538
; %bb.528:
	s_or_b64 exec, exec, s[22:23]
	s_and_saveexec_b64 s[6:7], s[24:25]
	s_cbranch_execnz .LBB213_555
.LBB213_529:
	s_or_b64 exec, exec, s[6:7]
	s_and_saveexec_b64 s[0:1], s[4:5]
	s_xor_b64 s[0:1], exec, s[0:1]
	s_cbranch_execnz .LBB213_578
.LBB213_530:
	s_or_b64 exec, exec, s[0:1]
	s_and_b64 s[6:7], s[2:3], exec
.LBB213_531:
	s_andn2_saveexec_b64 s[0:1], s[14:15]
	s_cbranch_execnz .LBB213_580
.LBB213_532:
	s_or_b64 exec, exec, s[0:1]
	s_and_b64 s[6:7], s[6:7], exec
.LBB213_533:
	s_andn2_saveexec_b64 s[0:1], s[12:13]
	s_cbranch_execnz .LBB213_579
.LBB213_534:
	s_or_b64 exec, exec, s[0:1]
	s_and_b64 s[6:7], s[6:7], exec
.LBB213_535:
	s_andn2_saveexec_b64 s[0:1], s[10:11]
	s_cbranch_execnz .LBB213_574
.LBB213_536:
	s_or_b64 exec, exec, s[0:1]
	s_and_b64 s[6:7], s[6:7], exec
	s_andn2_saveexec_b64 s[0:1], s[8:9]
	s_cbranch_execz .LBB213_515
.LBB213_537:
	s_or_b64 s[6:7], s[6:7], exec
	s_trap 2
	s_or_b64 exec, exec, s[0:1]
	s_and_saveexec_b64 s[0:1], s[6:7]
	s_cbranch_execnz .LBB213_516
	s_branch .LBB213_517
.LBB213_538:
	v_add_co_u32_e64 v2, s[4:5], s33, v0
	v_addc_co_u32_e64 v3, s[4:5], 0, 0, s[4:5]
	v_mul_lo_u32 v4, s27, v2
	v_mul_lo_u32 v5, s26, v3
	v_mad_u64_u32 v[2:3], s[4:5], s26, v2, 0
	s_add_u32 s4, s52, s44
	s_addc_u32 s5, s53, s45
	v_add3_u32 v3, v3, v5, v4
	v_readlane_b32 s6, v59, 50
	v_lshlrev_b64 v[2:3], 1, v[2:3]
	v_readlane_b32 s7, v59, 51
	s_add_u32 s4, s4, s6
	s_addc_u32 s5, s5, s7
	v_mov_b32_e32 v4, s5
	v_add_co_u32_e64 v2, s[4:5], s4, v2
	v_mov_b32_e32 v11, v1
	v_addc_co_u32_e64 v3, s[4:5], v4, v3, s[4:5]
	s_mov_b64 s[24:25], 0
	v_mov_b32_e32 v5, 0
	v_mov_b32_e32 v10, v0
                                        ; implicit-def: $sgpr34_sgpr35
                                        ; implicit-def: $vgpr8_vgpr9
	s_branch .LBB213_540
.LBB213_539:                            ;   in Loop: Header=BB213_540 Depth=1
	s_or_b64 exec, exec, s[38:39]
	s_xor_b64 s[4:5], s[40:41], -1
	s_and_b64 s[6:7], exec, s[6:7]
	s_or_b64 s[24:25], s[6:7], s[24:25]
	s_andn2_b64 s[6:7], s[34:35], exec
	s_and_b64 s[4:5], s[4:5], exec
	v_mov_b32_e32 v11, v7
	s_or_b64 s[34:35], s[6:7], s[4:5]
	v_mov_b32_e32 v10, v6
	s_waitcnt vmcnt(0)
	v_mov_b32_e32 v19, v20
	s_andn2_b64 exec, exec, s[24:25]
	s_cbranch_execz .LBB213_554
.LBB213_540:                            ; =>This Inner Loop Header: Depth=1
	v_add_co_u32_e64 v6, s[4:5], s33, v10
	v_addc_co_u32_e64 v7, s[4:5], 0, v11, s[4:5]
	v_cmp_gt_u64_e64 s[4:5], s[28:29], v[6:7]
	v_mov_b32_e32 v20, 0
	s_and_saveexec_b64 s[6:7], s[4:5]
	s_cbranch_execz .LBB213_542
; %bb.541:                              ;   in Loop: Header=BB213_540 Depth=1
	global_load_ushort v20, v[2:3], off
.LBB213_542:                            ;   in Loop: Header=BB213_540 Depth=1
	s_or_b64 exec, exec, s[6:7]
	v_cmp_gt_u64_e64 s[4:5], s[28:29], v[10:11]
	s_mov_b64 s[38:39], 0
	s_and_saveexec_b64 s[6:7], s[4:5]
	s_cbranch_execz .LBB213_544
; %bb.543:                              ;   in Loop: Header=BB213_540 Depth=1
	s_waitcnt vmcnt(0)
	v_cmp_lt_i16_e64 s[4:5], -1, v19
	v_cndmask_b32_e64 v4, v17, v18, s[4:5]
	v_xor_b32_sdwa v4, v4, v19 dst_sel:DWORD dst_unused:UNUSED_PAD src0_sel:DWORD src1_sel:WORD_0
	v_cmp_o_f16_e64 s[4:5], v19, v19
	v_cndmask_b32_e64 v4, v17, v4, s[4:5]
	v_cmp_gt_u32_e64 s[4:5], v4, v16
	v_cndmask_b32_e64 v14, 0, 1, s[4:5]
	v_cmp_lt_u32_e64 s[4:5], v4, v16
	v_cndmask_b32_e64 v4, 0, 1, s[4:5]
	v_cndmask_b32_e64 v4, v4, v14, s[54:55]
	v_and_b32_e32 v4, 1, v4
	v_cmp_eq_u32_e64 s[4:5], 1, v4
	s_and_b64 s[38:39], s[4:5], exec
.LBB213_544:                            ;   in Loop: Header=BB213_540 Depth=1
	s_or_b64 exec, exec, s[6:7]
	v_cndmask_b32_e64 v4, 0, 1, s[38:39]
	v_cmp_ne_u32_e64 s[4:5], 0, v4
	s_cmp_lg_u64 s[4:5], 0
	v_readlane_b32 s40, v59, 16
	s_cselect_b64 s[6:7], -1, 0
	v_readlane_b32 s41, v59, 17
	s_and_b64 s[6:7], s[40:41], s[6:7]
	s_and_saveexec_b64 s[40:41], s[6:7]
	s_cbranch_execz .LBB213_548
; %bb.545:                              ;   in Loop: Header=BB213_540 Depth=1
	s_mov_b64 s[46:47], exec
	v_mbcnt_lo_u32_b32 v4, s46, 0
	v_mbcnt_hi_u32_b32 v14, s47, v4
	s_bcnt1_i32_b64 s50, s[4:5]
	v_cmp_eq_u32_e64 s[6:7], 0, v14
                                        ; implicit-def: $vgpr8_vgpr9
	s_and_saveexec_b64 s[42:43], s[6:7]
	s_cbranch_execz .LBB213_547
; %bb.546:                              ;   in Loop: Header=BB213_540 Depth=1
	s_bcnt1_i32_b64 s6, s[46:47]
	s_mul_i32 s6, s50, s6
	v_mov_b32_e32 v4, s6
	s_waitcnt lgkmcnt(0)
	ds_add_rtn_u64 v[8:9], v5, v[4:5] offset:5136
.LBB213_547:                            ;   in Loop: Header=BB213_540 Depth=1
	s_or_b64 exec, exec, s[42:43]
	s_waitcnt lgkmcnt(0)
	v_readfirstlane_b32 s6, v9
	v_readfirstlane_b32 s7, v8
	v_mov_b32_e32 v8, s7
	v_mov_b32_e32 v9, s6
	v_mad_u64_u32 v[8:9], s[6:7], s50, v14, v[8:9]
.LBB213_548:                            ;   in Loop: Header=BB213_540 Depth=1
	s_or_b64 exec, exec, s[40:41]
	s_waitcnt lgkmcnt(0)
	ds_bpermute_b32 v8, v41, v8
	ds_bpermute_b32 v9, v41, v9
	s_mov_b64 s[6:7], -1
	s_mov_b64 s[42:43], -1
	s_and_saveexec_b64 s[40:41], s[38:39]
	s_cbranch_execz .LBB213_552
; %bb.549:                              ;   in Loop: Header=BB213_540 Depth=1
	v_and_b32_e32 v14, s4, v43
	v_and_b32_e32 v4, s5, v42
	v_bcnt_u32_b32 v14, v14, 0
	v_bcnt_u32_b32 v4, v4, v14
	s_waitcnt lgkmcnt(0)
	v_add_co_u32_e64 v14, s[4:5], v8, v4
	v_addc_co_u32_e64 v15, s[4:5], 0, v9, s[4:5]
	v_cmp_gt_u64_e64 s[4:5], s[30:31], v[14:15]
	s_mov_b64 s[38:39], 0
	s_and_saveexec_b64 s[42:43], s[4:5]
	s_cbranch_execz .LBB213_551
; %bb.550:                              ;   in Loop: Header=BB213_540 Depth=1
	v_mul_lo_u32 v4, v15, s18
	v_mul_lo_u32 v23, v14, s19
	v_mad_u64_u32 v[21:22], s[4:5], v14, s18, 0
	v_mul_lo_u32 v24, v15, s20
	v_mul_lo_u32 v25, v14, s21
	v_mad_u64_u32 v[14:15], s[4:5], v14, s20, 0
	v_add3_u32 v22, v22, v23, v4
	v_lshlrev_b64 v[21:22], 1, v[21:22]
	v_add3_u32 v15, v15, v25, v24
	v_mov_b32_e32 v4, s1
	v_add_co_u32_e64 v21, s[4:5], s0, v21
	v_lshlrev_b64 v[14:15], 3, v[14:15]
	v_addc_co_u32_e64 v22, s[4:5], v4, v22, s[4:5]
	v_mov_b32_e32 v4, s49
	v_add_co_u32_e64 v14, s[4:5], s48, v14
	s_mov_b64 s[38:39], exec
	v_addc_co_u32_e64 v15, s[4:5], v4, v15, s[4:5]
	s_waitcnt vmcnt(0)
	global_store_short v[21:22], v19, off
	global_store_dwordx2 v[14:15], v[10:11], off
.LBB213_551:                            ;   in Loop: Header=BB213_540 Depth=1
	s_or_b64 exec, exec, s[42:43]
	s_orn2_b64 s[42:43], s[38:39], exec
.LBB213_552:                            ;   in Loop: Header=BB213_540 Depth=1
	s_or_b64 exec, exec, s[40:41]
	s_mov_b64 s[40:41], -1
	s_and_saveexec_b64 s[38:39], s[42:43]
	s_cbranch_execz .LBB213_539
; %bb.553:                              ;   in Loop: Header=BB213_540 Depth=1
	v_mov_b32_e32 v4, s37
	v_add_co_u32_e64 v2, s[4:5], s36, v2
	v_addc_co_u32_e64 v3, s[4:5], v3, v4, s[4:5]
	v_cmp_le_u64_e64 s[4:5], s[16:17], v[6:7]
	s_xor_b64 s[40:41], exec, -1
	s_orn2_b64 s[6:7], s[4:5], exec
	s_branch .LBB213_539
.LBB213_554:
	s_or_b64 exec, exec, s[24:25]
	s_mov_b64 s[4:5], exec
	s_orn2_b64 s[24:25], s[34:35], exec
	s_or_b64 exec, exec, s[22:23]
	s_and_saveexec_b64 s[6:7], s[24:25]
	s_cbranch_execz .LBB213_529
.LBB213_555:
	v_mov_b32_e32 v15, 0
	s_waitcnt vmcnt(0) lgkmcnt(0)
	s_barrier
	s_mov_b64 s[2:3], exec
	v_readlane_b32 s22, v59, 22
	v_readlane_b32 s23, v59, 23
	s_and_b64 s[22:23], s[2:3], s[22:23]
	s_mov_b64 exec, s[22:23]
	s_cbranch_execz .LBB213_557
; %bb.556:
	global_load_ushort v15, v[12:13], off
.LBB213_557:
	s_or_b64 exec, exec, s[2:3]
	s_mov_b64 s[2:3], 0
	s_and_saveexec_b64 s[22:23], vcc
	s_cbranch_execz .LBB213_577
; %bb.558:
	v_add_co_u32_e32 v2, vcc, s33, v0
	v_addc_co_u32_e64 v3, s[2:3], 0, 0, vcc
	v_mul_lo_u32 v4, s27, v2
	v_mul_lo_u32 v5, s26, v3
	v_mad_u64_u32 v[2:3], s[2:3], s26, v2, 0
	s_add_u32 s2, s52, s44
	s_addc_u32 s3, s53, s45
	v_add3_u32 v3, v3, v5, v4
	v_readlane_b32 s24, v59, 50
	v_lshlrev_b64 v[2:3], 1, v[2:3]
	v_readlane_b32 s25, v59, 51
	s_add_u32 s2, s2, s24
	s_addc_u32 s3, s3, s25
	v_mov_b32_e32 v4, s3
	v_add_co_u32_e32 v2, vcc, s2, v2
	v_addc_co_u32_e32 v3, vcc, v4, v3, vcc
	s_mov_b64 s[24:25], 0
	v_mov_b32_e32 v12, 0xffff
	v_mov_b32_e32 v13, 0x8000
	;; [unrolled: 1-line block ×3, first 2 shown]
                                        ; implicit-def: $sgpr26_sgpr27
                                        ; implicit-def: $vgpr8_vgpr9
	s_branch .LBB213_561
.LBB213_559:                            ;   in Loop: Header=BB213_561 Depth=1
	s_or_b64 exec, exec, s[38:39]
	s_orn2_b64 s[40:41], s[42:43], exec
	s_orn2_b64 s[38:39], s[34:35], exec
.LBB213_560:                            ;   in Loop: Header=BB213_561 Depth=1
	s_or_b64 exec, exec, s[2:3]
	s_xor_b64 s[2:3], s[40:41], -1
	s_and_b64 s[34:35], exec, s[38:39]
	s_or_b64 s[24:25], s[34:35], s[24:25]
	s_andn2_b64 s[26:27], s[26:27], exec
	s_and_b64 s[2:3], s[2:3], exec
	v_mov_b32_e32 v0, v6
	s_or_b64 s[26:27], s[26:27], s[2:3]
	v_mov_b32_e32 v1, v7
	v_mov_b32_e32 v15, v14
	s_andn2_b64 exec, exec, s[24:25]
	s_cbranch_execz .LBB213_575
.LBB213_561:                            ; =>This Inner Loop Header: Depth=1
	v_add_co_u32_e32 v6, vcc, s33, v0
	v_addc_co_u32_e32 v7, vcc, 0, v1, vcc
	v_cmp_gt_u64_e32 vcc, s[28:29], v[6:7]
	v_mov_b32_e32 v14, 0
	s_and_saveexec_b64 s[2:3], vcc
	s_cbranch_execz .LBB213_563
; %bb.562:                              ;   in Loop: Header=BB213_561 Depth=1
	global_load_ushort v14, v[2:3], off
.LBB213_563:                            ;   in Loop: Header=BB213_561 Depth=1
	s_or_b64 exec, exec, s[2:3]
	s_waitcnt vmcnt(0)
	v_cmp_lt_i16_e64 s[2:3], -1, v15
	v_cndmask_b32_e64 v4, v12, v13, s[2:3]
	v_xor_b32_sdwa v4, v4, v15 dst_sel:DWORD dst_unused:UNUSED_PAD src0_sel:DWORD src1_sel:WORD_0
	v_cmp_o_f16_e64 s[2:3], v15, v15
	v_cmp_gt_u64_e32 vcc, s[28:29], v[0:1]
	v_cndmask_b32_e64 v4, v12, v4, s[2:3]
	v_cmp_eq_u32_e64 s[2:3], v4, v16
	s_and_b64 s[34:35], vcc, s[2:3]
	v_cndmask_b32_e64 v4, 0, 1, s[34:35]
	v_cmp_ne_u32_e32 vcc, 0, v4
	s_cmp_lg_u64 vcc, 0
	v_readlane_b32 s38, v59, 16
	s_cselect_b64 s[2:3], -1, 0
	v_readlane_b32 s39, v59, 17
	s_and_b64 s[2:3], s[38:39], s[2:3]
	s_and_saveexec_b64 s[38:39], s[2:3]
	s_cbranch_execz .LBB213_567
; %bb.564:                              ;   in Loop: Header=BB213_561 Depth=1
	s_mov_b64 s[42:43], exec
	v_mbcnt_lo_u32_b32 v4, s42, 0
	v_mbcnt_hi_u32_b32 v10, s43, v4
	s_bcnt1_i32_b64 s44, vcc
	v_cmp_eq_u32_e64 s[2:3], 0, v10
                                        ; implicit-def: $vgpr8_vgpr9
	s_and_saveexec_b64 s[40:41], s[2:3]
; %bb.565:                              ;   in Loop: Header=BB213_561 Depth=1
	s_bcnt1_i32_b64 s2, s[42:43]
	s_mul_i32 s2, s44, s2
	v_mov_b32_e32 v4, s2
	ds_add_rtn_u64 v[8:9], v5, v[4:5] offset:5136
; %bb.566:                              ;   in Loop: Header=BB213_561 Depth=1
	s_or_b64 exec, exec, s[40:41]
	s_waitcnt lgkmcnt(0)
	v_readfirstlane_b32 s2, v9
	v_readfirstlane_b32 s3, v8
	v_mov_b32_e32 v8, s3
	v_mov_b32_e32 v9, s2
	v_mad_u64_u32 v[8:9], s[2:3], s44, v10, v[8:9]
.LBB213_567:                            ;   in Loop: Header=BB213_561 Depth=1
	s_or_b64 exec, exec, s[38:39]
	ds_bpermute_b32 v8, v41, v8
	ds_bpermute_b32 v9, v41, v9
	s_cmp_eq_u64 vcc, 0
	s_cselect_b64 s[40:41], -1, 0
	s_mov_b64 s[38:39], -1
	s_waitcnt lgkmcnt(0)
	v_cmp_gt_u64_e64 s[2:3], s[30:31], v[8:9]
	s_or_b64 s[42:43], s[40:41], s[2:3]
	s_mov_b64 s[40:41], -1
	s_and_saveexec_b64 s[2:3], s[42:43]
	s_cbranch_execz .LBB213_560
; %bb.568:                              ;   in Loop: Header=BB213_561 Depth=1
	v_and_b32_e32 v10, vcc_lo, v43
	v_and_b32_e32 v4, vcc_hi, v42
	v_bcnt_u32_b32 v10, v10, 0
	v_bcnt_u32_b32 v4, v4, v10
	v_mov_b32_e32 v11, s31
	v_sub_co_u32_e32 v10, vcc, s30, v8
	v_subb_co_u32_e32 v11, vcc, v11, v9, vcc
	v_cmp_gt_u64_e32 vcc, v[10:11], v[4:5]
	s_mov_b64 s[42:43], -1
	s_and_b64 s[44:45], s[34:35], vcc
	s_mov_b64 s[34:35], -1
	s_and_saveexec_b64 s[38:39], s[44:45]
	s_cbranch_execz .LBB213_572
; %bb.569:                              ;   in Loop: Header=BB213_561 Depth=1
	v_add_co_u32_e32 v10, vcc, v8, v4
	v_addc_co_u32_e32 v11, vcc, 0, v9, vcc
	v_cmp_gt_u64_e32 vcc, s[30:31], v[10:11]
	s_mov_b64 s[40:41], 0
	s_and_saveexec_b64 s[42:43], vcc
; %bb.570:                              ;   in Loop: Header=BB213_561 Depth=1
	v_mul_lo_u32 v4, v11, s18
	v_mul_lo_u32 v19, v10, s19
	v_mad_u64_u32 v[17:18], s[44:45], v10, s18, 0
	v_mul_lo_u32 v20, v11, s20
	v_mul_lo_u32 v21, v10, s21
	v_mad_u64_u32 v[10:11], s[44:45], v10, s20, 0
	v_add3_u32 v18, v18, v19, v4
	v_lshlrev_b64 v[17:18], 1, v[17:18]
	v_add3_u32 v11, v11, v21, v20
	v_mov_b32_e32 v4, s1
	v_add_co_u32_e32 v17, vcc, s0, v17
	v_lshlrev_b64 v[10:11], 3, v[10:11]
	v_addc_co_u32_e32 v18, vcc, v4, v18, vcc
	v_mov_b32_e32 v4, s49
	v_add_co_u32_e32 v10, vcc, s48, v10
	s_mov_b64 s[40:41], exec
	v_addc_co_u32_e32 v11, vcc, v4, v11, vcc
	global_store_short v[17:18], v15, off
	global_store_dwordx2 v[10:11], v[0:1], off
; %bb.571:                              ;   in Loop: Header=BB213_561 Depth=1
	s_or_b64 exec, exec, s[42:43]
	s_xor_b64 s[42:43], exec, -1
	s_orn2_b64 s[40:41], s[40:41], exec
.LBB213_572:                            ;   in Loop: Header=BB213_561 Depth=1
	s_or_b64 exec, exec, s[38:39]
	s_and_saveexec_b64 s[38:39], s[40:41]
	s_cbranch_execz .LBB213_559
; %bb.573:                              ;   in Loop: Header=BB213_561 Depth=1
	v_mov_b32_e32 v0, s37
	v_add_co_u32_e32 v2, vcc, s36, v2
	v_addc_co_u32_e32 v3, vcc, v3, v0, vcc
	v_cmp_le_u64_e32 vcc, s[16:17], v[6:7]
	s_or_b64 s[42:43], s[42:43], exec
	s_orn2_b64 s[34:35], vcc, exec
	s_branch .LBB213_559
.LBB213_574:
	s_or_b64 s[6:7], s[6:7], exec
	s_trap 2
	s_branch .LBB213_536
.LBB213_575:
	s_or_b64 exec, exec, s[24:25]
	s_mov_b64 s[0:1], 0
	s_and_saveexec_b64 s[2:3], s[26:27]
	s_xor_b64 s[2:3], exec, s[2:3]
	s_cbranch_execnz .LBB213_581
.LBB213_576:
	s_or_b64 exec, exec, s[2:3]
	s_and_b64 s[2:3], s[0:1], exec
.LBB213_577:
	s_or_b64 exec, exec, s[22:23]
	s_and_b64 s[2:3], s[2:3], exec
	s_andn2_b64 s[4:5], s[4:5], exec
	s_or_b64 exec, exec, s[6:7]
	s_and_saveexec_b64 s[0:1], s[4:5]
	s_xor_b64 s[0:1], exec, s[0:1]
	s_cbranch_execz .LBB213_530
.LBB213_578:
	s_trap 2
	s_or_b64 s[2:3], s[2:3], exec
	s_branch .LBB213_530
.LBB213_579:
	s_or_b64 s[6:7], s[6:7], exec
	s_trap 2
	s_branch .LBB213_534
.LBB213_580:
	s_trap 2
	s_or_b64 s[6:7], s[6:7], exec
	s_branch .LBB213_532
.LBB213_581:
	s_mov_b64 s[0:1], exec
	s_trap 2
	s_branch .LBB213_576
	.section	.rodata,"a",@progbits
	.p2align	6, 0x0
	.amdhsa_kernel _ZN2at6native6sbtopk10gatherTopKIN3c104HalfEmLin1ELb0EEEvNS_4cuda6detail10TensorInfoIKT_T0_EESA_SA_bSA_SA_NS7_IS8_SA_EESA_NS7_IlSA_EESA_PS8_
		.amdhsa_group_segment_fixed_size 5152
		.amdhsa_private_segment_fixed_size 0
		.amdhsa_kernarg_size 1568
		.amdhsa_user_sgpr_count 6
		.amdhsa_user_sgpr_private_segment_buffer 1
		.amdhsa_user_sgpr_dispatch_ptr 0
		.amdhsa_user_sgpr_queue_ptr 0
		.amdhsa_user_sgpr_kernarg_segment_ptr 1
		.amdhsa_user_sgpr_dispatch_id 0
		.amdhsa_user_sgpr_flat_scratch_init 0
		.amdhsa_user_sgpr_private_segment_size 0
		.amdhsa_uses_dynamic_stack 0
		.amdhsa_system_sgpr_private_segment_wavefront_offset 0
		.amdhsa_system_sgpr_workgroup_id_x 1
		.amdhsa_system_sgpr_workgroup_id_y 1
		.amdhsa_system_sgpr_workgroup_id_z 1
		.amdhsa_system_sgpr_workgroup_info 0
		.amdhsa_system_vgpr_workitem_id 0
		.amdhsa_next_free_vgpr 60
		.amdhsa_next_free_sgpr 96
		.amdhsa_reserve_vcc 1
		.amdhsa_reserve_flat_scratch 0
		.amdhsa_float_round_mode_32 0
		.amdhsa_float_round_mode_16_64 0
		.amdhsa_float_denorm_mode_32 3
		.amdhsa_float_denorm_mode_16_64 3
		.amdhsa_dx10_clamp 1
		.amdhsa_ieee_mode 1
		.amdhsa_fp16_overflow 0
		.amdhsa_exception_fp_ieee_invalid_op 0
		.amdhsa_exception_fp_denorm_src 0
		.amdhsa_exception_fp_ieee_div_zero 0
		.amdhsa_exception_fp_ieee_overflow 0
		.amdhsa_exception_fp_ieee_underflow 0
		.amdhsa_exception_fp_ieee_inexact 0
		.amdhsa_exception_int_div_zero 0
	.end_amdhsa_kernel
	.section	.text._ZN2at6native6sbtopk10gatherTopKIN3c104HalfEmLin1ELb0EEEvNS_4cuda6detail10TensorInfoIKT_T0_EESA_SA_bSA_SA_NS7_IS8_SA_EESA_NS7_IlSA_EESA_PS8_,"axG",@progbits,_ZN2at6native6sbtopk10gatherTopKIN3c104HalfEmLin1ELb0EEEvNS_4cuda6detail10TensorInfoIKT_T0_EESA_SA_bSA_SA_NS7_IS8_SA_EESA_NS7_IlSA_EESA_PS8_,comdat
.Lfunc_end213:
	.size	_ZN2at6native6sbtopk10gatherTopKIN3c104HalfEmLin1ELb0EEEvNS_4cuda6detail10TensorInfoIKT_T0_EESA_SA_bSA_SA_NS7_IS8_SA_EESA_NS7_IlSA_EESA_PS8_, .Lfunc_end213-_ZN2at6native6sbtopk10gatherTopKIN3c104HalfEmLin1ELb0EEEvNS_4cuda6detail10TensorInfoIKT_T0_EESA_SA_bSA_SA_NS7_IS8_SA_EESA_NS7_IlSA_EESA_PS8_
                                        ; -- End function
	.set _ZN2at6native6sbtopk10gatherTopKIN3c104HalfEmLin1ELb0EEEvNS_4cuda6detail10TensorInfoIKT_T0_EESA_SA_bSA_SA_NS7_IS8_SA_EESA_NS7_IlSA_EESA_PS8_.num_vgpr, 60
	.set _ZN2at6native6sbtopk10gatherTopKIN3c104HalfEmLin1ELb0EEEvNS_4cuda6detail10TensorInfoIKT_T0_EESA_SA_bSA_SA_NS7_IS8_SA_EESA_NS7_IlSA_EESA_PS8_.num_agpr, 0
	.set _ZN2at6native6sbtopk10gatherTopKIN3c104HalfEmLin1ELb0EEEvNS_4cuda6detail10TensorInfoIKT_T0_EESA_SA_bSA_SA_NS7_IS8_SA_EESA_NS7_IlSA_EESA_PS8_.numbered_sgpr, 96
	.set _ZN2at6native6sbtopk10gatherTopKIN3c104HalfEmLin1ELb0EEEvNS_4cuda6detail10TensorInfoIKT_T0_EESA_SA_bSA_SA_NS7_IS8_SA_EESA_NS7_IlSA_EESA_PS8_.num_named_barrier, 0
	.set _ZN2at6native6sbtopk10gatherTopKIN3c104HalfEmLin1ELb0EEEvNS_4cuda6detail10TensorInfoIKT_T0_EESA_SA_bSA_SA_NS7_IS8_SA_EESA_NS7_IlSA_EESA_PS8_.private_seg_size, 0
	.set _ZN2at6native6sbtopk10gatherTopKIN3c104HalfEmLin1ELb0EEEvNS_4cuda6detail10TensorInfoIKT_T0_EESA_SA_bSA_SA_NS7_IS8_SA_EESA_NS7_IlSA_EESA_PS8_.uses_vcc, 1
	.set _ZN2at6native6sbtopk10gatherTopKIN3c104HalfEmLin1ELb0EEEvNS_4cuda6detail10TensorInfoIKT_T0_EESA_SA_bSA_SA_NS7_IS8_SA_EESA_NS7_IlSA_EESA_PS8_.uses_flat_scratch, 0
	.set _ZN2at6native6sbtopk10gatherTopKIN3c104HalfEmLin1ELb0EEEvNS_4cuda6detail10TensorInfoIKT_T0_EESA_SA_bSA_SA_NS7_IS8_SA_EESA_NS7_IlSA_EESA_PS8_.has_dyn_sized_stack, 0
	.set _ZN2at6native6sbtopk10gatherTopKIN3c104HalfEmLin1ELb0EEEvNS_4cuda6detail10TensorInfoIKT_T0_EESA_SA_bSA_SA_NS7_IS8_SA_EESA_NS7_IlSA_EESA_PS8_.has_recursion, 0
	.set _ZN2at6native6sbtopk10gatherTopKIN3c104HalfEmLin1ELb0EEEvNS_4cuda6detail10TensorInfoIKT_T0_EESA_SA_bSA_SA_NS7_IS8_SA_EESA_NS7_IlSA_EESA_PS8_.has_indirect_call, 0
	.section	.AMDGPU.csdata,"",@progbits
; Kernel info:
; codeLenInByte = 29432
; TotalNumSgprs: 100
; NumVgprs: 60
; ScratchSize: 0
; MemoryBound: 0
; FloatMode: 240
; IeeeMode: 1
; LDSByteSize: 5152 bytes/workgroup (compile time only)
; SGPRBlocks: 12
; VGPRBlocks: 14
; NumSGPRsForWavesPerEU: 100
; NumVGPRsForWavesPerEU: 60
; Occupancy: 4
; WaveLimiterHint : 1
; COMPUTE_PGM_RSRC2:SCRATCH_EN: 0
; COMPUTE_PGM_RSRC2:USER_SGPR: 6
; COMPUTE_PGM_RSRC2:TRAP_HANDLER: 0
; COMPUTE_PGM_RSRC2:TGID_X_EN: 1
; COMPUTE_PGM_RSRC2:TGID_Y_EN: 1
; COMPUTE_PGM_RSRC2:TGID_Z_EN: 1
; COMPUTE_PGM_RSRC2:TIDIG_COMP_CNT: 0
	.section	.text._ZN2at6native6mbtopk23computeBlockDigitCountsIN3c108BFloat16EmjLi1EEEvNS_4cuda6detail10TensorInfoIKT_T0_EEjPjjSA_iijT1_PSD_Ps,"axG",@progbits,_ZN2at6native6mbtopk23computeBlockDigitCountsIN3c108BFloat16EmjLi1EEEvNS_4cuda6detail10TensorInfoIKT_T0_EEjPjjSA_iijT1_PSD_Ps,comdat
	.protected	_ZN2at6native6mbtopk23computeBlockDigitCountsIN3c108BFloat16EmjLi1EEEvNS_4cuda6detail10TensorInfoIKT_T0_EEjPjjSA_iijT1_PSD_Ps ; -- Begin function _ZN2at6native6mbtopk23computeBlockDigitCountsIN3c108BFloat16EmjLi1EEEvNS_4cuda6detail10TensorInfoIKT_T0_EEjPjjSA_iijT1_PSD_Ps
	.globl	_ZN2at6native6mbtopk23computeBlockDigitCountsIN3c108BFloat16EmjLi1EEEvNS_4cuda6detail10TensorInfoIKT_T0_EEjPjjSA_iijT1_PSD_Ps
	.p2align	8
	.type	_ZN2at6native6mbtopk23computeBlockDigitCountsIN3c108BFloat16EmjLi1EEEvNS_4cuda6detail10TensorInfoIKT_T0_EEjPjjSA_iijT1_PSD_Ps,@function
_ZN2at6native6mbtopk23computeBlockDigitCountsIN3c108BFloat16EmjLi1EEEvNS_4cuda6detail10TensorInfoIKT_T0_EEjPjjSA_iijT1_PSD_Ps: ; @_ZN2at6native6mbtopk23computeBlockDigitCountsIN3c108BFloat16EmjLi1EEEvNS_4cuda6detail10TensorInfoIKT_T0_EEjPjjSA_iijT1_PSD_Ps
; %bb.0:
	s_load_dwordx4 s[0:3], s[4:5], 0x1c0
	s_load_dword s9, s[4:5], 0x1b0
	s_load_dwordx2 s[10:11], s[4:5], 0x1e0
	s_mov_b32 s13, 0
	s_waitcnt lgkmcnt(0)
	v_cvt_f32_u32_e32 v1, s2
	s_mul_i32 s8, s11, s8
	s_add_i32 s7, s8, s7
	v_rcp_iflag_f32_e32 v1, v1
	s_mul_i32 s14, s7, s10
	s_sub_i32 s11, 0, s2
	s_add_i32 s14, s14, s6
	v_mul_f32_e32 v1, 0x4f7ffffe, v1
	v_cvt_u32_f32_e32 v1, v1
	v_readfirstlane_b32 s6, v1
	s_mul_i32 s11, s11, s6
	s_mul_hi_u32 s7, s6, s11
	s_add_i32 s6, s6, s7
	s_mul_hi_u32 s6, s14, s6
	s_mul_i32 s7, s6, s2
	s_sub_i32 s7, s14, s7
	s_add_i32 s8, s6, 1
	s_sub_i32 s10, s7, s2
	s_cmp_ge_u32 s7, s2
	s_cselect_b32 s6, s8, s6
	s_cselect_b32 s7, s10, s7
	s_add_i32 s8, s6, 1
	s_cmp_ge_u32 s7, s2
	s_cselect_b32 s12, s8, s6
	s_cmp_ge_u32 s12, s9
	s_cbranch_scc1 .LBB214_21
; %bb.1:
	s_load_dwordx4 s[8:11], s[4:5], 0x1d0
	s_lshl_b64 s[6:7], s[12:13], 2
	s_movk_i32 s13, 0x100
	v_cmp_gt_u32_e32 vcc, s13, v0
	v_lshlrev_b32_e32 v1, 2, v0
	s_waitcnt lgkmcnt(0)
	s_add_u32 s8, s8, s6
	s_addc_u32 s9, s9, s7
	s_and_saveexec_b64 s[6:7], vcc
; %bb.2:
	v_mov_b32_e32 v2, 0
	ds_write_b32 v1, v2
; %bb.3:
	s_or_b64 exec, exec, s[6:7]
	s_load_dword s13, s[4:5], 0x1a0
	s_mul_i32 s6, s12, s2
	s_sub_i32 s6, s14, s6
	s_add_i32 s15, s6, 1
	s_mul_i32 s6, s1, s6
	s_lshl_b32 s16, s6, 8
	s_waitcnt lgkmcnt(0)
	s_sub_i32 s6, s13, s16
	s_add_u32 s6, s6, 0xff
	s_addc_u32 s7, 0, 0
	s_lshr_b64 s[6:7], s[6:7], 8
	s_cmp_lt_u32 s15, s2
	s_cselect_b32 s15, s1, s6
	s_cmp_lt_i32 s15, 1
	s_mov_b32 s1, 0
	s_barrier
	s_cbranch_scc1 .LBB214_19
; %bb.4:
	s_load_dwordx2 s[18:19], s[4:5], 0xd0
	s_load_dwordx2 s[6:7], s[4:5], 0x1b8
	;; [unrolled: 1-line block ×3, first 2 shown]
	s_load_dword s2, s[8:9], 0x0
	v_add_u32_e32 v2, s16, v0
	s_waitcnt lgkmcnt(0)
	s_mul_i32 s4, s19, s12
	s_mul_hi_u32 s5, s18, s12
	s_add_i32 s5, s5, s4
	s_mul_i32 s4, s18, s12
	s_lshl_b64 s[4:5], s[4:5], 1
	s_add_u32 s9, s20, s4
	s_addc_u32 s12, s21, s5
	s_and_b32 s8, s0, 0xff
	s_cmp_eq_u32 s15, 1
	s_cbranch_scc1 .LBB214_14
; %bb.5:
	s_and_b32 s16, s15, 0x7ffffffe
	s_mov_b32 s17, 0
	v_mov_b32_e32 v3, 1
	v_mov_b32_e32 v4, 0xffff
	;; [unrolled: 1-line block ×4, first 2 shown]
	s_branch .LBB214_7
.LBB214_6:                              ;   in Loop: Header=BB214_7 Depth=1
	s_or_b64 exec, exec, s[4:5]
	s_add_i32 s17, s17, 2
	s_cmp_eq_u32 s16, s17
	v_add_u32_e32 v6, 0x200, v6
	s_cbranch_scc1 .LBB214_13
.LBB214_7:                              ; =>This Inner Loop Header: Depth=1
	v_cmp_gt_u32_e64 s[0:1], s13, v6
	s_and_saveexec_b64 s[4:5], s[0:1]
	s_cbranch_execz .LBB214_10
; %bb.8:                                ;   in Loop: Header=BB214_7 Depth=1
	v_mad_u64_u32 v[7:8], s[0:1], s6, v6, 0
	v_mad_u64_u32 v[8:9], s[0:1], s7, v6, v[8:9]
	v_mov_b32_e32 v9, s12
	v_lshlrev_b64 v[7:8], 1, v[7:8]
	v_add_co_u32_e64 v7, s[0:1], s9, v7
	v_addc_co_u32_e64 v8, s[0:1], v9, v8, s[0:1]
	global_load_ushort v7, v[7:8], off
	s_waitcnt vmcnt(0)
	v_cmp_lt_i16_e64 s[0:1], -1, v7
	v_cndmask_b32_e64 v8, v4, v5, s[0:1]
	v_lshlrev_b32_e32 v9, 16, v7
	v_xor_b32_sdwa v7, v8, v7 dst_sel:DWORD dst_unused:UNUSED_PAD src0_sel:DWORD src1_sel:WORD_0
	v_cmp_o_f32_e64 s[0:1], v9, v9
	v_cndmask_b32_e64 v7, v4, v7, s[0:1]
	v_xor_b32_e32 v8, s2, v7
	v_and_b32_e32 v8, s3, v8
	v_cmp_eq_u32_e64 s[0:1], 0, v8
	s_and_b64 exec, exec, s[0:1]
; %bb.9:                                ;   in Loop: Header=BB214_7 Depth=1
	v_bfe_u32 v7, v7, s8, 8
	v_lshlrev_b32_e32 v7, 2, v7
	ds_add_u32 v7, v3
.LBB214_10:                             ;   in Loop: Header=BB214_7 Depth=1
	s_or_b64 exec, exec, s[4:5]
	v_add_u32_e32 v7, 0x100, v6
	v_cmp_gt_u32_e64 s[0:1], s13, v7
	s_and_saveexec_b64 s[4:5], s[0:1]
	s_cbranch_execz .LBB214_6
; %bb.11:                               ;   in Loop: Header=BB214_7 Depth=1
	v_mad_u64_u32 v[8:9], s[0:1], s6, v7, 0
	v_mad_u64_u32 v[9:10], s[0:1], s7, v7, v[9:10]
	v_mov_b32_e32 v10, s12
	v_lshlrev_b64 v[7:8], 1, v[8:9]
	v_add_co_u32_e64 v7, s[0:1], s9, v7
	v_addc_co_u32_e64 v8, s[0:1], v10, v8, s[0:1]
	global_load_ushort v7, v[7:8], off
	s_waitcnt vmcnt(0)
	v_cmp_lt_i16_e64 s[0:1], -1, v7
	v_cndmask_b32_e64 v8, v4, v5, s[0:1]
	v_lshlrev_b32_e32 v9, 16, v7
	v_xor_b32_sdwa v7, v8, v7 dst_sel:DWORD dst_unused:UNUSED_PAD src0_sel:DWORD src1_sel:WORD_0
	v_cmp_o_f32_e64 s[0:1], v9, v9
	v_cndmask_b32_e64 v7, v4, v7, s[0:1]
	v_xor_b32_e32 v8, s2, v7
	v_and_b32_e32 v8, s3, v8
	v_cmp_eq_u32_e64 s[0:1], 0, v8
	s_and_b64 exec, exec, s[0:1]
	s_cbranch_execz .LBB214_6
; %bb.12:                               ;   in Loop: Header=BB214_7 Depth=1
	v_bfe_u32 v7, v7, s8, 8
	v_lshlrev_b32_e32 v7, 2, v7
	ds_add_u32 v7, v3
	s_branch .LBB214_6
.LBB214_13:
	s_lshl_b32 s1, s16, 8
.LBB214_14:
	s_bitcmp0_b32 s15, 0
	s_cbranch_scc1 .LBB214_19
; %bb.15:
	v_add_u32_e32 v2, s1, v2
	v_cmp_gt_u32_e64 s[0:1], s13, v2
	s_and_saveexec_b64 s[4:5], s[0:1]
	s_cbranch_execz .LBB214_18
; %bb.16:
	v_mad_u64_u32 v[3:4], s[0:1], s6, v2, 0
	v_mad_u64_u32 v[4:5], s[0:1], s7, v2, v[4:5]
	v_mov_b32_e32 v5, s12
	v_lshlrev_b64 v[2:3], 1, v[3:4]
	v_mov_b32_e32 v4, 0x8000
	v_add_co_u32_e64 v2, s[0:1], s9, v2
	v_addc_co_u32_e64 v3, s[0:1], v5, v3, s[0:1]
	global_load_ushort v2, v[2:3], off
	v_mov_b32_e32 v3, 0xffff
	s_waitcnt vmcnt(0)
	v_cmp_lt_i16_e64 s[0:1], -1, v2
	v_cndmask_b32_e64 v4, v3, v4, s[0:1]
	v_lshlrev_b32_e32 v5, 16, v2
	v_xor_b32_sdwa v2, v4, v2 dst_sel:DWORD dst_unused:UNUSED_PAD src0_sel:DWORD src1_sel:WORD_0
	v_cmp_o_f32_e64 s[0:1], v5, v5
	v_cndmask_b32_e64 v2, v3, v2, s[0:1]
	v_xor_b32_e32 v3, s2, v2
	v_and_b32_e32 v3, s3, v3
	v_cmp_eq_u32_e64 s[0:1], 0, v3
	s_and_b64 exec, exec, s[0:1]
; %bb.17:
	v_bfe_u32 v2, v2, s8, 8
	v_lshlrev_b32_e32 v2, 2, v2
	v_mov_b32_e32 v3, 1
	ds_add_u32 v2, v3
.LBB214_18:
	s_or_b64 exec, exec, s[4:5]
.LBB214_19:
	s_waitcnt lgkmcnt(0)
	s_barrier
	s_and_saveexec_b64 s[0:1], vcc
	s_cbranch_execz .LBB214_21
; %bb.20:
	v_lshl_or_b32 v2, s14, 8, v0
	v_mov_b32_e32 v3, 0
	ds_read_b32 v5, v1
	v_lshlrev_b64 v[2:3], 1, v[2:3]
	v_mov_b32_e32 v4, s11
	v_add_co_u32_e32 v0, vcc, s10, v2
	v_addc_co_u32_e32 v1, vcc, v4, v3, vcc
	s_waitcnt lgkmcnt(0)
	global_store_short v[0:1], v5, off
.LBB214_21:
	s_endpgm
	.section	.rodata,"a",@progbits
	.p2align	6, 0x0
	.amdhsa_kernel _ZN2at6native6mbtopk23computeBlockDigitCountsIN3c108BFloat16EmjLi1EEEvNS_4cuda6detail10TensorInfoIKT_T0_EEjPjjSA_iijT1_PSD_Ps
		.amdhsa_group_segment_fixed_size 1024
		.amdhsa_private_segment_fixed_size 0
		.amdhsa_kernarg_size 736
		.amdhsa_user_sgpr_count 6
		.amdhsa_user_sgpr_private_segment_buffer 1
		.amdhsa_user_sgpr_dispatch_ptr 0
		.amdhsa_user_sgpr_queue_ptr 0
		.amdhsa_user_sgpr_kernarg_segment_ptr 1
		.amdhsa_user_sgpr_dispatch_id 0
		.amdhsa_user_sgpr_flat_scratch_init 0
		.amdhsa_user_sgpr_private_segment_size 0
		.amdhsa_uses_dynamic_stack 0
		.amdhsa_system_sgpr_private_segment_wavefront_offset 0
		.amdhsa_system_sgpr_workgroup_id_x 1
		.amdhsa_system_sgpr_workgroup_id_y 1
		.amdhsa_system_sgpr_workgroup_id_z 1
		.amdhsa_system_sgpr_workgroup_info 0
		.amdhsa_system_vgpr_workitem_id 0
		.amdhsa_next_free_vgpr 11
		.amdhsa_next_free_sgpr 22
		.amdhsa_reserve_vcc 1
		.amdhsa_reserve_flat_scratch 0
		.amdhsa_float_round_mode_32 0
		.amdhsa_float_round_mode_16_64 0
		.amdhsa_float_denorm_mode_32 3
		.amdhsa_float_denorm_mode_16_64 3
		.amdhsa_dx10_clamp 1
		.amdhsa_ieee_mode 1
		.amdhsa_fp16_overflow 0
		.amdhsa_exception_fp_ieee_invalid_op 0
		.amdhsa_exception_fp_denorm_src 0
		.amdhsa_exception_fp_ieee_div_zero 0
		.amdhsa_exception_fp_ieee_overflow 0
		.amdhsa_exception_fp_ieee_underflow 0
		.amdhsa_exception_fp_ieee_inexact 0
		.amdhsa_exception_int_div_zero 0
	.end_amdhsa_kernel
	.section	.text._ZN2at6native6mbtopk23computeBlockDigitCountsIN3c108BFloat16EmjLi1EEEvNS_4cuda6detail10TensorInfoIKT_T0_EEjPjjSA_iijT1_PSD_Ps,"axG",@progbits,_ZN2at6native6mbtopk23computeBlockDigitCountsIN3c108BFloat16EmjLi1EEEvNS_4cuda6detail10TensorInfoIKT_T0_EEjPjjSA_iijT1_PSD_Ps,comdat
.Lfunc_end214:
	.size	_ZN2at6native6mbtopk23computeBlockDigitCountsIN3c108BFloat16EmjLi1EEEvNS_4cuda6detail10TensorInfoIKT_T0_EEjPjjSA_iijT1_PSD_Ps, .Lfunc_end214-_ZN2at6native6mbtopk23computeBlockDigitCountsIN3c108BFloat16EmjLi1EEEvNS_4cuda6detail10TensorInfoIKT_T0_EEjPjjSA_iijT1_PSD_Ps
                                        ; -- End function
	.set _ZN2at6native6mbtopk23computeBlockDigitCountsIN3c108BFloat16EmjLi1EEEvNS_4cuda6detail10TensorInfoIKT_T0_EEjPjjSA_iijT1_PSD_Ps.num_vgpr, 11
	.set _ZN2at6native6mbtopk23computeBlockDigitCountsIN3c108BFloat16EmjLi1EEEvNS_4cuda6detail10TensorInfoIKT_T0_EEjPjjSA_iijT1_PSD_Ps.num_agpr, 0
	.set _ZN2at6native6mbtopk23computeBlockDigitCountsIN3c108BFloat16EmjLi1EEEvNS_4cuda6detail10TensorInfoIKT_T0_EEjPjjSA_iijT1_PSD_Ps.numbered_sgpr, 22
	.set _ZN2at6native6mbtopk23computeBlockDigitCountsIN3c108BFloat16EmjLi1EEEvNS_4cuda6detail10TensorInfoIKT_T0_EEjPjjSA_iijT1_PSD_Ps.num_named_barrier, 0
	.set _ZN2at6native6mbtopk23computeBlockDigitCountsIN3c108BFloat16EmjLi1EEEvNS_4cuda6detail10TensorInfoIKT_T0_EEjPjjSA_iijT1_PSD_Ps.private_seg_size, 0
	.set _ZN2at6native6mbtopk23computeBlockDigitCountsIN3c108BFloat16EmjLi1EEEvNS_4cuda6detail10TensorInfoIKT_T0_EEjPjjSA_iijT1_PSD_Ps.uses_vcc, 1
	.set _ZN2at6native6mbtopk23computeBlockDigitCountsIN3c108BFloat16EmjLi1EEEvNS_4cuda6detail10TensorInfoIKT_T0_EEjPjjSA_iijT1_PSD_Ps.uses_flat_scratch, 0
	.set _ZN2at6native6mbtopk23computeBlockDigitCountsIN3c108BFloat16EmjLi1EEEvNS_4cuda6detail10TensorInfoIKT_T0_EEjPjjSA_iijT1_PSD_Ps.has_dyn_sized_stack, 0
	.set _ZN2at6native6mbtopk23computeBlockDigitCountsIN3c108BFloat16EmjLi1EEEvNS_4cuda6detail10TensorInfoIKT_T0_EEjPjjSA_iijT1_PSD_Ps.has_recursion, 0
	.set _ZN2at6native6mbtopk23computeBlockDigitCountsIN3c108BFloat16EmjLi1EEEvNS_4cuda6detail10TensorInfoIKT_T0_EEjPjjSA_iijT1_PSD_Ps.has_indirect_call, 0
	.section	.AMDGPU.csdata,"",@progbits
; Kernel info:
; codeLenInByte = 1020
; TotalNumSgprs: 26
; NumVgprs: 11
; ScratchSize: 0
; MemoryBound: 0
; FloatMode: 240
; IeeeMode: 1
; LDSByteSize: 1024 bytes/workgroup (compile time only)
; SGPRBlocks: 3
; VGPRBlocks: 2
; NumSGPRsForWavesPerEU: 26
; NumVGPRsForWavesPerEU: 11
; Occupancy: 10
; WaveLimiterHint : 1
; COMPUTE_PGM_RSRC2:SCRATCH_EN: 0
; COMPUTE_PGM_RSRC2:USER_SGPR: 6
; COMPUTE_PGM_RSRC2:TRAP_HANDLER: 0
; COMPUTE_PGM_RSRC2:TGID_X_EN: 1
; COMPUTE_PGM_RSRC2:TGID_Y_EN: 1
; COMPUTE_PGM_RSRC2:TGID_Z_EN: 1
; COMPUTE_PGM_RSRC2:TIDIG_COMP_CNT: 0
	.section	.text._ZN2at6native6mbtopk10gatherTopKIN3c108BFloat16EmLi1EEEvNS_4cuda6detail10TensorInfoIKT_T0_EESA_SA_bjSA_NS7_IS8_SA_EESA_NS7_IlSA_EESA_jjPS8_PjSF_j,"axG",@progbits,_ZN2at6native6mbtopk10gatherTopKIN3c108BFloat16EmLi1EEEvNS_4cuda6detail10TensorInfoIKT_T0_EESA_SA_bjSA_NS7_IS8_SA_EESA_NS7_IlSA_EESA_jjPS8_PjSF_j,comdat
	.protected	_ZN2at6native6mbtopk10gatherTopKIN3c108BFloat16EmLi1EEEvNS_4cuda6detail10TensorInfoIKT_T0_EESA_SA_bjSA_NS7_IS8_SA_EESA_NS7_IlSA_EESA_jjPS8_PjSF_j ; -- Begin function _ZN2at6native6mbtopk10gatherTopKIN3c108BFloat16EmLi1EEEvNS_4cuda6detail10TensorInfoIKT_T0_EESA_SA_bjSA_NS7_IS8_SA_EESA_NS7_IlSA_EESA_jjPS8_PjSF_j
	.globl	_ZN2at6native6mbtopk10gatherTopKIN3c108BFloat16EmLi1EEEvNS_4cuda6detail10TensorInfoIKT_T0_EESA_SA_bjSA_NS7_IS8_SA_EESA_NS7_IlSA_EESA_jjPS8_PjSF_j
	.p2align	8
	.type	_ZN2at6native6mbtopk10gatherTopKIN3c108BFloat16EmLi1EEEvNS_4cuda6detail10TensorInfoIKT_T0_EESA_SA_bjSA_NS7_IS8_SA_EESA_NS7_IlSA_EESA_jjPS8_PjSF_j,@function
_ZN2at6native6mbtopk10gatherTopKIN3c108BFloat16EmLi1EEEvNS_4cuda6detail10TensorInfoIKT_T0_EESA_SA_bjSA_NS7_IS8_SA_EESA_NS7_IlSA_EESA_jjPS8_PjSF_j: ; @_ZN2at6native6mbtopk10gatherTopKIN3c108BFloat16EmLi1EEEvNS_4cuda6detail10TensorInfoIKT_T0_EESA_SA_bjSA_NS7_IS8_SA_EESA_NS7_IlSA_EESA_jjPS8_PjSF_j
; %bb.0:
	s_load_dwordx2 s[0:1], s[4:5], 0x538
	s_load_dword s2, s[4:5], 0x530
	s_waitcnt lgkmcnt(0)
	s_mul_i32 s1, s1, s8
	s_add_i32 s1, s1, s7
	s_mul_i32 s0, s1, s0
	s_add_i32 s0, s0, s6
	s_cmp_ge_u32 s0, s2
	s_cbranch_scc1 .LBB215_42
; %bb.1:
	s_load_dwordx2 s[20:21], s[4:5], 0x510
	s_load_dwordx4 s[8:11], s[4:5], 0x1a0
	s_mov_b32 s7, 0
	s_waitcnt lgkmcnt(0)
	v_cvt_f32_u32_e32 v1, s21
	s_sub_i32 s2, 0, s21
	s_lshl_b32 s1, s20, 8
	v_rcp_iflag_f32_e32 v1, v1
	v_mul_f32_e32 v1, 0x4f7ffffe, v1
	v_cvt_u32_f32_e32 v1, v1
	v_readfirstlane_b32 s3, v1
	s_mul_i32 s2, s2, s3
	s_mul_hi_u32 s2, s3, s2
	s_add_i32 s3, s3, s2
	s_mul_hi_u32 s2, s0, s3
	s_mul_i32 s3, s2, s21
	s_sub_i32 s3, s0, s3
	s_add_i32 s6, s2, 1
	s_sub_i32 s12, s3, s21
	s_cmp_ge_u32 s3, s21
	s_cselect_b32 s2, s6, s2
	s_cselect_b32 s3, s12, s3
	s_add_i32 s6, s2, 1
	s_cmp_ge_u32 s3, s21
	s_cselect_b32 s6, s6, s2
	s_mul_i32 s24, s6, s21
	s_sub_i32 s40, s0, s24
	s_add_i32 s0, s40, 1
	s_cmp_lt_u32 s0, s21
	s_mul_i32 s33, s40, s1
	s_cbranch_scc1 .LBB215_3
; %bb.2:
	s_sub_u32 s0, s8, s33
	s_subb_u32 s1, s9, 0
	s_add_u32 s0, s0, 0xff
	s_addc_u32 s1, s1, 0
	s_ashr_i32 s2, s1, 31
	s_lshr_b32 s2, s2, 24
	s_add_u32 s0, s0, s2
	s_addc_u32 s1, s1, 0
	s_lshr_b64 s[0:1], s[0:1], 8
	s_mov_b32 s20, s0
.LBB215_3:
	s_load_dwordx4 s[12:15], s[4:5], 0x518
	s_lshl_b64 s[0:1], s[6:7], 1
	v_mov_b32_e32 v1, 0
	v_cmp_eq_u32_e64 s[2:3], 0, v0
	s_waitcnt lgkmcnt(0)
	s_add_u32 s0, s12, s0
	s_addc_u32 s1, s13, s1
	global_load_ushort v1, v1, s[0:1]
	s_load_dwordx2 s[22:23], s[4:5], 0x0
	s_load_dwordx2 s[30:31], s[4:5], 0xd0
	;; [unrolled: 1-line block ×4, first 2 shown]
	v_cmp_ne_u32_e64 s[0:1], 0, v0
	s_waitcnt vmcnt(0)
	v_readfirstlane_b32 s7, v1
	s_and_saveexec_b64 s[12:13], s[2:3]
	s_cbranch_execz .LBB215_19
; %bb.4:
	s_load_dwordx2 s[34:35], s[4:5], 0x528
	s_mov_b32 s25, 0
	s_lshl_b64 s[36:37], s[24:25], 2
	s_add_u32 s16, s14, s36
	s_addc_u32 s17, s15, s37
	s_waitcnt lgkmcnt(0)
	s_add_u32 s18, s34, s36
	s_addc_u32 s19, s35, s37
	s_mov_b32 s24, 0
	s_mov_b32 s41, 0
	s_cmp_lt_u32 s21, 4
	s_cbranch_scc1 .LBB215_16
; %bb.5:
	s_mov_b32 s42, 0
.LBB215_6:                              ; =>This Inner Loop Header: Depth=1
	s_add_u32 s38, s14, s36
	s_addc_u32 s39, s15, s37
	s_load_dwordx4 s[16:19], s[38:39], 0x0
	s_add_u32 s38, s34, s36
	s_addc_u32 s39, s35, s37
	s_cmp_ge_u32 s42, s40
	s_cbranch_scc0 .LBB215_13
; %bb.7:                                ;   in Loop: Header=BB215_6 Depth=1
	s_add_i32 s43, s42, 1
	s_cmp_ge_u32 s43, s40
	s_cbranch_scc0 .LBB215_14
.LBB215_8:                              ;   in Loop: Header=BB215_6 Depth=1
	s_add_i32 s43, s43, 1
	s_cmp_ge_u32 s43, s40
	s_cbranch_scc0 .LBB215_15
.LBB215_9:                              ;   in Loop: Header=BB215_6 Depth=1
	s_add_i32 s43, s43, 1
	s_cmp_ge_u32 s43, s40
	s_cbranch_scc1 .LBB215_11
.LBB215_10:                             ;   in Loop: Header=BB215_6 Depth=1
	s_load_dword s38, s[38:39], 0xc
	s_waitcnt lgkmcnt(0)
	s_add_i32 s25, s25, s19
	s_add_i32 s24, s38, s24
.LBB215_11:                             ;   in Loop: Header=BB215_6 Depth=1
	s_waitcnt lgkmcnt(0)
	s_add_i32 s16, s16, s41
	s_add_i32 s16, s16, s17
	;; [unrolled: 1-line block ×4, first 2 shown]
	s_add_u32 s14, s14, 16
	s_addc_u32 s15, s15, 0
	s_add_u32 s34, s34, 16
	s_addc_u32 s35, s35, 0
	s_add_i32 s39, s43, 4
	s_add_u32 s18, s34, s36
	s_addc_u32 s19, s35, s37
	s_add_u32 s16, s14, s36
	s_addc_u32 s17, s15, s37
	s_add_i32 s38, s43, 1
	s_cmp_ge_u32 s39, s21
	s_cbranch_scc1 .LBB215_17
; %bb.12:                               ;   in Loop: Header=BB215_6 Depth=1
	s_mov_b32 s42, s38
	s_branch .LBB215_6
.LBB215_13:                             ;   in Loop: Header=BB215_6 Depth=1
	s_load_dword s43, s[38:39], 0x0
	s_waitcnt lgkmcnt(0)
	s_add_i32 s25, s16, s25
	s_add_i32 s24, s43, s24
	;; [unrolled: 1-line block ×3, first 2 shown]
	s_cmp_ge_u32 s43, s40
	s_cbranch_scc1 .LBB215_8
.LBB215_14:                             ;   in Loop: Header=BB215_6 Depth=1
	s_load_dword s44, s[38:39], 0x4
	s_waitcnt lgkmcnt(0)
	s_add_i32 s25, s25, s17
	s_add_i32 s24, s44, s24
	;; [unrolled: 1-line block ×3, first 2 shown]
	s_cmp_ge_u32 s43, s40
	s_cbranch_scc1 .LBB215_9
.LBB215_15:                             ;   in Loop: Header=BB215_6 Depth=1
	s_load_dword s44, s[38:39], 0x8
	s_waitcnt lgkmcnt(0)
	s_add_i32 s25, s25, s18
	s_add_i32 s24, s44, s24
	;; [unrolled: 1-line block ×3, first 2 shown]
	s_cmp_ge_u32 s43, s40
	s_cbranch_scc0 .LBB215_10
	s_branch .LBB215_11
.LBB215_16:
	s_mov_b32 s14, 0
	s_cmp_ge_u32 s14, s21
	s_cbranch_scc0 .LBB215_40
	s_branch .LBB215_18
.LBB215_17:
	s_add_i32 s14, s42, 4
	s_cmp_ge_u32 s14, s21
	s_cbranch_scc0 .LBB215_40
.LBB215_18:
	v_mov_b32_e32 v1, s24
	v_mov_b32_e32 v2, s41
	;; [unrolled: 1-line block ×4, first 2 shown]
	ds_write_b96 v4, v[1:3] offset:1056
.LBB215_19:
	s_or_b64 exec, exec, s[12:13]
	s_load_dwordx4 s[12:15], s[4:5], 0x1b8
	s_load_dwordx4 s[16:19], s[4:5], 0x360
	s_cmp_eq_u32 s20, 0
	s_waitcnt lgkmcnt(0)
	s_barrier
	s_cbranch_scc1 .LBB215_42
; %bb.20:
	s_mul_i32 s21, s31, s6
	s_mul_hi_u32 s24, s30, s6
	s_add_i32 s25, s24, s21
	s_mul_i32 s21, s29, s6
	s_mul_hi_u32 s29, s28, s6
	s_mul_i32 s24, s30, s6
	s_add_i32 s29, s29, s21
	s_mul_i32 s21, s27, s6
	s_mul_hi_u32 s27, s26, s6
	s_add_i32 s27, s27, s21
	s_lshl_b64 s[24:25], s[24:25], 1
	s_mul_i32 s28, s28, s6
	s_add_u32 s21, s22, s24
	s_addc_u32 s22, s23, s25
	s_lshl_b64 s[24:25], s[28:29], 1
	s_mul_i32 s26, s26, s6
	s_add_u32 s23, s14, s24
	s_addc_u32 s24, s15, s25
	s_lshl_b64 s[14:15], s[26:27], 3
	v_mov_b32_e32 v5, 0
	s_add_u32 s25, s18, s14
	ds_read_b96 v[1:3], v5 offset:1056
	s_addc_u32 s26, s19, s15
	s_and_b32 s14, 0xffff, s7
	s_sext_i32_i16 s6, s7
	s_cmp_gt_i32 s6, -1
	s_mov_b32 s6, 0x8000
	s_cselect_b32 s15, s6, 0xffff
	s_lshl_b32 s6, s7, 16
	v_cmp_o_f32_e64 s[6:7], s6, s6
	s_xor_b32 s14, s15, s14
	s_and_b64 s[6:7], s[6:7], exec
	s_waitcnt lgkmcnt(0)
	v_add_u32_e32 v1, v1, v2
	v_lshrrev_b32_e32 v2, 3, v0
	s_load_dword s6, s[4:5], 0x1b0
	v_and_b32_e32 v2, 28, v2
	v_lshl_add_u32 v8, v0, 2, v2
	v_lshrrev_b32_e32 v2, 1, v0
	s_cselect_b32 s27, s14, 0xffff
	s_load_dwordx2 s[14:15], s[4:5], 0x508
	v_and_b32_e32 v9, 0x7c, v2
	v_add_u32_e32 v2, -1, v0
	v_lshrrev_b32_e32 v4, 3, v2
	v_and_b32_e32 v4, 0x1ffffffc, v4
	s_waitcnt lgkmcnt(0)
	s_bitcmp1_b32 s6, 0
	v_lshl_add_u32 v11, v2, 2, v4
	v_mbcnt_lo_u32_b32 v2, -1, 0
	s_cselect_b64 s[4:5], -1, 0
	v_cmp_gt_u32_e64 s[6:7], 64, v0
	v_lshlrev_b32_e32 v10, 4, v0
	v_add_u32_e32 v4, s33, v0
	v_mov_b32_e32 v0, 0xffff
	v_mov_b32_e32 v12, 0x8000
	v_mbcnt_hi_u32_b32 v13, -1, v2
                                        ; implicit-def: $vgpr14
	s_branch .LBB215_23
.LBB215_21:                             ;   in Loop: Header=BB215_23 Depth=1
	s_or_b64 exec, exec, s[18:19]
	v_add_u32_e32 v1, v2, v1
.LBB215_22:                             ;   in Loop: Header=BB215_23 Depth=1
	s_add_i32 s20, s20, -1
	v_add_u32_e32 v3, v15, v3
	s_cmp_lg_u32 s20, 0
	v_add_u32_e32 v4, 0x100, v4
	s_cbranch_scc0 .LBB215_42
.LBB215_23:                             ; =>This Inner Loop Header: Depth=1
	v_cmp_gt_u64_e32 vcc, s[8:9], v[4:5]
	v_mov_b32_e32 v2, v5
	v_mov_b32_e32 v6, v5
	s_and_saveexec_b64 s[18:19], vcc
	s_cbranch_execz .LBB215_25
; %bb.24:                               ;   in Loop: Header=BB215_23 Depth=1
	v_mad_u64_u32 v[6:7], s[28:29], s12, v4, 0
	v_mov_b32_e32 v2, v7
	v_mad_u64_u32 v[14:15], s[28:29], s13, v4, v[2:3]
	v_mov_b32_e32 v2, s22
	v_mov_b32_e32 v7, v14
	v_lshlrev_b64 v[6:7], 1, v[6:7]
	v_add_co_u32_e32 v6, vcc, s21, v6
	v_addc_co_u32_e32 v7, vcc, v2, v7, vcc
	global_load_ushort v14, v[6:7], off
	s_waitcnt vmcnt(0)
	v_cmp_lt_i16_e32 vcc, -1, v14
	v_cndmask_b32_e32 v2, v0, v12, vcc
	v_lshlrev_b32_e32 v6, 16, v14
	v_xor_b32_sdwa v2, v2, v14 dst_sel:DWORD dst_unused:UNUSED_PAD src0_sel:DWORD src1_sel:WORD_0
	v_cmp_o_f32_e32 vcc, v6, v6
	v_cndmask_b32_e32 v6, v0, v2, vcc
	v_cmp_lt_u32_e32 vcc, s27, v6
	v_cndmask_b32_e64 v2, 0, 1, vcc
	v_cmp_gt_u32_e32 vcc, s27, v6
	v_cndmask_b32_e64 v7, 0, 1, vcc
	v_cndmask_b32_e64 v2, v7, v2, s[4:5]
	v_cmp_eq_u32_e32 vcc, s27, v6
	v_and_b32_e32 v2, 1, v2
	v_cndmask_b32_e64 v6, 0, 1, vcc
.LBB215_25:                             ;   in Loop: Header=BB215_23 Depth=1
	s_or_b64 exec, exec, s[18:19]
	ds_write_b32 v8, v2
	s_waitcnt vmcnt(0) lgkmcnt(0)
	s_barrier
	s_and_saveexec_b64 s[18:19], s[6:7]
	s_cbranch_execz .LBB215_27
; %bb.26:                               ;   in Loop: Header=BB215_23 Depth=1
	v_add_u32_e32 v7, v9, v10
	ds_read2_b32 v[15:16], v7 offset1:1
	ds_read2_b32 v[17:18], v7 offset0:2 offset1:3
	v_and_b32_e32 v19, 15, v13
	v_cmp_ne_u32_e32 vcc, 0, v19
	s_waitcnt lgkmcnt(1)
	v_add_u32_e32 v16, v16, v15
	s_waitcnt lgkmcnt(0)
	v_add3_u32 v16, v16, v17, v18
	v_bfe_i32 v18, v13, 4, 1
	; wave barrier
	s_nop 0
	v_mov_b32_dpp v17, v16 row_shr:1 row_mask:0xf bank_mask:0xf
	v_cndmask_b32_e32 v17, 0, v17, vcc
	v_add_u32_e32 v16, v17, v16
	v_cmp_lt_u32_e32 vcc, 1, v19
	s_nop 0
	v_mov_b32_dpp v17, v16 row_shr:2 row_mask:0xf bank_mask:0xf
	v_cndmask_b32_e32 v17, 0, v17, vcc
	v_add_u32_e32 v16, v16, v17
	v_cmp_lt_u32_e32 vcc, 3, v19
	;; [unrolled: 5-line block ×4, first 2 shown]
	s_nop 0
	v_mov_b32_dpp v17, v16 row_bcast:15 row_mask:0xf bank_mask:0xf
	v_and_b32_e32 v17, v18, v17
	v_add_u32_e32 v16, v16, v17
	v_and_b32_e32 v18, 64, v13
	s_nop 0
	v_mov_b32_dpp v17, v16 row_bcast:31 row_mask:0xf bank_mask:0xf
	v_cndmask_b32_e32 v17, 0, v17, vcc
	v_add_u32_e32 v16, v16, v17
	v_add_u32_e32 v17, -1, v13
	v_cmp_lt_i32_e32 vcc, v17, v18
	v_cndmask_b32_e32 v17, v17, v13, vcc
	v_lshlrev_b32_e32 v17, 2, v17
	ds_bpermute_b32 v16, v17, v16
	s_waitcnt lgkmcnt(0)
	v_add_u32_e32 v15, v16, v15
	v_cndmask_b32_e64 v17, v15, v2, s[2:3]
	ds_write_b32 v7, v17
	; wave barrier
	ds_read2_b32 v[15:16], v7 offset0:1 offset1:2
	ds_read_b32 v18, v7 offset:12
	s_waitcnt lgkmcnt(1)
	v_add_u32_e32 v15, v15, v17
	v_add_u32_e32 v16, v16, v15
	ds_write2_b32 v7, v15, v16 offset0:1 offset1:2
	s_waitcnt lgkmcnt(1)
	v_add_u32_e32 v15, v18, v16
	ds_write_b32 v7, v15 offset:12
.LBB215_27:                             ;   in Loop: Header=BB215_23 Depth=1
	s_or_b64 exec, exec, s[18:19]
	v_mov_b32_e32 v7, 0
	s_waitcnt lgkmcnt(0)
	s_barrier
	s_and_saveexec_b64 s[18:19], s[0:1]
; %bb.28:                               ;   in Loop: Header=BB215_23 Depth=1
	ds_read_b32 v7, v11
; %bb.29:                               ;   in Loop: Header=BB215_23 Depth=1
	s_or_b64 exec, exec, s[18:19]
	ds_read_b32 v15, v5 offset:1048
	v_cmp_ne_u32_e32 vcc, 0, v2
	s_waitcnt lgkmcnt(0)
	s_barrier
	s_and_saveexec_b64 s[18:19], vcc
	s_cbranch_execz .LBB215_31
; %bb.30:                               ;   in Loop: Header=BB215_23 Depth=1
	v_add_u32_e32 v7, v7, v3
	v_mad_u64_u32 v[16:17], s[28:29], s16, v7, 0
	v_mad_u64_u32 v[18:19], s[28:29], s14, v7, 0
	v_mov_b32_e32 v2, v17
	v_mad_u64_u32 v[20:21], s[28:29], s17, v7, v[2:3]
	v_mov_b32_e32 v2, v19
	v_mov_b32_e32 v21, s24
	v_mov_b32_e32 v17, v20
	v_lshlrev_b64 v[16:17], 1, v[16:17]
	v_mad_u64_u32 v[19:20], s[28:29], s15, v7, v[2:3]
	v_add_co_u32_e32 v16, vcc, s23, v16
	v_addc_co_u32_e32 v17, vcc, v21, v17, vcc
	global_store_short v[16:17], v14, off
	v_lshlrev_b64 v[16:17], 3, v[18:19]
	v_mov_b32_e32 v2, s26
	v_add_co_u32_e32 v16, vcc, s25, v16
	v_addc_co_u32_e32 v17, vcc, v2, v17, vcc
	global_store_dwordx2 v[16:17], v[4:5], off
.LBB215_31:                             ;   in Loop: Header=BB215_23 Depth=1
	s_or_b64 exec, exec, s[18:19]
	v_mov_b32_e32 v2, v5
	v_cmp_le_u64_e32 vcc, s[10:11], v[1:2]
	s_cbranch_vccnz .LBB215_22
; %bb.32:                               ;   in Loop: Header=BB215_23 Depth=1
	ds_write_b32 v8, v6
	s_waitcnt vmcnt(0) lgkmcnt(0)
	s_barrier
	s_and_saveexec_b64 s[18:19], s[6:7]
	s_cbranch_execz .LBB215_34
; %bb.33:                               ;   in Loop: Header=BB215_23 Depth=1
	v_add_u32_e32 v2, v9, v10
	ds_read2_b32 v[16:17], v2 offset1:1
	ds_read2_b32 v[18:19], v2 offset0:2 offset1:3
	v_and_b32_e32 v7, 15, v13
	v_cmp_ne_u32_e32 vcc, 0, v7
	s_waitcnt lgkmcnt(1)
	v_add_u32_e32 v17, v17, v16
	s_waitcnt lgkmcnt(0)
	v_add3_u32 v17, v17, v18, v19
	; wave barrier
	s_nop 1
	v_mov_b32_dpp v18, v17 row_shr:1 row_mask:0xf bank_mask:0xf
	v_cndmask_b32_e32 v18, 0, v18, vcc
	v_add_u32_e32 v17, v18, v17
	v_cmp_lt_u32_e32 vcc, 1, v7
	s_nop 0
	v_mov_b32_dpp v18, v17 row_shr:2 row_mask:0xf bank_mask:0xf
	v_cndmask_b32_e32 v18, 0, v18, vcc
	v_add_u32_e32 v17, v17, v18
	v_cmp_lt_u32_e32 vcc, 3, v7
	s_nop 0
	v_mov_b32_dpp v18, v17 row_shr:4 row_mask:0xf bank_mask:0xf
	v_cndmask_b32_e32 v18, 0, v18, vcc
	v_add_u32_e32 v17, v17, v18
	v_cmp_lt_u32_e32 vcc, 7, v7
	s_nop 0
	v_mov_b32_dpp v18, v17 row_shr:8 row_mask:0xf bank_mask:0xf
	v_cndmask_b32_e32 v7, 0, v18, vcc
	v_add_u32_e32 v7, v17, v7
	v_bfe_i32 v18, v13, 4, 1
	v_cmp_lt_u32_e32 vcc, 31, v13
	v_mov_b32_dpp v17, v7 row_bcast:15 row_mask:0xf bank_mask:0xf
	v_and_b32_e32 v17, v18, v17
	v_add_u32_e32 v7, v7, v17
	v_and_b32_e32 v18, 64, v13
	s_nop 0
	v_mov_b32_dpp v17, v7 row_bcast:31 row_mask:0xf bank_mask:0xf
	v_cndmask_b32_e32 v17, 0, v17, vcc
	v_add_u32_e32 v7, v7, v17
	v_add_u32_e32 v17, -1, v13
	v_cmp_lt_i32_e32 vcc, v17, v18
	v_cndmask_b32_e32 v17, v17, v13, vcc
	v_lshlrev_b32_e32 v17, 2, v17
	ds_bpermute_b32 v7, v17, v7
	s_waitcnt lgkmcnt(0)
	v_add_u32_e32 v7, v7, v16
	v_cndmask_b32_e64 v7, v7, v6, s[2:3]
	ds_write_b32 v2, v7
	; wave barrier
	ds_read2_b32 v[16:17], v2 offset0:1 offset1:2
	ds_read_b32 v18, v2 offset:12
	s_waitcnt lgkmcnt(1)
	v_add_u32_e32 v7, v16, v7
	v_add_u32_e32 v16, v17, v7
	ds_write2_b32 v2, v7, v16 offset0:1 offset1:2
	s_waitcnt lgkmcnt(1)
	v_add_u32_e32 v7, v18, v16
	ds_write_b32 v2, v7 offset:12
.LBB215_34:                             ;   in Loop: Header=BB215_23 Depth=1
	s_or_b64 exec, exec, s[18:19]
	v_mov_b32_e32 v7, 0
	s_waitcnt lgkmcnt(0)
	s_barrier
	s_and_saveexec_b64 s[18:19], s[0:1]
; %bb.35:                               ;   in Loop: Header=BB215_23 Depth=1
	ds_read_b32 v7, v11
; %bb.36:                               ;   in Loop: Header=BB215_23 Depth=1
	s_or_b64 exec, exec, s[18:19]
	ds_read_b32 v2, v5 offset:1048
	v_cmp_ne_u32_e32 vcc, 0, v6
	s_waitcnt lgkmcnt(0)
	s_barrier
	s_and_saveexec_b64 s[18:19], vcc
	s_cbranch_execz .LBB215_21
; %bb.37:                               ;   in Loop: Header=BB215_23 Depth=1
	v_add_u32_e32 v6, v7, v1
	v_mov_b32_e32 v7, v5
	v_cmp_gt_u64_e32 vcc, s[10:11], v[6:7]
	s_and_b64 exec, exec, vcc
	s_cbranch_execz .LBB215_21
; %bb.38:                               ;   in Loop: Header=BB215_23 Depth=1
	v_mad_u64_u32 v[16:17], s[28:29], s16, v6, 0
	v_mad_u64_u32 v[18:19], s[28:29], s14, v6, 0
	v_mov_b32_e32 v7, v17
	v_mad_u64_u32 v[20:21], s[28:29], s17, v6, v[7:8]
	v_mov_b32_e32 v7, v19
	v_mad_u64_u32 v[6:7], s[28:29], s15, v6, v[7:8]
	v_mov_b32_e32 v17, v20
	v_lshlrev_b64 v[16:17], 1, v[16:17]
	v_mov_b32_e32 v19, v6
	v_mov_b32_e32 v21, s24
	v_add_co_u32_e32 v16, vcc, s23, v16
	v_lshlrev_b64 v[6:7], 3, v[18:19]
	v_addc_co_u32_e32 v17, vcc, v21, v17, vcc
	global_store_short v[16:17], v14, off
	v_mov_b32_e32 v16, s26
	v_add_co_u32_e32 v6, vcc, s25, v6
	v_addc_co_u32_e32 v7, vcc, v16, v7, vcc
	global_store_dwordx2 v[6:7], v[4:5], off
	s_branch .LBB215_21
.LBB215_39:                             ;   in Loop: Header=BB215_40 Depth=1
	s_add_u32 s16, s16, 4
	s_addc_u32 s17, s17, 0
	s_waitcnt lgkmcnt(0)
	s_add_i32 s41, s15, s41
	s_add_u32 s18, s18, 4
	s_addc_u32 s19, s19, 0
	s_add_i32 s14, s14, 1
	s_cmp_lt_u32 s14, s21
	s_cbranch_scc0 .LBB215_18
.LBB215_40:                             ; =>This Inner Loop Header: Depth=1
	s_load_dword s15, s[16:17], 0x0
	s_cmp_ge_u32 s14, s40
	s_cbranch_scc1 .LBB215_39
; %bb.41:                               ;   in Loop: Header=BB215_40 Depth=1
	s_load_dword s34, s[18:19], 0x0
	s_waitcnt lgkmcnt(0)
	s_add_i32 s25, s15, s25
	s_add_i32 s24, s34, s24
	s_branch .LBB215_39
.LBB215_42:
	s_endpgm
	.section	.rodata,"a",@progbits
	.p2align	6, 0x0
	.amdhsa_kernel _ZN2at6native6mbtopk10gatherTopKIN3c108BFloat16EmLi1EEEvNS_4cuda6detail10TensorInfoIKT_T0_EESA_SA_bjSA_NS7_IS8_SA_EESA_NS7_IlSA_EESA_jjPS8_PjSF_j
		.amdhsa_group_segment_fixed_size 1068
		.amdhsa_private_segment_fixed_size 0
		.amdhsa_kernarg_size 1592
		.amdhsa_user_sgpr_count 6
		.amdhsa_user_sgpr_private_segment_buffer 1
		.amdhsa_user_sgpr_dispatch_ptr 0
		.amdhsa_user_sgpr_queue_ptr 0
		.amdhsa_user_sgpr_kernarg_segment_ptr 1
		.amdhsa_user_sgpr_dispatch_id 0
		.amdhsa_user_sgpr_flat_scratch_init 0
		.amdhsa_user_sgpr_private_segment_size 0
		.amdhsa_uses_dynamic_stack 0
		.amdhsa_system_sgpr_private_segment_wavefront_offset 0
		.amdhsa_system_sgpr_workgroup_id_x 1
		.amdhsa_system_sgpr_workgroup_id_y 1
		.amdhsa_system_sgpr_workgroup_id_z 1
		.amdhsa_system_sgpr_workgroup_info 0
		.amdhsa_system_vgpr_workitem_id 0
		.amdhsa_next_free_vgpr 22
		.amdhsa_next_free_sgpr 45
		.amdhsa_reserve_vcc 1
		.amdhsa_reserve_flat_scratch 0
		.amdhsa_float_round_mode_32 0
		.amdhsa_float_round_mode_16_64 0
		.amdhsa_float_denorm_mode_32 3
		.amdhsa_float_denorm_mode_16_64 3
		.amdhsa_dx10_clamp 1
		.amdhsa_ieee_mode 1
		.amdhsa_fp16_overflow 0
		.amdhsa_exception_fp_ieee_invalid_op 0
		.amdhsa_exception_fp_denorm_src 0
		.amdhsa_exception_fp_ieee_div_zero 0
		.amdhsa_exception_fp_ieee_overflow 0
		.amdhsa_exception_fp_ieee_underflow 0
		.amdhsa_exception_fp_ieee_inexact 0
		.amdhsa_exception_int_div_zero 0
	.end_amdhsa_kernel
	.section	.text._ZN2at6native6mbtopk10gatherTopKIN3c108BFloat16EmLi1EEEvNS_4cuda6detail10TensorInfoIKT_T0_EESA_SA_bjSA_NS7_IS8_SA_EESA_NS7_IlSA_EESA_jjPS8_PjSF_j,"axG",@progbits,_ZN2at6native6mbtopk10gatherTopKIN3c108BFloat16EmLi1EEEvNS_4cuda6detail10TensorInfoIKT_T0_EESA_SA_bjSA_NS7_IS8_SA_EESA_NS7_IlSA_EESA_jjPS8_PjSF_j,comdat
.Lfunc_end215:
	.size	_ZN2at6native6mbtopk10gatherTopKIN3c108BFloat16EmLi1EEEvNS_4cuda6detail10TensorInfoIKT_T0_EESA_SA_bjSA_NS7_IS8_SA_EESA_NS7_IlSA_EESA_jjPS8_PjSF_j, .Lfunc_end215-_ZN2at6native6mbtopk10gatherTopKIN3c108BFloat16EmLi1EEEvNS_4cuda6detail10TensorInfoIKT_T0_EESA_SA_bjSA_NS7_IS8_SA_EESA_NS7_IlSA_EESA_jjPS8_PjSF_j
                                        ; -- End function
	.set _ZN2at6native6mbtopk10gatherTopKIN3c108BFloat16EmLi1EEEvNS_4cuda6detail10TensorInfoIKT_T0_EESA_SA_bjSA_NS7_IS8_SA_EESA_NS7_IlSA_EESA_jjPS8_PjSF_j.num_vgpr, 22
	.set _ZN2at6native6mbtopk10gatherTopKIN3c108BFloat16EmLi1EEEvNS_4cuda6detail10TensorInfoIKT_T0_EESA_SA_bjSA_NS7_IS8_SA_EESA_NS7_IlSA_EESA_jjPS8_PjSF_j.num_agpr, 0
	.set _ZN2at6native6mbtopk10gatherTopKIN3c108BFloat16EmLi1EEEvNS_4cuda6detail10TensorInfoIKT_T0_EESA_SA_bjSA_NS7_IS8_SA_EESA_NS7_IlSA_EESA_jjPS8_PjSF_j.numbered_sgpr, 45
	.set _ZN2at6native6mbtopk10gatherTopKIN3c108BFloat16EmLi1EEEvNS_4cuda6detail10TensorInfoIKT_T0_EESA_SA_bjSA_NS7_IS8_SA_EESA_NS7_IlSA_EESA_jjPS8_PjSF_j.num_named_barrier, 0
	.set _ZN2at6native6mbtopk10gatherTopKIN3c108BFloat16EmLi1EEEvNS_4cuda6detail10TensorInfoIKT_T0_EESA_SA_bjSA_NS7_IS8_SA_EESA_NS7_IlSA_EESA_jjPS8_PjSF_j.private_seg_size, 0
	.set _ZN2at6native6mbtopk10gatherTopKIN3c108BFloat16EmLi1EEEvNS_4cuda6detail10TensorInfoIKT_T0_EESA_SA_bjSA_NS7_IS8_SA_EESA_NS7_IlSA_EESA_jjPS8_PjSF_j.uses_vcc, 1
	.set _ZN2at6native6mbtopk10gatherTopKIN3c108BFloat16EmLi1EEEvNS_4cuda6detail10TensorInfoIKT_T0_EESA_SA_bjSA_NS7_IS8_SA_EESA_NS7_IlSA_EESA_jjPS8_PjSF_j.uses_flat_scratch, 0
	.set _ZN2at6native6mbtopk10gatherTopKIN3c108BFloat16EmLi1EEEvNS_4cuda6detail10TensorInfoIKT_T0_EESA_SA_bjSA_NS7_IS8_SA_EESA_NS7_IlSA_EESA_jjPS8_PjSF_j.has_dyn_sized_stack, 0
	.set _ZN2at6native6mbtopk10gatherTopKIN3c108BFloat16EmLi1EEEvNS_4cuda6detail10TensorInfoIKT_T0_EESA_SA_bjSA_NS7_IS8_SA_EESA_NS7_IlSA_EESA_jjPS8_PjSF_j.has_recursion, 0
	.set _ZN2at6native6mbtopk10gatherTopKIN3c108BFloat16EmLi1EEEvNS_4cuda6detail10TensorInfoIKT_T0_EESA_SA_bjSA_NS7_IS8_SA_EESA_NS7_IlSA_EESA_jjPS8_PjSF_j.has_indirect_call, 0
	.section	.AMDGPU.csdata,"",@progbits
; Kernel info:
; codeLenInByte = 2300
; TotalNumSgprs: 49
; NumVgprs: 22
; ScratchSize: 0
; MemoryBound: 0
; FloatMode: 240
; IeeeMode: 1
; LDSByteSize: 1068 bytes/workgroup (compile time only)
; SGPRBlocks: 6
; VGPRBlocks: 5
; NumSGPRsForWavesPerEU: 49
; NumVGPRsForWavesPerEU: 22
; Occupancy: 10
; WaveLimiterHint : 1
; COMPUTE_PGM_RSRC2:SCRATCH_EN: 0
; COMPUTE_PGM_RSRC2:USER_SGPR: 6
; COMPUTE_PGM_RSRC2:TRAP_HANDLER: 0
; COMPUTE_PGM_RSRC2:TGID_X_EN: 1
; COMPUTE_PGM_RSRC2:TGID_Y_EN: 1
; COMPUTE_PGM_RSRC2:TGID_Z_EN: 1
; COMPUTE_PGM_RSRC2:TIDIG_COMP_CNT: 0
	.section	.text._ZN2at6native6sbtopk10gatherTopKIN3c108BFloat16EmLi1ELb0EEEvNS_4cuda6detail10TensorInfoIKT_T0_EESA_SA_bSA_SA_NS7_IS8_SA_EESA_NS7_IlSA_EESA_PS8_,"axG",@progbits,_ZN2at6native6sbtopk10gatherTopKIN3c108BFloat16EmLi1ELb0EEEvNS_4cuda6detail10TensorInfoIKT_T0_EESA_SA_bSA_SA_NS7_IS8_SA_EESA_NS7_IlSA_EESA_PS8_,comdat
	.protected	_ZN2at6native6sbtopk10gatherTopKIN3c108BFloat16EmLi1ELb0EEEvNS_4cuda6detail10TensorInfoIKT_T0_EESA_SA_bSA_SA_NS7_IS8_SA_EESA_NS7_IlSA_EESA_PS8_ ; -- Begin function _ZN2at6native6sbtopk10gatherTopKIN3c108BFloat16EmLi1ELb0EEEvNS_4cuda6detail10TensorInfoIKT_T0_EESA_SA_bSA_SA_NS7_IS8_SA_EESA_NS7_IlSA_EESA_PS8_
	.globl	_ZN2at6native6sbtopk10gatherTopKIN3c108BFloat16EmLi1ELb0EEEvNS_4cuda6detail10TensorInfoIKT_T0_EESA_SA_bSA_SA_NS7_IS8_SA_EESA_NS7_IlSA_EESA_PS8_
	.p2align	8
	.type	_ZN2at6native6sbtopk10gatherTopKIN3c108BFloat16EmLi1ELb0EEEvNS_4cuda6detail10TensorInfoIKT_T0_EESA_SA_bSA_SA_NS7_IS8_SA_EESA_NS7_IlSA_EESA_PS8_,@function
_ZN2at6native6sbtopk10gatherTopKIN3c108BFloat16EmLi1ELb0EEEvNS_4cuda6detail10TensorInfoIKT_T0_EESA_SA_bSA_SA_NS7_IS8_SA_EESA_NS7_IlSA_EESA_PS8_: ; @_ZN2at6native6sbtopk10gatherTopKIN3c108BFloat16EmLi1ELb0EEEvNS_4cuda6detail10TensorInfoIKT_T0_EESA_SA_bSA_SA_NS7_IS8_SA_EESA_NS7_IlSA_EESA_PS8_
; %bb.0:
	s_load_dwordx2 s[12:13], s[4:5], 0x520
	s_load_dwordx4 s[24:27], s[4:5], 0x1b8
	s_add_u32 s2, s4, 0x520
	s_addc_u32 s3, s5, 0
	s_mov_b32 s17, 0
	s_waitcnt lgkmcnt(0)
	s_mul_i32 s0, s13, s8
	s_add_i32 s0, s0, s7
	s_mul_i32 s0, s0, s12
	s_add_i32 s16, s0, s6
	v_mov_b32_e32 v1, s16
	v_mov_b32_e32 v2, s17
	v_cmp_le_u64_e32 vcc, s[24:25], v[1:2]
	s_cbranch_vccnz .LBB216_473
; %bb.1:
	s_load_dwordx2 s[0:1], s[4:5], 0x440
                                        ; implicit-def: $vgpr52 : SGPR spill to VGPR lane
	v_cmp_eq_u32_e64 s[8:9], 0, v0
	s_waitcnt lgkmcnt(0)
	v_writelane_b32 v52, s0, 0
	v_writelane_b32 v52, s1, 1
	s_load_dwordx2 s[0:1], s[4:5], 0x370
	s_waitcnt lgkmcnt(0)
	v_writelane_b32 v52, s0, 2
	v_writelane_b32 v52, s1, 3
	s_load_dwordx2 s[0:1], s[4:5], 0x298
	s_waitcnt lgkmcnt(0)
	v_writelane_b32 v52, s0, 4
	v_writelane_b32 v52, s1, 5
	s_load_dwordx4 s[28:31], s[4:5], 0x1a0
	s_load_dwordx2 s[0:1], s[4:5], 0x1c8
	s_waitcnt lgkmcnt(0)
	v_writelane_b32 v52, s0, 6
	v_writelane_b32 v52, s1, 7
	s_load_dwordx2 s[0:1], s[4:5], 0xd0
	s_load_dwordx2 s[10:11], s[4:5], 0x0
	s_mov_b64 s[14:15], exec
	v_writelane_b32 v52, s8, 8
	v_writelane_b32 v52, s9, 9
	s_and_b64 s[8:9], s[14:15], s[8:9]
	s_mov_b64 exec, s[8:9]
	s_cbranch_execz .LBB216_3
; %bb.2:
	v_mov_b32_e32 v1, 0
	v_mov_b32_e32 v3, s28
	;; [unrolled: 1-line block ×4, first 2 shown]
	ds_write_b32 v1, v1 offset:5144
	ds_write_b128 v1, v[1:4] offset:5120
.LBB216_3:
	s_or_b64 exec, exec, s[14:15]
	v_writelane_b32 v52, s4, 10
	s_waitcnt lgkmcnt(0)
	s_mul_i32 s1, s1, s16
	s_mul_hi_u32 s7, s0, s16
	v_writelane_b32 v52, s5, 11
	s_load_dword s4, s[4:5], 0x1b0
	s_add_i32 s1, s7, s1
	s_mov_b32 s8, s16
	s_mul_i32 s0, s0, s16
	v_writelane_b32 v52, s8, 12
	s_lshl_b64 s[0:1], s[0:1], 1
	v_writelane_b32 v52, s9, 13
	s_add_u32 s50, s10, s0
	v_writelane_b32 v52, s0, 14
	s_addc_u32 s51, s11, s1
	s_waitcnt lgkmcnt(0)
	s_bitcmp1_b32 s4, 0
	v_mbcnt_lo_u32_b32 v1, -1, 0
	v_mad_u64_u32 v[4:5], s[4:5], s26, v0, 0
	v_writelane_b32 v52, s1, 15
	s_cselect_b64 s[0:1], -1, 0
	v_mbcnt_hi_u32_b32 v31, -1, v1
	v_writelane_b32 v52, s0, 16
	v_cmp_gt_u32_e32 vcc, 64, v0
	v_cmp_gt_i32_e64 s[10:11], 4, v31
	v_writelane_b32 v52, s1, 17
	s_and_b64 s[4:5], vcc, s[10:11]
	v_writelane_b32 v52, s4, 18
	v_mov_b32_e32 v3, v5
	v_writelane_b32 v52, s5, 19
	v_mad_u64_u32 v[5:6], s[4:5], s27, v0, v[3:4]
	v_mov_b32_e32 v1, 0x600
	v_mov_b32_e32 v2, 0
	v_lshlrev_b64 v[6:7], 1, v[4:5]
	v_cmp_gt_u64_e64 s[4:5], s[28:29], v[1:2]
	v_mov_b32_e32 v2, s51
	v_add_co_u32_e32 v12, vcc, s50, v6
	v_mov_b32_e32 v3, 0
	v_addc_co_u32_e32 v13, vcc, v2, v7, vcc
	v_lshlrev_b64 v[6:7], v31, -1
	v_add_u32_e32 v2, 2, v0
	v_cmp_gt_u64_e32 vcc, s[28:29], v[2:3]
	v_not_b32_e32 v28, v7
	v_mov_b32_e32 v7, s29
	v_writelane_b32 v52, s4, 20
	v_mov_b32_e32 v1, v3
	v_cndmask_b32_e32 v8, 0, v7, vcc
	v_mov_b32_e32 v7, s28
	v_writelane_b32 v52, s5, 21
	v_cmp_gt_u64_e64 s[4:5], s[28:29], v[0:1]
	v_cndmask_b32_e32 v2, v2, v7, vcc
	v_not_b32_e32 v7, v0
	v_add_co_u32_e32 v7, vcc, v2, v7
	v_writelane_b32 v52, s4, 22
	v_addc_co_u32_e32 v8, vcc, -1, v8, vcc
	v_writelane_b32 v52, s5, 23
	v_cmp_lt_u64_e64 s[4:5], 1, v[7:8]
	v_and_b32_e32 v14, -2, v7
	v_writelane_b32 v52, s4, 24
	v_mov_b32_e32 v15, v8
	v_writelane_b32 v52, s5, 25
	v_cmp_ne_u64_e64 s[4:5], v[7:8], v[14:15]
	v_lshlrev_b32_e32 v32, 3, v0
	v_writelane_b32 v52, s4, 26
	v_or_b32_e32 v7, 6, v32
	v_writelane_b32 v52, s5, 27
	v_mad_u64_u32 v[16:17], s[4:5], s26, v7, 0
	v_or_b32_e32 v9, 4, v32
	v_mad_u64_u32 v[18:19], s[4:5], s26, v9, 0
	v_mov_b32_e32 v2, v17
	v_mad_u64_u32 v[7:8], s[4:5], s27, v7, v[2:3]
	v_mov_b32_e32 v2, v19
	v_mad_u64_u32 v[8:9], s[4:5], s27, v9, v[2:3]
	v_or_b32_e32 v9, 2, v32
	v_mad_u64_u32 v[19:20], s[4:5], s26, v9, 0
	v_not_b32_e32 v29, v6
	v_mov_b32_e32 v33, v7
	v_mov_b32_e32 v2, v20
	v_mad_u64_u32 v[6:7], s[4:5], s27, v9, v[2:3]
	s_barrier
	s_load_dword s4, s[2:3], 0xc
	s_xor_b64 s[52:53], s[0:1], -1
	v_cmp_gt_u32_e64 s[8:9], 2, v0
	v_writelane_b32 v52, s8, 28
	v_writelane_b32 v52, s9, 29
	s_waitcnt lgkmcnt(0)
	s_and_b32 s33, s4, 0xffff
	s_bfe_u32 s4, s4, 0xa0006
	s_cmp_gt_u32 s33, 63
	s_cselect_b64 s[8:9], -1, 0
	s_add_u32 s61, s33, -1
	v_writelane_b32 v52, s8, 30
	s_addc_u32 s5, 0, -1
	v_writelane_b32 v52, s9, 31
	s_add_u32 s7, s61, s28
	v_writelane_b32 v52, s7, 32
	v_writelane_b32 v52, s5, 33
	s_addc_u32 s5, s5, s29
	v_writelane_b32 v52, s4, 34
	s_cmp_lt_u32 s6, s12
	v_writelane_b32 v52, s5, 35
	s_cselect_b32 s5, 12, 18
	s_add_u32 s2, s2, s5
	s_addc_u32 s3, s3, 0
	v_writelane_b32 v52, s2, 36
	v_writelane_b32 v52, s3, 37
	s_add_i32 s2, s4, -1
	s_bfe_u32 s3, s33, 0x30006
	s_and_b32 s2, s2, 0xffff
	s_cmp_gt_u32 s2, 6
	s_cselect_b64 s[6:7], -1, 0
	v_writelane_b32 v52, s6, 38
	s_and_b32 s68, s4, 0x3f8
	v_writelane_b32 v52, s7, 39
	s_cmp_lg_u32 s3, 0
	v_writelane_b32 v52, s3, 40
	s_cselect_b64 s[2:3], -1, 0
	v_writelane_b32 v52, s2, 41
	v_writelane_b32 v52, s3, 42
	s_mul_i32 s2, s27, s33
	s_mul_hi_u32 s3, s26, s33
	s_add_i32 s3, s3, s2
	s_mul_i32 s2, s26, s33
	s_lshl_b64 s[34:35], s[2:3], 1
	s_mov_b32 s2, 0
	v_writelane_b32 v52, s2, 43
	v_lshlrev_b32_e32 v2, 2, v31
	v_writelane_b32 v52, s52, 44
	v_and_b32_e32 v30, 0x100, v2
	v_lshrrev_b32_e32 v2, 1, v0
	s_mov_b32 s54, s26
	v_writelane_b32 v52, s53, 45
	v_and_b32_e32 v2, 0x1e0, v2
	s_mov_b32 s17, s27
	v_writelane_b32 v52, s54, 46
	v_or_b32_e32 v36, 0xc00, v2
	s_lshl_b64 s[20:21], s[26:27], 1
	v_lshlrev_b64 v[22:23], 3, v[4:5]
	v_mov_b32_e32 v2, 0xc00
	v_lshlrev_b32_e32 v39, 1, v0
	v_mov_b32_e32 v24, s30
	v_writelane_b32 v52, s17, 47
	s_mov_b32 s55, 0
	v_cmp_eq_u32_e64 s[0:1], 0, v31
	v_mov_b32_e32 v34, v8
	v_lshlrev_b32_e32 v20, 2, v0
	v_mov_b32_e32 v21, v3
	v_mov_b32_e32 v35, v6
	s_lshl_b64 s[70:71], s[26:27], 3
	v_lshl_or_b32 v37, v31, 3, v2
	s_lshl_b32 s69, s33, 1
	s_mov_b32 s62, 14
	s_mov_b64 s[72:73], 0
	v_add_u32_e32 v40, 0xc00, v39
	v_mov_b32_e32 v41, 0xffff
	v_mov_b32_e32 v42, 0x8000
	;; [unrolled: 1-line block ×3, first 2 shown]
	v_mov_b32_e32 v44, -1
	v_mov_b32_e32 v45, 0x5040100
	v_mov_b32_e32 v47, 0
	v_add_co_u32_e32 v17, vcc, v14, v0
	v_mov_b32_e32 v25, s31
	v_mov_b32_e32 v38, 0
	;; [unrolled: 1-line block ×3, first 2 shown]
	v_writelane_b32 v52, s20, 48
                                        ; implicit-def: $sgpr74_sgpr75
                                        ; implicit-def: $sgpr76_sgpr77
                                        ; implicit-def: $sgpr78_sgpr79
                                        ; implicit-def: $sgpr82_sgpr83
                                        ; implicit-def: $sgpr80_sgpr81
                                        ; implicit-def: $sgpr84_sgpr85
                                        ; implicit-def: $sgpr86_sgpr87
                                        ; implicit-def: $sgpr88_sgpr89
                                        ; implicit-def: $sgpr90_sgpr91
                                        ; implicit-def: $sgpr92_sgpr93
	v_writelane_b32 v52, s21, 49
	s_branch .LBB216_6
.LBB216_4:                              ;   in Loop: Header=BB216_6 Depth=1
	s_or_b64 exec, exec, s[8:9]
	s_andn2_b64 s[8:9], s[92:93], exec
	s_and_b64 s[6:7], s[6:7], exec
	v_mov_b32_e32 v25, v5
	s_or_b64 s[92:93], s[8:9], s[6:7]
	s_andn2_b64 s[90:91], s[90:91], exec
	s_andn2_b64 s[88:89], s[88:89], exec
	;; [unrolled: 1-line block ×4, first 2 shown]
	s_orn2_b64 s[4:5], s[4:5], exec
	v_mov_b32_e32 v24, v4
.LBB216_5:                              ;   in Loop: Header=BB216_6 Depth=1
	s_or_b64 exec, exec, s[2:3]
	s_and_b64 s[2:3], exec, s[4:5]
	s_or_b64 s[72:73], s[2:3], s[72:73]
	s_andn2_b64 s[2:3], s[80:81], exec
	s_and_b64 s[4:5], s[92:93], exec
	s_or_b64 s[80:81], s[2:3], s[4:5]
	s_andn2_b64 s[2:3], s[82:83], exec
	s_and_b64 s[4:5], s[90:91], exec
	;; [unrolled: 3-line block ×5, first 2 shown]
	s_or_b64 s[74:75], s[2:3], s[4:5]
	s_andn2_b64 exec, exec, s[72:73]
	s_cbranch_execz .LBB216_469
.LBB216_6:                              ; =>This Loop Header: Depth=1
                                        ;     Child Loop BB216_11 Depth 2
                                        ;     Child Loop BB216_25 Depth 2
                                        ;     Child Loop BB216_29 Depth 2
                                        ;     Child Loop BB216_44 Depth 2
                                        ;     Child Loop BB216_49 Depth 2
                                        ;     Child Loop BB216_56 Depth 2
                                        ;     Child Loop BB216_60 Depth 2
                                        ;     Child Loop BB216_69 Depth 2
                                        ;     Child Loop BB216_75 Depth 2
                                        ;     Child Loop BB216_89 Depth 2
                                        ;     Child Loop BB216_106 Depth 2
                                        ;     Child Loop BB216_135 Depth 2
                                        ;     Child Loop BB216_151 Depth 2
                                        ;     Child Loop BB216_180 Depth 2
                                        ;     Child Loop BB216_196 Depth 2
                                        ;     Child Loop BB216_229 Depth 2
                                        ;     Child Loop BB216_245 Depth 2
                                        ;     Child Loop BB216_284 Depth 2
                                        ;     Child Loop BB216_299 Depth 2
                                        ;     Child Loop BB216_328 Depth 2
                                        ;     Child Loop BB216_344 Depth 2
                                        ;     Child Loop BB216_373 Depth 2
                                        ;     Child Loop BB216_389 Depth 2
                                        ;     Child Loop BB216_422 Depth 2
                                        ;     Child Loop BB216_438 Depth 2
	ds_read_b128 v[4:7], v3 offset:5120
	s_waitcnt lgkmcnt(0)
	v_readfirstlane_b32 s43, v5
	v_readfirstlane_b32 s42, v4
	s_cmp_lg_u64 s[42:43], 0
	s_cbranch_scc1 .LBB216_38
; %bb.7:                                ;   in Loop: Header=BB216_6 Depth=1
	v_readlane_b32 s2, v52, 20
	v_readlane_b32 s3, v52, 21
	s_and_b64 vcc, exec, s[2:3]
	s_cbranch_vccz .LBB216_19
; %bb.8:                                ;   in Loop: Header=BB216_6 Depth=1
	s_mov_b64 s[2:3], 0x601
	v_cmp_gt_u64_e32 vcc, s[2:3], v[6:7]
	s_mov_b64 s[2:3], 0
	s_mov_b64 s[4:5], 0
	s_cbranch_vccz .LBB216_20
; %bb.9:                                ;   in Loop: Header=BB216_6 Depth=1
	v_readlane_b32 s4, v52, 36
	v_readlane_b32 s5, v52, 37
	global_load_ushort v8, v[12:13], off
	s_mov_b64 s[8:9], 0
	s_nop 2
	global_load_ushort v6, v3, s[4:5]
	s_waitcnt vmcnt(0)
	v_and_b32_e32 v2, 0xffff, v6
	v_add_co_u32_e32 v7, vcc, v0, v2
	v_addc_co_u32_e64 v4, s[4:5], 0, 0, vcc
	v_mul_lo_u32 v9, s20, v4
	v_mov_b32_e32 v4, s50
	v_mov_b32_e32 v5, s51
	v_mul_lo_u32 v10, s21, v7
	v_mad_u64_u32 v[4:5], s[4:5], s20, v7, v[4:5]
	v_readfirstlane_b32 s4, v6
	s_and_b32 s4, 0xffff, s4
	s_mul_i32 s5, s21, s4
	s_mul_hi_u32 s6, s20, s4
	v_mov_b32_e32 v7, v1
	v_add3_u32 v5, v10, v5, v9
	s_add_i32 s14, s6, s5
	s_mul_i32 s15, s20, s4
	v_mov_b32_e32 v6, v0
	s_branch .LBB216_11
.LBB216_10:                             ;   in Loop: Header=BB216_11 Depth=2
	s_or_b64 exec, exec, s[4:5]
	v_mov_b32_e32 v8, s14
	v_add_co_u32_e32 v4, vcc, s15, v4
	v_addc_co_u32_e32 v5, vcc, v5, v8, vcc
	s_waitcnt vmcnt(0)
	v_mov_b32_e32 v8, v9
	s_andn2_b64 exec, exec, s[8:9]
	s_cbranch_execz .LBB216_93
.LBB216_11:                             ;   Parent Loop BB216_6 Depth=1
                                        ; =>  This Inner Loop Header: Depth=2
	v_add_co_u32_e32 v6, vcc, v6, v2
	v_addc_co_u32_e32 v7, vcc, 0, v7, vcc
	v_cmp_gt_u64_e64 s[6:7], s[28:29], v[6:7]
	v_cmp_le_u64_e32 vcc, s[28:29], v[6:7]
	s_waitcnt lgkmcnt(0)
	v_mov_b32_e32 v10, 0
	v_mov_b32_e32 v9, 0
	s_and_saveexec_b64 s[4:5], s[6:7]
	s_cbranch_execz .LBB216_13
; %bb.12:                               ;   in Loop: Header=BB216_11 Depth=2
	global_load_ushort v9, v[4:5], off
.LBB216_13:                             ;   in Loop: Header=BB216_11 Depth=2
	s_or_b64 exec, exec, s[4:5]
	v_cmp_lt_i16_e64 s[6:7], -1, v8
	v_cndmask_b32_e64 v11, v41, v42, s[6:7]
	v_lshlrev_b32_e32 v26, 16, v8
	v_cmp_o_f32_e64 s[6:7], v26, v26
	v_xor_b32_sdwa v11, v11, v8 dst_sel:DWORD dst_unused:UNUSED_PAD src0_sel:DWORD src1_sel:WORD_0
	v_cndmask_b32_e64 v11, v41, v11, s[6:7]
	v_and_b32_e32 v11, v11, v46
	v_cmp_eq_u32_e64 s[18:19], v11, v38
	s_cmp_lg_u64 s[18:19], 0
	s_cselect_b64 s[4:5], -1, 0
	s_and_b64 s[6:7], s[0:1], s[4:5]
	s_and_saveexec_b64 s[4:5], s[6:7]
	s_cbranch_execz .LBB216_17
; %bb.14:                               ;   in Loop: Header=BB216_11 Depth=2
	s_mov_b64 s[12:13], exec
	v_mbcnt_lo_u32_b32 v10, s12, 0
	v_mbcnt_hi_u32_b32 v10, s13, v10
	s_bcnt1_i32_b64 s16, s[18:19]
	v_cmp_eq_u32_e64 s[6:7], 0, v10
                                        ; implicit-def: $vgpr11
	s_and_saveexec_b64 s[10:11], s[6:7]
; %bb.15:                               ;   in Loop: Header=BB216_11 Depth=2
	s_bcnt1_i32_b64 s6, s[12:13]
	s_mul_i32 s6, s16, s6
	v_mov_b32_e32 v11, s6
	ds_add_rtn_u32 v11, v3, v11 offset:5144
; %bb.16:                               ;   in Loop: Header=BB216_11 Depth=2
	s_or_b64 exec, exec, s[10:11]
	s_waitcnt lgkmcnt(0)
	v_readfirstlane_b32 s6, v11
	v_mov_b32_e32 v11, s6
	v_mad_u32_u24 v10, s16, v10, v11
.LBB216_17:                             ;   in Loop: Header=BB216_11 Depth=2
	s_or_b64 exec, exec, s[4:5]
	ds_bpermute_b32 v10, v30, v10
	s_and_b64 s[4:5], exec, vcc
	s_or_b64 s[8:9], s[4:5], s[8:9]
	s_and_saveexec_b64 s[4:5], s[18:19]
	s_cbranch_execz .LBB216_10
; %bb.18:                               ;   in Loop: Header=BB216_11 Depth=2
	v_and_b32_e32 v26, s18, v29
	v_and_b32_e32 v11, s19, v28
	v_bcnt_u32_b32 v26, v26, 0
	v_bcnt_u32_b32 v11, v11, v26
	v_lshlrev_b32_e32 v11, 1, v11
	s_waitcnt lgkmcnt(0)
	v_lshl_add_u32 v10, v10, 1, v11
	ds_write_b16 v10, v8
	s_branch .LBB216_10
.LBB216_19:                             ;   in Loop: Header=BB216_6 Depth=1
	s_mov_b64 s[2:3], -1
	s_mov_b64 s[4:5], 0
.LBB216_20:                             ;   in Loop: Header=BB216_6 Depth=1
	s_and_b64 vcc, exec, s[2:3]
	s_cbranch_vccz .LBB216_36
.LBB216_21:                             ;   in Loop: Header=BB216_6 Depth=1
	s_mov_b64 s[2:3], exec
	v_readlane_b32 s4, v52, 22
	v_readlane_b32 s5, v52, 23
	s_and_b64 s[4:5], s[2:3], s[4:5]
	s_mov_b64 exec, s[4:5]
	s_cbranch_execz .LBB216_33
; %bb.22:                               ;   in Loop: Header=BB216_6 Depth=1
	v_readlane_b32 s4, v52, 36
	v_readlane_b32 s5, v52, 37
	s_nop 4
	global_load_ushort v2, v3, s[4:5]
	global_load_ushort v11, v[12:13], off
	v_mov_b32_e32 v6, v0
	s_waitcnt vmcnt(1)
	v_readfirstlane_b32 s4, v2
	v_add_u32_sdwa v2, v2, v0 dst_sel:DWORD dst_unused:UNUSED_PAD src0_sel:WORD_0 src1_sel:DWORD
	v_cmp_gt_u64_e32 vcc, s[28:29], v[2:3]
	s_and_saveexec_b64 s[8:9], vcc
	s_cbranch_execz .LBB216_32
; %bb.23:                               ;   in Loop: Header=BB216_6 Depth=1
	s_and_b32 s12, s4, 0xffff
	s_cmp_eq_u32 s12, 1
	v_readlane_b32 s6, v52, 24
                                        ; implicit-def: $vgpr6_vgpr7
	s_cselect_b64 s[4:5], -1, 0
	v_readlane_b32 s7, v52, 25
	v_mov_b32_e32 v8, v1
	v_mov_b32_e32 v5, v3
	s_and_b64 s[4:5], s[6:7], s[4:5]
	s_mov_b64 s[10:11], -1
	v_mov_b32_e32 v7, v0
	v_mov_b32_e32 v4, v2
	s_and_saveexec_b64 s[6:7], s[4:5]
	s_cbranch_execz .LBB216_27
; %bb.24:                               ;   in Loop: Header=BB216_6 Depth=1
	v_add_co_u32_e32 v4, vcc, 1, v2
	v_addc_co_u32_e64 v5, s[4:5], 0, 0, vcc
	v_mov_b32_e32 v8, v14
	v_mov_b32_e32 v7, v5
	s_waitcnt vmcnt(0)
	v_lshlrev_b32_e32 v26, 16, v11
	s_mov_b64 s[10:11], 0
	v_mov_b32_e32 v9, v15
	v_mov_b32_e32 v10, v39
	;; [unrolled: 1-line block ×5, first 2 shown]
.LBB216_25:                             ;   Parent Loop BB216_6 Depth=1
                                        ; =>  This Inner Loop Header: Depth=2
	v_mul_lo_u32 v11, v7, s26
	v_mul_lo_u32 v27, v6, s27
	v_mad_u64_u32 v[48:49], s[4:5], v6, s26, 0
	v_mad_u64_u32 v[50:51], s[4:5], v4, s54, 0
	v_add3_u32 v49, v49, v27, v11
	v_mul_lo_u32 v11, v5, s54
	v_mul_lo_u32 v27, v4, s17
	v_lshlrev_b64 v[48:49], 1, v[48:49]
	s_mov_b32 s4, 0x5040100
	v_add3_u32 v51, v51, v27, v11
	v_lshlrev_b64 v[50:51], 1, v[50:51]
	v_mov_b32_e32 v11, s51
	v_add_co_u32_e32 v50, vcc, s50, v50
	v_addc_co_u32_e32 v51, vcc, v11, v51, vcc
	v_add_co_u32_e32 v48, vcc, s50, v48
	v_addc_co_u32_e32 v49, vcc, v11, v49, vcc
	global_load_ushort v27, v[50:51], off
	global_load_ushort v11, v[48:49], off
	v_add_co_u32_e32 v6, vcc, 2, v6
	v_addc_co_u32_e32 v7, vcc, 0, v7, vcc
	v_add_co_u32_e32 v4, vcc, 2, v4
	v_addc_co_u32_e32 v5, vcc, 0, v5, vcc
	v_add_co_u32_e32 v8, vcc, -2, v8
	v_addc_co_u32_e32 v9, vcc, -1, v9, vcc
	v_cmp_eq_u64_e32 vcc, 0, v[8:9]
	s_or_b64 s[10:11], vcc, s[10:11]
	s_waitcnt vmcnt(1)
	v_alignbit_b32 v26, v27, v26, 16
	s_waitcnt vmcnt(0)
	v_perm_b32 v48, v11, v27, s4
	ds_write_b32 v10, v26
	v_add_u32_e32 v10, 4, v10
	v_mov_b32_e32 v26, v48
	s_andn2_b64 exec, exec, s[10:11]
	s_cbranch_execnz .LBB216_25
; %bb.26:                               ;   in Loop: Header=BB216_6 Depth=1
	s_or_b64 exec, exec, s[10:11]
	v_readlane_b32 s4, v52, 26
	v_add_co_u32_e32 v4, vcc, v2, v14
	v_readlane_b32 s5, v52, 27
	v_addc_co_u32_e32 v5, vcc, 0, v15, vcc
	v_add_co_u32_e32 v6, vcc, -1, v4
	s_orn2_b64 s[10:11], s[4:5], exec
	v_mov_b32_e32 v7, v17
	v_mov_b32_e32 v8, v18
.LBB216_27:                             ;   in Loop: Header=BB216_6 Depth=1
	s_or_b64 exec, exec, s[6:7]
	s_and_saveexec_b64 s[4:5], s[10:11]
	s_cbranch_execz .LBB216_31
; %bb.28:                               ;   in Loop: Header=BB216_6 Depth=1
	v_mov_b32_e32 v8, s50
	v_mov_b32_e32 v9, s51
	v_mad_u64_u32 v[9:10], s[6:7], s20, v4, v[8:9]
	v_mul_lo_u32 v2, s20, v5
	v_mul_lo_u32 v6, s21, v4
	s_mul_i32 s6, s21, s12
	s_mul_hi_u32 s7, s20, s12
	s_mov_b64 s[10:11], 0
	s_sub_u32 s13, 0, s12
	v_add3_u32 v10, v6, v10, v2
	s_add_i32 s14, s7, s6
.LBB216_29:                             ;   Parent Loop BB216_6 Depth=1
                                        ; =>  This Inner Loop Header: Depth=2
	s_waitcnt vmcnt(0)
	v_mov_b32_e32 v2, v11
	global_load_ushort v11, v[9:10], off
	v_mov_b32_e32 v27, v5
	v_mov_b32_e32 v26, v4
	v_lshlrev_b32_e32 v4, 1, v7
	ds_write_b16 v4, v2
	v_add_co_u32_e32 v4, vcc, s12, v26
	v_addc_co_u32_e32 v5, vcc, 0, v27, vcc
	s_mul_i32 s6, s20, s12
	v_mov_b32_e32 v2, s14
	v_add_co_u32_e32 v9, vcc, s6, v9
	v_addc_co_u32_e32 v10, vcc, v10, v2, vcc
	v_cmp_le_u64_e32 vcc, s[28:29], v[4:5]
	v_add_co_u32_e64 v6, s[6:7], s13, v4
	s_or_b64 s[10:11], vcc, s[10:11]
	v_mov_b32_e32 v7, v26
	v_mov_b32_e32 v8, v27
	s_andn2_b64 exec, exec, s[10:11]
	s_cbranch_execnz .LBB216_29
; %bb.30:                               ;   in Loop: Header=BB216_6 Depth=1
	s_or_b64 exec, exec, s[10:11]
.LBB216_31:                             ;   in Loop: Header=BB216_6 Depth=1
	s_or_b64 exec, exec, s[4:5]
.LBB216_32:                             ;   in Loop: Header=BB216_6 Depth=1
	s_or_b64 exec, exec, s[8:9]
	v_lshlrev_b32_e32 v2, 1, v6
	s_waitcnt vmcnt(0)
	ds_write_b16 v2, v11
.LBB216_33:                             ;   in Loop: Header=BB216_6 Depth=1
	s_or_b64 exec, exec, s[2:3]
	s_waitcnt lgkmcnt(0)
	s_barrier
	s_mov_b64 s[2:3], exec
	v_readlane_b32 s4, v52, 8
	v_readlane_b32 s5, v52, 9
	s_and_b64 s[4:5], s[2:3], s[4:5]
	s_mov_b64 exec, s[4:5]
; %bb.34:                               ;   in Loop: Header=BB216_6 Depth=1
	v_mov_b32_e32 v4, s28
	v_mov_b32_e32 v5, s29
	ds_write_b64 v3, v[4:5] offset:5120
; %bb.35:                               ;   in Loop: Header=BB216_6 Depth=1
	s_or_b64 exec, exec, s[2:3]
	s_mov_b64 s[4:5], -1
	s_waitcnt lgkmcnt(0)
	s_barrier
.LBB216_36:                             ;   in Loop: Header=BB216_6 Depth=1
	s_mov_b64 s[42:43], 0
	s_and_b64 vcc, exec, s[4:5]
	s_cbranch_vccz .LBB216_38
; %bb.37:                               ;   in Loop: Header=BB216_6 Depth=1
	ds_read_b64 v[4:5], v3 offset:5120
	s_waitcnt lgkmcnt(0)
	v_readfirstlane_b32 s42, v4
.LBB216_38:                             ;   in Loop: Header=BB216_6 Depth=1
	s_cmp_lt_i32 s42, 1
	s_mov_b64 s[2:3], -1
                                        ; implicit-def: $vgpr4_vgpr5
                                        ; implicit-def: $vgpr8_vgpr9
	s_cbranch_scc0 .LBB216_53
; %bb.39:                               ;   in Loop: Header=BB216_6 Depth=1
	v_readlane_b32 s2, v52, 36
	v_readlane_b32 s3, v52, 37
	s_nop 4
	global_load_ushort v2, v3, s[2:3]
	s_mov_b32 s2, s55
	s_waitcnt vmcnt(0)
	v_readfirstlane_b32 s3, v2
	s_and_b32 s10, s3, 0xffff
	s_lshl_b32 s8, s10, 2
	s_mov_b32 s3, s29
	s_cmp_lg_u64 s[2:3], 0
	s_cbranch_scc0 .LBB216_71
; %bb.40:                               ;   in Loop: Header=BB216_6 Depth=1
	v_cvt_f32_u32_e32 v2, s8
	s_sub_u32 s4, 0, s8
	s_subb_u32 s5, 0, 0
	v_mac_f32_e32 v2, 0, v43
	v_rcp_f32_e32 v2, v2
	v_mul_f32_e32 v2, 0x5f7ffffc, v2
	v_mul_f32_e32 v4, 0x2f800000, v2
	v_trunc_f32_e32 v4, v4
	v_mac_f32_e32 v2, 0xcf800000, v4
	v_cvt_u32_f32_e32 v4, v4
	v_cvt_u32_f32_e32 v2, v2
	v_readfirstlane_b32 s6, v4
	v_readfirstlane_b32 s2, v2
	s_mul_i32 s3, s4, s6
	s_mul_hi_u32 s9, s4, s2
	s_mul_i32 s7, s5, s2
	s_add_i32 s3, s9, s3
	s_mul_i32 s11, s4, s2
	s_add_i32 s3, s3, s7
	s_mul_hi_u32 s9, s2, s11
	s_mul_i32 s12, s2, s3
	s_mul_hi_u32 s7, s2, s3
	s_add_u32 s9, s9, s12
	s_addc_u32 s7, 0, s7
	s_mul_hi_u32 s13, s6, s11
	s_mul_i32 s11, s6, s11
	s_add_u32 s9, s9, s11
	s_mul_hi_u32 s12, s6, s3
	s_addc_u32 s7, s7, s13
	s_addc_u32 s9, s12, 0
	s_mul_i32 s3, s6, s3
	s_add_u32 s3, s7, s3
	s_addc_u32 s7, 0, s9
	s_add_u32 s9, s2, s3
	s_cselect_b64 s[2:3], -1, 0
	s_cmp_lg_u64 s[2:3], 0
	s_addc_u32 s6, s6, s7
	s_mul_i32 s2, s4, s6
	s_mul_hi_u32 s3, s4, s9
	s_add_i32 s2, s3, s2
	s_mul_i32 s5, s5, s9
	s_add_i32 s2, s2, s5
	s_mul_i32 s4, s4, s9
	s_mul_hi_u32 s5, s6, s4
	s_mul_i32 s7, s6, s4
	s_mul_i32 s12, s9, s2
	s_mul_hi_u32 s4, s9, s4
	s_mul_hi_u32 s11, s9, s2
	s_add_u32 s4, s4, s12
	s_addc_u32 s11, 0, s11
	s_add_u32 s4, s4, s7
	s_mul_hi_u32 s3, s6, s2
	s_addc_u32 s4, s11, s5
	s_addc_u32 s3, s3, 0
	s_mul_i32 s2, s6, s2
	s_add_u32 s2, s4, s2
	s_addc_u32 s4, 0, s3
	s_add_u32 s5, s9, s2
	s_cselect_b64 s[2:3], -1, 0
	s_cmp_lg_u64 s[2:3], 0
	s_addc_u32 s2, s6, s4
	s_mul_i32 s4, s28, s2
	s_mul_hi_u32 s6, s28, s5
	s_mul_hi_u32 s3, s28, s2
	s_add_u32 s4, s6, s4
	s_addc_u32 s3, 0, s3
	s_mul_hi_u32 s7, s29, s5
	s_mul_i32 s5, s29, s5
	s_add_u32 s4, s4, s5
	s_mul_hi_u32 s6, s29, s2
	s_addc_u32 s3, s3, s7
	s_addc_u32 s4, s6, 0
	s_mul_i32 s2, s29, s2
	s_add_u32 s2, s3, s2
	s_addc_u32 s3, 0, s4
	s_mul_i32 s3, s8, s3
	s_mul_hi_u32 s4, s8, s2
	s_add_i32 s4, s4, s3
	s_mul_i32 s2, s8, s2
	s_sub_u32 s5, s28, s2
	s_cselect_b64 s[2:3], -1, 0
	s_cmp_lg_u64 s[2:3], 0
	s_subb_u32 s4, s29, s4
	s_sub_u32 s6, s5, s8
	s_cselect_b64 s[2:3], -1, 0
	s_cmp_lg_u64 s[2:3], 0
	s_subb_u32 s7, s4, 0
	;; [unrolled: 4-line block ×3, first 2 shown]
	s_cmp_ge_u32 s6, s8
	s_cselect_b32 s3, -1, 0
	s_cmp_eq_u32 s7, 0
	s_cselect_b32 s3, s3, -1
	s_cmp_lg_u32 s3, 0
	s_cselect_b32 s2, s2, s7
	s_cselect_b32 s6, s9, s6
	s_cmp_ge_u32 s5, s8
	s_cselect_b32 s3, -1, 0
	s_cmp_eq_u32 s4, 0
	s_cselect_b32 s3, s3, -1
	s_cmp_lg_u32 s3, 0
	s_cselect_b32 s3, s2, s4
	s_cselect_b32 s2, s6, s5
	s_cbranch_execnz .LBB216_42
.LBB216_41:                             ;   in Loop: Header=BB216_6 Depth=1
	v_cvt_f32_u32_e32 v2, s8
	s_sub_i32 s2, 0, s8
	v_rcp_iflag_f32_e32 v2, v2
	v_mul_f32_e32 v2, 0x4f7ffffe, v2
	v_cvt_u32_f32_e32 v2, v2
	v_readfirstlane_b32 s3, v2
	s_mul_i32 s2, s2, s3
	s_mul_hi_u32 s2, s3, s2
	s_add_i32 s3, s3, s2
	s_mul_hi_u32 s2, s28, s3
	s_mul_i32 s2, s2, s8
	s_sub_i32 s2, s28, s2
	s_sub_i32 s3, s2, s8
	s_cmp_ge_u32 s2, s8
	s_cselect_b32 s2, s3, s2
	s_sub_i32 s3, s2, s8
	s_cmp_ge_u32 s2, s8
	s_cselect_b32 s54, s3, s2
	s_mov_b64 s[2:3], s[54:55]
	v_readlane_b32 s54, v52, 46
.LBB216_42:                             ;   in Loop: Header=BB216_6 Depth=1
	s_sub_u32 s2, s28, s2
	s_subb_u32 s3, s29, s3
	v_cmp_gt_u64_e32 vcc, s[2:3], v[20:21]
	v_mov_b32_e32 v4, 0
	v_mov_b32_e32 v6, 0
	;; [unrolled: 1-line block ×8, first 2 shown]
	s_and_saveexec_b64 s[12:13], vcc
	s_cbranch_execz .LBB216_46
; %bb.43:                               ;   in Loop: Header=BB216_6 Depth=1
	s_mul_i32 s4, s71, s10
	s_mul_hi_u32 s5, s70, s10
	v_mov_b32_e32 v27, v21
	s_add_i32 s4, s5, s4
	s_mov_b64 s[14:15], 0
	s_mov_b64 s[20:21], s[50:51]
	;; [unrolled: 1-line block ×6, first 2 shown]
	v_mov_b32_e32 v26, v20
.LBB216_44:                             ;   Parent Loop BB216_6 Depth=1
                                        ; =>  This Inner Loop Header: Depth=2
	v_add_co_u32_e32 v4, vcc, s20, v22
	v_mov_b32_e32 v2, s21
	v_addc_co_u32_e32 v5, vcc, v2, v23, vcc
	global_load_ushort v6, v[4:5], off
	v_add_co_u32_e32 v4, vcc, s20, v19
	v_addc_co_u32_e32 v5, vcc, v2, v35, vcc
	global_load_ushort v7, v[4:5], off
	v_add_co_u32_e32 v4, vcc, s20, v18
	;; [unrolled: 3-line block ×3, first 2 shown]
	v_addc_co_u32_e32 v5, vcc, v2, v33, vcc
	global_load_ushort v2, v[4:5], off
	s_waitcnt vmcnt(3)
	v_cmp_lt_i16_e32 vcc, -1, v6
	v_cndmask_b32_e32 v4, v41, v42, vcc
	v_lshlrev_b32_e32 v5, 16, v6
	v_cmp_o_f32_e32 vcc, v5, v5
	v_xor_b32_sdwa v4, v4, v6 dst_sel:DWORD dst_unused:UNUSED_PAD src0_sel:DWORD src1_sel:WORD_0
	v_cndmask_b32_e32 v4, v41, v4, vcc
	s_waitcnt vmcnt(2)
	v_cmp_lt_i16_e32 vcc, -1, v7
	v_cndmask_b32_e32 v5, v41, v42, vcc
	v_lshlrev_b32_e32 v6, 16, v7
	v_cmp_o_f32_e32 vcc, v6, v6
	v_xor_b32_sdwa v5, v5, v7 dst_sel:DWORD dst_unused:UNUSED_PAD src0_sel:DWORD src1_sel:WORD_0
	v_cndmask_b32_e32 v5, v41, v5, vcc
	;; [unrolled: 7-line block ×3, first 2 shown]
	s_waitcnt vmcnt(0)
	v_cmp_lt_i16_e32 vcc, -1, v2
	v_cndmask_b32_e32 v7, v41, v42, vcc
	v_lshlrev_b32_e32 v8, 16, v2
	v_cmp_o_f32_e32 vcc, v8, v8
	v_xor_b32_sdwa v2, v7, v2 dst_sel:DWORD dst_unused:UNUSED_PAD src0_sel:DWORD src1_sel:WORD_0
	v_and_b32_e32 v7, v4, v46
	v_bfe_u32 v4, v4, s62, 2
	v_cndmask_b32_e32 v2, v41, v2, vcc
	v_cmp_eq_u32_e32 vcc, v7, v38
	v_and_b32_e32 v7, v5, v46
	v_bfe_u32 v5, v5, s62, 2
	v_cmp_eq_u32_e64 s[24:25], 0, v4
	v_cmp_eq_u32_e64 s[6:7], v7, v38
	v_and_b32_e32 v7, v6, v46
	v_bfe_u32 v6, v6, s62, 2
	s_and_b64 s[16:17], vcc, s[24:25]
	v_cmp_eq_u32_e64 s[24:25], 0, v5
	v_cmp_eq_u32_e64 s[18:19], v7, v38
	v_and_b32_e32 v7, v2, v46
	v_bfe_u32 v2, v2, s62, 2
	s_and_b64 s[40:41], s[6:7], s[24:25]
	v_cmp_eq_u32_e64 s[24:25], 0, v6
	v_cmp_eq_u32_e64 s[22:23], v7, v38
	s_and_b64 s[48:49], s[18:19], s[24:25]
	v_cmp_eq_u32_e64 s[24:25], 0, v2
	v_cndmask_b32_e64 v7, 0, 1, s[16:17]
	s_and_b64 s[52:53], s[22:23], s[24:25]
	v_cmp_ne_u32_e64 s[24:25], 0, v7
	v_cndmask_b32_e64 v7, 0, 1, s[40:41]
	s_bcnt1_i32_b64 s5, s[24:25]
	v_cmp_ne_u32_e64 s[24:25], 0, v7
	v_cndmask_b32_e64 v7, 0, 1, s[48:49]
	s_bcnt1_i32_b64 s9, s[24:25]
	v_cmp_ne_u32_e64 s[24:25], 0, v7
	v_cndmask_b32_e64 v7, 0, 1, s[52:53]
	s_bcnt1_i32_b64 s11, s[24:25]
	v_cmp_ne_u32_e64 s[24:25], 0, v7
	s_bcnt1_i32_b64 s16, s[24:25]
	s_add_u32 s5, s5, s46
	s_addc_u32 s17, 0, s47
	s_add_u32 s5, s5, s9
	s_addc_u32 s9, s17, 0
	;; [unrolled: 2-line block ×3, first 2 shown]
	s_add_u32 s46, s5, s16
	v_cmp_eq_u32_e64 s[24:25], 1, v4
	s_addc_u32 s47, s9, 0
	s_and_b64 s[16:17], vcc, s[24:25]
	v_cmp_eq_u32_e64 s[24:25], 1, v5
	s_and_b64 s[40:41], s[6:7], s[24:25]
	v_cmp_eq_u32_e64 s[24:25], 1, v6
	s_and_b64 s[48:49], s[18:19], s[24:25]
	v_cmp_eq_u32_e64 s[24:25], 1, v2
	v_cndmask_b32_e64 v7, 0, 1, s[16:17]
	s_and_b64 s[52:53], s[22:23], s[24:25]
	v_cmp_ne_u32_e64 s[24:25], 0, v7
	v_cndmask_b32_e64 v7, 0, 1, s[40:41]
	s_bcnt1_i32_b64 s5, s[24:25]
	v_cmp_ne_u32_e64 s[24:25], 0, v7
	v_cndmask_b32_e64 v7, 0, 1, s[48:49]
	s_bcnt1_i32_b64 s9, s[24:25]
	;; [unrolled: 3-line block ×3, first 2 shown]
	v_cmp_ne_u32_e64 s[24:25], 0, v7
	s_bcnt1_i32_b64 s16, s[24:25]
	s_add_u32 s5, s5, s44
	s_addc_u32 s17, 0, s45
	s_add_u32 s5, s5, s9
	s_addc_u32 s9, s17, 0
	;; [unrolled: 2-line block ×3, first 2 shown]
	s_add_u32 s44, s5, s16
	v_cmp_eq_u32_e64 s[24:25], 2, v4
	s_addc_u32 s45, s9, 0
	s_and_b64 s[16:17], vcc, s[24:25]
	v_cmp_eq_u32_e64 s[24:25], 2, v5
	s_and_b64 s[40:41], s[6:7], s[24:25]
	v_cmp_eq_u32_e64 s[24:25], 2, v6
	s_and_b64 s[48:49], s[18:19], s[24:25]
	v_cmp_eq_u32_e64 s[24:25], 2, v2
	v_cndmask_b32_e64 v7, 0, 1, s[16:17]
	s_and_b64 s[52:53], s[22:23], s[24:25]
	v_cmp_ne_u32_e64 s[24:25], 0, v7
	v_cndmask_b32_e64 v7, 0, 1, s[40:41]
	s_bcnt1_i32_b64 s5, s[24:25]
	v_cmp_ne_u32_e64 s[24:25], 0, v7
	v_cndmask_b32_e64 v7, 0, 1, s[48:49]
	s_bcnt1_i32_b64 s9, s[24:25]
	v_cmp_ne_u32_e64 s[24:25], 0, v7
	v_cndmask_b32_e64 v7, 0, 1, s[52:53]
	s_bcnt1_i32_b64 s11, s[24:25]
	v_cmp_ne_u32_e64 s[24:25], 0, v7
	s_bcnt1_i32_b64 s16, s[24:25]
	s_add_u32 s5, s5, s38
	s_addc_u32 s17, 0, s39
	s_add_u32 s5, s5, s9
	s_addc_u32 s9, s17, 0
	;; [unrolled: 2-line block ×3, first 2 shown]
	s_add_u32 s38, s5, s16
	v_cmp_eq_u32_e64 s[24:25], 3, v4
	s_addc_u32 s39, s9, 0
	s_and_b64 s[16:17], vcc, s[24:25]
	v_cmp_eq_u32_e32 vcc, 3, v5
	s_and_b64 s[6:7], s[6:7], vcc
	v_cmp_eq_u32_e32 vcc, 3, v6
	s_and_b64 s[18:19], s[18:19], vcc
	v_cmp_eq_u32_e32 vcc, 3, v2
	v_cndmask_b32_e64 v2, 0, 1, s[16:17]
	s_and_b64 s[22:23], s[22:23], vcc
	v_cmp_ne_u32_e32 vcc, 0, v2
	v_cndmask_b32_e64 v2, 0, 1, s[6:7]
	s_bcnt1_i32_b64 s5, vcc
	v_cmp_ne_u32_e32 vcc, 0, v2
	v_cndmask_b32_e64 v2, 0, 1, s[18:19]
	s_bcnt1_i32_b64 s6, vcc
	;; [unrolled: 3-line block ×3, first 2 shown]
	v_cmp_ne_u32_e32 vcc, 0, v2
	s_bcnt1_i32_b64 s9, vcc
	s_add_u32 s5, s5, s36
	s_addc_u32 s11, 0, s37
	s_add_u32 s5, s5, s6
	s_addc_u32 s6, s11, 0
	s_add_u32 s5, s5, s7
	s_addc_u32 s6, s6, 0
	s_add_u32 s36, s5, s9
	v_add_co_u32_e32 v26, vcc, s8, v26
	s_addc_u32 s37, s6, 0
	v_addc_co_u32_e32 v27, vcc, 0, v27, vcc
	s_mul_i32 s5, s70, s10
	s_add_u32 s20, s20, s5
	v_cmp_le_u64_e32 vcc, s[2:3], v[26:27]
	s_addc_u32 s21, s21, s4
	v_mov_b32_e32 v4, s46
	v_mov_b32_e32 v6, s44
	;; [unrolled: 1-line block ×4, first 2 shown]
	s_or_b64 s[14:15], vcc, s[14:15]
	v_mov_b32_e32 v5, s47
	v_mov_b32_e32 v7, s45
	;; [unrolled: 1-line block ×4, first 2 shown]
	s_andn2_b64 exec, exec, s[14:15]
	s_cbranch_execnz .LBB216_44
; %bb.45:                               ;   in Loop: Header=BB216_6 Depth=1
	s_or_b64 exec, exec, s[14:15]
	v_readlane_b32 s52, v52, 44
	v_readlane_b32 s53, v52, 45
.LBB216_46:                             ;   in Loop: Header=BB216_6 Depth=1
	s_or_b64 exec, exec, s[12:13]
	v_mov_b32_e32 v2, s3
	v_add_co_u32_e32 v26, vcc, s2, v0
	v_addc_co_u32_e32 v27, vcc, 0, v2, vcc
	v_cmp_gt_u64_e32 vcc, s[28:29], v[26:27]
	s_and_saveexec_b64 s[2:3], vcc
	s_cbranch_execz .LBB216_52
; %bb.47:                               ;   in Loop: Header=BB216_6 Depth=1
	v_mul_lo_u32 v2, v27, s26
	v_mul_lo_u32 v50, v26, s27
	v_mad_u64_u32 v[48:49], s[4:5], v26, s26, 0
	s_mov_b64 s[8:9], 0
	v_add3_u32 v49, v49, v50, v2
	v_lshlrev_b64 v[48:49], 1, v[48:49]
	v_mov_b32_e32 v2, s51
	v_add_co_u32_e32 v48, vcc, s50, v48
	v_addc_co_u32_e32 v49, vcc, v2, v49, vcc
	global_load_ushort v48, v[48:49], off
	s_branch .LBB216_49
.LBB216_48:                             ;   in Loop: Header=BB216_49 Depth=2
	s_or_b64 exec, exec, s[4:5]
	s_and_b64 s[4:5], exec, vcc
	s_waitcnt vmcnt(0)
	v_cmp_lt_i16_e32 vcc, -1, v48
	v_cndmask_b32_e32 v49, v41, v42, vcc
	v_lshlrev_b32_e32 v50, 16, v48
	v_cmp_o_f32_e32 vcc, v50, v50
	v_xor_b32_sdwa v48, v49, v48 dst_sel:DWORD dst_unused:UNUSED_PAD src0_sel:DWORD src1_sel:WORD_0
	v_cndmask_b32_e32 v48, v41, v48, vcc
	v_and_b32_e32 v49, v48, v46
	v_bfe_u32 v48, v48, s62, 2
	s_or_b64 s[8:9], s[4:5], s[8:9]
	v_cmp_eq_u32_e32 vcc, v49, v38
	v_cmp_eq_u32_e64 s[6:7], 0, v48
	s_and_b64 s[4:5], vcc, s[6:7]
	v_cndmask_b32_e64 v49, 0, 1, s[4:5]
	v_cmp_ne_u32_e64 s[6:7], 0, v49
	s_bcnt1_i32_b64 s4, s[6:7]
	v_add_co_u32_e64 v4, s[6:7], s4, v4
	v_addc_co_u32_e64 v5, s[6:7], 0, v5, s[6:7]
	v_cmp_eq_u32_e64 s[6:7], 1, v48
	s_and_b64 s[4:5], vcc, s[6:7]
	v_cndmask_b32_e64 v49, 0, 1, s[4:5]
	v_cmp_ne_u32_e64 s[6:7], 0, v49
	s_bcnt1_i32_b64 s4, s[6:7]
	v_add_co_u32_e64 v6, s[6:7], s4, v6
	v_addc_co_u32_e64 v7, s[6:7], 0, v7, s[6:7]
	;; [unrolled: 7-line block ×3, first 2 shown]
	v_cmp_eq_u32_e64 s[6:7], 3, v48
	s_and_b64 s[4:5], vcc, s[6:7]
	v_cndmask_b32_e64 v48, 0, 1, s[4:5]
	v_cmp_ne_u32_e32 vcc, 0, v48
	s_bcnt1_i32_b64 s4, vcc
	v_add_co_u32_e32 v10, vcc, s4, v10
	v_addc_co_u32_e32 v11, vcc, 0, v11, vcc
	v_mov_b32_e32 v48, v2
	s_andn2_b64 exec, exec, s[8:9]
	s_cbranch_execz .LBB216_51
.LBB216_49:                             ;   Parent Loop BB216_6 Depth=1
                                        ; =>  This Inner Loop Header: Depth=2
	v_add_co_u32_e32 v26, vcc, s10, v26
	v_addc_co_u32_e32 v27, vcc, 0, v27, vcc
	v_cmp_gt_u64_e64 s[6:7], s[28:29], v[26:27]
	v_cmp_le_u64_e32 vcc, s[28:29], v[26:27]
	v_mov_b32_e32 v2, 0
	s_and_saveexec_b64 s[4:5], s[6:7]
	s_cbranch_execz .LBB216_48
; %bb.50:                               ;   in Loop: Header=BB216_49 Depth=2
	v_mul_lo_u32 v2, v27, s26
	v_mul_lo_u32 v51, v26, s27
	v_mad_u64_u32 v[49:50], s[6:7], v26, s26, 0
	v_add3_u32 v50, v50, v51, v2
	v_lshlrev_b64 v[49:50], 1, v[49:50]
	v_mov_b32_e32 v2, s51
	v_add_co_u32_e64 v49, s[6:7], s50, v49
	v_addc_co_u32_e64 v50, s[6:7], v2, v50, s[6:7]
	global_load_ushort v2, v[49:50], off
	s_branch .LBB216_48
.LBB216_51:                             ;   in Loop: Header=BB216_6 Depth=1
	s_or_b64 exec, exec, s[8:9]
.LBB216_52:                             ;   in Loop: Header=BB216_6 Depth=1
	s_or_b64 exec, exec, s[2:3]
	s_mov_b64 s[2:3], 0
.LBB216_53:                             ;   in Loop: Header=BB216_6 Depth=1
	s_and_b64 vcc, exec, s[2:3]
	s_cbranch_vccz .LBB216_63
; %bb.54:                               ;   in Loop: Header=BB216_6 Depth=1
	v_readlane_b32 s2, v52, 36
	v_readlane_b32 s3, v52, 37
	v_mov_b32_e32 v8, 0
	v_mov_b32_e32 v9, 0
	s_nop 2
	global_load_ushort v2, v3, s[2:3]
	s_waitcnt vmcnt(0)
	v_readfirstlane_b32 s2, v2
	s_and_b32 s4, 0xffff, s2
	s_lshl_b32 s5, s4, 2
	v_cvt_f32_u32_e32 v4, s5
	s_sub_i32 s2, 0, s5
	v_rcp_iflag_f32_e32 v6, v4
	v_mov_b32_e32 v4, 0
	v_mov_b32_e32 v5, 0
	v_mul_f32_e32 v6, 0x4f7ffffe, v6
	v_cvt_u32_f32_e32 v10, v6
	v_mov_b32_e32 v6, 0
	v_mov_b32_e32 v7, 0
	v_readfirstlane_b32 s3, v10
	s_mul_i32 s2, s2, s3
	s_mul_hi_u32 s2, s3, s2
	s_add_i32 s3, s3, s2
	s_mul_hi_u32 s2, s42, s3
	s_mul_i32 s3, s2, s5
	s_sub_i32 s3, s42, s3
	s_add_i32 s6, s2, 1
	s_sub_i32 s7, s3, s5
	s_cmp_ge_u32 s3, s5
	s_cselect_b32 s2, s6, s2
	s_cselect_b32 s3, s7, s3
	s_add_i32 s6, s2, 1
	s_cmp_ge_u32 s3, s5
	s_cselect_b32 s2, s6, s2
	s_mul_hi_u32 s3, s4, s2
	s_mul_i32 s2, s4, s2
	s_lshl_b64 s[12:13], s[2:3], 2
	v_cmp_gt_u64_e32 vcc, s[12:13], v[20:21]
	v_mov_b32_e32 v10, 0
	v_mov_b32_e32 v11, 0
	s_and_saveexec_b64 s[14:15], vcc
	s_cbranch_execz .LBB216_58
; %bb.55:                               ;   in Loop: Header=BB216_6 Depth=1
	v_mov_b32_e32 v27, v21
	s_lshl_b32 s3, s4, 3
	s_mov_b64 s[20:21], 0
	v_mov_b32_e32 v48, v32
	s_mov_b64 s[36:37], 0
	s_mov_b64 s[38:39], 0
	;; [unrolled: 1-line block ×4, first 2 shown]
	v_mov_b32_e32 v26, v20
.LBB216_56:                             ;   Parent Loop BB216_6 Depth=1
                                        ; =>  This Inner Loop Header: Depth=2
	ds_read_b64 v[4:5], v48
	v_add_u32_e32 v48, s3, v48
	s_waitcnt lgkmcnt(0)
	v_cmp_lt_i16_e32 vcc, -1, v4
	v_cndmask_b32_e32 v6, v41, v42, vcc
	v_lshlrev_b32_e32 v7, 16, v4
	v_cmp_o_f32_e32 vcc, v7, v7
	v_xor_b32_sdwa v6, v6, v4 dst_sel:DWORD dst_unused:UNUSED_PAD src0_sel:DWORD src1_sel:WORD_0
	v_cndmask_b32_e32 v6, v41, v6, vcc
	v_cmp_gt_i16_sdwa vcc, v4, v44 src0_sel:WORD_1 src1_sel:DWORD
	v_cndmask_b32_e32 v7, v41, v42, vcc
	v_and_b32_e32 v8, 0xffff0000, v4
	v_cmp_o_f32_e32 vcc, v8, v8
	v_xor_b32_sdwa v4, v7, v4 dst_sel:DWORD dst_unused:UNUSED_PAD src0_sel:DWORD src1_sel:WORD_1
	v_cndmask_b32_e32 v4, v41, v4, vcc
	v_cmp_lt_i16_e32 vcc, -1, v5
	v_cndmask_b32_e32 v7, v41, v42, vcc
	v_lshlrev_b32_e32 v8, 16, v5
	v_cmp_o_f32_e32 vcc, v8, v8
	v_xor_b32_sdwa v7, v7, v5 dst_sel:DWORD dst_unused:UNUSED_PAD src0_sel:DWORD src1_sel:WORD_0
	v_cndmask_b32_e32 v7, v41, v7, vcc
	v_cmp_gt_i16_sdwa vcc, v5, v44 src0_sel:WORD_1 src1_sel:DWORD
	v_cndmask_b32_e32 v8, v41, v42, vcc
	v_and_b32_e32 v9, 0xffff0000, v5
	v_cmp_o_f32_e32 vcc, v9, v9
	v_xor_b32_sdwa v5, v8, v5 dst_sel:DWORD dst_unused:UNUSED_PAD src0_sel:DWORD src1_sel:WORD_1
	v_and_b32_e32 v8, v6, v46
	v_bfe_u32 v6, v6, s62, 2
	v_cndmask_b32_e32 v5, v41, v5, vcc
	v_cmp_eq_u32_e32 vcc, v8, v38
	v_and_b32_e32 v8, v4, v46
	v_bfe_u32 v4, v4, s62, 2
	v_cmp_eq_u32_e64 s[24:25], 0, v6
	v_cmp_eq_u32_e64 s[6:7], v8, v38
	v_and_b32_e32 v8, v7, v46
	v_bfe_u32 v7, v7, s62, 2
	s_and_b64 s[8:9], vcc, s[24:25]
	v_cmp_eq_u32_e64 s[24:25], 0, v4
	v_cmp_eq_u32_e64 s[18:19], v8, v38
	v_and_b32_e32 v8, v5, v46
	v_bfe_u32 v5, v5, s62, 2
	s_and_b64 s[10:11], s[6:7], s[24:25]
	v_cmp_eq_u32_e64 s[24:25], 0, v7
	v_cmp_eq_u32_e64 s[22:23], v8, v38
	s_and_b64 s[16:17], s[18:19], s[24:25]
	v_cmp_eq_u32_e64 s[24:25], 0, v5
	v_cndmask_b32_e64 v8, 0, 1, s[8:9]
	s_and_b64 s[40:41], s[22:23], s[24:25]
	v_cmp_ne_u32_e64 s[24:25], 0, v8
	v_cndmask_b32_e64 v8, 0, 1, s[10:11]
	s_bcnt1_i32_b64 s8, s[24:25]
	v_cmp_ne_u32_e64 s[24:25], 0, v8
	v_cndmask_b32_e64 v8, 0, 1, s[16:17]
	s_bcnt1_i32_b64 s9, s[24:25]
	;; [unrolled: 3-line block ×3, first 2 shown]
	v_cmp_ne_u32_e64 s[24:25], 0, v8
	s_bcnt1_i32_b64 s11, s[24:25]
	s_add_u32 s8, s8, s46
	s_addc_u32 s16, 0, s47
	s_add_u32 s8, s8, s9
	s_addc_u32 s9, s16, 0
	;; [unrolled: 2-line block ×3, first 2 shown]
	s_add_u32 s46, s8, s11
	v_cmp_eq_u32_e64 s[24:25], 1, v6
	s_addc_u32 s47, s9, 0
	s_and_b64 s[8:9], vcc, s[24:25]
	v_cmp_eq_u32_e64 s[24:25], 1, v4
	s_and_b64 s[10:11], s[6:7], s[24:25]
	v_cmp_eq_u32_e64 s[24:25], 1, v7
	s_and_b64 s[16:17], s[18:19], s[24:25]
	v_cmp_eq_u32_e64 s[24:25], 1, v5
	v_cndmask_b32_e64 v8, 0, 1, s[8:9]
	s_and_b64 s[40:41], s[22:23], s[24:25]
	v_cmp_ne_u32_e64 s[24:25], 0, v8
	v_cndmask_b32_e64 v8, 0, 1, s[10:11]
	s_bcnt1_i32_b64 s8, s[24:25]
	v_cmp_ne_u32_e64 s[24:25], 0, v8
	v_cndmask_b32_e64 v8, 0, 1, s[16:17]
	s_bcnt1_i32_b64 s9, s[24:25]
	;; [unrolled: 3-line block ×3, first 2 shown]
	v_cmp_ne_u32_e64 s[24:25], 0, v8
	s_bcnt1_i32_b64 s11, s[24:25]
	s_add_u32 s8, s8, s44
	s_addc_u32 s16, 0, s45
	s_add_u32 s8, s8, s9
	s_addc_u32 s9, s16, 0
	;; [unrolled: 2-line block ×3, first 2 shown]
	s_add_u32 s44, s8, s11
	v_cmp_eq_u32_e64 s[24:25], 2, v6
	s_addc_u32 s45, s9, 0
	s_and_b64 s[8:9], vcc, s[24:25]
	v_cmp_eq_u32_e64 s[24:25], 2, v4
	s_and_b64 s[10:11], s[6:7], s[24:25]
	v_cmp_eq_u32_e64 s[24:25], 2, v7
	s_and_b64 s[16:17], s[18:19], s[24:25]
	v_cmp_eq_u32_e64 s[24:25], 2, v5
	v_cndmask_b32_e64 v8, 0, 1, s[8:9]
	s_and_b64 s[40:41], s[22:23], s[24:25]
	v_cmp_ne_u32_e64 s[24:25], 0, v8
	v_cndmask_b32_e64 v8, 0, 1, s[10:11]
	s_bcnt1_i32_b64 s8, s[24:25]
	v_cmp_ne_u32_e64 s[24:25], 0, v8
	v_cndmask_b32_e64 v8, 0, 1, s[16:17]
	s_bcnt1_i32_b64 s9, s[24:25]
	;; [unrolled: 3-line block ×3, first 2 shown]
	v_cmp_ne_u32_e64 s[24:25], 0, v8
	s_bcnt1_i32_b64 s11, s[24:25]
	s_add_u32 s8, s8, s38
	s_addc_u32 s16, 0, s39
	s_add_u32 s8, s8, s9
	s_addc_u32 s9, s16, 0
	;; [unrolled: 2-line block ×3, first 2 shown]
	s_add_u32 s38, s8, s11
	v_cmp_eq_u32_e64 s[24:25], 3, v6
	s_addc_u32 s39, s9, 0
	s_and_b64 s[8:9], vcc, s[24:25]
	v_cmp_eq_u32_e32 vcc, 3, v4
	s_and_b64 s[6:7], s[6:7], vcc
	v_cmp_eq_u32_e32 vcc, 3, v7
	s_and_b64 s[10:11], s[18:19], vcc
	v_cmp_eq_u32_e32 vcc, 3, v5
	v_cndmask_b32_e64 v4, 0, 1, s[8:9]
	s_and_b64 s[16:17], s[22:23], vcc
	v_cmp_ne_u32_e32 vcc, 0, v4
	v_cndmask_b32_e64 v4, 0, 1, s[6:7]
	s_bcnt1_i32_b64 s8, vcc
	v_cmp_ne_u32_e32 vcc, 0, v4
	v_cndmask_b32_e64 v4, 0, 1, s[10:11]
	s_bcnt1_i32_b64 s6, vcc
	;; [unrolled: 3-line block ×3, first 2 shown]
	v_cmp_ne_u32_e32 vcc, 0, v4
	s_bcnt1_i32_b64 s9, vcc
	s_add_u32 s8, s8, s36
	s_addc_u32 s10, 0, s37
	s_add_u32 s6, s8, s6
	s_addc_u32 s8, s10, 0
	s_add_u32 s6, s6, s7
	v_add_co_u32_e32 v26, vcc, s5, v26
	s_addc_u32 s7, s8, 0
	v_addc_co_u32_e32 v27, vcc, 0, v27, vcc
	s_add_u32 s36, s6, s9
	v_cmp_le_u64_e32 vcc, s[12:13], v[26:27]
	s_addc_u32 s37, s7, 0
	v_mov_b32_e32 v4, s46
	v_mov_b32_e32 v6, s44
	v_mov_b32_e32 v8, s38
	v_mov_b32_e32 v10, s36
	s_or_b64 s[20:21], vcc, s[20:21]
	v_mov_b32_e32 v5, s47
	v_mov_b32_e32 v7, s45
	;; [unrolled: 1-line block ×4, first 2 shown]
	s_andn2_b64 exec, exec, s[20:21]
	s_cbranch_execnz .LBB216_56
; %bb.57:                               ;   in Loop: Header=BB216_6 Depth=1
	s_or_b64 exec, exec, s[20:21]
.LBB216_58:                             ;   in Loop: Header=BB216_6 Depth=1
	s_or_b64 exec, exec, s[14:15]
	v_mov_b32_e32 v27, s13
	v_add_co_u32_e32 v26, vcc, s12, v0
	s_and_b32 s54, s42, 0x7fffffff
	v_addc_co_u32_e32 v27, vcc, 0, v27, vcc
	v_cmp_gt_u64_e32 vcc, s[54:55], v[26:27]
	s_and_saveexec_b64 s[8:9], vcc
	s_cbranch_execz .LBB216_62
; %bb.59:                               ;   in Loop: Header=BB216_6 Depth=1
	v_lshl_add_u32 v48, s2, 3, v39
	s_lshl_b32 s4, s4, 1
	s_mov_b64 s[2:3], 0
.LBB216_60:                             ;   Parent Loop BB216_6 Depth=1
                                        ; =>  This Inner Loop Header: Depth=2
	ds_read_u16 v49, v48
	v_add_u32_e32 v48, s4, v48
	s_waitcnt lgkmcnt(0)
	v_cmp_lt_i16_e32 vcc, -1, v49
	v_cndmask_b32_e32 v50, v41, v42, vcc
	v_lshlrev_b32_e32 v51, 16, v49
	v_cmp_o_f32_e32 vcc, v51, v51
	v_xor_b32_sdwa v49, v50, v49 dst_sel:DWORD dst_unused:UNUSED_PAD src0_sel:DWORD src1_sel:WORD_0
	v_cndmask_b32_e32 v49, v41, v49, vcc
	v_and_b32_e32 v50, v49, v46
	v_bfe_u32 v49, v49, s62, 2
	v_cmp_eq_u32_e32 vcc, v50, v38
	v_cmp_eq_u32_e64 s[6:7], 0, v49
	s_and_b64 s[6:7], vcc, s[6:7]
	v_cndmask_b32_e64 v50, 0, 1, s[6:7]
	v_cmp_ne_u32_e64 s[6:7], 0, v50
	s_bcnt1_i32_b64 s5, s[6:7]
	v_add_co_u32_e64 v4, s[6:7], s5, v4
	v_addc_co_u32_e64 v5, s[6:7], 0, v5, s[6:7]
	v_cmp_eq_u32_e64 s[6:7], 1, v49
	s_and_b64 s[6:7], vcc, s[6:7]
	v_cndmask_b32_e64 v50, 0, 1, s[6:7]
	v_cmp_ne_u32_e64 s[6:7], 0, v50
	s_bcnt1_i32_b64 s5, s[6:7]
	v_add_co_u32_e64 v6, s[6:7], s5, v6
	v_addc_co_u32_e64 v7, s[6:7], 0, v7, s[6:7]
	;; [unrolled: 7-line block ×3, first 2 shown]
	v_cmp_eq_u32_e64 s[6:7], 3, v49
	s_and_b64 s[6:7], vcc, s[6:7]
	v_cndmask_b32_e64 v49, 0, 1, s[6:7]
	v_cmp_ne_u32_e32 vcc, 0, v49
	s_bcnt1_i32_b64 s5, vcc
	v_add_co_u32_e32 v10, vcc, s5, v10
	v_addc_co_u32_e32 v11, vcc, 0, v11, vcc
	v_add_co_u32_sdwa v26, vcc, v26, v2 dst_sel:DWORD dst_unused:UNUSED_PAD src0_sel:DWORD src1_sel:WORD_0
	v_addc_co_u32_e32 v27, vcc, 0, v27, vcc
	v_cmp_le_u64_e32 vcc, s[54:55], v[26:27]
	s_or_b64 s[2:3], vcc, s[2:3]
	s_andn2_b64 exec, exec, s[2:3]
	s_cbranch_execnz .LBB216_60
; %bb.61:                               ;   in Loop: Header=BB216_6 Depth=1
	s_or_b64 exec, exec, s[2:3]
.LBB216_62:                             ;   in Loop: Header=BB216_6 Depth=1
	s_or_b64 exec, exec, s[8:9]
	v_readlane_b32 s54, v52, 46
.LBB216_63:                             ;   in Loop: Header=BB216_6 Depth=1
	v_readlane_b32 s2, v52, 43
	s_lshl_b32 s4, s2, 6
	s_and_saveexec_b64 s[2:3], s[0:1]
	s_cbranch_execz .LBB216_65
; %bb.64:                               ;   in Loop: Header=BB216_6 Depth=1
	v_lshl_add_u32 v2, s4, 3, v36
	ds_write_b128 v2, v[4:7]
	ds_write_b128 v2, v[8:11] offset:16
.LBB216_65:                             ;   in Loop: Header=BB216_6 Depth=1
	s_or_b64 exec, exec, s[2:3]
	s_waitcnt lgkmcnt(0)
	s_barrier
	s_mov_b64 s[2:3], exec
	v_readlane_b32 s6, v52, 18
	v_readlane_b32 s7, v52, 19
	s_and_b64 s[6:7], s[2:3], s[6:7]
	s_mov_b64 exec, s[6:7]
	s_cbranch_execz .LBB216_77
; %bb.66:                               ;   in Loop: Header=BB216_6 Depth=1
	v_readlane_b32 s6, v52, 30
	v_mov_b32_e32 v4, 0
	v_readlane_b32 s7, v52, 31
	v_mov_b32_e32 v5, 0
	s_andn2_b64 vcc, exec, s[6:7]
	s_cbranch_vccnz .LBB216_76
; %bb.67:                               ;   in Loop: Header=BB216_6 Depth=1
	v_readlane_b32 s6, v52, 38
	v_readlane_b32 s7, v52, 39
	s_andn2_b64 vcc, exec, s[6:7]
	s_cbranch_vccnz .LBB216_72
; %bb.68:                               ;   in Loop: Header=BB216_6 Depth=1
	v_readlane_b32 s5, v52, 43
	v_mov_b32_e32 v4, 0
	v_lshl_add_u32 v2, s5, 9, v37
	v_mov_b32_e32 v5, 0
	s_mov_b32 s5, 0
.LBB216_69:                             ;   Parent Loop BB216_6 Depth=1
                                        ; =>  This Inner Loop Header: Depth=2
	ds_read2_b64 v[6:9], v2 offset1:4
	s_add_i32 s5, s5, 8
	s_cmp_eq_u32 s68, s5
	s_waitcnt lgkmcnt(0)
	v_add_co_u32_e32 v4, vcc, v6, v4
	v_addc_co_u32_e32 v5, vcc, v7, v5, vcc
	v_add_co_u32_e32 v8, vcc, v8, v4
	v_addc_co_u32_e32 v9, vcc, v9, v5, vcc
	ds_read2_b64 v[4:7], v2 offset0:8 offset1:12
	s_waitcnt lgkmcnt(0)
	v_add_co_u32_e32 v4, vcc, v4, v8
	v_addc_co_u32_e32 v5, vcc, v5, v9, vcc
	v_add_co_u32_e32 v8, vcc, v6, v4
	v_addc_co_u32_e32 v9, vcc, v7, v5, vcc
	ds_read2_b64 v[4:7], v2 offset0:16 offset1:20
	;; [unrolled: 6-line block ×3, first 2 shown]
	v_add_u32_e32 v2, 0x100, v2
	s_waitcnt lgkmcnt(0)
	v_add_co_u32_e32 v4, vcc, v4, v8
	v_addc_co_u32_e32 v5, vcc, v5, v9, vcc
	v_add_co_u32_e32 v4, vcc, v6, v4
	v_addc_co_u32_e32 v5, vcc, v7, v5, vcc
	s_cbranch_scc0 .LBB216_69
; %bb.70:                               ;   in Loop: Header=BB216_6 Depth=1
	s_mov_b32 s5, s68
	s_branch .LBB216_73
.LBB216_71:                             ;   in Loop: Header=BB216_6 Depth=1
                                        ; implicit-def: $sgpr2_sgpr3
	s_branch .LBB216_41
.LBB216_72:                             ;   in Loop: Header=BB216_6 Depth=1
	v_mov_b32_e32 v4, 0
	v_mov_b32_e32 v5, 0
	s_mov_b32 s5, 0
.LBB216_73:                             ;   in Loop: Header=BB216_6 Depth=1
	v_readlane_b32 s6, v52, 41
	v_readlane_b32 s7, v52, 42
	s_andn2_b64 vcc, exec, s[6:7]
	s_cbranch_vccnz .LBB216_76
; %bb.74:                               ;   in Loop: Header=BB216_6 Depth=1
	v_readlane_b32 s6, v52, 43
	s_lshl_b32 s6, s6, 9
	s_lshl_b32 s5, s5, 5
	s_add_i32 s6, s6, s5
	v_add_u32_e32 v2, s6, v37
	v_readlane_b32 s5, v52, 40
.LBB216_75:                             ;   Parent Loop BB216_6 Depth=1
                                        ; =>  This Inner Loop Header: Depth=2
	ds_read_b64 v[6:7], v2
	s_add_i32 s5, s5, -1
	v_add_u32_e32 v2, 32, v2
	s_cmp_lg_u32 s5, 0
	s_waitcnt lgkmcnt(0)
	v_add_co_u32_e32 v4, vcc, v6, v4
	v_addc_co_u32_e32 v5, vcc, v7, v5, vcc
	s_cbranch_scc1 .LBB216_75
.LBB216_76:                             ;   in Loop: Header=BB216_6 Depth=1
	v_add_lshl_u32 v2, s4, v31, 3
	ds_write_b64 v2, v[4:5] offset:3072
.LBB216_77:                             ;   in Loop: Header=BB216_6 Depth=1
	s_or_b64 exec, exec, s[2:3]
	s_lshl_b32 s2, s4, 3
	v_mov_b32_e32 v2, s2
	s_waitcnt lgkmcnt(0)
	s_barrier
	ds_read_b128 v[4:7], v2 offset:3072
	ds_read_b128 v[8:11], v2 offset:3088
	s_lshl_b32 s63, 3, s62
	v_cmp_eq_u64_e64 s[18:19], 1, v[24:25]
	s_not_b32 s60, s63
	s_waitcnt lgkmcnt(1)
	v_readfirstlane_b32 s23, v5
	v_readfirstlane_b32 s22, v4
	;; [unrolled: 1-line block ×4, first 2 shown]
	s_waitcnt lgkmcnt(0)
	v_readfirstlane_b32 s43, v9
	v_readfirstlane_b32 s42, v8
	;; [unrolled: 1-line block ×4, first 2 shown]
	s_mov_b64 s[12:13], -1
	s_mov_b64 s[24:25], 0
	s_andn2_b64 vcc, exec, s[52:53]
	s_mov_b64 s[48:49], 0
	s_mov_b64 s[46:47], 0
                                        ; implicit-def: $sgpr14_sgpr15
                                        ; implicit-def: $sgpr2_sgpr3
                                        ; implicit-def: $vgpr4_vgpr5
                                        ; implicit-def: $vgpr2
                                        ; implicit-def: $vgpr11
                                        ; implicit-def: $vgpr10
                                        ; implicit-def: $vgpr8
	s_cbranch_vccnz .LBB216_272
; %bb.78:                               ;   in Loop: Header=BB216_6 Depth=1
	s_cmp_eq_u64 s[22:23], 1
	s_cselect_b64 s[2:3], -1, 0
	s_and_b64 s[6:7], s[2:3], s[18:19]
	s_mov_b64 s[4:5], -1
	v_mov_b32_e32 v11, v38
	v_mov_b32_e32 v10, v46
	;; [unrolled: 1-line block ×3, first 2 shown]
                                        ; implicit-def: $sgpr2_sgpr3
                                        ; implicit-def: $sgpr14_sgpr15
	s_and_saveexec_b64 s[8:9], s[6:7]
	s_cbranch_execz .LBB216_113
; %bb.79:                               ;   in Loop: Header=BB216_6 Depth=1
	ds_read_b64 v[4:5], v3 offset:5120
	s_waitcnt lgkmcnt(0)
	s_barrier
	v_readfirstlane_b32 s12, v4
	v_readfirstlane_b32 s13, v5
	s_mov_b64 s[2:3], exec
	v_readlane_b32 s4, v52, 28
	v_readlane_b32 s5, v52, 29
	s_and_b64 s[4:5], s[2:3], s[4:5]
	s_mov_b64 exec, s[4:5]
; %bb.80:                               ;   in Loop: Header=BB216_6 Depth=1
	ds_write_b16 v40, v3
; %bb.81:                               ;   in Loop: Header=BB216_6 Depth=1
	s_or_b64 exec, exec, s[2:3]
	v_and_b32_e32 v11, s60, v38
	v_or_b32_e32 v10, s63, v46
	s_mov_b64 s[14:15], -1
	s_mov_b64 s[2:3], 0
	s_cmp_eq_u64 s[12:13], 0
	s_mov_b64 s[10:11], 0
	s_mov_b64 s[16:17], -1
	s_waitcnt lgkmcnt(0)
	s_barrier
                                        ; implicit-def: $vgpr8
	s_cbranch_scc1 .LBB216_98
; %bb.82:                               ;   in Loop: Header=BB216_6 Depth=1
	s_add_u32 s20, s12, s61
	v_readlane_b32 s4, v52, 33
	s_addc_u32 s11, s13, s4
	s_mov_b32 s10, s55
	s_cmp_lg_u64 s[10:11], 0
	s_cbranch_scc0 .LBB216_139
; %bb.83:                               ;   in Loop: Header=BB216_6 Depth=1
	v_cvt_f32_u32_e32 v2, s33
	s_sub_u32 s10, 0, s33
	s_subb_u32 s16, 0, 0
	v_mac_f32_e32 v2, 0, v43
	v_rcp_f32_e32 v2, v2
	v_mul_f32_e32 v2, 0x5f7ffffc, v2
	v_mul_f32_e32 v4, 0x2f800000, v2
	v_trunc_f32_e32 v4, v4
	v_mac_f32_e32 v2, 0xcf800000, v4
	v_cvt_u32_f32_e32 v4, v4
	v_cvt_u32_f32_e32 v2, v2
	v_readfirstlane_b32 s17, v4
	v_readfirstlane_b32 s4, v2
	s_mul_i32 s5, s10, s17
	s_mul_hi_u32 s36, s10, s4
	s_mul_i32 s21, s16, s4
	s_add_i32 s5, s36, s5
	s_mul_i32 s37, s10, s4
	s_add_i32 s5, s5, s21
	s_mul_hi_u32 s36, s4, s37
	s_mul_i32 s38, s4, s5
	s_mul_hi_u32 s21, s4, s5
	s_add_u32 s36, s36, s38
	s_addc_u32 s21, 0, s21
	s_mul_hi_u32 s39, s17, s37
	s_mul_i32 s37, s17, s37
	s_add_u32 s36, s36, s37
	s_mul_hi_u32 s38, s17, s5
	s_addc_u32 s21, s21, s39
	s_addc_u32 s36, s38, 0
	s_mul_i32 s5, s17, s5
	s_add_u32 s5, s21, s5
	s_addc_u32 s21, 0, s36
	s_add_u32 s36, s4, s5
	s_cselect_b64 s[4:5], -1, 0
	s_cmp_lg_u64 s[4:5], 0
	s_addc_u32 s17, s17, s21
	s_mul_i32 s4, s10, s17
	s_mul_hi_u32 s5, s10, s36
	s_add_i32 s4, s5, s4
	s_mul_i32 s16, s16, s36
	s_add_i32 s4, s4, s16
	s_mul_i32 s10, s10, s36
	s_mul_hi_u32 s16, s17, s10
	s_mul_i32 s21, s17, s10
	s_mul_i32 s38, s36, s4
	s_mul_hi_u32 s10, s36, s10
	s_mul_hi_u32 s37, s36, s4
	s_add_u32 s10, s10, s38
	s_addc_u32 s37, 0, s37
	s_add_u32 s10, s10, s21
	s_mul_hi_u32 s5, s17, s4
	s_addc_u32 s10, s37, s16
	s_addc_u32 s5, s5, 0
	s_mul_i32 s4, s17, s4
	s_add_u32 s4, s10, s4
	s_addc_u32 s10, 0, s5
	s_add_u32 s16, s36, s4
	s_cselect_b64 s[4:5], -1, 0
	s_cmp_lg_u64 s[4:5], 0
	s_addc_u32 s4, s17, s10
	s_mul_i32 s10, s20, s4
	s_mul_hi_u32 s17, s20, s16
	s_mul_hi_u32 s5, s20, s4
	s_add_u32 s10, s17, s10
	s_addc_u32 s5, 0, s5
	s_mul_hi_u32 s21, s11, s16
	s_mul_i32 s16, s11, s16
	s_add_u32 s10, s10, s16
	s_mul_hi_u32 s17, s11, s4
	s_addc_u32 s5, s5, s21
	s_addc_u32 s10, s17, 0
	s_mul_i32 s4, s11, s4
	s_add_u32 s4, s5, s4
	s_addc_u32 s5, 0, s10
	s_mul_i32 s5, s33, s5
	s_mul_hi_u32 s10, s33, s4
	s_add_i32 s10, s10, s5
	s_mul_i32 s4, s33, s4
	s_sub_u32 s16, s20, s4
	s_cselect_b64 s[4:5], -1, 0
	s_cmp_lg_u64 s[4:5], 0
	s_subb_u32 s10, s11, s10
	s_sub_u32 s17, s16, s33
	s_cselect_b64 s[4:5], -1, 0
	s_cmp_lg_u64 s[4:5], 0
	s_subb_u32 s21, s10, 0
	;; [unrolled: 4-line block ×3, first 2 shown]
	s_cmp_ge_u32 s17, s33
	s_cselect_b32 s5, -1, 0
	s_cmp_eq_u32 s21, 0
	s_cselect_b32 s5, s5, -1
	s_cmp_lg_u32 s5, 0
	s_cselect_b32 s4, s4, s21
	s_cselect_b32 s17, s36, s17
	s_cmp_ge_u32 s16, s33
	s_cselect_b32 s5, -1, 0
	s_cmp_eq_u32 s10, 0
	s_cselect_b32 s5, s5, -1
	s_cmp_lg_u32 s5, 0
	s_cselect_b32 s5, s4, s10
	s_cselect_b32 s4, s17, s16
	s_cbranch_execnz .LBB216_85
.LBB216_84:                             ;   in Loop: Header=BB216_6 Depth=1
	v_cvt_f32_u32_e32 v2, s33
	s_sub_i32 s4, 0, s33
	v_rcp_iflag_f32_e32 v2, v2
	v_mul_f32_e32 v2, 0x4f7ffffe, v2
	v_cvt_u32_f32_e32 v2, v2
	v_readfirstlane_b32 s5, v2
	s_mul_i32 s4, s4, s5
	s_mul_hi_u32 s4, s5, s4
	s_add_i32 s5, s5, s4
	s_mul_hi_u32 s4, s20, s5
	s_mul_i32 s4, s4, s33
	s_sub_i32 s4, s20, s4
	s_sub_i32 s5, s4, s33
	s_cmp_ge_u32 s4, s33
	s_cselect_b32 s4, s5, s4
	s_sub_i32 s5, s4, s33
	s_cmp_ge_u32 s4, s33
	s_cselect_b32 s54, s5, s4
	s_mov_b64 s[4:5], s[54:55]
	v_readlane_b32 s54, v52, 46
.LBB216_85:                             ;   in Loop: Header=BB216_6 Depth=1
	s_sub_u32 s20, s20, s4
	s_subb_u32 s21, s11, s5
	v_cmp_gt_u64_e32 vcc, s[20:21], v[0:1]
	s_mov_b64 s[16:17], 0
	s_mov_b64 s[10:11], 0
                                        ; implicit-def: $vgpr8
	s_and_saveexec_b64 s[4:5], vcc
	s_cbranch_execz .LBB216_97
; %bb.86:                               ;   in Loop: Header=BB216_6 Depth=1
	v_mov_b32_e32 v5, v1
	v_mov_b32_e32 v2, v39
	;; [unrolled: 1-line block ×3, first 2 shown]
                                        ; implicit-def: $sgpr36_sgpr37
	s_branch .LBB216_89
.LBB216_87:                             ;   in Loop: Header=BB216_89 Depth=2
	s_or_b64 exec, exec, s[38:39]
	s_waitcnt lgkmcnt(0)
	s_barrier
	ds_read_b32 v6, v3 offset:3072
	s_mov_b64 s[38:39], -1
	s_mov_b64 s[40:41], -1
	s_waitcnt lgkmcnt(0)
	s_barrier
	v_and_b32_e32 v7, 0x7fff, v6
	v_cmp_ne_u32_e32 vcc, 0, v7
	s_cbranch_vccz .LBB216_92
.LBB216_88:                             ;   in Loop: Header=BB216_89 Depth=2
	s_and_b64 s[38:39], exec, s[38:39]
	s_or_b64 s[10:11], s[38:39], s[10:11]
	s_andn2_b64 s[36:37], s[36:37], exec
	s_and_b64 s[38:39], s[40:41], exec
	s_or_b64 s[36:37], s[36:37], s[38:39]
	s_andn2_b64 exec, exec, s[10:11]
	s_cbranch_execz .LBB216_96
.LBB216_89:                             ;   Parent Loop BB216_6 Depth=1
                                        ; =>  This Inner Loop Header: Depth=2
	v_cmp_gt_u64_e32 vcc, s[12:13], v[4:5]
	s_and_saveexec_b64 s[38:39], vcc
	s_cbranch_execz .LBB216_87
; %bb.90:                               ;   in Loop: Header=BB216_89 Depth=2
	ds_read_u16 v6, v2
	s_waitcnt lgkmcnt(0)
	v_cmp_lt_i16_e32 vcc, -1, v6
	v_cndmask_b32_e32 v7, v41, v42, vcc
	v_lshlrev_b32_e32 v8, 16, v6
	v_cmp_o_f32_e32 vcc, v8, v8
	v_xor_b32_sdwa v7, v7, v6 dst_sel:DWORD dst_unused:UNUSED_PAD src0_sel:DWORD src1_sel:WORD_0
	v_cndmask_b32_e32 v7, v41, v7, vcc
	v_and_b32_e32 v7, v7, v10
	v_cmp_eq_u32_e32 vcc, v7, v11
	s_and_b64 exec, exec, vcc
	s_cbranch_execz .LBB216_87
; %bb.91:                               ;   in Loop: Header=BB216_89 Depth=2
	s_movk_i32 s40, 0x3f80
	v_perm_b32 v6, v6, s40, v45
	ds_write_b32 v3, v6 offset:3072
	s_branch .LBB216_87
.LBB216_92:                             ;   in Loop: Header=BB216_89 Depth=2
	v_add_co_u32_e32 v4, vcc, s33, v4
	v_addc_co_u32_e32 v5, vcc, 0, v5, vcc
	v_cmp_le_u64_e32 vcc, s[20:21], v[4:5]
	v_add_u32_e32 v2, s69, v2
	s_mov_b64 s[40:41], 0
	s_orn2_b64 s[38:39], vcc, exec
	s_branch .LBB216_88
.LBB216_93:                             ;   in Loop: Header=BB216_6 Depth=1
	s_or_b64 exec, exec, s[8:9]
	s_waitcnt lgkmcnt(0)
	s_barrier
	s_mov_b64 s[4:5], exec
	v_readlane_b32 s6, v52, 8
	v_readlane_b32 s7, v52, 9
	s_and_b64 s[6:7], s[4:5], s[6:7]
	s_mov_b64 exec, s[6:7]
	s_cbranch_execz .LBB216_95
; %bb.94:                               ;   in Loop: Header=BB216_6 Depth=1
	ds_read_b32 v4, v3 offset:5144
	s_waitcnt lgkmcnt(0)
	v_ashrrev_i32_e32 v5, 31, v4
	ds_write_b64 v3, v[4:5] offset:5120
.LBB216_95:                             ;   in Loop: Header=BB216_6 Depth=1
	s_or_b64 exec, exec, s[4:5]
	s_waitcnt lgkmcnt(0)
	s_barrier
	s_mov_b64 s[4:5], -1
	s_and_b64 vcc, exec, s[2:3]
	s_cbranch_vccnz .LBB216_21
	s_branch .LBB216_36
.LBB216_96:                             ;   in Loop: Header=BB216_6 Depth=1
	s_or_b64 exec, exec, s[10:11]
	v_lshrrev_b32_e32 v8, 16, v6
	s_and_b64 s[10:11], s[36:37], exec
.LBB216_97:                             ;   in Loop: Header=BB216_6 Depth=1
	s_or_b64 exec, exec, s[4:5]
.LBB216_98:                             ;   in Loop: Header=BB216_6 Depth=1
	s_and_b64 vcc, exec, s[16:17]
	s_cbranch_vccz .LBB216_112
; %bb.99:                               ;   in Loop: Header=BB216_6 Depth=1
	v_readlane_b32 s20, v52, 34
	v_readlane_b32 s21, v52, 35
	s_mov_b32 s20, s55
	s_cmp_lg_u64 s[20:21], 0
	v_writelane_b32 v52, s20, 34
	v_writelane_b32 v52, s21, 35
	s_cbranch_scc0 .LBB216_140
; %bb.100:                              ;   in Loop: Header=BB216_6 Depth=1
	v_cvt_f32_u32_e32 v2, s33
	s_sub_u32 s4, 0, s33
	s_subb_u32 s5, 0, 0
	v_mac_f32_e32 v2, 0, v43
	v_rcp_f32_e32 v2, v2
	v_mul_f32_e32 v2, 0x5f7ffffc, v2
	v_mul_f32_e32 v4, 0x2f800000, v2
	v_trunc_f32_e32 v4, v4
	v_mac_f32_e32 v2, 0xcf800000, v4
	v_cvt_u32_f32_e32 v4, v4
	v_cvt_u32_f32_e32 v2, v2
	v_readfirstlane_b32 s12, v4
	v_readfirstlane_b32 s2, v2
	s_mul_i32 s3, s4, s12
	s_mul_hi_u32 s14, s4, s2
	s_mul_i32 s13, s5, s2
	s_add_i32 s3, s14, s3
	s_mul_i32 s15, s4, s2
	s_add_i32 s3, s3, s13
	s_mul_hi_u32 s14, s2, s15
	s_mul_i32 s16, s2, s3
	s_mul_hi_u32 s13, s2, s3
	s_add_u32 s14, s14, s16
	s_addc_u32 s13, 0, s13
	s_mul_hi_u32 s17, s12, s15
	s_mul_i32 s15, s12, s15
	s_add_u32 s14, s14, s15
	s_mul_hi_u32 s16, s12, s3
	s_addc_u32 s13, s13, s17
	s_addc_u32 s14, s16, 0
	s_mul_i32 s3, s12, s3
	s_add_u32 s3, s13, s3
	s_addc_u32 s13, 0, s14
	s_add_u32 s14, s2, s3
	s_cselect_b64 s[2:3], -1, 0
	s_cmp_lg_u64 s[2:3], 0
	s_addc_u32 s12, s12, s13
	s_mul_i32 s2, s4, s12
	s_mul_hi_u32 s3, s4, s14
	s_add_i32 s2, s3, s2
	s_mul_i32 s5, s5, s14
	s_add_i32 s2, s2, s5
	s_mul_i32 s4, s4, s14
	s_mul_hi_u32 s5, s12, s4
	s_mul_i32 s13, s12, s4
	s_mul_i32 s16, s14, s2
	s_mul_hi_u32 s4, s14, s4
	s_mul_hi_u32 s15, s14, s2
	s_add_u32 s4, s4, s16
	s_addc_u32 s15, 0, s15
	s_add_u32 s4, s4, s13
	s_mul_hi_u32 s3, s12, s2
	s_addc_u32 s4, s15, s5
	s_addc_u32 s3, s3, 0
	s_mul_i32 s2, s12, s2
	s_add_u32 s2, s4, s2
	s_addc_u32 s4, 0, s3
	s_add_u32 s5, s14, s2
	s_cselect_b64 s[2:3], -1, 0
	s_cmp_lg_u64 s[2:3], 0
	s_addc_u32 s2, s12, s4
	v_readlane_b32 s14, v52, 32
	s_mul_i32 s4, s14, s2
	s_mul_hi_u32 s12, s14, s5
	s_mul_hi_u32 s3, s14, s2
	s_add_u32 s4, s12, s4
	s_addc_u32 s3, 0, s3
	s_mul_hi_u32 s13, s21, s5
	s_mul_i32 s5, s21, s5
	s_add_u32 s4, s4, s5
	s_mul_hi_u32 s12, s21, s2
	s_addc_u32 s3, s3, s13
	s_addc_u32 s4, s12, 0
	s_mul_i32 s2, s21, s2
	s_add_u32 s2, s3, s2
	s_addc_u32 s3, 0, s4
	s_mul_i32 s3, s33, s3
	s_mul_hi_u32 s4, s33, s2
	s_add_i32 s4, s4, s3
	s_mul_i32 s2, s33, s2
	s_sub_u32 s5, s14, s2
	s_cselect_b64 s[2:3], -1, 0
	s_cmp_lg_u64 s[2:3], 0
	s_subb_u32 s4, s21, s4
	s_sub_u32 s12, s5, s33
	s_cselect_b64 s[2:3], -1, 0
	s_cmp_lg_u64 s[2:3], 0
	s_subb_u32 s13, s4, 0
	;; [unrolled: 4-line block ×3, first 2 shown]
	s_cmp_ge_u32 s12, s33
	s_cselect_b32 s3, -1, 0
	s_cmp_eq_u32 s13, 0
	s_cselect_b32 s3, s3, -1
	s_cmp_lg_u32 s3, 0
	s_cselect_b32 s2, s2, s13
	s_cselect_b32 s12, s14, s12
	s_cmp_ge_u32 s5, s33
	s_cselect_b32 s3, -1, 0
	s_cmp_eq_u32 s4, 0
	s_cselect_b32 s3, s3, -1
	s_cmp_lg_u32 s3, 0
	s_cselect_b32 s3, s2, s4
	s_cselect_b32 s2, s12, s5
	s_cbranch_execnz .LBB216_102
.LBB216_101:                            ;   in Loop: Header=BB216_6 Depth=1
	v_cvt_f32_u32_e32 v2, s33
	s_sub_i32 s2, 0, s33
	v_readlane_b32 s4, v52, 32
	v_rcp_iflag_f32_e32 v2, v2
	v_mul_f32_e32 v2, 0x4f7ffffe, v2
	v_cvt_u32_f32_e32 v2, v2
	v_readfirstlane_b32 s3, v2
	s_mul_i32 s2, s2, s3
	s_mul_hi_u32 s2, s3, s2
	s_add_i32 s3, s3, s2
	s_mul_hi_u32 s2, s4, s3
	s_mul_i32 s2, s2, s33
	s_sub_i32 s2, s4, s2
	s_sub_i32 s3, s2, s33
	s_cmp_ge_u32 s2, s33
	s_cselect_b32 s2, s3, s2
	s_sub_i32 s3, s2, s33
	s_cmp_ge_u32 s2, s33
	s_cselect_b32 s54, s3, s2
	s_mov_b64 s[2:3], s[54:55]
	v_readlane_b32 s54, v52, 46
.LBB216_102:                            ;   in Loop: Header=BB216_6 Depth=1
	v_readlane_b32 s4, v52, 32
	s_sub_u32 s12, s4, s2
	v_readlane_b32 s4, v52, 34
	v_readlane_b32 s5, v52, 35
	s_subb_u32 s13, s5, s3
	v_cmp_gt_u64_e32 vcc, s[12:13], v[0:1]
                                        ; implicit-def: $vgpr8
	s_and_saveexec_b64 s[2:3], vcc
	s_cbranch_execz .LBB216_111
; %bb.103:                              ;   in Loop: Header=BB216_6 Depth=1
	v_mov_b32_e32 v4, v12
	v_mov_b32_e32 v7, v1
	s_mov_b64 s[4:5], 0
	v_mov_b32_e32 v5, v13
	v_mov_b32_e32 v6, v0
                                        ; implicit-def: $sgpr14_sgpr15
	s_branch .LBB216_106
.LBB216_104:                            ;   in Loop: Header=BB216_106 Depth=2
	s_or_b64 exec, exec, s[16:17]
	s_waitcnt lgkmcnt(0)
	s_barrier
	ds_read_b32 v2, v3 offset:3072
	s_mov_b64 s[16:17], -1
	s_mov_b64 s[20:21], -1
	s_waitcnt lgkmcnt(0)
	s_barrier
	v_and_b32_e32 v8, 0x7fff, v2
	v_cmp_ne_u32_e32 vcc, 0, v8
	s_cbranch_vccz .LBB216_109
.LBB216_105:                            ;   in Loop: Header=BB216_106 Depth=2
	s_and_b64 s[16:17], exec, s[16:17]
	s_or_b64 s[4:5], s[16:17], s[4:5]
	s_andn2_b64 s[14:15], s[14:15], exec
	s_and_b64 s[16:17], s[20:21], exec
	s_or_b64 s[14:15], s[14:15], s[16:17]
	s_andn2_b64 exec, exec, s[4:5]
	s_cbranch_execz .LBB216_110
.LBB216_106:                            ;   Parent Loop BB216_6 Depth=1
                                        ; =>  This Inner Loop Header: Depth=2
	v_cmp_gt_u64_e32 vcc, s[28:29], v[6:7]
	s_and_saveexec_b64 s[16:17], vcc
	s_cbranch_execz .LBB216_104
; %bb.107:                              ;   in Loop: Header=BB216_106 Depth=2
	global_load_ushort v2, v[4:5], off
	s_waitcnt vmcnt(0)
	v_cmp_lt_i16_e32 vcc, -1, v2
	v_cndmask_b32_e32 v8, v41, v42, vcc
	v_lshlrev_b32_e32 v9, 16, v2
	v_cmp_o_f32_e32 vcc, v9, v9
	v_xor_b32_sdwa v8, v8, v2 dst_sel:DWORD dst_unused:UNUSED_PAD src0_sel:DWORD src1_sel:WORD_0
	v_cndmask_b32_e32 v8, v41, v8, vcc
	v_and_b32_e32 v8, v8, v10
	v_cmp_eq_u32_e32 vcc, v8, v11
	s_and_b64 exec, exec, vcc
	s_cbranch_execz .LBB216_104
; %bb.108:                              ;   in Loop: Header=BB216_106 Depth=2
	s_movk_i32 s20, 0x3f80
	v_perm_b32 v2, v2, s20, v45
	ds_write_b32 v3, v2 offset:3072
	s_branch .LBB216_104
.LBB216_109:                            ;   in Loop: Header=BB216_106 Depth=2
	v_add_co_u32_e32 v6, vcc, s33, v6
	v_addc_co_u32_e32 v7, vcc, 0, v7, vcc
	v_mov_b32_e32 v8, s35
	v_add_co_u32_e32 v4, vcc, s34, v4
	v_addc_co_u32_e32 v5, vcc, v5, v8, vcc
	v_cmp_le_u64_e32 vcc, s[12:13], v[6:7]
	s_mov_b64 s[20:21], 0
	s_orn2_b64 s[16:17], vcc, exec
	s_branch .LBB216_105
.LBB216_110:                            ;   in Loop: Header=BB216_6 Depth=1
	s_or_b64 exec, exec, s[4:5]
	s_andn2_b64 s[4:5], s[10:11], exec
	s_and_b64 s[10:11], s[14:15], exec
	v_lshrrev_b32_e32 v8, 16, v2
	s_or_b64 s[10:11], s[4:5], s[10:11]
.LBB216_111:                            ;   in Loop: Header=BB216_6 Depth=1
	s_or_b64 exec, exec, s[2:3]
	s_mov_b64 s[14:15], 0
	s_mov_b64 s[2:3], -1
.LBB216_112:                            ;   in Loop: Header=BB216_6 Depth=1
	s_orn2_b64 s[4:5], s[10:11], exec
.LBB216_113:                            ;   in Loop: Header=BB216_6 Depth=1
	s_or_b64 exec, exec, s[8:9]
	s_mov_b64 s[12:13], 0
	s_mov_b64 s[48:49], 0
	;; [unrolled: 1-line block ×3, first 2 shown]
                                        ; implicit-def: $vgpr4_vgpr5
                                        ; implicit-def: $vgpr2
	s_and_saveexec_b64 s[36:37], s[4:5]
	s_cbranch_execz .LBB216_271
; %bb.114:                              ;   in Loop: Header=BB216_6 Depth=1
	v_mov_b32_e32 v4, 1
	s_xor_b64 s[4:5], s[6:7], -1
	v_mov_b32_e32 v2, 1
	v_mov_b32_e32 v5, 0
	s_mov_b64 s[8:9], 0
	s_and_saveexec_b64 s[6:7], s[4:5]
	s_cbranch_execz .LBB216_123
; %bb.115:                              ;   in Loop: Header=BB216_6 Depth=1
	v_cmp_ge_u64_e32 vcc, s[22:23], v[24:25]
	s_and_saveexec_b64 s[4:5], vcc
	s_xor_b64 s[4:5], exec, s[4:5]
	s_cbranch_execz .LBB216_120
; %bb.116:                              ;   in Loop: Header=BB216_6 Depth=1
	ds_read_b64 v[4:5], v3 offset:5120
	v_and_b32_e32 v11, s60, v11
	v_or_b32_e32 v10, s63, v10
	s_waitcnt lgkmcnt(0)
	v_cmp_ne_u64_e32 vcc, 0, v[4:5]
	s_cbranch_vccnz .LBB216_120
; %bb.117:                              ;   in Loop: Header=BB216_6 Depth=1
	s_mov_b64 s[8:9], exec
	v_readlane_b32 s10, v52, 8
	v_readlane_b32 s11, v52, 9
	s_and_b64 s[10:11], s[8:9], s[10:11]
	s_mov_b64 exec, s[10:11]
; %bb.118:                              ;   in Loop: Header=BB216_6 Depth=1
	v_mov_b32_e32 v4, s22
	v_mov_b32_e32 v5, s23
	ds_write_b64 v3, v[4:5] offset:5128
; %bb.119:                              ;   in Loop: Header=BB216_6 Depth=1
	s_or_b64 exec, exec, s[8:9]
	s_waitcnt lgkmcnt(0)
	s_barrier
.LBB216_120:                            ;   in Loop: Header=BB216_6 Depth=1
	s_or_saveexec_b64 s[4:5], s[4:5]
	v_mov_b32_e32 v4, v24
	s_mov_b64 s[8:9], 0
	v_mov_b32_e32 v2, 8
	v_mov_b32_e32 v5, v25
	s_xor_b64 exec, exec, s[4:5]
; %bb.121:                              ;   in Loop: Header=BB216_6 Depth=1
	v_subrev_co_u32_e32 v4, vcc, s22, v24
	v_mov_b32_e32 v2, s23
	v_subb_co_u32_e32 v5, vcc, v25, v2, vcc
	v_mov_b32_e32 v2, 0
	s_mov_b64 s[8:9], exec
; %bb.122:                              ;   in Loop: Header=BB216_6 Depth=1
	s_or_b64 exec, exec, s[4:5]
	s_and_b64 s[8:9], s[8:9], exec
.LBB216_123:                            ;   in Loop: Header=BB216_6 Depth=1
	s_or_b64 exec, exec, s[6:7]
	s_mov_b64 s[4:5], -1
                                        ; implicit-def: $sgpr46_sgpr47
                                        ; implicit-def: $sgpr48_sgpr49
	s_and_saveexec_b64 s[6:7], s[8:9]
	s_xor_b64 s[6:7], exec, s[6:7]
	s_cbranch_execz .LBB216_268
; %bb.124:                              ;   in Loop: Header=BB216_6 Depth=1
	s_cmp_eq_u64 s[94:95], 1
	v_cmp_eq_u64_e32 vcc, 1, v[4:5]
	s_cselect_b64 s[4:5], -1, 0
	s_and_b64 s[8:9], s[4:5], vcc
	s_mov_b64 s[4:5], -1
                                        ; implicit-def: $sgpr48_sgpr49
                                        ; implicit-def: $sgpr46_sgpr47
	s_and_saveexec_b64 s[20:21], s[8:9]
	s_cbranch_execz .LBB216_158
; %bb.125:                              ;   in Loop: Header=BB216_6 Depth=1
	ds_read_b64 v[6:7], v3 offset:5120
	s_waitcnt lgkmcnt(0)
	s_barrier
	v_readfirstlane_b32 s38, v6
	v_readfirstlane_b32 s39, v7
	s_mov_b64 s[4:5], exec
	v_readlane_b32 s10, v52, 28
	v_readlane_b32 s11, v52, 29
	s_and_b64 s[10:11], s[4:5], s[10:11]
	s_mov_b64 exec, s[10:11]
; %bb.126:                              ;   in Loop: Header=BB216_6 Depth=1
	ds_write_b16 v40, v3
; %bb.127:                              ;   in Loop: Header=BB216_6 Depth=1
	s_or_b64 exec, exec, s[4:5]
	v_and_b32_e32 v6, s60, v11
	v_lshl_or_b32 v11, 1, s62, v6
	v_or_b32_e32 v10, s63, v10
	s_mov_b64 s[46:47], -1
	s_mov_b64 s[48:49], 0
	s_cmp_eq_u64 s[38:39], 0
	s_mov_b64 s[10:11], 0
	s_mov_b64 s[40:41], -1
	s_waitcnt lgkmcnt(0)
	s_barrier
                                        ; implicit-def: $vgpr8
	s_cbranch_scc1 .LBB216_143
; %bb.128:                              ;   in Loop: Header=BB216_6 Depth=1
	s_add_u32 s40, s38, s61
	v_readlane_b32 s4, v52, 33
	s_addc_u32 s11, s39, s4
	s_mov_b32 s10, s55
	s_cmp_lg_u64 s[10:11], 0
	s_cbranch_scc0 .LBB216_184
; %bb.129:                              ;   in Loop: Header=BB216_6 Depth=1
	v_cvt_f32_u32_e32 v6, s33
	s_sub_u32 s10, 0, s33
	s_subb_u32 s16, 0, 0
	v_mac_f32_e32 v6, 0, v43
	v_rcp_f32_e32 v6, v6
	v_mul_f32_e32 v6, 0x5f7ffffc, v6
	v_mul_f32_e32 v7, 0x2f800000, v6
	v_trunc_f32_e32 v7, v7
	v_mac_f32_e32 v6, 0xcf800000, v7
	v_cvt_u32_f32_e32 v7, v7
	v_cvt_u32_f32_e32 v6, v6
	v_readfirstlane_b32 s17, v7
	v_readfirstlane_b32 s4, v6
	s_mul_i32 s5, s10, s17
	s_mul_hi_u32 s52, s10, s4
	s_mul_i32 s41, s16, s4
	s_add_i32 s5, s52, s5
	s_mul_i32 s53, s10, s4
	s_add_i32 s5, s5, s41
	s_mul_hi_u32 s52, s4, s53
	s_mul_i32 s54, s4, s5
	s_mul_hi_u32 s41, s4, s5
	s_add_u32 s52, s52, s54
	s_addc_u32 s41, 0, s41
	s_mul_hi_u32 s56, s17, s53
	s_mul_i32 s53, s17, s53
	s_add_u32 s52, s52, s53
	s_mul_hi_u32 s54, s17, s5
	s_addc_u32 s41, s41, s56
	s_addc_u32 s52, s54, 0
	s_mul_i32 s5, s17, s5
	s_add_u32 s5, s41, s5
	s_addc_u32 s41, 0, s52
	s_add_u32 s52, s4, s5
	s_cselect_b64 s[4:5], -1, 0
	s_cmp_lg_u64 s[4:5], 0
	s_addc_u32 s17, s17, s41
	s_mul_i32 s4, s10, s17
	s_mul_hi_u32 s5, s10, s52
	s_add_i32 s4, s5, s4
	s_mul_i32 s16, s16, s52
	s_add_i32 s4, s4, s16
	s_mul_i32 s10, s10, s52
	s_mul_hi_u32 s16, s17, s10
	s_mul_i32 s41, s17, s10
	s_mul_i32 s54, s52, s4
	s_mul_hi_u32 s10, s52, s10
	s_mul_hi_u32 s53, s52, s4
	s_add_u32 s10, s10, s54
	s_addc_u32 s53, 0, s53
	s_add_u32 s10, s10, s41
	s_mul_hi_u32 s5, s17, s4
	s_addc_u32 s10, s53, s16
	s_addc_u32 s5, s5, 0
	s_mul_i32 s4, s17, s4
	s_add_u32 s4, s10, s4
	s_addc_u32 s10, 0, s5
	s_add_u32 s16, s52, s4
	s_cselect_b64 s[4:5], -1, 0
	s_cmp_lg_u64 s[4:5], 0
	s_addc_u32 s4, s17, s10
	s_mul_i32 s10, s40, s4
	s_mul_hi_u32 s17, s40, s16
	s_mul_hi_u32 s5, s40, s4
	s_add_u32 s10, s17, s10
	s_addc_u32 s5, 0, s5
	s_mul_hi_u32 s41, s11, s16
	s_mul_i32 s16, s11, s16
	s_add_u32 s10, s10, s16
	s_mul_hi_u32 s17, s11, s4
	s_addc_u32 s5, s5, s41
	s_addc_u32 s10, s17, 0
	s_mul_i32 s4, s11, s4
	s_add_u32 s4, s5, s4
	s_addc_u32 s5, 0, s10
	s_mul_i32 s5, s33, s5
	s_mul_hi_u32 s10, s33, s4
	s_add_i32 s10, s10, s5
	s_mul_i32 s4, s33, s4
	s_sub_u32 s16, s40, s4
	s_cselect_b64 s[4:5], -1, 0
	s_cmp_lg_u64 s[4:5], 0
	s_subb_u32 s10, s11, s10
	s_sub_u32 s17, s16, s33
	s_cselect_b64 s[4:5], -1, 0
	s_cmp_lg_u64 s[4:5], 0
	s_subb_u32 s41, s10, 0
	;; [unrolled: 4-line block ×3, first 2 shown]
	s_cmp_ge_u32 s17, s33
	s_cselect_b32 s5, -1, 0
	s_cmp_eq_u32 s41, 0
	s_cselect_b32 s5, s5, -1
	s_cmp_lg_u32 s5, 0
	s_cselect_b32 s4, s4, s41
	s_cselect_b32 s17, s52, s17
	s_cmp_ge_u32 s16, s33
	s_cselect_b32 s5, -1, 0
	s_cmp_eq_u32 s10, 0
	s_cselect_b32 s5, s5, -1
	s_cmp_lg_u32 s5, 0
	s_cselect_b32 s5, s4, s10
	s_cselect_b32 s4, s17, s16
	s_cbranch_execnz .LBB216_131
.LBB216_130:                            ;   in Loop: Header=BB216_6 Depth=1
	v_cvt_f32_u32_e32 v6, s33
	s_sub_i32 s4, 0, s33
	v_rcp_iflag_f32_e32 v6, v6
	v_mul_f32_e32 v6, 0x4f7ffffe, v6
	v_cvt_u32_f32_e32 v6, v6
	v_readfirstlane_b32 s5, v6
	s_mul_i32 s4, s4, s5
	s_mul_hi_u32 s4, s5, s4
	s_add_i32 s5, s5, s4
	s_mul_hi_u32 s4, s40, s5
	s_mul_i32 s4, s4, s33
	s_sub_i32 s4, s40, s4
	s_sub_i32 s5, s4, s33
	s_cmp_ge_u32 s4, s33
	s_cselect_b32 s4, s5, s4
	s_sub_i32 s5, s4, s33
	s_cmp_ge_u32 s4, s33
	s_cselect_b32 s54, s5, s4
	s_mov_b64 s[4:5], s[54:55]
.LBB216_131:                            ;   in Loop: Header=BB216_6 Depth=1
	s_sub_u32 s4, s40, s4
	s_subb_u32 s5, s11, s5
	v_cmp_gt_u64_e32 vcc, s[4:5], v[0:1]
	s_mov_b64 s[40:41], 0
	s_mov_b64 s[10:11], 0
                                        ; implicit-def: $vgpr8
	s_and_saveexec_b64 s[16:17], vcc
	v_readlane_b32 s54, v52, 46
	s_cbranch_execz .LBB216_142
; %bb.132:                              ;   in Loop: Header=BB216_6 Depth=1
	v_mov_b32_e32 v7, v1
	v_mov_b32_e32 v8, v39
	;; [unrolled: 1-line block ×3, first 2 shown]
                                        ; implicit-def: $sgpr58_sgpr59
	s_branch .LBB216_135
.LBB216_133:                            ;   in Loop: Header=BB216_135 Depth=2
	s_or_b64 exec, exec, s[64:65]
	s_waitcnt lgkmcnt(0)
	s_barrier
	ds_read_b32 v9, v3 offset:3072
	s_mov_b64 s[52:53], -1
	s_mov_b64 s[64:65], -1
	s_waitcnt lgkmcnt(0)
	s_barrier
	v_and_b32_e32 v26, 0x7fff, v9
	v_cmp_ne_u32_e32 vcc, 0, v26
	s_cbranch_vccz .LBB216_138
.LBB216_134:                            ;   in Loop: Header=BB216_135 Depth=2
	s_and_b64 s[52:53], exec, s[52:53]
	s_or_b64 s[10:11], s[52:53], s[10:11]
	s_andn2_b64 s[52:53], s[58:59], exec
	s_and_b64 s[56:57], s[64:65], exec
	s_or_b64 s[58:59], s[52:53], s[56:57]
	s_andn2_b64 exec, exec, s[10:11]
	s_cbranch_execz .LBB216_141
.LBB216_135:                            ;   Parent Loop BB216_6 Depth=1
                                        ; =>  This Inner Loop Header: Depth=2
	v_cmp_gt_u64_e32 vcc, s[38:39], v[6:7]
	s_and_saveexec_b64 s[64:65], vcc
	s_cbranch_execz .LBB216_133
; %bb.136:                              ;   in Loop: Header=BB216_135 Depth=2
	ds_read_u16 v9, v8
	s_waitcnt lgkmcnt(0)
	v_cmp_lt_i16_e32 vcc, -1, v9
	v_cndmask_b32_e32 v26, v41, v42, vcc
	v_lshlrev_b32_e32 v27, 16, v9
	v_cmp_o_f32_e32 vcc, v27, v27
	v_xor_b32_sdwa v26, v26, v9 dst_sel:DWORD dst_unused:UNUSED_PAD src0_sel:DWORD src1_sel:WORD_0
	v_cndmask_b32_e32 v26, v41, v26, vcc
	v_and_b32_e32 v26, v26, v10
	v_cmp_eq_u32_e32 vcc, v26, v11
	s_and_b64 exec, exec, vcc
	s_cbranch_execz .LBB216_133
; %bb.137:                              ;   in Loop: Header=BB216_135 Depth=2
	s_movk_i32 s52, 0x3f80
	v_perm_b32 v9, v9, s52, v45
	ds_write_b32 v3, v9 offset:3072
	s_branch .LBB216_133
.LBB216_138:                            ;   in Loop: Header=BB216_135 Depth=2
	v_add_co_u32_e32 v6, vcc, s33, v6
	v_addc_co_u32_e32 v7, vcc, 0, v7, vcc
	v_cmp_le_u64_e32 vcc, s[4:5], v[6:7]
	v_add_u32_e32 v8, s69, v8
	s_mov_b64 s[64:65], 0
	s_orn2_b64 s[52:53], vcc, exec
	s_branch .LBB216_134
.LBB216_139:                            ;   in Loop: Header=BB216_6 Depth=1
                                        ; implicit-def: $sgpr4_sgpr5
	s_andn2_b64 vcc, exec, s[16:17]
	s_cbranch_vccz .LBB216_84
	s_branch .LBB216_85
.LBB216_140:                            ;   in Loop: Header=BB216_6 Depth=1
                                        ; implicit-def: $sgpr2_sgpr3
	s_branch .LBB216_101
.LBB216_141:                            ;   in Loop: Header=BB216_6 Depth=1
	s_or_b64 exec, exec, s[10:11]
	v_lshrrev_b32_e32 v8, 16, v9
	s_and_b64 s[10:11], s[58:59], exec
.LBB216_142:                            ;   in Loop: Header=BB216_6 Depth=1
	s_or_b64 exec, exec, s[16:17]
	v_readlane_b32 s52, v52, 44
	v_readlane_b32 s53, v52, 45
.LBB216_143:                            ;   in Loop: Header=BB216_6 Depth=1
	s_and_b64 vcc, exec, s[40:41]
	s_cbranch_vccz .LBB216_157
; %bb.144:                              ;   in Loop: Header=BB216_6 Depth=1
	v_readlane_b32 s48, v52, 34
	v_readlane_b32 s49, v52, 35
	s_mov_b32 s48, s55
	s_cmp_lg_u64 s[48:49], 0
	v_writelane_b32 v52, s48, 34
	v_writelane_b32 v52, s49, 35
	s_cbranch_scc0 .LBB216_185
; %bb.145:                              ;   in Loop: Header=BB216_6 Depth=1
	v_cvt_f32_u32_e32 v6, s33
	s_sub_u32 s16, 0, s33
	s_subb_u32 s17, 0, 0
	v_mac_f32_e32 v6, 0, v43
	v_rcp_f32_e32 v6, v6
	v_mul_f32_e32 v6, 0x5f7ffffc, v6
	v_mul_f32_e32 v7, 0x2f800000, v6
	v_trunc_f32_e32 v7, v7
	v_mac_f32_e32 v6, 0xcf800000, v7
	v_cvt_u32_f32_e32 v7, v7
	v_cvt_u32_f32_e32 v6, v6
	v_readfirstlane_b32 s38, v7
	v_readfirstlane_b32 s4, v6
	s_mul_i32 s5, s16, s38
	s_mul_hi_u32 s40, s16, s4
	s_mul_i32 s39, s17, s4
	s_add_i32 s5, s40, s5
	s_mul_i32 s41, s16, s4
	s_add_i32 s5, s5, s39
	s_mul_hi_u32 s40, s4, s41
	s_mul_i32 s46, s4, s5
	s_mul_hi_u32 s39, s4, s5
	s_add_u32 s40, s40, s46
	s_addc_u32 s39, 0, s39
	s_mul_hi_u32 s47, s38, s41
	s_mul_i32 s41, s38, s41
	s_add_u32 s40, s40, s41
	s_mul_hi_u32 s46, s38, s5
	s_addc_u32 s39, s39, s47
	s_addc_u32 s40, s46, 0
	s_mul_i32 s5, s38, s5
	s_add_u32 s5, s39, s5
	s_addc_u32 s39, 0, s40
	s_add_u32 s40, s4, s5
	s_cselect_b64 s[4:5], -1, 0
	s_cmp_lg_u64 s[4:5], 0
	s_addc_u32 s38, s38, s39
	s_mul_i32 s4, s16, s38
	s_mul_hi_u32 s5, s16, s40
	s_add_i32 s4, s5, s4
	s_mul_i32 s17, s17, s40
	s_add_i32 s4, s4, s17
	s_mul_i32 s16, s16, s40
	s_mul_hi_u32 s17, s38, s16
	s_mul_i32 s39, s38, s16
	s_mul_i32 s46, s40, s4
	s_mul_hi_u32 s16, s40, s16
	s_mul_hi_u32 s41, s40, s4
	s_add_u32 s16, s16, s46
	s_addc_u32 s41, 0, s41
	s_add_u32 s16, s16, s39
	s_mul_hi_u32 s5, s38, s4
	s_addc_u32 s16, s41, s17
	s_addc_u32 s5, s5, 0
	s_mul_i32 s4, s38, s4
	s_add_u32 s4, s16, s4
	s_addc_u32 s16, 0, s5
	s_add_u32 s17, s40, s4
	s_cselect_b64 s[4:5], -1, 0
	s_cmp_lg_u64 s[4:5], 0
	s_addc_u32 s4, s38, s16
	v_readlane_b32 s40, v52, 32
	s_mul_i32 s16, s40, s4
	s_mul_hi_u32 s38, s40, s17
	s_mul_hi_u32 s5, s40, s4
	s_add_u32 s16, s38, s16
	s_addc_u32 s5, 0, s5
	s_mul_hi_u32 s39, s49, s17
	s_mul_i32 s17, s49, s17
	s_add_u32 s16, s16, s17
	s_mul_hi_u32 s38, s49, s4
	s_addc_u32 s5, s5, s39
	s_addc_u32 s16, s38, 0
	s_mul_i32 s4, s49, s4
	s_add_u32 s4, s5, s4
	s_addc_u32 s5, 0, s16
	s_mul_i32 s5, s33, s5
	s_mul_hi_u32 s16, s33, s4
	s_add_i32 s16, s16, s5
	s_mul_i32 s4, s33, s4
	s_sub_u32 s17, s40, s4
	s_cselect_b64 s[4:5], -1, 0
	s_cmp_lg_u64 s[4:5], 0
	s_subb_u32 s16, s49, s16
	s_sub_u32 s38, s17, s33
	s_cselect_b64 s[4:5], -1, 0
	s_cmp_lg_u64 s[4:5], 0
	s_subb_u32 s39, s16, 0
	;; [unrolled: 4-line block ×3, first 2 shown]
	s_cmp_ge_u32 s38, s33
	s_cselect_b32 s5, -1, 0
	s_cmp_eq_u32 s39, 0
	s_cselect_b32 s5, s5, -1
	s_cmp_lg_u32 s5, 0
	s_cselect_b32 s4, s4, s39
	s_cselect_b32 s38, s40, s38
	s_cmp_ge_u32 s17, s33
	s_cselect_b32 s5, -1, 0
	s_cmp_eq_u32 s16, 0
	s_cselect_b32 s5, s5, -1
	s_cmp_lg_u32 s5, 0
	s_cselect_b32 s5, s4, s16
	s_cselect_b32 s4, s38, s17
	s_cbranch_execnz .LBB216_147
.LBB216_146:                            ;   in Loop: Header=BB216_6 Depth=1
	v_cvt_f32_u32_e32 v6, s33
	s_sub_i32 s4, 0, s33
	v_readlane_b32 s16, v52, 32
	v_rcp_iflag_f32_e32 v6, v6
	v_mul_f32_e32 v6, 0x4f7ffffe, v6
	v_cvt_u32_f32_e32 v6, v6
	v_readfirstlane_b32 s5, v6
	s_mul_i32 s4, s4, s5
	s_mul_hi_u32 s4, s5, s4
	s_add_i32 s5, s5, s4
	s_mul_hi_u32 s4, s16, s5
	s_mul_i32 s4, s4, s33
	s_sub_i32 s4, s16, s4
	s_sub_i32 s5, s4, s33
	s_cmp_ge_u32 s4, s33
	s_cselect_b32 s4, s5, s4
	s_sub_i32 s5, s4, s33
	s_cmp_ge_u32 s4, s33
	s_cselect_b32 s54, s5, s4
	s_mov_b64 s[4:5], s[54:55]
	v_readlane_b32 s54, v52, 46
.LBB216_147:                            ;   in Loop: Header=BB216_6 Depth=1
	v_readlane_b32 s16, v52, 32
	s_sub_u32 s38, s16, s4
	v_readlane_b32 s16, v52, 34
	v_readlane_b32 s17, v52, 35
	s_subb_u32 s39, s17, s5
	v_cmp_gt_u64_e32 vcc, s[38:39], v[0:1]
                                        ; implicit-def: $vgpr8
	s_and_saveexec_b64 s[16:17], vcc
	s_cbranch_execz .LBB216_156
; %bb.148:                              ;   in Loop: Header=BB216_6 Depth=1
	v_mov_b32_e32 v6, v12
	v_mov_b32_e32 v9, v1
	s_mov_b64 s[4:5], 0
	v_mov_b32_e32 v7, v13
	v_mov_b32_e32 v8, v0
                                        ; implicit-def: $sgpr40_sgpr41
	s_branch .LBB216_151
.LBB216_149:                            ;   in Loop: Header=BB216_151 Depth=2
	s_or_b64 exec, exec, s[46:47]
	s_waitcnt lgkmcnt(0)
	s_barrier
	ds_read_b32 v26, v3 offset:3072
	s_mov_b64 s[46:47], -1
	s_mov_b64 s[48:49], -1
	s_waitcnt lgkmcnt(0)
	s_barrier
	v_and_b32_e32 v27, 0x7fff, v26
	v_cmp_eq_u32_e32 vcc, 0, v27
	s_cbranch_vccnz .LBB216_154
.LBB216_150:                            ;   in Loop: Header=BB216_151 Depth=2
	s_and_b64 s[46:47], exec, s[46:47]
	s_or_b64 s[4:5], s[46:47], s[4:5]
	s_andn2_b64 s[40:41], s[40:41], exec
	s_and_b64 s[46:47], s[48:49], exec
	s_or_b64 s[40:41], s[40:41], s[46:47]
	s_andn2_b64 exec, exec, s[4:5]
	s_cbranch_execz .LBB216_155
.LBB216_151:                            ;   Parent Loop BB216_6 Depth=1
                                        ; =>  This Inner Loop Header: Depth=2
	v_cmp_gt_u64_e32 vcc, s[28:29], v[8:9]
	s_and_saveexec_b64 s[46:47], vcc
	s_cbranch_execz .LBB216_149
; %bb.152:                              ;   in Loop: Header=BB216_151 Depth=2
	global_load_ushort v26, v[6:7], off
	s_waitcnt vmcnt(0)
	v_cmp_lt_i16_e32 vcc, -1, v26
	v_cndmask_b32_e32 v27, v41, v42, vcc
	v_lshlrev_b32_e32 v48, 16, v26
	v_cmp_o_f32_e32 vcc, v48, v48
	v_xor_b32_sdwa v27, v27, v26 dst_sel:DWORD dst_unused:UNUSED_PAD src0_sel:DWORD src1_sel:WORD_0
	v_cndmask_b32_e32 v27, v41, v27, vcc
	v_and_b32_e32 v27, v27, v10
	v_cmp_eq_u32_e32 vcc, v27, v11
	s_and_b64 exec, exec, vcc
	s_cbranch_execz .LBB216_149
; %bb.153:                              ;   in Loop: Header=BB216_151 Depth=2
	s_movk_i32 s48, 0x3f80
	v_perm_b32 v26, v26, s48, v45
	ds_write_b32 v3, v26 offset:3072
	s_branch .LBB216_149
.LBB216_154:                            ;   in Loop: Header=BB216_151 Depth=2
	v_add_co_u32_e32 v8, vcc, s33, v8
	v_addc_co_u32_e32 v9, vcc, 0, v9, vcc
	v_mov_b32_e32 v27, s35
	v_add_co_u32_e32 v6, vcc, s34, v6
	v_addc_co_u32_e32 v7, vcc, v7, v27, vcc
	v_cmp_le_u64_e32 vcc, s[38:39], v[8:9]
	s_mov_b64 s[48:49], 0
	s_orn2_b64 s[46:47], vcc, exec
	s_branch .LBB216_150
.LBB216_155:                            ;   in Loop: Header=BB216_6 Depth=1
	s_or_b64 exec, exec, s[4:5]
	s_andn2_b64 s[4:5], s[10:11], exec
	s_and_b64 s[10:11], s[40:41], exec
	v_lshrrev_b32_e32 v8, 16, v26
	s_or_b64 s[10:11], s[4:5], s[10:11]
.LBB216_156:                            ;   in Loop: Header=BB216_6 Depth=1
	s_or_b64 exec, exec, s[16:17]
	s_mov_b64 s[46:47], 0
	s_mov_b64 s[48:49], -1
.LBB216_157:                            ;   in Loop: Header=BB216_6 Depth=1
	s_orn2_b64 s[4:5], s[10:11], exec
.LBB216_158:                            ;   in Loop: Header=BB216_6 Depth=1
	s_or_b64 exec, exec, s[20:21]
	s_mov_b64 s[10:11], 0
	s_and_saveexec_b64 s[38:39], s[4:5]
	s_cbranch_execz .LBB216_267
; %bb.159:                              ;   in Loop: Header=BB216_6 Depth=1
	v_mov_b32_e32 v6, 1
	s_xor_b64 s[4:5], s[8:9], -1
	v_mov_b32_e32 v2, 1
	v_mov_b32_e32 v7, 0
	s_and_saveexec_b64 s[8:9], s[4:5]
	s_cbranch_execz .LBB216_168
; %bb.160:                              ;   in Loop: Header=BB216_6 Depth=1
	v_cmp_ge_u64_e32 vcc, s[94:95], v[4:5]
	s_and_saveexec_b64 s[4:5], vcc
	s_xor_b64 s[4:5], exec, s[4:5]
	s_cbranch_execz .LBB216_165
; %bb.161:                              ;   in Loop: Header=BB216_6 Depth=1
	ds_read_b64 v[6:7], v3 offset:5120
	v_and_b32_e32 v2, s60, v11
	v_lshl_or_b32 v11, 1, s62, v2
	v_or_b32_e32 v10, s63, v10
	s_waitcnt lgkmcnt(0)
	v_cmp_ne_u64_e32 vcc, 0, v[6:7]
	s_cbranch_vccnz .LBB216_165
; %bb.162:                              ;   in Loop: Header=BB216_6 Depth=1
	s_mov_b64 s[10:11], exec
	v_readlane_b32 s16, v52, 8
	v_readlane_b32 s17, v52, 9
	s_and_b64 s[16:17], s[10:11], s[16:17]
	s_mov_b64 exec, s[16:17]
; %bb.163:                              ;   in Loop: Header=BB216_6 Depth=1
	v_mov_b32_e32 v6, s94
	v_mov_b32_e32 v7, s95
	ds_write_b64 v3, v[6:7] offset:5128
; %bb.164:                              ;   in Loop: Header=BB216_6 Depth=1
	s_or_b64 exec, exec, s[10:11]
	s_waitcnt lgkmcnt(0)
	s_barrier
.LBB216_165:                            ;   in Loop: Header=BB216_6 Depth=1
	s_or_saveexec_b64 s[4:5], s[4:5]
	s_mov_b64 s[10:11], 0
	v_mov_b32_e32 v2, 8
	s_xor_b64 exec, exec, s[4:5]
; %bb.166:                              ;   in Loop: Header=BB216_6 Depth=1
	v_subrev_co_u32_e32 v4, vcc, s94, v4
	v_mov_b32_e32 v2, s95
	v_subb_co_u32_e32 v5, vcc, v5, v2, vcc
	v_mov_b32_e32 v2, 0
	s_mov_b64 s[10:11], exec
; %bb.167:                              ;   in Loop: Header=BB216_6 Depth=1
	s_or_b64 exec, exec, s[4:5]
	v_mov_b32_e32 v7, v5
	s_and_b64 s[10:11], s[10:11], exec
	v_mov_b32_e32 v6, v4
.LBB216_168:                            ;   in Loop: Header=BB216_6 Depth=1
	s_or_b64 exec, exec, s[8:9]
	s_mov_b64 s[4:5], -1
                                        ; implicit-def: $sgpr8_sgpr9
                                        ; kill: killed $sgpr8_sgpr9
                                        ; implicit-def: $sgpr8_sgpr9
                                        ; kill: killed $sgpr8_sgpr9
	s_and_saveexec_b64 s[20:21], s[10:11]
	s_cbranch_execz .LBB216_266
; %bb.169:                              ;   in Loop: Header=BB216_6 Depth=1
	s_cmp_eq_u64 s[42:43], 1
	v_cmp_eq_u64_e32 vcc, 1, v[6:7]
	s_cselect_b64 s[4:5], -1, 0
	s_and_b64 s[8:9], s[4:5], vcc
	s_mov_b64 s[4:5], -1
                                        ; implicit-def: $sgpr10_sgpr11
                                        ; kill: killed $sgpr10_sgpr11
                                        ; implicit-def: $sgpr10_sgpr11
                                        ; kill: killed $sgpr10_sgpr11
	s_and_saveexec_b64 s[40:41], s[8:9]
	s_cbranch_execz .LBB216_203
; %bb.170:                              ;   in Loop: Header=BB216_6 Depth=1
	ds_read_b64 v[4:5], v3 offset:5120
	s_waitcnt lgkmcnt(0)
	s_barrier
	v_readfirstlane_b32 s58, v4
	v_readfirstlane_b32 s59, v5
	s_mov_b64 s[4:5], exec
	v_readlane_b32 s10, v52, 28
	v_readlane_b32 s11, v52, 29
	s_and_b64 s[10:11], s[4:5], s[10:11]
	s_mov_b64 exec, s[10:11]
; %bb.171:                              ;   in Loop: Header=BB216_6 Depth=1
	ds_write_b16 v40, v3
; %bb.172:                              ;   in Loop: Header=BB216_6 Depth=1
	s_or_b64 exec, exec, s[4:5]
	s_mov_b64 s[4:5], -1
	v_writelane_b32 v52, s4, 52
	v_and_b32_e32 v4, s60, v11
	v_writelane_b32 v52, s5, 53
	s_mov_b64 s[4:5], 0
	v_lshl_or_b32 v11, 2, s62, v4
	v_or_b32_e32 v10, s63, v10
	v_writelane_b32 v52, s4, 50
	s_cmp_eq_u64 s[58:59], 0
	s_mov_b64 s[10:11], 0
	s_mov_b64 s[16:17], -1
	s_waitcnt lgkmcnt(0)
	s_barrier
	v_writelane_b32 v52, s5, 51
                                        ; implicit-def: $vgpr8
	s_cbranch_scc1 .LBB216_188
; %bb.173:                              ;   in Loop: Header=BB216_6 Depth=1
	s_add_u32 s52, s58, s61
	v_readlane_b32 s4, v52, 33
	s_addc_u32 s11, s59, s4
	s_mov_b32 s10, s55
	s_mov_b32 s66, s61
	s_cmp_lg_u64 s[10:11], 0
	s_cbranch_scc0 .LBB216_220
; %bb.174:                              ;   in Loop: Header=BB216_6 Depth=1
	v_cvt_f32_u32_e32 v4, s33
	s_sub_u32 s10, 0, s33
	s_subb_u32 s16, 0, 0
	v_mac_f32_e32 v4, 0, v43
	v_rcp_f32_e32 v4, v4
	v_mul_f32_e32 v4, 0x5f7ffffc, v4
	v_mul_f32_e32 v5, 0x2f800000, v4
	v_trunc_f32_e32 v5, v5
	v_mac_f32_e32 v4, 0xcf800000, v5
	v_cvt_u32_f32_e32 v5, v5
	v_cvt_u32_f32_e32 v4, v4
	v_readfirstlane_b32 s17, v5
	v_readfirstlane_b32 s4, v4
	s_mul_i32 s5, s10, s17
	s_mul_hi_u32 s54, s10, s4
	s_mul_i32 s53, s16, s4
	s_add_i32 s5, s54, s5
	s_mul_i32 s56, s10, s4
	s_add_i32 s5, s5, s53
	s_mul_hi_u32 s54, s4, s56
	s_mul_i32 s57, s4, s5
	s_mul_hi_u32 s53, s4, s5
	s_add_u32 s54, s54, s57
	s_addc_u32 s53, 0, s53
	s_mul_hi_u32 s61, s17, s56
	s_mul_i32 s56, s17, s56
	s_add_u32 s54, s54, s56
	s_mul_hi_u32 s57, s17, s5
	s_addc_u32 s53, s53, s61
	s_addc_u32 s54, s57, 0
	s_mul_i32 s5, s17, s5
	s_add_u32 s5, s53, s5
	s_addc_u32 s53, 0, s54
	s_add_u32 s54, s4, s5
	s_cselect_b64 s[4:5], -1, 0
	s_cmp_lg_u64 s[4:5], 0
	s_addc_u32 s17, s17, s53
	s_mul_i32 s4, s10, s17
	s_mul_hi_u32 s5, s10, s54
	s_add_i32 s4, s5, s4
	s_mul_i32 s16, s16, s54
	s_add_i32 s4, s4, s16
	s_mul_i32 s10, s10, s54
	s_mul_hi_u32 s16, s17, s10
	s_mul_i32 s53, s17, s10
	s_mul_i32 s57, s54, s4
	s_mul_hi_u32 s10, s54, s10
	s_mul_hi_u32 s56, s54, s4
	s_add_u32 s10, s10, s57
	s_addc_u32 s56, 0, s56
	s_add_u32 s10, s10, s53
	s_mul_hi_u32 s5, s17, s4
	s_addc_u32 s10, s56, s16
	s_addc_u32 s5, s5, 0
	s_mul_i32 s4, s17, s4
	s_add_u32 s4, s10, s4
	s_addc_u32 s10, 0, s5
	s_add_u32 s16, s54, s4
	s_cselect_b64 s[4:5], -1, 0
	s_cmp_lg_u64 s[4:5], 0
	s_addc_u32 s4, s17, s10
	s_mul_i32 s10, s52, s4
	s_mul_hi_u32 s17, s52, s16
	s_mul_hi_u32 s5, s52, s4
	s_add_u32 s10, s17, s10
	s_addc_u32 s5, 0, s5
	s_mul_hi_u32 s53, s11, s16
	s_mul_i32 s16, s11, s16
	s_add_u32 s10, s10, s16
	s_mul_hi_u32 s17, s11, s4
	s_addc_u32 s5, s5, s53
	s_addc_u32 s10, s17, 0
	s_mul_i32 s4, s11, s4
	s_add_u32 s4, s5, s4
	s_addc_u32 s5, 0, s10
	s_mul_i32 s5, s33, s5
	s_mul_hi_u32 s10, s33, s4
	s_add_i32 s10, s10, s5
	s_mul_i32 s4, s33, s4
	s_sub_u32 s16, s52, s4
	s_cselect_b64 s[4:5], -1, 0
	s_cmp_lg_u64 s[4:5], 0
	s_subb_u32 s10, s11, s10
	s_sub_u32 s17, s16, s33
	s_cselect_b64 s[4:5], -1, 0
	s_cmp_lg_u64 s[4:5], 0
	s_subb_u32 s53, s10, 0
	;; [unrolled: 4-line block ×3, first 2 shown]
	s_cmp_ge_u32 s17, s33
	s_cselect_b32 s5, -1, 0
	s_cmp_eq_u32 s53, 0
	s_cselect_b32 s5, s5, -1
	s_cmp_lg_u32 s5, 0
	s_cselect_b32 s4, s4, s53
	s_cselect_b32 s17, s54, s17
	s_cmp_ge_u32 s16, s33
	s_cselect_b32 s5, -1, 0
	s_cmp_eq_u32 s10, 0
	s_cselect_b32 s5, s5, -1
	s_cmp_lg_u32 s5, 0
	s_cselect_b32 s5, s4, s10
	s_cselect_b32 s4, s17, s16
	s_cbranch_execnz .LBB216_176
.LBB216_175:                            ;   in Loop: Header=BB216_6 Depth=1
	v_cvt_f32_u32_e32 v4, s33
	s_sub_i32 s4, 0, s33
	v_rcp_iflag_f32_e32 v4, v4
	v_mul_f32_e32 v4, 0x4f7ffffe, v4
	v_cvt_u32_f32_e32 v4, v4
	v_readfirstlane_b32 s5, v4
	s_mul_i32 s4, s4, s5
	s_mul_hi_u32 s4, s5, s4
	s_add_i32 s5, s5, s4
	s_mul_hi_u32 s4, s52, s5
	s_mul_i32 s4, s4, s33
	s_sub_i32 s4, s52, s4
	s_sub_i32 s5, s4, s33
	s_cmp_ge_u32 s4, s33
	s_cselect_b32 s4, s5, s4
	s_sub_i32 s5, s4, s33
	s_cmp_ge_u32 s4, s33
	s_cselect_b32 s54, s5, s4
	s_mov_b64 s[4:5], s[54:55]
.LBB216_176:                            ;   in Loop: Header=BB216_6 Depth=1
	s_sub_u32 s64, s52, s4
	s_subb_u32 s65, s11, s5
	v_cmp_gt_u64_e32 vcc, s[64:65], v[0:1]
	s_mov_b64 s[16:17], 0
	s_mov_b64 s[10:11], 0
                                        ; implicit-def: $vgpr8
	s_and_saveexec_b64 s[4:5], vcc
	s_mov_b32 s61, s66
	v_readlane_b32 s54, v52, 46
	s_cbranch_execz .LBB216_187
; %bb.177:                              ;   in Loop: Header=BB216_6 Depth=1
	v_mov_b32_e32 v5, v1
	v_mov_b32_e32 v8, v39
	;; [unrolled: 1-line block ×3, first 2 shown]
                                        ; implicit-def: $sgpr66_sgpr67
	s_branch .LBB216_180
.LBB216_178:                            ;   in Loop: Header=BB216_180 Depth=2
	s_or_b64 exec, exec, s[52:53]
	s_waitcnt lgkmcnt(0)
	s_barrier
	ds_read_b32 v9, v3 offset:3072
	s_mov_b64 s[52:53], -1
	s_mov_b64 s[56:57], -1
	s_waitcnt lgkmcnt(0)
	s_barrier
	v_and_b32_e32 v26, 0x7fff, v9
	v_cmp_ne_u32_e32 vcc, 0, v26
	s_cbranch_vccz .LBB216_183
.LBB216_179:                            ;   in Loop: Header=BB216_180 Depth=2
	s_and_b64 s[52:53], exec, s[52:53]
	s_or_b64 s[10:11], s[52:53], s[10:11]
	s_andn2_b64 s[52:53], s[66:67], exec
	s_and_b64 s[56:57], s[56:57], exec
	s_or_b64 s[66:67], s[52:53], s[56:57]
	s_andn2_b64 exec, exec, s[10:11]
	s_cbranch_execz .LBB216_186
.LBB216_180:                            ;   Parent Loop BB216_6 Depth=1
                                        ; =>  This Inner Loop Header: Depth=2
	v_cmp_gt_u64_e32 vcc, s[58:59], v[4:5]
	s_and_saveexec_b64 s[52:53], vcc
	s_cbranch_execz .LBB216_178
; %bb.181:                              ;   in Loop: Header=BB216_180 Depth=2
	ds_read_u16 v9, v8
	s_waitcnt lgkmcnt(0)
	v_cmp_lt_i16_e32 vcc, -1, v9
	v_cndmask_b32_e32 v26, v41, v42, vcc
	v_lshlrev_b32_e32 v27, 16, v9
	v_cmp_o_f32_e32 vcc, v27, v27
	v_xor_b32_sdwa v26, v26, v9 dst_sel:DWORD dst_unused:UNUSED_PAD src0_sel:DWORD src1_sel:WORD_0
	v_cndmask_b32_e32 v26, v41, v26, vcc
	v_and_b32_e32 v26, v26, v10
	v_cmp_eq_u32_e32 vcc, v26, v11
	s_and_b64 exec, exec, vcc
	s_cbranch_execz .LBB216_178
; %bb.182:                              ;   in Loop: Header=BB216_180 Depth=2
	s_movk_i32 s56, 0x3f80
	v_perm_b32 v9, v9, s56, v45
	ds_write_b32 v3, v9 offset:3072
	s_branch .LBB216_178
.LBB216_183:                            ;   in Loop: Header=BB216_180 Depth=2
	v_add_co_u32_e32 v4, vcc, s33, v4
	v_addc_co_u32_e32 v5, vcc, 0, v5, vcc
	v_cmp_le_u64_e32 vcc, s[64:65], v[4:5]
	v_add_u32_e32 v8, s69, v8
	s_mov_b64 s[56:57], 0
	s_orn2_b64 s[52:53], vcc, exec
	s_branch .LBB216_179
.LBB216_184:                            ;   in Loop: Header=BB216_6 Depth=1
                                        ; implicit-def: $sgpr4_sgpr5
	s_branch .LBB216_130
.LBB216_185:                            ;   in Loop: Header=BB216_6 Depth=1
                                        ; implicit-def: $sgpr4_sgpr5
	s_branch .LBB216_146
.LBB216_186:                            ;   in Loop: Header=BB216_6 Depth=1
	s_or_b64 exec, exec, s[10:11]
	v_lshrrev_b32_e32 v8, 16, v9
	s_and_b64 s[10:11], s[66:67], exec
.LBB216_187:                            ;   in Loop: Header=BB216_6 Depth=1
	s_or_b64 exec, exec, s[4:5]
	v_readlane_b32 s52, v52, 44
	v_readlane_b32 s53, v52, 45
.LBB216_188:                            ;   in Loop: Header=BB216_6 Depth=1
	s_and_b64 vcc, exec, s[16:17]
	s_cbranch_vccz .LBB216_202
; %bb.189:                              ;   in Loop: Header=BB216_6 Depth=1
	v_readlane_b32 s58, v52, 34
	v_readlane_b32 s59, v52, 35
	s_mov_b32 s58, s55
	s_cmp_lg_u64 s[58:59], 0
	v_writelane_b32 v52, s58, 34
	v_writelane_b32 v52, s59, 35
	s_cbranch_scc0 .LBB216_221
; %bb.190:                              ;   in Loop: Header=BB216_6 Depth=1
	v_cvt_f32_u32_e32 v4, s33
	s_sub_u32 s16, 0, s33
	s_subb_u32 s17, 0, 0
	v_mac_f32_e32 v4, 0, v43
	v_rcp_f32_e32 v4, v4
	v_mul_f32_e32 v4, 0x5f7ffffc, v4
	v_mul_f32_e32 v5, 0x2f800000, v4
	v_trunc_f32_e32 v5, v5
	v_mac_f32_e32 v4, 0xcf800000, v5
	v_cvt_u32_f32_e32 v5, v5
	v_cvt_u32_f32_e32 v4, v4
	v_readfirstlane_b32 s52, v5
	v_readfirstlane_b32 s4, v4
	s_mul_i32 s5, s16, s52
	s_mul_hi_u32 s54, s16, s4
	s_mul_i32 s53, s17, s4
	s_add_i32 s5, s54, s5
	s_mul_i32 s56, s16, s4
	s_add_i32 s5, s5, s53
	s_mul_hi_u32 s54, s4, s56
	s_mul_i32 s57, s4, s5
	s_mul_hi_u32 s53, s4, s5
	s_add_u32 s54, s54, s57
	s_addc_u32 s53, 0, s53
	s_mul_hi_u32 s58, s52, s56
	s_mul_i32 s56, s52, s56
	s_add_u32 s54, s54, s56
	s_mul_hi_u32 s57, s52, s5
	s_addc_u32 s53, s53, s58
	s_addc_u32 s54, s57, 0
	s_mul_i32 s5, s52, s5
	s_add_u32 s5, s53, s5
	s_addc_u32 s53, 0, s54
	s_add_u32 s54, s4, s5
	s_cselect_b64 s[4:5], -1, 0
	s_cmp_lg_u64 s[4:5], 0
	s_addc_u32 s52, s52, s53
	s_mul_i32 s4, s16, s52
	s_mul_hi_u32 s5, s16, s54
	s_add_i32 s4, s5, s4
	s_mul_i32 s17, s17, s54
	s_add_i32 s4, s4, s17
	s_mul_i32 s16, s16, s54
	s_mul_hi_u32 s17, s52, s16
	s_mul_i32 s53, s52, s16
	s_mul_i32 s57, s54, s4
	s_mul_hi_u32 s16, s54, s16
	s_mul_hi_u32 s56, s54, s4
	s_add_u32 s16, s16, s57
	s_addc_u32 s56, 0, s56
	s_add_u32 s16, s16, s53
	s_mul_hi_u32 s5, s52, s4
	s_addc_u32 s16, s56, s17
	s_addc_u32 s5, s5, 0
	s_mul_i32 s4, s52, s4
	s_add_u32 s4, s16, s4
	s_addc_u32 s16, 0, s5
	s_add_u32 s17, s54, s4
	s_cselect_b64 s[4:5], -1, 0
	s_cmp_lg_u64 s[4:5], 0
	s_addc_u32 s4, s52, s16
	v_readlane_b32 s54, v52, 32
	s_mul_i32 s16, s54, s4
	s_mul_hi_u32 s52, s54, s17
	s_mul_hi_u32 s5, s54, s4
	s_add_u32 s16, s52, s16
	s_addc_u32 s5, 0, s5
	s_mul_hi_u32 s53, s59, s17
	s_mul_i32 s17, s59, s17
	s_add_u32 s16, s16, s17
	s_mul_hi_u32 s52, s59, s4
	s_addc_u32 s5, s5, s53
	s_addc_u32 s16, s52, 0
	s_mul_i32 s4, s59, s4
	s_add_u32 s4, s5, s4
	s_addc_u32 s5, 0, s16
	s_mul_i32 s5, s33, s5
	s_mul_hi_u32 s16, s33, s4
	s_add_i32 s16, s16, s5
	s_mul_i32 s4, s33, s4
	s_sub_u32 s17, s54, s4
	s_cselect_b64 s[4:5], -1, 0
	s_cmp_lg_u64 s[4:5], 0
	s_subb_u32 s16, s59, s16
	s_sub_u32 s52, s17, s33
	s_cselect_b64 s[4:5], -1, 0
	s_cmp_lg_u64 s[4:5], 0
	s_subb_u32 s53, s16, 0
	;; [unrolled: 4-line block ×3, first 2 shown]
	s_cmp_ge_u32 s52, s33
	s_cselect_b32 s5, -1, 0
	s_cmp_eq_u32 s53, 0
	s_cselect_b32 s5, s5, -1
	s_cmp_lg_u32 s5, 0
	s_cselect_b32 s4, s4, s53
	s_cselect_b32 s52, s54, s52
	s_cmp_ge_u32 s17, s33
	s_cselect_b32 s5, -1, 0
	s_cmp_eq_u32 s16, 0
	s_cselect_b32 s5, s5, -1
	s_cmp_lg_u32 s5, 0
	s_cselect_b32 s5, s4, s16
	s_cselect_b32 s4, s52, s17
	v_readlane_b32 s52, v52, 44
	v_readlane_b32 s53, v52, 45
	s_cbranch_execnz .LBB216_192
.LBB216_191:                            ;   in Loop: Header=BB216_6 Depth=1
	v_cvt_f32_u32_e32 v4, s33
	s_sub_i32 s4, 0, s33
	v_readlane_b32 s16, v52, 32
	v_rcp_iflag_f32_e32 v4, v4
	v_mul_f32_e32 v4, 0x4f7ffffe, v4
	v_cvt_u32_f32_e32 v4, v4
	v_readfirstlane_b32 s5, v4
	s_mul_i32 s4, s4, s5
	s_mul_hi_u32 s4, s5, s4
	s_add_i32 s5, s5, s4
	s_mul_hi_u32 s4, s16, s5
	s_mul_i32 s4, s4, s33
	s_sub_i32 s4, s16, s4
	s_sub_i32 s5, s4, s33
	s_cmp_ge_u32 s4, s33
	s_cselect_b32 s4, s5, s4
	s_sub_i32 s5, s4, s33
	s_cmp_ge_u32 s4, s33
	s_cselect_b32 s54, s5, s4
	s_mov_b64 s[4:5], s[54:55]
.LBB216_192:                            ;   in Loop: Header=BB216_6 Depth=1
	v_readlane_b32 s16, v52, 32
	s_sub_u32 s58, s16, s4
	v_readlane_b32 s16, v52, 34
	v_readlane_b32 s17, v52, 35
	s_subb_u32 s59, s17, s5
	v_cmp_gt_u64_e32 vcc, s[58:59], v[0:1]
                                        ; implicit-def: $vgpr8
	s_and_saveexec_b64 s[16:17], vcc
	v_readlane_b32 s54, v52, 46
	s_cbranch_execz .LBB216_201
; %bb.193:                              ;   in Loop: Header=BB216_6 Depth=1
	v_mov_b32_e32 v4, v12
	v_mov_b32_e32 v9, v1
	s_mov_b64 s[4:5], 0
	v_mov_b32_e32 v5, v13
	v_mov_b32_e32 v8, v0
                                        ; implicit-def: $sgpr64_sgpr65
	s_branch .LBB216_196
.LBB216_194:                            ;   in Loop: Header=BB216_196 Depth=2
	s_or_b64 exec, exec, s[52:53]
	s_waitcnt lgkmcnt(0)
	s_barrier
	ds_read_b32 v26, v3 offset:3072
	s_mov_b64 s[52:53], -1
	s_mov_b64 s[56:57], -1
	s_waitcnt lgkmcnt(0)
	s_barrier
	v_and_b32_e32 v27, 0x7fff, v26
	v_cmp_eq_u32_e32 vcc, 0, v27
	s_cbranch_vccnz .LBB216_199
.LBB216_195:                            ;   in Loop: Header=BB216_196 Depth=2
	s_and_b64 s[52:53], exec, s[52:53]
	s_or_b64 s[4:5], s[52:53], s[4:5]
	s_andn2_b64 s[52:53], s[64:65], exec
	s_and_b64 s[56:57], s[56:57], exec
	s_or_b64 s[64:65], s[52:53], s[56:57]
	s_andn2_b64 exec, exec, s[4:5]
	s_cbranch_execz .LBB216_200
.LBB216_196:                            ;   Parent Loop BB216_6 Depth=1
                                        ; =>  This Inner Loop Header: Depth=2
	v_cmp_gt_u64_e32 vcc, s[28:29], v[8:9]
	s_and_saveexec_b64 s[52:53], vcc
	s_cbranch_execz .LBB216_194
; %bb.197:                              ;   in Loop: Header=BB216_196 Depth=2
	global_load_ushort v26, v[4:5], off
	s_waitcnt vmcnt(0)
	v_cmp_lt_i16_e32 vcc, -1, v26
	v_cndmask_b32_e32 v27, v41, v42, vcc
	v_lshlrev_b32_e32 v48, 16, v26
	v_cmp_o_f32_e32 vcc, v48, v48
	v_xor_b32_sdwa v27, v27, v26 dst_sel:DWORD dst_unused:UNUSED_PAD src0_sel:DWORD src1_sel:WORD_0
	v_cndmask_b32_e32 v27, v41, v27, vcc
	v_and_b32_e32 v27, v27, v10
	v_cmp_eq_u32_e32 vcc, v27, v11
	s_and_b64 exec, exec, vcc
	s_cbranch_execz .LBB216_194
; %bb.198:                              ;   in Loop: Header=BB216_196 Depth=2
	s_movk_i32 s56, 0x3f80
	v_perm_b32 v26, v26, s56, v45
	ds_write_b32 v3, v26 offset:3072
	s_branch .LBB216_194
.LBB216_199:                            ;   in Loop: Header=BB216_196 Depth=2
	v_add_co_u32_e32 v8, vcc, s33, v8
	v_addc_co_u32_e32 v9, vcc, 0, v9, vcc
	v_mov_b32_e32 v27, s35
	v_add_co_u32_e32 v4, vcc, s34, v4
	v_addc_co_u32_e32 v5, vcc, v5, v27, vcc
	v_cmp_le_u64_e32 vcc, s[58:59], v[8:9]
	s_mov_b64 s[56:57], 0
	s_orn2_b64 s[52:53], vcc, exec
	s_branch .LBB216_195
.LBB216_200:                            ;   in Loop: Header=BB216_6 Depth=1
	s_or_b64 exec, exec, s[4:5]
	s_andn2_b64 s[4:5], s[10:11], exec
	s_and_b64 s[10:11], s[64:65], exec
	v_readlane_b32 s52, v52, 44
	v_lshrrev_b32_e32 v8, 16, v26
	s_or_b64 s[10:11], s[4:5], s[10:11]
	v_readlane_b32 s53, v52, 45
.LBB216_201:                            ;   in Loop: Header=BB216_6 Depth=1
	s_or_b64 exec, exec, s[16:17]
	s_mov_b64 s[4:5], 0
	v_writelane_b32 v52, s4, 52
	v_writelane_b32 v52, s5, 53
	s_mov_b64 s[4:5], -1
	v_writelane_b32 v52, s4, 50
	v_writelane_b32 v52, s5, 51
.LBB216_202:                            ;   in Loop: Header=BB216_6 Depth=1
	s_orn2_b64 s[4:5], s[10:11], exec
.LBB216_203:                            ;   in Loop: Header=BB216_6 Depth=1
	s_or_b64 exec, exec, s[40:41]
	s_mov_b64 s[10:11], 0
	s_and_saveexec_b64 s[40:41], s[4:5]
	s_cbranch_execz .LBB216_265
; %bb.204:                              ;   in Loop: Header=BB216_6 Depth=1
	v_mov_b32_e32 v4, 1
	s_xor_b64 s[4:5], s[8:9], -1
	v_mov_b32_e32 v2, 1
	v_mov_b32_e32 v5, 0
	s_and_saveexec_b64 s[8:9], s[4:5]
	s_cbranch_execz .LBB216_213
; %bb.205:                              ;   in Loop: Header=BB216_6 Depth=1
	v_cmp_ge_u64_e32 vcc, s[42:43], v[6:7]
	s_and_saveexec_b64 s[4:5], vcc
	s_xor_b64 s[4:5], exec, s[4:5]
	s_cbranch_execz .LBB216_210
; %bb.206:                              ;   in Loop: Header=BB216_6 Depth=1
	ds_read_b64 v[4:5], v3 offset:5120
	v_and_b32_e32 v2, s60, v11
	v_lshl_or_b32 v11, 2, s62, v2
	v_or_b32_e32 v10, s63, v10
	s_waitcnt lgkmcnt(0)
	v_cmp_ne_u64_e32 vcc, 0, v[4:5]
	s_cbranch_vccnz .LBB216_210
; %bb.207:                              ;   in Loop: Header=BB216_6 Depth=1
	s_mov_b64 s[10:11], exec
	v_readlane_b32 s16, v52, 8
	v_readlane_b32 s17, v52, 9
	s_and_b64 s[16:17], s[10:11], s[16:17]
	s_mov_b64 exec, s[16:17]
; %bb.208:                              ;   in Loop: Header=BB216_6 Depth=1
	v_mov_b32_e32 v4, s42
	v_mov_b32_e32 v5, s43
	ds_write_b64 v3, v[4:5] offset:5128
; %bb.209:                              ;   in Loop: Header=BB216_6 Depth=1
	s_or_b64 exec, exec, s[10:11]
	s_waitcnt lgkmcnt(0)
	s_barrier
.LBB216_210:                            ;   in Loop: Header=BB216_6 Depth=1
	s_or_saveexec_b64 s[4:5], s[4:5]
	s_mov_b64 s[10:11], 0
	v_mov_b32_e32 v2, 8
	s_xor_b64 exec, exec, s[4:5]
; %bb.211:                              ;   in Loop: Header=BB216_6 Depth=1
	v_subrev_co_u32_e32 v6, vcc, s42, v6
	v_mov_b32_e32 v2, s43
	v_subb_co_u32_e32 v7, vcc, v7, v2, vcc
	v_mov_b32_e32 v2, 0
	s_mov_b64 s[10:11], exec
; %bb.212:                              ;   in Loop: Header=BB216_6 Depth=1
	s_or_b64 exec, exec, s[4:5]
	v_mov_b32_e32 v4, v6
	s_and_b64 s[10:11], s[10:11], exec
	v_mov_b32_e32 v5, v7
.LBB216_213:                            ;   in Loop: Header=BB216_6 Depth=1
	s_or_b64 exec, exec, s[8:9]
	s_mov_b64 s[4:5], -1
                                        ; implicit-def: $sgpr8_sgpr9
                                        ; kill: killed $sgpr8_sgpr9
                                        ; implicit-def: $sgpr56_sgpr57
	s_and_saveexec_b64 s[8:9], s[10:11]
	s_cbranch_execz .LBB216_264
; %bb.214:                              ;   in Loop: Header=BB216_6 Depth=1
	s_cmp_eq_u64 s[44:45], 1
	v_cmp_eq_u64_e32 vcc, 1, v[4:5]
	s_cselect_b64 s[4:5], -1, 0
	s_and_b64 s[10:11], s[4:5], vcc
	s_mov_b64 s[4:5], -1
                                        ; implicit-def: $sgpr16_sgpr17
                                        ; kill: killed $sgpr16_sgpr17
                                        ; implicit-def: $sgpr56_sgpr57
	s_mov_b64 s[16:17], exec
	v_writelane_b32 v52, s10, 54
	v_writelane_b32 v52, s11, 55
	;; [unrolled: 1-line block ×3, first 2 shown]
	s_and_b64 s[10:11], s[16:17], s[10:11]
	v_writelane_b32 v52, s17, 57
	s_mov_b64 exec, s[10:11]
	s_cbranch_execz .LBB216_252
; %bb.215:                              ;   in Loop: Header=BB216_6 Depth=1
	ds_read_b64 v[6:7], v3 offset:5120
	s_waitcnt lgkmcnt(0)
	s_barrier
	v_readfirstlane_b32 s58, v6
	v_readfirstlane_b32 s59, v7
	s_mov_b64 s[4:5], exec
	v_readlane_b32 s10, v52, 28
	v_readlane_b32 s11, v52, 29
	s_and_b64 s[10:11], s[4:5], s[10:11]
	s_mov_b64 exec, s[10:11]
; %bb.216:                              ;   in Loop: Header=BB216_6 Depth=1
	ds_write_b16 v40, v3
; %bb.217:                              ;   in Loop: Header=BB216_6 Depth=1
	s_or_b64 exec, exec, s[4:5]
	s_mov_b64 s[4:5], 0
	v_or_b32_e32 v11, s63, v11
	v_or_b32_e32 v10, s63, v10
	s_mov_b64 s[56:57], -1
	v_writelane_b32 v52, s4, 58
	s_cmp_eq_u64 s[58:59], 0
	s_mov_b64 s[66:67], 0
	s_mov_b64 s[10:11], -1
	s_waitcnt lgkmcnt(0)
	s_barrier
	v_writelane_b32 v52, s5, 59
                                        ; implicit-def: $vgpr8
	s_cbranch_scc1 .LBB216_235
; %bb.218:                              ;   in Loop: Header=BB216_6 Depth=1
	s_add_u32 s52, s58, s61
	v_readlane_b32 s4, v52, 33
	s_addc_u32 s11, s59, s4
	s_mov_b32 s10, s55
	s_mov_b32 s64, s61
	s_cmp_lg_u64 s[10:11], 0
	s_cbranch_scc0 .LBB216_222
; %bb.219:                              ;   in Loop: Header=BB216_6 Depth=1
	v_cvt_f32_u32_e32 v6, s33
	s_sub_u32 s10, 0, s33
	s_subb_u32 s16, 0, 0
	v_mac_f32_e32 v6, 0, v43
	v_rcp_f32_e32 v6, v6
	v_mul_f32_e32 v6, 0x5f7ffffc, v6
	v_mul_f32_e32 v7, 0x2f800000, v6
	v_trunc_f32_e32 v7, v7
	v_mac_f32_e32 v6, 0xcf800000, v7
	v_cvt_u32_f32_e32 v7, v7
	v_cvt_u32_f32_e32 v6, v6
	v_readfirstlane_b32 s17, v7
	v_readfirstlane_b32 s4, v6
	s_mul_i32 s5, s10, s17
	s_mul_hi_u32 s54, s10, s4
	s_mul_i32 s53, s16, s4
	s_add_i32 s5, s54, s5
	s_mul_i32 s56, s10, s4
	s_add_i32 s5, s5, s53
	s_mul_hi_u32 s54, s4, s56
	s_mul_i32 s57, s4, s5
	s_mul_hi_u32 s53, s4, s5
	s_add_u32 s54, s54, s57
	s_addc_u32 s53, 0, s53
	s_mul_hi_u32 s61, s17, s56
	s_mul_i32 s56, s17, s56
	s_add_u32 s54, s54, s56
	s_mul_hi_u32 s57, s17, s5
	s_addc_u32 s53, s53, s61
	s_addc_u32 s54, s57, 0
	s_mul_i32 s5, s17, s5
	s_add_u32 s5, s53, s5
	s_addc_u32 s53, 0, s54
	s_add_u32 s54, s4, s5
	s_cselect_b64 s[4:5], -1, 0
	s_cmp_lg_u64 s[4:5], 0
	s_addc_u32 s17, s17, s53
	s_mul_i32 s4, s10, s17
	s_mul_hi_u32 s5, s10, s54
	s_add_i32 s4, s5, s4
	s_mul_i32 s16, s16, s54
	s_add_i32 s4, s4, s16
	s_mul_i32 s10, s10, s54
	s_mul_hi_u32 s16, s17, s10
	s_mul_i32 s53, s17, s10
	s_mul_i32 s57, s54, s4
	s_mul_hi_u32 s10, s54, s10
	s_mul_hi_u32 s56, s54, s4
	s_add_u32 s10, s10, s57
	s_addc_u32 s56, 0, s56
	s_add_u32 s10, s10, s53
	s_mul_hi_u32 s5, s17, s4
	s_addc_u32 s10, s56, s16
	s_addc_u32 s5, s5, 0
	s_mul_i32 s4, s17, s4
	s_add_u32 s4, s10, s4
	s_addc_u32 s10, 0, s5
	s_add_u32 s16, s54, s4
	s_cselect_b64 s[4:5], -1, 0
	s_cmp_lg_u64 s[4:5], 0
	s_addc_u32 s4, s17, s10
	s_mul_i32 s10, s52, s4
	s_mul_hi_u32 s17, s52, s16
	s_mul_hi_u32 s5, s52, s4
	s_add_u32 s10, s17, s10
	s_addc_u32 s5, 0, s5
	s_mul_hi_u32 s53, s11, s16
	s_mul_i32 s16, s11, s16
	s_add_u32 s10, s10, s16
	s_mul_hi_u32 s17, s11, s4
	s_addc_u32 s5, s5, s53
	s_addc_u32 s10, s17, 0
	s_mul_i32 s4, s11, s4
	s_add_u32 s4, s5, s4
	s_addc_u32 s5, 0, s10
	s_mul_i32 s5, s33, s5
	s_mul_hi_u32 s10, s33, s4
	s_add_i32 s10, s10, s5
	s_mul_i32 s4, s33, s4
	s_sub_u32 s16, s52, s4
	s_cselect_b64 s[4:5], -1, 0
	s_cmp_lg_u64 s[4:5], 0
	s_subb_u32 s10, s11, s10
	s_sub_u32 s17, s16, s33
	s_cselect_b64 s[4:5], -1, 0
	s_cmp_lg_u64 s[4:5], 0
	s_subb_u32 s53, s10, 0
	;; [unrolled: 4-line block ×3, first 2 shown]
	s_cmp_ge_u32 s17, s33
	s_cselect_b32 s5, -1, 0
	s_cmp_eq_u32 s53, 0
	s_cselect_b32 s5, s5, -1
	s_cmp_lg_u32 s5, 0
	s_cselect_b32 s4, s4, s53
	s_cselect_b32 s17, s54, s17
	s_cmp_ge_u32 s16, s33
	s_cselect_b32 s5, -1, 0
	s_cmp_eq_u32 s10, 0
	s_cselect_b32 s5, s5, -1
	s_cmp_lg_u32 s5, 0
	v_readlane_b32 s54, v52, 46
	s_cselect_b32 s5, s4, s10
	s_cselect_b32 s4, s17, s16
	s_mov_b64 s[16:17], 0
	s_branch .LBB216_223
.LBB216_220:                            ;   in Loop: Header=BB216_6 Depth=1
                                        ; implicit-def: $sgpr4_sgpr5
	s_andn2_b64 vcc, exec, s[16:17]
	s_cbranch_vccz .LBB216_175
	s_branch .LBB216_176
.LBB216_221:                            ;   in Loop: Header=BB216_6 Depth=1
                                        ; implicit-def: $sgpr4_sgpr5
	s_branch .LBB216_191
.LBB216_222:                            ;   in Loop: Header=BB216_6 Depth=1
	s_mov_b64 s[16:17], -1
                                        ; implicit-def: $sgpr4_sgpr5
.LBB216_223:                            ;   in Loop: Header=BB216_6 Depth=1
	s_andn2_b64 vcc, exec, s[16:17]
	s_cbranch_vccnz .LBB216_225
; %bb.224:                              ;   in Loop: Header=BB216_6 Depth=1
	v_cvt_f32_u32_e32 v6, s33
	s_sub_i32 s4, 0, s33
	v_rcp_iflag_f32_e32 v6, v6
	v_mul_f32_e32 v6, 0x4f7ffffe, v6
	v_cvt_u32_f32_e32 v6, v6
	v_readfirstlane_b32 s5, v6
	s_mul_i32 s4, s4, s5
	s_mul_hi_u32 s4, s5, s4
	s_add_i32 s5, s5, s4
	s_mul_hi_u32 s4, s52, s5
	s_mul_i32 s4, s4, s33
	s_sub_i32 s4, s52, s4
	s_sub_i32 s5, s4, s33
	s_cmp_ge_u32 s4, s33
	s_cselect_b32 s4, s5, s4
	s_sub_i32 s5, s4, s33
	s_cmp_ge_u32 s4, s33
	s_cselect_b32 s54, s5, s4
	s_mov_b64 s[4:5], s[54:55]
	v_readlane_b32 s54, v52, 46
.LBB216_225:                            ;   in Loop: Header=BB216_6 Depth=1
	s_sub_u32 s16, s52, s4
	s_subb_u32 s17, s11, s5
	v_cmp_gt_u64_e32 vcc, s[16:17], v[0:1]
	s_mov_b64 s[10:11], 0
                                        ; implicit-def: $vgpr8
	s_and_saveexec_b64 s[4:5], vcc
	s_mov_b32 s61, s64
	s_cbranch_execz .LBB216_234
; %bb.226:                              ;   in Loop: Header=BB216_6 Depth=1
	v_mov_b32_e32 v7, v1
	s_mov_b64 s[64:65], 0
	v_mov_b32_e32 v8, v39
	v_mov_b32_e32 v6, v0
                                        ; implicit-def: $sgpr66_sgpr67
	s_branch .LBB216_229
.LBB216_227:                            ;   in Loop: Header=BB216_229 Depth=2
	s_or_b64 exec, exec, s[52:53]
	s_waitcnt lgkmcnt(0)
	s_barrier
	ds_read_b32 v9, v3 offset:3072
	s_mov_b64 s[52:53], -1
	s_mov_b64 s[56:57], -1
	s_waitcnt lgkmcnt(0)
	s_barrier
	v_and_b32_e32 v26, 0x7fff, v9
	v_cmp_ne_u32_e32 vcc, 0, v26
	s_cbranch_vccz .LBB216_232
.LBB216_228:                            ;   in Loop: Header=BB216_229 Depth=2
	s_and_b64 s[52:53], exec, s[52:53]
	s_or_b64 s[64:65], s[52:53], s[64:65]
	s_andn2_b64 s[52:53], s[66:67], exec
	s_and_b64 s[56:57], s[56:57], exec
	s_or_b64 s[66:67], s[52:53], s[56:57]
	s_andn2_b64 exec, exec, s[64:65]
	s_cbranch_execz .LBB216_233
.LBB216_229:                            ;   Parent Loop BB216_6 Depth=1
                                        ; =>  This Inner Loop Header: Depth=2
	v_cmp_gt_u64_e32 vcc, s[58:59], v[6:7]
	s_and_saveexec_b64 s[52:53], vcc
	s_cbranch_execz .LBB216_227
; %bb.230:                              ;   in Loop: Header=BB216_229 Depth=2
	ds_read_u16 v9, v8
	s_waitcnt lgkmcnt(0)
	v_cmp_lt_i16_e32 vcc, -1, v9
	v_cndmask_b32_e32 v26, v41, v42, vcc
	v_lshlrev_b32_e32 v27, 16, v9
	v_cmp_o_f32_e32 vcc, v27, v27
	v_xor_b32_sdwa v26, v26, v9 dst_sel:DWORD dst_unused:UNUSED_PAD src0_sel:DWORD src1_sel:WORD_0
	v_cndmask_b32_e32 v26, v41, v26, vcc
	v_and_b32_e32 v26, v26, v10
	v_cmp_eq_u32_e32 vcc, v26, v11
	s_and_b64 exec, exec, vcc
	s_cbranch_execz .LBB216_227
; %bb.231:                              ;   in Loop: Header=BB216_229 Depth=2
	s_movk_i32 s56, 0x3f80
	v_perm_b32 v9, v9, s56, v45
	ds_write_b32 v3, v9 offset:3072
	s_branch .LBB216_227
.LBB216_232:                            ;   in Loop: Header=BB216_229 Depth=2
	v_add_co_u32_e32 v6, vcc, s33, v6
	v_addc_co_u32_e32 v7, vcc, 0, v7, vcc
	v_cmp_le_u64_e32 vcc, s[16:17], v[6:7]
	v_add_u32_e32 v8, s69, v8
	s_mov_b64 s[56:57], 0
	s_orn2_b64 s[52:53], vcc, exec
	s_branch .LBB216_228
.LBB216_233:                            ;   in Loop: Header=BB216_6 Depth=1
	s_or_b64 exec, exec, s[64:65]
	v_lshrrev_b32_e32 v8, 16, v9
	s_and_b64 s[66:67], s[66:67], exec
.LBB216_234:                            ;   in Loop: Header=BB216_6 Depth=1
	s_or_b64 exec, exec, s[4:5]
	v_readlane_b32 s52, v52, 44
	v_readlane_b32 s53, v52, 45
	s_mov_b64 s[56:57], -1
.LBB216_235:                            ;   in Loop: Header=BB216_6 Depth=1
	s_and_b64 vcc, exec, s[10:11]
	s_cbranch_vccz .LBB216_251
; %bb.236:                              ;   in Loop: Header=BB216_6 Depth=1
	v_readlane_b32 s56, v52, 34
	v_readlane_b32 s57, v52, 35
	s_mov_b32 s56, s55
	s_cmp_lg_u64 s[56:57], 0
	v_writelane_b32 v52, s56, 34
	v_writelane_b32 v52, s57, 35
	s_cbranch_scc0 .LBB216_238
; %bb.237:                              ;   in Loop: Header=BB216_6 Depth=1
	v_cvt_f32_u32_e32 v6, s33
	s_sub_u32 s10, 0, s33
	s_subb_u32 s11, 0, 0
	v_mac_f32_e32 v6, 0, v43
	v_rcp_f32_e32 v6, v6
	v_mul_f32_e32 v6, 0x5f7ffffc, v6
	v_mul_f32_e32 v7, 0x2f800000, v6
	v_trunc_f32_e32 v7, v7
	v_mac_f32_e32 v6, 0xcf800000, v7
	v_cvt_u32_f32_e32 v7, v7
	v_cvt_u32_f32_e32 v6, v6
	v_readfirstlane_b32 s16, v7
	v_readfirstlane_b32 s4, v6
	s_mul_i32 s5, s10, s16
	s_mul_hi_u32 s52, s10, s4
	s_mul_i32 s17, s11, s4
	s_add_i32 s5, s52, s5
	s_mul_i32 s53, s10, s4
	s_add_i32 s5, s5, s17
	s_mul_hi_u32 s52, s4, s53
	s_mul_i32 s54, s4, s5
	s_mul_hi_u32 s17, s4, s5
	s_add_u32 s52, s52, s54
	s_addc_u32 s17, 0, s17
	s_mul_hi_u32 s56, s16, s53
	s_mul_i32 s53, s16, s53
	s_add_u32 s52, s52, s53
	s_mul_hi_u32 s54, s16, s5
	s_addc_u32 s17, s17, s56
	s_addc_u32 s52, s54, 0
	s_mul_i32 s5, s16, s5
	s_add_u32 s5, s17, s5
	s_addc_u32 s17, 0, s52
	s_add_u32 s52, s4, s5
	s_cselect_b64 s[4:5], -1, 0
	s_cmp_lg_u64 s[4:5], 0
	s_addc_u32 s16, s16, s17
	s_mul_i32 s4, s10, s16
	s_mul_hi_u32 s5, s10, s52
	s_add_i32 s4, s5, s4
	s_mul_i32 s11, s11, s52
	s_add_i32 s4, s4, s11
	s_mul_i32 s10, s10, s52
	s_mul_hi_u32 s11, s16, s10
	s_mul_i32 s17, s16, s10
	s_mul_i32 s54, s52, s4
	s_mul_hi_u32 s10, s52, s10
	s_mul_hi_u32 s53, s52, s4
	s_add_u32 s10, s10, s54
	s_addc_u32 s53, 0, s53
	s_add_u32 s10, s10, s17
	s_mul_hi_u32 s5, s16, s4
	s_addc_u32 s10, s53, s11
	s_addc_u32 s5, s5, 0
	s_mul_i32 s4, s16, s4
	s_add_u32 s4, s10, s4
	s_addc_u32 s10, 0, s5
	s_add_u32 s11, s52, s4
	s_cselect_b64 s[4:5], -1, 0
	s_cmp_lg_u64 s[4:5], 0
	s_addc_u32 s4, s16, s10
	v_readlane_b32 s52, v52, 32
	s_mul_i32 s10, s52, s4
	s_mul_hi_u32 s16, s52, s11
	s_mul_hi_u32 s5, s52, s4
	s_add_u32 s10, s16, s10
	s_addc_u32 s5, 0, s5
	s_mul_hi_u32 s17, s57, s11
	s_mul_i32 s11, s57, s11
	s_add_u32 s10, s10, s11
	s_mul_hi_u32 s16, s57, s4
	s_addc_u32 s5, s5, s17
	s_addc_u32 s10, s16, 0
	s_mul_i32 s4, s57, s4
	s_add_u32 s4, s5, s4
	s_addc_u32 s5, 0, s10
	s_mul_i32 s5, s33, s5
	s_mul_hi_u32 s10, s33, s4
	s_add_i32 s10, s10, s5
	s_mul_i32 s4, s33, s4
	s_sub_u32 s11, s52, s4
	s_cselect_b64 s[4:5], -1, 0
	s_cmp_lg_u64 s[4:5], 0
	s_subb_u32 s10, s57, s10
	s_sub_u32 s16, s11, s33
	s_cselect_b64 s[4:5], -1, 0
	s_cmp_lg_u64 s[4:5], 0
	s_subb_u32 s17, s10, 0
	;; [unrolled: 4-line block ×3, first 2 shown]
	s_cmp_ge_u32 s16, s33
	s_cselect_b32 s5, -1, 0
	s_cmp_eq_u32 s17, 0
	s_cselect_b32 s5, s5, -1
	s_cmp_lg_u32 s5, 0
	s_cselect_b32 s4, s4, s17
	s_cselect_b32 s16, s52, s16
	s_cmp_ge_u32 s11, s33
	s_cselect_b32 s5, -1, 0
	s_cmp_eq_u32 s10, 0
	s_cselect_b32 s5, s5, -1
	v_readlane_b32 s52, v52, 44
	s_cmp_lg_u32 s5, 0
	v_readlane_b32 s53, v52, 45
	s_cselect_b32 s5, s4, s10
	s_cselect_b32 s4, s16, s11
	s_mov_b64 s[10:11], 0
	s_branch .LBB216_239
.LBB216_238:                            ;   in Loop: Header=BB216_6 Depth=1
	s_mov_b64 s[10:11], -1
                                        ; implicit-def: $sgpr4_sgpr5
.LBB216_239:                            ;   in Loop: Header=BB216_6 Depth=1
	s_andn2_b64 vcc, exec, s[10:11]
	s_cbranch_vccnz .LBB216_241
; %bb.240:                              ;   in Loop: Header=BB216_6 Depth=1
	v_cvt_f32_u32_e32 v6, s33
	s_sub_i32 s4, 0, s33
	v_readlane_b32 s10, v52, 32
	v_rcp_iflag_f32_e32 v6, v6
	v_mul_f32_e32 v6, 0x4f7ffffe, v6
	v_cvt_u32_f32_e32 v6, v6
	v_readfirstlane_b32 s5, v6
	s_mul_i32 s4, s4, s5
	s_mul_hi_u32 s4, s5, s4
	s_add_i32 s5, s5, s4
	s_mul_hi_u32 s4, s10, s5
	s_mul_i32 s4, s4, s33
	s_sub_i32 s4, s10, s4
	s_sub_i32 s5, s4, s33
	s_cmp_ge_u32 s4, s33
	s_cselect_b32 s4, s5, s4
	s_sub_i32 s5, s4, s33
	s_cmp_ge_u32 s4, s33
	s_cselect_b32 s54, s5, s4
	s_mov_b64 s[4:5], s[54:55]
.LBB216_241:                            ;   in Loop: Header=BB216_6 Depth=1
	v_readlane_b32 s10, v52, 32
	s_sub_u32 s16, s10, s4
	v_readlane_b32 s10, v52, 34
	v_readlane_b32 s11, v52, 35
	s_subb_u32 s17, s11, s5
	v_cmp_gt_u64_e32 vcc, s[16:17], v[0:1]
                                        ; implicit-def: $vgpr8
	s_and_saveexec_b64 s[10:11], vcc
	v_readlane_b32 s54, v52, 46
	s_cbranch_execz .LBB216_250
; %bb.242:                              ;   in Loop: Header=BB216_6 Depth=1
	v_mov_b32_e32 v6, v12
	v_mov_b32_e32 v9, v1
	s_mov_b64 s[4:5], 0
	v_mov_b32_e32 v7, v13
	v_mov_b32_e32 v8, v0
                                        ; implicit-def: $sgpr58_sgpr59
	s_branch .LBB216_245
.LBB216_243:                            ;   in Loop: Header=BB216_245 Depth=2
	s_or_b64 exec, exec, s[52:53]
	s_waitcnt lgkmcnt(0)
	s_barrier
	ds_read_b32 v26, v3 offset:3072
	s_mov_b64 s[52:53], -1
	s_mov_b64 s[56:57], -1
	s_waitcnt lgkmcnt(0)
	s_barrier
	v_and_b32_e32 v27, 0x7fff, v26
	v_cmp_eq_u32_e32 vcc, 0, v27
	s_cbranch_vccnz .LBB216_248
.LBB216_244:                            ;   in Loop: Header=BB216_245 Depth=2
	s_and_b64 s[52:53], exec, s[52:53]
	s_or_b64 s[4:5], s[52:53], s[4:5]
	s_andn2_b64 s[52:53], s[58:59], exec
	s_and_b64 s[56:57], s[56:57], exec
	s_or_b64 s[58:59], s[52:53], s[56:57]
	s_andn2_b64 exec, exec, s[4:5]
	s_cbranch_execz .LBB216_249
.LBB216_245:                            ;   Parent Loop BB216_6 Depth=1
                                        ; =>  This Inner Loop Header: Depth=2
	v_cmp_gt_u64_e32 vcc, s[28:29], v[8:9]
	s_and_saveexec_b64 s[52:53], vcc
	s_cbranch_execz .LBB216_243
; %bb.246:                              ;   in Loop: Header=BB216_245 Depth=2
	global_load_ushort v26, v[6:7], off
	s_waitcnt vmcnt(0)
	v_cmp_lt_i16_e32 vcc, -1, v26
	v_cndmask_b32_e32 v27, v41, v42, vcc
	v_lshlrev_b32_e32 v48, 16, v26
	v_cmp_o_f32_e32 vcc, v48, v48
	v_xor_b32_sdwa v27, v27, v26 dst_sel:DWORD dst_unused:UNUSED_PAD src0_sel:DWORD src1_sel:WORD_0
	v_cndmask_b32_e32 v27, v41, v27, vcc
	v_and_b32_e32 v27, v27, v10
	v_cmp_eq_u32_e32 vcc, v27, v11
	s_and_b64 exec, exec, vcc
	s_cbranch_execz .LBB216_243
; %bb.247:                              ;   in Loop: Header=BB216_245 Depth=2
	s_movk_i32 s56, 0x3f80
	v_perm_b32 v26, v26, s56, v45
	ds_write_b32 v3, v26 offset:3072
	s_branch .LBB216_243
.LBB216_248:                            ;   in Loop: Header=BB216_245 Depth=2
	v_add_co_u32_e32 v8, vcc, s33, v8
	v_addc_co_u32_e32 v9, vcc, 0, v9, vcc
	v_mov_b32_e32 v27, s35
	v_add_co_u32_e32 v6, vcc, s34, v6
	v_addc_co_u32_e32 v7, vcc, v7, v27, vcc
	v_cmp_le_u64_e32 vcc, s[16:17], v[8:9]
	s_mov_b64 s[56:57], 0
	s_orn2_b64 s[52:53], vcc, exec
	s_branch .LBB216_244
.LBB216_249:                            ;   in Loop: Header=BB216_6 Depth=1
	s_or_b64 exec, exec, s[4:5]
	s_andn2_b64 s[4:5], s[66:67], exec
	s_and_b64 s[16:17], s[58:59], exec
	v_readlane_b32 s52, v52, 44
	v_lshrrev_b32_e32 v8, 16, v26
	s_or_b64 s[66:67], s[4:5], s[16:17]
	v_readlane_b32 s53, v52, 45
.LBB216_250:                            ;   in Loop: Header=BB216_6 Depth=1
	s_or_b64 exec, exec, s[10:11]
	s_mov_b64 s[4:5], -1
	s_mov_b64 s[56:57], 0
	v_writelane_b32 v52, s4, 58
	v_writelane_b32 v52, s5, 59
.LBB216_251:                            ;   in Loop: Header=BB216_6 Depth=1
	s_orn2_b64 s[4:5], s[66:67], exec
.LBB216_252:                            ;   in Loop: Header=BB216_6 Depth=1
	v_readlane_b32 s10, v52, 56
	v_readlane_b32 s11, v52, 57
	s_or_b64 exec, exec, s[10:11]
	s_mov_b64 s[16:17], 0
	s_and_saveexec_b64 s[10:11], s[4:5]
	s_cbranch_execz .LBB216_263
; %bb.253:                              ;   in Loop: Header=BB216_6 Depth=1
	v_readlane_b32 s4, v52, 54
	v_readlane_b32 s5, v52, 55
	v_mov_b32_e32 v6, 1
	s_xor_b64 s[16:17], s[4:5], -1
	v_mov_b32_e32 v7, 0
	v_mov_b32_e32 v2, 1
	s_and_saveexec_b64 s[4:5], s[16:17]
	s_cbranch_execz .LBB216_262
; %bb.254:                              ;   in Loop: Header=BB216_6 Depth=1
	v_cmp_ge_u64_e32 vcc, s[44:45], v[4:5]
	s_and_saveexec_b64 s[16:17], vcc
	s_xor_b64 s[16:17], exec, s[16:17]
	s_cbranch_execz .LBB216_259
; %bb.255:                              ;   in Loop: Header=BB216_6 Depth=1
	ds_read_b64 v[6:7], v3 offset:5120
	v_or_b32_e32 v11, s63, v11
	v_or_b32_e32 v10, s63, v10
	s_waitcnt lgkmcnt(0)
	v_cmp_ne_u64_e32 vcc, 0, v[6:7]
	s_cbranch_vccnz .LBB216_259
; %bb.256:                              ;   in Loop: Header=BB216_6 Depth=1
	s_mov_b64 s[58:59], s[56:57]
	s_mov_b64 s[52:53], exec
	v_readlane_b32 s56, v52, 8
	v_readlane_b32 s57, v52, 9
	s_and_b64 s[56:57], s[52:53], s[56:57]
	s_mov_b64 exec, s[56:57]
; %bb.257:                              ;   in Loop: Header=BB216_6 Depth=1
	v_mov_b32_e32 v6, s44
	v_mov_b32_e32 v7, s45
	ds_write_b64 v3, v[6:7] offset:5128
; %bb.258:                              ;   in Loop: Header=BB216_6 Depth=1
	s_or_b64 exec, exec, s[52:53]
	s_mov_b64 s[56:57], s[58:59]
	s_waitcnt lgkmcnt(0)
	s_barrier
.LBB216_259:                            ;   in Loop: Header=BB216_6 Depth=1
	s_andn2_saveexec_b64 s[16:17], s[16:17]
; %bb.260:                              ;   in Loop: Header=BB216_6 Depth=1
	v_mov_b32_e32 v2, s45
	v_subrev_co_u32_e32 v4, vcc, s44, v4
	v_subb_co_u32_e32 v5, vcc, v5, v2, vcc
; %bb.261:                              ;   in Loop: Header=BB216_6 Depth=1
	s_or_b64 exec, exec, s[16:17]
	v_mov_b32_e32 v7, v5
	v_readlane_b32 s52, v52, 44
	v_mov_b32_e32 v2, 8
	v_mov_b32_e32 v6, v4
	v_readlane_b32 s53, v52, 45
.LBB216_262:                            ;   in Loop: Header=BB216_6 Depth=1
	s_or_b64 exec, exec, s[4:5]
	v_mov_b32_e32 v4, v6
	s_mov_b64 s[16:17], exec
	v_mov_b32_e32 v5, v7
.LBB216_263:                            ;   in Loop: Header=BB216_6 Depth=1
	s_or_b64 exec, exec, s[10:11]
	s_orn2_b64 s[4:5], s[16:17], exec
.LBB216_264:                            ;   in Loop: Header=BB216_6 Depth=1
	s_or_b64 exec, exec, s[8:9]
	v_readlane_b32 s8, v52, 50
	v_readlane_b32 s10, v52, 58
	;; [unrolled: 1-line block ×4, first 2 shown]
	s_andn2_b64 s[8:9], s[8:9], exec
	s_and_b64 s[10:11], s[10:11], exec
	s_or_b64 s[8:9], s[8:9], s[10:11]
	v_writelane_b32 v52, s8, 50
	v_writelane_b32 v52, s9, 51
	v_readlane_b32 s8, v52, 52
	v_readlane_b32 s9, v52, 53
	s_andn2_b64 s[8:9], s[8:9], exec
	s_and_b64 s[10:11], s[56:57], exec
	s_or_b64 s[8:9], s[8:9], s[10:11]
	v_mov_b32_e32 v7, v5
	v_writelane_b32 v52, s8, 52
	s_and_b64 s[10:11], s[4:5], exec
	v_mov_b32_e32 v6, v4
	v_writelane_b32 v52, s9, 53
.LBB216_265:                            ;   in Loop: Header=BB216_6 Depth=1
	s_or_b64 exec, exec, s[40:41]
	s_orn2_b64 s[4:5], s[10:11], exec
.LBB216_266:                            ;   in Loop: Header=BB216_6 Depth=1
	s_or_b64 exec, exec, s[20:21]
	v_readlane_b32 s10, v52, 50
	v_readlane_b32 s11, v52, 51
	s_andn2_b64 s[8:9], s[48:49], exec
	s_and_b64 s[10:11], s[10:11], exec
	s_or_b64 s[48:49], s[8:9], s[10:11]
	v_readlane_b32 s10, v52, 52
	v_readlane_b32 s11, v52, 53
	s_andn2_b64 s[8:9], s[46:47], exec
	s_and_b64 s[10:11], s[10:11], exec
	v_mov_b32_e32 v4, v6
	s_or_b64 s[46:47], s[8:9], s[10:11]
	s_and_b64 s[10:11], s[4:5], exec
	v_mov_b32_e32 v5, v7
.LBB216_267:                            ;   in Loop: Header=BB216_6 Depth=1
	s_or_b64 exec, exec, s[38:39]
	s_orn2_b64 s[4:5], s[10:11], exec
.LBB216_268:                            ;   in Loop: Header=BB216_6 Depth=1
	s_or_b64 exec, exec, s[6:7]
	s_mov_b64 s[6:7], 0
	s_mov_b64 s[8:9], 0
	s_and_saveexec_b64 s[10:11], s[4:5]
	s_xor_b64 s[4:5], exec, s[10:11]
; %bb.269:                              ;   in Loop: Header=BB216_6 Depth=1
	v_cmp_eq_u32_e32 vcc, 8, v2
	v_cmp_ne_u32_e64 s[6:7], 8, v2
	s_and_b64 s[8:9], s[6:7], exec
	s_and_b64 s[6:7], vcc, exec
; %bb.270:                              ;   in Loop: Header=BB216_6 Depth=1
	s_or_b64 exec, exec, s[4:5]
	s_andn2_b64 s[2:3], s[2:3], exec
	s_and_b64 s[4:5], s[48:49], exec
	s_or_b64 s[2:3], s[2:3], s[4:5]
	s_andn2_b64 s[4:5], s[14:15], exec
	s_and_b64 s[10:11], s[46:47], exec
	s_or_b64 s[14:15], s[4:5], s[10:11]
	s_and_b64 s[46:47], s[8:9], exec
	s_and_b64 s[48:49], s[6:7], exec
.LBB216_271:                            ;   in Loop: Header=BB216_6 Depth=1
	s_or_b64 exec, exec, s[36:37]
.LBB216_272:                            ;   in Loop: Header=BB216_6 Depth=1
	s_and_b64 vcc, exec, s[12:13]
	s_cbranch_vccz .LBB216_288
; %bb.273:                              ;   in Loop: Header=BB216_6 Depth=1
	s_cmp_eq_u64 s[44:45], 1
	s_cselect_b64 s[2:3], -1, 0
	s_and_b64 s[6:7], s[2:3], s[18:19]
	s_mov_b64 s[4:5], -1
                                        ; implicit-def: $sgpr18_sgpr19
                                        ; implicit-def: $sgpr24_sgpr25
	s_and_saveexec_b64 s[2:3], s[6:7]
	s_cbranch_execz .LBB216_306
; %bb.274:                              ;   in Loop: Header=BB216_6 Depth=1
	ds_read_b64 v[4:5], v3 offset:5120
	s_waitcnt lgkmcnt(0)
	s_barrier
	v_readfirstlane_b32 s10, v4
	v_readfirstlane_b32 s11, v5
	s_mov_b64 s[4:5], exec
	v_readlane_b32 s8, v52, 28
	v_readlane_b32 s9, v52, 29
	s_and_b64 s[8:9], s[4:5], s[8:9]
	s_mov_b64 exec, s[8:9]
; %bb.275:                              ;   in Loop: Header=BB216_6 Depth=1
	ds_write_b16 v40, v3
; %bb.276:                              ;   in Loop: Header=BB216_6 Depth=1
	s_or_b64 exec, exec, s[4:5]
	v_or_b32_e32 v38, s63, v38
	v_or_b32_e32 v46, s63, v46
	s_mov_b64 s[24:25], -1
	s_mov_b64 s[18:19], 0
	s_cmp_eq_u64 s[10:11], 0
	s_mov_b64 s[8:9], 0
	s_mov_b64 s[12:13], -1
	s_waitcnt lgkmcnt(0)
	s_barrier
                                        ; implicit-def: $vgpr47
	s_cbranch_scc1 .LBB216_291
; %bb.277:                              ;   in Loop: Header=BB216_6 Depth=1
	s_add_u32 s14, s10, s61
	v_readlane_b32 s4, v52, 33
	s_addc_u32 s9, s11, s4
	s_mov_b32 s8, s55
	s_cmp_lg_u64 s[8:9], 0
	s_cbranch_scc0 .LBB216_332
; %bb.278:                              ;   in Loop: Header=BB216_6 Depth=1
	v_cvt_f32_u32_e32 v2, s33
	s_sub_u32 s8, 0, s33
	s_subb_u32 s12, 0, 0
	v_mac_f32_e32 v2, 0, v43
	v_rcp_f32_e32 v2, v2
	v_mul_f32_e32 v2, 0x5f7ffffc, v2
	v_mul_f32_e32 v4, 0x2f800000, v2
	v_trunc_f32_e32 v4, v4
	v_mac_f32_e32 v2, 0xcf800000, v4
	v_cvt_u32_f32_e32 v4, v4
	v_cvt_u32_f32_e32 v2, v2
	v_readfirstlane_b32 s13, v4
	v_readfirstlane_b32 s4, v2
	s_mul_i32 s5, s8, s13
	s_mul_hi_u32 s16, s8, s4
	s_mul_i32 s15, s12, s4
	s_add_i32 s5, s16, s5
	s_mul_i32 s17, s8, s4
	s_add_i32 s5, s5, s15
	s_mul_hi_u32 s16, s4, s17
	s_mul_i32 s20, s4, s5
	s_mul_hi_u32 s15, s4, s5
	s_add_u32 s16, s16, s20
	s_addc_u32 s15, 0, s15
	s_mul_hi_u32 s21, s13, s17
	s_mul_i32 s17, s13, s17
	s_add_u32 s16, s16, s17
	s_mul_hi_u32 s20, s13, s5
	s_addc_u32 s15, s15, s21
	s_addc_u32 s16, s20, 0
	s_mul_i32 s5, s13, s5
	s_add_u32 s5, s15, s5
	s_addc_u32 s15, 0, s16
	s_add_u32 s16, s4, s5
	s_cselect_b64 s[4:5], -1, 0
	s_cmp_lg_u64 s[4:5], 0
	s_addc_u32 s13, s13, s15
	s_mul_i32 s4, s8, s13
	s_mul_hi_u32 s5, s8, s16
	s_add_i32 s4, s5, s4
	s_mul_i32 s12, s12, s16
	s_add_i32 s4, s4, s12
	s_mul_i32 s8, s8, s16
	s_mul_hi_u32 s12, s13, s8
	s_mul_i32 s15, s13, s8
	s_mul_i32 s20, s16, s4
	s_mul_hi_u32 s8, s16, s8
	s_mul_hi_u32 s17, s16, s4
	s_add_u32 s8, s8, s20
	s_addc_u32 s17, 0, s17
	s_add_u32 s8, s8, s15
	s_mul_hi_u32 s5, s13, s4
	s_addc_u32 s8, s17, s12
	s_addc_u32 s5, s5, 0
	s_mul_i32 s4, s13, s4
	s_add_u32 s4, s8, s4
	s_addc_u32 s8, 0, s5
	s_add_u32 s12, s16, s4
	s_cselect_b64 s[4:5], -1, 0
	s_cmp_lg_u64 s[4:5], 0
	s_addc_u32 s4, s13, s8
	s_mul_i32 s8, s14, s4
	s_mul_hi_u32 s13, s14, s12
	s_mul_hi_u32 s5, s14, s4
	s_add_u32 s8, s13, s8
	s_addc_u32 s5, 0, s5
	s_mul_hi_u32 s15, s9, s12
	s_mul_i32 s12, s9, s12
	s_add_u32 s8, s8, s12
	s_mul_hi_u32 s13, s9, s4
	s_addc_u32 s5, s5, s15
	s_addc_u32 s8, s13, 0
	s_mul_i32 s4, s9, s4
	s_add_u32 s4, s5, s4
	s_addc_u32 s5, 0, s8
	s_mul_i32 s5, s33, s5
	s_mul_hi_u32 s8, s33, s4
	s_add_i32 s8, s8, s5
	s_mul_i32 s4, s33, s4
	s_sub_u32 s12, s14, s4
	s_cselect_b64 s[4:5], -1, 0
	s_cmp_lg_u64 s[4:5], 0
	s_subb_u32 s8, s9, s8
	s_sub_u32 s13, s12, s33
	s_cselect_b64 s[4:5], -1, 0
	s_cmp_lg_u64 s[4:5], 0
	s_subb_u32 s15, s8, 0
	s_sub_u32 s16, s13, s33
	s_cselect_b64 s[4:5], -1, 0
	s_cmp_lg_u64 s[4:5], 0
	s_subb_u32 s4, s15, 0
	s_cmp_ge_u32 s13, s33
	s_cselect_b32 s5, -1, 0
	s_cmp_eq_u32 s15, 0
	s_cselect_b32 s5, s5, -1
	s_cmp_lg_u32 s5, 0
	s_cselect_b32 s4, s4, s15
	s_cselect_b32 s13, s16, s13
	s_cmp_ge_u32 s12, s33
	s_cselect_b32 s5, -1, 0
	s_cmp_eq_u32 s8, 0
	s_cselect_b32 s5, s5, -1
	s_cmp_lg_u32 s5, 0
	s_cselect_b32 s5, s4, s8
	s_cselect_b32 s4, s13, s12
	s_cbranch_execnz .LBB216_280
.LBB216_279:                            ;   in Loop: Header=BB216_6 Depth=1
	v_cvt_f32_u32_e32 v2, s33
	s_sub_i32 s4, 0, s33
	v_rcp_iflag_f32_e32 v2, v2
	v_mul_f32_e32 v2, 0x4f7ffffe, v2
	v_cvt_u32_f32_e32 v2, v2
	v_readfirstlane_b32 s5, v2
	s_mul_i32 s4, s4, s5
	s_mul_hi_u32 s4, s5, s4
	s_add_i32 s5, s5, s4
	s_mul_hi_u32 s4, s14, s5
	s_mul_i32 s4, s4, s33
	s_sub_i32 s4, s14, s4
	s_sub_i32 s5, s4, s33
	s_cmp_ge_u32 s4, s33
	s_cselect_b32 s4, s5, s4
	s_sub_i32 s5, s4, s33
	s_cmp_ge_u32 s4, s33
	s_cselect_b32 s54, s5, s4
	s_mov_b64 s[4:5], s[54:55]
	v_readlane_b32 s54, v52, 46
.LBB216_280:                            ;   in Loop: Header=BB216_6 Depth=1
	s_sub_u32 s4, s14, s4
	s_subb_u32 s5, s9, s5
	v_cmp_gt_u64_e32 vcc, s[4:5], v[0:1]
	s_mov_b64 s[12:13], 0
	s_mov_b64 s[8:9], 0
                                        ; implicit-def: $vgpr47
	s_and_saveexec_b64 s[14:15], vcc
	s_cbranch_execz .LBB216_290
; %bb.281:                              ;   in Loop: Header=BB216_6 Depth=1
	v_mov_b32_e32 v5, v1
	v_mov_b32_e32 v2, v39
	;; [unrolled: 1-line block ×3, first 2 shown]
                                        ; implicit-def: $sgpr16_sgpr17
	s_branch .LBB216_284
.LBB216_282:                            ;   in Loop: Header=BB216_284 Depth=2
	s_or_b64 exec, exec, s[20:21]
	s_waitcnt lgkmcnt(0)
	s_barrier
	ds_read_b32 v6, v3 offset:3072
	s_mov_b64 s[20:21], -1
	s_mov_b64 s[36:37], -1
	s_waitcnt lgkmcnt(0)
	s_barrier
	v_and_b32_e32 v7, 0x7fff, v6
	v_cmp_ne_u32_e32 vcc, 0, v7
	s_cbranch_vccz .LBB216_287
.LBB216_283:                            ;   in Loop: Header=BB216_284 Depth=2
	s_and_b64 s[20:21], exec, s[20:21]
	s_or_b64 s[8:9], s[20:21], s[8:9]
	s_andn2_b64 s[16:17], s[16:17], exec
	s_and_b64 s[20:21], s[36:37], exec
	s_or_b64 s[16:17], s[16:17], s[20:21]
	s_andn2_b64 exec, exec, s[8:9]
	s_cbranch_execz .LBB216_289
.LBB216_284:                            ;   Parent Loop BB216_6 Depth=1
                                        ; =>  This Inner Loop Header: Depth=2
	v_cmp_gt_u64_e32 vcc, s[10:11], v[4:5]
	s_and_saveexec_b64 s[20:21], vcc
	s_cbranch_execz .LBB216_282
; %bb.285:                              ;   in Loop: Header=BB216_284 Depth=2
	ds_read_u16 v6, v2
	s_waitcnt lgkmcnt(0)
	v_cmp_lt_i16_e32 vcc, -1, v6
	v_cndmask_b32_e32 v7, v41, v42, vcc
	v_lshlrev_b32_e32 v8, 16, v6
	v_cmp_o_f32_e32 vcc, v8, v8
	v_xor_b32_sdwa v7, v7, v6 dst_sel:DWORD dst_unused:UNUSED_PAD src0_sel:DWORD src1_sel:WORD_0
	v_cndmask_b32_e32 v7, v41, v7, vcc
	v_and_b32_e32 v7, v7, v46
	v_cmp_eq_u32_e32 vcc, v7, v38
	s_and_b64 exec, exec, vcc
	s_cbranch_execz .LBB216_282
; %bb.286:                              ;   in Loop: Header=BB216_284 Depth=2
	s_movk_i32 s36, 0x3f80
	v_perm_b32 v6, v6, s36, v45
	ds_write_b32 v3, v6 offset:3072
	s_branch .LBB216_282
.LBB216_287:                            ;   in Loop: Header=BB216_284 Depth=2
	v_add_co_u32_e32 v4, vcc, s33, v4
	v_addc_co_u32_e32 v5, vcc, 0, v5, vcc
	v_cmp_le_u64_e32 vcc, s[4:5], v[4:5]
	v_add_u32_e32 v2, s69, v2
	s_mov_b64 s[36:37], 0
	s_orn2_b64 s[20:21], vcc, exec
	s_branch .LBB216_283
.LBB216_288:                            ;   in Loop: Header=BB216_6 Depth=1
	s_mov_b64 s[18:19], 0
	v_mov_b32_e32 v38, v11
	v_mov_b32_e32 v46, v10
	;; [unrolled: 1-line block ×3, first 2 shown]
	s_and_saveexec_b64 s[4:5], s[48:49]
	s_cbranch_execnz .LBB216_465
	s_branch .LBB216_466
.LBB216_289:                            ;   in Loop: Header=BB216_6 Depth=1
	s_or_b64 exec, exec, s[8:9]
	v_lshrrev_b32_e32 v47, 16, v6
	s_and_b64 s[8:9], s[16:17], exec
.LBB216_290:                            ;   in Loop: Header=BB216_6 Depth=1
	s_or_b64 exec, exec, s[14:15]
.LBB216_291:                            ;   in Loop: Header=BB216_6 Depth=1
	s_and_b64 vcc, exec, s[12:13]
	s_cbranch_vccz .LBB216_305
; %bb.292:                              ;   in Loop: Header=BB216_6 Depth=1
	v_readlane_b32 s18, v52, 34
	v_readlane_b32 s19, v52, 35
	s_mov_b32 s18, s55
	s_cmp_lg_u64 s[18:19], 0
	v_writelane_b32 v52, s18, 34
	v_writelane_b32 v52, s19, 35
	s_cbranch_scc0 .LBB216_333
; %bb.293:                              ;   in Loop: Header=BB216_6 Depth=1
	v_cvt_f32_u32_e32 v2, s33
	s_sub_u32 s10, 0, s33
	s_subb_u32 s11, 0, 0
	v_mac_f32_e32 v2, 0, v43
	v_rcp_f32_e32 v2, v2
	v_mul_f32_e32 v2, 0x5f7ffffc, v2
	v_mul_f32_e32 v4, 0x2f800000, v2
	v_trunc_f32_e32 v4, v4
	v_mac_f32_e32 v2, 0xcf800000, v4
	v_cvt_u32_f32_e32 v4, v4
	v_cvt_u32_f32_e32 v2, v2
	v_readfirstlane_b32 s12, v4
	v_readfirstlane_b32 s4, v2
	s_mul_i32 s5, s10, s12
	s_mul_hi_u32 s14, s10, s4
	s_mul_i32 s13, s11, s4
	s_add_i32 s5, s14, s5
	s_mul_i32 s15, s10, s4
	s_add_i32 s5, s5, s13
	s_mul_hi_u32 s14, s4, s15
	s_mul_i32 s16, s4, s5
	s_mul_hi_u32 s13, s4, s5
	s_add_u32 s14, s14, s16
	s_addc_u32 s13, 0, s13
	s_mul_hi_u32 s17, s12, s15
	s_mul_i32 s15, s12, s15
	s_add_u32 s14, s14, s15
	s_mul_hi_u32 s16, s12, s5
	s_addc_u32 s13, s13, s17
	s_addc_u32 s14, s16, 0
	s_mul_i32 s5, s12, s5
	s_add_u32 s5, s13, s5
	s_addc_u32 s13, 0, s14
	s_add_u32 s14, s4, s5
	s_cselect_b64 s[4:5], -1, 0
	s_cmp_lg_u64 s[4:5], 0
	s_addc_u32 s12, s12, s13
	s_mul_i32 s4, s10, s12
	s_mul_hi_u32 s5, s10, s14
	s_add_i32 s4, s5, s4
	s_mul_i32 s11, s11, s14
	s_add_i32 s4, s4, s11
	s_mul_i32 s10, s10, s14
	s_mul_hi_u32 s11, s12, s10
	s_mul_i32 s13, s12, s10
	s_mul_i32 s16, s14, s4
	s_mul_hi_u32 s10, s14, s10
	s_mul_hi_u32 s15, s14, s4
	s_add_u32 s10, s10, s16
	s_addc_u32 s15, 0, s15
	s_add_u32 s10, s10, s13
	s_mul_hi_u32 s5, s12, s4
	s_addc_u32 s10, s15, s11
	s_addc_u32 s5, s5, 0
	s_mul_i32 s4, s12, s4
	s_add_u32 s4, s10, s4
	s_addc_u32 s10, 0, s5
	s_add_u32 s11, s14, s4
	s_cselect_b64 s[4:5], -1, 0
	s_cmp_lg_u64 s[4:5], 0
	s_addc_u32 s4, s12, s10
	v_readlane_b32 s14, v52, 32
	s_mul_i32 s10, s14, s4
	s_mul_hi_u32 s12, s14, s11
	s_mul_hi_u32 s5, s14, s4
	s_add_u32 s10, s12, s10
	s_addc_u32 s5, 0, s5
	s_mul_hi_u32 s13, s19, s11
	s_mul_i32 s11, s19, s11
	s_add_u32 s10, s10, s11
	s_mul_hi_u32 s12, s19, s4
	s_addc_u32 s5, s5, s13
	s_addc_u32 s10, s12, 0
	s_mul_i32 s4, s19, s4
	s_add_u32 s4, s5, s4
	s_addc_u32 s5, 0, s10
	s_mul_i32 s5, s33, s5
	s_mul_hi_u32 s10, s33, s4
	s_add_i32 s10, s10, s5
	s_mul_i32 s4, s33, s4
	s_sub_u32 s11, s14, s4
	s_cselect_b64 s[4:5], -1, 0
	s_cmp_lg_u64 s[4:5], 0
	s_subb_u32 s10, s19, s10
	s_sub_u32 s12, s11, s33
	s_cselect_b64 s[4:5], -1, 0
	s_cmp_lg_u64 s[4:5], 0
	s_subb_u32 s13, s10, 0
	;; [unrolled: 4-line block ×3, first 2 shown]
	s_cmp_ge_u32 s12, s33
	s_cselect_b32 s5, -1, 0
	s_cmp_eq_u32 s13, 0
	s_cselect_b32 s5, s5, -1
	s_cmp_lg_u32 s5, 0
	s_cselect_b32 s4, s4, s13
	s_cselect_b32 s12, s14, s12
	s_cmp_ge_u32 s11, s33
	s_cselect_b32 s5, -1, 0
	s_cmp_eq_u32 s10, 0
	s_cselect_b32 s5, s5, -1
	s_cmp_lg_u32 s5, 0
	s_cselect_b32 s5, s4, s10
	s_cselect_b32 s4, s12, s11
	s_cbranch_execnz .LBB216_295
.LBB216_294:                            ;   in Loop: Header=BB216_6 Depth=1
	v_cvt_f32_u32_e32 v2, s33
	s_sub_i32 s4, 0, s33
	v_readlane_b32 s10, v52, 32
	v_rcp_iflag_f32_e32 v2, v2
	v_mul_f32_e32 v2, 0x4f7ffffe, v2
	v_cvt_u32_f32_e32 v2, v2
	v_readfirstlane_b32 s5, v2
	s_mul_i32 s4, s4, s5
	s_mul_hi_u32 s4, s5, s4
	s_add_i32 s5, s5, s4
	s_mul_hi_u32 s4, s10, s5
	s_mul_i32 s4, s4, s33
	s_sub_i32 s4, s10, s4
	s_sub_i32 s5, s4, s33
	s_cmp_ge_u32 s4, s33
	s_cselect_b32 s4, s5, s4
	s_sub_i32 s5, s4, s33
	s_cmp_ge_u32 s4, s33
	s_cselect_b32 s54, s5, s4
	s_mov_b64 s[4:5], s[54:55]
	v_readlane_b32 s54, v52, 46
.LBB216_295:                            ;   in Loop: Header=BB216_6 Depth=1
	v_readlane_b32 s10, v52, 32
	s_sub_u32 s12, s10, s4
	v_readlane_b32 s10, v52, 34
	v_readlane_b32 s11, v52, 35
	s_subb_u32 s13, s11, s5
	v_cmp_gt_u64_e32 vcc, s[12:13], v[0:1]
                                        ; implicit-def: $vgpr47
	s_and_saveexec_b64 s[10:11], vcc
	s_cbranch_execz .LBB216_304
; %bb.296:                              ;   in Loop: Header=BB216_6 Depth=1
	v_mov_b32_e32 v4, v12
	v_mov_b32_e32 v7, v1
	s_mov_b64 s[4:5], 0
	v_mov_b32_e32 v5, v13
	v_mov_b32_e32 v6, v0
                                        ; implicit-def: $sgpr14_sgpr15
	s_branch .LBB216_299
.LBB216_297:                            ;   in Loop: Header=BB216_299 Depth=2
	s_or_b64 exec, exec, s[16:17]
	s_waitcnt lgkmcnt(0)
	s_barrier
	ds_read_b32 v2, v3 offset:3072
	s_mov_b64 s[16:17], -1
	s_mov_b64 s[18:19], -1
	s_waitcnt lgkmcnt(0)
	s_barrier
	v_and_b32_e32 v8, 0x7fff, v2
	v_cmp_ne_u32_e32 vcc, 0, v8
	s_cbranch_vccz .LBB216_302
.LBB216_298:                            ;   in Loop: Header=BB216_299 Depth=2
	s_and_b64 s[16:17], exec, s[16:17]
	s_or_b64 s[4:5], s[16:17], s[4:5]
	s_andn2_b64 s[14:15], s[14:15], exec
	s_and_b64 s[16:17], s[18:19], exec
	s_or_b64 s[14:15], s[14:15], s[16:17]
	s_andn2_b64 exec, exec, s[4:5]
	s_cbranch_execz .LBB216_303
.LBB216_299:                            ;   Parent Loop BB216_6 Depth=1
                                        ; =>  This Inner Loop Header: Depth=2
	v_cmp_gt_u64_e32 vcc, s[28:29], v[6:7]
	s_and_saveexec_b64 s[16:17], vcc
	s_cbranch_execz .LBB216_297
; %bb.300:                              ;   in Loop: Header=BB216_299 Depth=2
	global_load_ushort v2, v[4:5], off
	s_waitcnt vmcnt(0)
	v_cmp_lt_i16_e32 vcc, -1, v2
	v_cndmask_b32_e32 v8, v41, v42, vcc
	v_lshlrev_b32_e32 v9, 16, v2
	v_cmp_o_f32_e32 vcc, v9, v9
	v_xor_b32_sdwa v8, v8, v2 dst_sel:DWORD dst_unused:UNUSED_PAD src0_sel:DWORD src1_sel:WORD_0
	v_cndmask_b32_e32 v8, v41, v8, vcc
	v_and_b32_e32 v8, v8, v46
	v_cmp_eq_u32_e32 vcc, v8, v38
	s_and_b64 exec, exec, vcc
	s_cbranch_execz .LBB216_297
; %bb.301:                              ;   in Loop: Header=BB216_299 Depth=2
	s_movk_i32 s18, 0x3f80
	v_perm_b32 v2, v2, s18, v45
	ds_write_b32 v3, v2 offset:3072
	s_branch .LBB216_297
.LBB216_302:                            ;   in Loop: Header=BB216_299 Depth=2
	v_add_co_u32_e32 v6, vcc, s33, v6
	v_addc_co_u32_e32 v7, vcc, 0, v7, vcc
	v_mov_b32_e32 v8, s35
	v_add_co_u32_e32 v4, vcc, s34, v4
	v_addc_co_u32_e32 v5, vcc, v5, v8, vcc
	v_cmp_le_u64_e32 vcc, s[12:13], v[6:7]
	s_mov_b64 s[18:19], 0
	s_orn2_b64 s[16:17], vcc, exec
	s_branch .LBB216_298
.LBB216_303:                            ;   in Loop: Header=BB216_6 Depth=1
	s_or_b64 exec, exec, s[4:5]
	s_andn2_b64 s[4:5], s[8:9], exec
	s_and_b64 s[8:9], s[14:15], exec
	v_lshrrev_b32_e32 v47, 16, v2
	s_or_b64 s[8:9], s[4:5], s[8:9]
.LBB216_304:                            ;   in Loop: Header=BB216_6 Depth=1
	s_or_b64 exec, exec, s[10:11]
	s_mov_b64 s[24:25], 0
	s_mov_b64 s[18:19], -1
.LBB216_305:                            ;   in Loop: Header=BB216_6 Depth=1
	s_orn2_b64 s[4:5], s[8:9], exec
.LBB216_306:                            ;   in Loop: Header=BB216_6 Depth=1
	s_or_b64 exec, exec, s[2:3]
                                        ; implicit-def: $vgpr4_vgpr5
                                        ; implicit-def: $vgpr2
	s_and_saveexec_b64 s[2:3], s[4:5]
	s_cbranch_execz .LBB216_464
; %bb.307:                              ;   in Loop: Header=BB216_6 Depth=1
	v_mov_b32_e32 v4, 1
	s_xor_b64 s[4:5], s[6:7], -1
	v_mov_b32_e32 v2, 1
	v_mov_b32_e32 v5, 0
	s_mov_b64 s[8:9], 0
	s_and_saveexec_b64 s[6:7], s[4:5]
	s_cbranch_execz .LBB216_316
; %bb.308:                              ;   in Loop: Header=BB216_6 Depth=1
	v_cmp_ge_u64_e32 vcc, s[44:45], v[24:25]
	s_and_saveexec_b64 s[4:5], vcc
	s_xor_b64 s[4:5], exec, s[4:5]
	s_cbranch_execz .LBB216_313
; %bb.309:                              ;   in Loop: Header=BB216_6 Depth=1
	ds_read_b64 v[4:5], v3 offset:5120
	v_or_b32_e32 v38, s63, v38
	v_or_b32_e32 v46, s63, v46
	s_waitcnt lgkmcnt(0)
	v_cmp_ne_u64_e32 vcc, 0, v[4:5]
	s_cbranch_vccnz .LBB216_313
; %bb.310:                              ;   in Loop: Header=BB216_6 Depth=1
	s_mov_b64 s[8:9], exec
	v_readlane_b32 s10, v52, 8
	v_readlane_b32 s11, v52, 9
	s_and_b64 s[10:11], s[8:9], s[10:11]
	s_mov_b64 exec, s[10:11]
; %bb.311:                              ;   in Loop: Header=BB216_6 Depth=1
	v_mov_b32_e32 v4, s44
	v_mov_b32_e32 v5, s45
	ds_write_b64 v3, v[4:5] offset:5128
; %bb.312:                              ;   in Loop: Header=BB216_6 Depth=1
	s_or_b64 exec, exec, s[8:9]
	s_waitcnt lgkmcnt(0)
	s_barrier
.LBB216_313:                            ;   in Loop: Header=BB216_6 Depth=1
	s_or_saveexec_b64 s[4:5], s[4:5]
	s_mov_b64 s[8:9], 0
	v_mov_b32_e32 v2, 5
	s_xor_b64 exec, exec, s[4:5]
; %bb.314:                              ;   in Loop: Header=BB216_6 Depth=1
	v_subrev_co_u32_e32 v24, vcc, s44, v24
	v_mov_b32_e32 v2, s45
	v_subb_co_u32_e32 v25, vcc, v25, v2, vcc
	v_mov_b32_e32 v2, 0
	s_mov_b64 s[8:9], exec
; %bb.315:                              ;   in Loop: Header=BB216_6 Depth=1
	s_or_b64 exec, exec, s[4:5]
	v_mov_b32_e32 v4, v24
	s_and_b64 s[8:9], s[8:9], exec
	v_mov_b32_e32 v5, v25
.LBB216_316:                            ;   in Loop: Header=BB216_6 Depth=1
	s_or_b64 exec, exec, s[6:7]
	s_mov_b64 s[4:5], -1
                                        ; implicit-def: $sgpr12_sgpr13
                                        ; implicit-def: $sgpr14_sgpr15
	s_and_saveexec_b64 s[6:7], s[8:9]
	s_xor_b64 s[6:7], exec, s[6:7]
	s_cbranch_execz .LBB216_461
; %bb.317:                              ;   in Loop: Header=BB216_6 Depth=1
	s_cmp_eq_u64 s[42:43], 1
	v_cmp_eq_u64_e32 vcc, 1, v[4:5]
	s_cselect_b64 s[4:5], -1, 0
	s_and_b64 s[8:9], s[4:5], vcc
	s_mov_b64 s[4:5], -1
                                        ; implicit-def: $sgpr14_sgpr15
                                        ; implicit-def: $sgpr12_sgpr13
	s_and_saveexec_b64 s[20:21], s[8:9]
	s_cbranch_execz .LBB216_351
; %bb.318:                              ;   in Loop: Header=BB216_6 Depth=1
	ds_read_b64 v[6:7], v3 offset:5120
	s_waitcnt lgkmcnt(0)
	s_barrier
	v_readfirstlane_b32 s36, v6
	v_readfirstlane_b32 s37, v7
	s_mov_b64 s[4:5], exec
	v_readlane_b32 s10, v52, 28
	v_readlane_b32 s11, v52, 29
	s_and_b64 s[10:11], s[4:5], s[10:11]
	s_mov_b64 exec, s[10:11]
; %bb.319:                              ;   in Loop: Header=BB216_6 Depth=1
	ds_write_b16 v40, v3
; %bb.320:                              ;   in Loop: Header=BB216_6 Depth=1
	s_or_b64 exec, exec, s[4:5]
	v_and_b32_e32 v6, s60, v38
	v_lshl_or_b32 v38, 2, s62, v6
	v_or_b32_e32 v46, s63, v46
	s_mov_b64 s[12:13], -1
	s_mov_b64 s[14:15], 0
	s_cmp_eq_u64 s[36:37], 0
	s_mov_b64 s[10:11], 0
	s_mov_b64 s[38:39], -1
	s_waitcnt lgkmcnt(0)
	s_barrier
                                        ; implicit-def: $vgpr47
	s_cbranch_scc1 .LBB216_336
; %bb.321:                              ;   in Loop: Header=BB216_6 Depth=1
	s_add_u32 s38, s36, s61
	v_readlane_b32 s4, v52, 33
	s_addc_u32 s11, s37, s4
	s_mov_b32 s10, s55
	s_cmp_lg_u64 s[10:11], 0
	s_cbranch_scc0 .LBB216_377
; %bb.322:                              ;   in Loop: Header=BB216_6 Depth=1
	v_cvt_f32_u32_e32 v6, s33
	s_sub_u32 s10, 0, s33
	s_subb_u32 s16, 0, 0
	v_mac_f32_e32 v6, 0, v43
	v_rcp_f32_e32 v6, v6
	v_mul_f32_e32 v6, 0x5f7ffffc, v6
	v_mul_f32_e32 v7, 0x2f800000, v6
	v_trunc_f32_e32 v7, v7
	v_mac_f32_e32 v6, 0xcf800000, v7
	v_cvt_u32_f32_e32 v7, v7
	v_cvt_u32_f32_e32 v6, v6
	v_readfirstlane_b32 s17, v7
	v_readfirstlane_b32 s4, v6
	s_mul_i32 s5, s10, s17
	s_mul_hi_u32 s40, s10, s4
	s_mul_i32 s39, s16, s4
	s_add_i32 s5, s40, s5
	s_mul_i32 s41, s10, s4
	s_add_i32 s5, s5, s39
	s_mul_hi_u32 s40, s4, s41
	s_mul_i32 s44, s4, s5
	s_mul_hi_u32 s39, s4, s5
	s_add_u32 s40, s40, s44
	s_addc_u32 s39, 0, s39
	s_mul_hi_u32 s45, s17, s41
	s_mul_i32 s41, s17, s41
	s_add_u32 s40, s40, s41
	s_mul_hi_u32 s44, s17, s5
	s_addc_u32 s39, s39, s45
	s_addc_u32 s40, s44, 0
	s_mul_i32 s5, s17, s5
	s_add_u32 s5, s39, s5
	s_addc_u32 s39, 0, s40
	s_add_u32 s40, s4, s5
	s_cselect_b64 s[4:5], -1, 0
	s_cmp_lg_u64 s[4:5], 0
	s_addc_u32 s17, s17, s39
	s_mul_i32 s4, s10, s17
	s_mul_hi_u32 s5, s10, s40
	s_add_i32 s4, s5, s4
	s_mul_i32 s16, s16, s40
	s_add_i32 s4, s4, s16
	s_mul_i32 s10, s10, s40
	s_mul_hi_u32 s16, s17, s10
	s_mul_i32 s39, s17, s10
	s_mul_i32 s44, s40, s4
	s_mul_hi_u32 s10, s40, s10
	s_mul_hi_u32 s41, s40, s4
	s_add_u32 s10, s10, s44
	s_addc_u32 s41, 0, s41
	s_add_u32 s10, s10, s39
	s_mul_hi_u32 s5, s17, s4
	s_addc_u32 s10, s41, s16
	s_addc_u32 s5, s5, 0
	s_mul_i32 s4, s17, s4
	s_add_u32 s4, s10, s4
	s_addc_u32 s10, 0, s5
	s_add_u32 s16, s40, s4
	s_cselect_b64 s[4:5], -1, 0
	s_cmp_lg_u64 s[4:5], 0
	s_addc_u32 s4, s17, s10
	s_mul_i32 s10, s38, s4
	s_mul_hi_u32 s17, s38, s16
	s_mul_hi_u32 s5, s38, s4
	s_add_u32 s10, s17, s10
	s_addc_u32 s5, 0, s5
	s_mul_hi_u32 s39, s11, s16
	s_mul_i32 s16, s11, s16
	s_add_u32 s10, s10, s16
	s_mul_hi_u32 s17, s11, s4
	s_addc_u32 s5, s5, s39
	s_addc_u32 s10, s17, 0
	s_mul_i32 s4, s11, s4
	s_add_u32 s4, s5, s4
	s_addc_u32 s5, 0, s10
	s_mul_i32 s5, s33, s5
	s_mul_hi_u32 s10, s33, s4
	s_add_i32 s10, s10, s5
	s_mul_i32 s4, s33, s4
	s_sub_u32 s16, s38, s4
	s_cselect_b64 s[4:5], -1, 0
	s_cmp_lg_u64 s[4:5], 0
	s_subb_u32 s10, s11, s10
	s_sub_u32 s17, s16, s33
	s_cselect_b64 s[4:5], -1, 0
	s_cmp_lg_u64 s[4:5], 0
	s_subb_u32 s39, s10, 0
	;; [unrolled: 4-line block ×3, first 2 shown]
	s_cmp_ge_u32 s17, s33
	s_cselect_b32 s5, -1, 0
	s_cmp_eq_u32 s39, 0
	s_cselect_b32 s5, s5, -1
	s_cmp_lg_u32 s5, 0
	s_cselect_b32 s4, s4, s39
	s_cselect_b32 s17, s40, s17
	s_cmp_ge_u32 s16, s33
	s_cselect_b32 s5, -1, 0
	s_cmp_eq_u32 s10, 0
	s_cselect_b32 s5, s5, -1
	s_cmp_lg_u32 s5, 0
	s_cselect_b32 s5, s4, s10
	s_cselect_b32 s4, s17, s16
	s_cbranch_execnz .LBB216_324
.LBB216_323:                            ;   in Loop: Header=BB216_6 Depth=1
	v_cvt_f32_u32_e32 v6, s33
	s_sub_i32 s4, 0, s33
	v_rcp_iflag_f32_e32 v6, v6
	v_mul_f32_e32 v6, 0x4f7ffffe, v6
	v_cvt_u32_f32_e32 v6, v6
	v_readfirstlane_b32 s5, v6
	s_mul_i32 s4, s4, s5
	s_mul_hi_u32 s4, s5, s4
	s_add_i32 s5, s5, s4
	s_mul_hi_u32 s4, s38, s5
	s_mul_i32 s4, s4, s33
	s_sub_i32 s4, s38, s4
	s_sub_i32 s5, s4, s33
	s_cmp_ge_u32 s4, s33
	s_cselect_b32 s4, s5, s4
	s_sub_i32 s5, s4, s33
	s_cmp_ge_u32 s4, s33
	s_cselect_b32 s54, s5, s4
	s_mov_b64 s[4:5], s[54:55]
	v_readlane_b32 s54, v52, 46
.LBB216_324:                            ;   in Loop: Header=BB216_6 Depth=1
	s_sub_u32 s4, s38, s4
	s_subb_u32 s5, s11, s5
	v_cmp_gt_u64_e32 vcc, s[4:5], v[0:1]
	s_mov_b64 s[38:39], 0
	s_mov_b64 s[10:11], 0
                                        ; implicit-def: $vgpr47
	s_and_saveexec_b64 s[16:17], vcc
	s_cbranch_execz .LBB216_335
; %bb.325:                              ;   in Loop: Header=BB216_6 Depth=1
	v_mov_b32_e32 v7, v1
	v_mov_b32_e32 v8, v39
	;; [unrolled: 1-line block ×3, first 2 shown]
                                        ; implicit-def: $sgpr40_sgpr41
	s_branch .LBB216_328
.LBB216_326:                            ;   in Loop: Header=BB216_328 Depth=2
	s_or_b64 exec, exec, s[44:45]
	s_waitcnt lgkmcnt(0)
	s_barrier
	ds_read_b32 v9, v3 offset:3072
	s_mov_b64 s[44:45], -1
	s_mov_b64 s[52:53], -1
	s_waitcnt lgkmcnt(0)
	s_barrier
	v_and_b32_e32 v10, 0x7fff, v9
	v_cmp_ne_u32_e32 vcc, 0, v10
	s_cbranch_vccz .LBB216_331
.LBB216_327:                            ;   in Loop: Header=BB216_328 Depth=2
	s_and_b64 s[44:45], exec, s[44:45]
	s_or_b64 s[10:11], s[44:45], s[10:11]
	s_andn2_b64 s[40:41], s[40:41], exec
	s_and_b64 s[44:45], s[52:53], exec
	s_or_b64 s[40:41], s[40:41], s[44:45]
	s_andn2_b64 exec, exec, s[10:11]
	s_cbranch_execz .LBB216_334
.LBB216_328:                            ;   Parent Loop BB216_6 Depth=1
                                        ; =>  This Inner Loop Header: Depth=2
	v_cmp_gt_u64_e32 vcc, s[36:37], v[6:7]
	s_and_saveexec_b64 s[44:45], vcc
	s_cbranch_execz .LBB216_326
; %bb.329:                              ;   in Loop: Header=BB216_328 Depth=2
	ds_read_u16 v9, v8
	s_waitcnt lgkmcnt(0)
	v_cmp_lt_i16_e32 vcc, -1, v9
	v_cndmask_b32_e32 v10, v41, v42, vcc
	v_lshlrev_b32_e32 v11, 16, v9
	v_cmp_o_f32_e32 vcc, v11, v11
	v_xor_b32_sdwa v10, v10, v9 dst_sel:DWORD dst_unused:UNUSED_PAD src0_sel:DWORD src1_sel:WORD_0
	v_cndmask_b32_e32 v10, v41, v10, vcc
	v_and_b32_e32 v10, v10, v46
	v_cmp_eq_u32_e32 vcc, v10, v38
	s_and_b64 exec, exec, vcc
	s_cbranch_execz .LBB216_326
; %bb.330:                              ;   in Loop: Header=BB216_328 Depth=2
	s_movk_i32 s52, 0x3f80
	v_perm_b32 v9, v9, s52, v45
	ds_write_b32 v3, v9 offset:3072
	s_branch .LBB216_326
.LBB216_331:                            ;   in Loop: Header=BB216_328 Depth=2
	v_add_co_u32_e32 v6, vcc, s33, v6
	v_addc_co_u32_e32 v7, vcc, 0, v7, vcc
	v_cmp_le_u64_e32 vcc, s[4:5], v[6:7]
	v_add_u32_e32 v8, s69, v8
	s_mov_b64 s[52:53], 0
	s_orn2_b64 s[44:45], vcc, exec
	s_branch .LBB216_327
.LBB216_332:                            ;   in Loop: Header=BB216_6 Depth=1
                                        ; implicit-def: $sgpr4_sgpr5
	s_andn2_b64 vcc, exec, s[12:13]
	s_cbranch_vccz .LBB216_279
	s_branch .LBB216_280
.LBB216_333:                            ;   in Loop: Header=BB216_6 Depth=1
                                        ; implicit-def: $sgpr4_sgpr5
	s_branch .LBB216_294
.LBB216_334:                            ;   in Loop: Header=BB216_6 Depth=1
	s_or_b64 exec, exec, s[10:11]
	v_readlane_b32 s52, v52, 44
	v_lshrrev_b32_e32 v47, 16, v9
	s_and_b64 s[10:11], s[40:41], exec
	v_readlane_b32 s53, v52, 45
.LBB216_335:                            ;   in Loop: Header=BB216_6 Depth=1
	s_or_b64 exec, exec, s[16:17]
.LBB216_336:                            ;   in Loop: Header=BB216_6 Depth=1
	s_and_b64 vcc, exec, s[38:39]
	s_cbranch_vccz .LBB216_350
; %bb.337:                              ;   in Loop: Header=BB216_6 Depth=1
	v_readlane_b32 s38, v52, 34
	v_readlane_b32 s39, v52, 35
	s_mov_b32 s38, s55
	s_cmp_lg_u64 s[38:39], 0
	v_writelane_b32 v52, s38, 34
	v_writelane_b32 v52, s39, 35
	s_cbranch_scc0 .LBB216_378
; %bb.338:                              ;   in Loop: Header=BB216_6 Depth=1
	v_cvt_f32_u32_e32 v6, s33
	s_sub_u32 s12, 0, s33
	s_subb_u32 s13, 0, 0
	v_mac_f32_e32 v6, 0, v43
	v_rcp_f32_e32 v6, v6
	v_mul_f32_e32 v6, 0x5f7ffffc, v6
	v_mul_f32_e32 v7, 0x2f800000, v6
	v_trunc_f32_e32 v7, v7
	v_mac_f32_e32 v6, 0xcf800000, v7
	v_cvt_u32_f32_e32 v7, v7
	v_cvt_u32_f32_e32 v6, v6
	v_readfirstlane_b32 s14, v7
	v_readfirstlane_b32 s4, v6
	s_mul_i32 s5, s12, s14
	s_mul_hi_u32 s16, s12, s4
	s_mul_i32 s15, s13, s4
	s_add_i32 s5, s16, s5
	s_mul_i32 s17, s12, s4
	s_add_i32 s5, s5, s15
	s_mul_hi_u32 s16, s4, s17
	s_mul_i32 s36, s4, s5
	s_mul_hi_u32 s15, s4, s5
	s_add_u32 s16, s16, s36
	s_addc_u32 s15, 0, s15
	s_mul_hi_u32 s37, s14, s17
	s_mul_i32 s17, s14, s17
	s_add_u32 s16, s16, s17
	s_mul_hi_u32 s36, s14, s5
	s_addc_u32 s15, s15, s37
	s_addc_u32 s16, s36, 0
	s_mul_i32 s5, s14, s5
	s_add_u32 s5, s15, s5
	s_addc_u32 s15, 0, s16
	s_add_u32 s16, s4, s5
	s_cselect_b64 s[4:5], -1, 0
	s_cmp_lg_u64 s[4:5], 0
	s_addc_u32 s14, s14, s15
	s_mul_i32 s4, s12, s14
	s_mul_hi_u32 s5, s12, s16
	s_add_i32 s4, s5, s4
	s_mul_i32 s13, s13, s16
	s_add_i32 s4, s4, s13
	s_mul_i32 s12, s12, s16
	s_mul_hi_u32 s13, s14, s12
	s_mul_i32 s15, s14, s12
	s_mul_i32 s36, s16, s4
	s_mul_hi_u32 s12, s16, s12
	s_mul_hi_u32 s17, s16, s4
	s_add_u32 s12, s12, s36
	s_addc_u32 s17, 0, s17
	s_add_u32 s12, s12, s15
	s_mul_hi_u32 s5, s14, s4
	s_addc_u32 s12, s17, s13
	s_addc_u32 s5, s5, 0
	s_mul_i32 s4, s14, s4
	s_add_u32 s4, s12, s4
	s_addc_u32 s12, 0, s5
	s_add_u32 s13, s16, s4
	s_cselect_b64 s[4:5], -1, 0
	s_cmp_lg_u64 s[4:5], 0
	s_addc_u32 s4, s14, s12
	v_readlane_b32 s16, v52, 32
	s_mul_i32 s12, s16, s4
	s_mul_hi_u32 s14, s16, s13
	s_mul_hi_u32 s5, s16, s4
	s_add_u32 s12, s14, s12
	s_addc_u32 s5, 0, s5
	s_mul_hi_u32 s15, s39, s13
	s_mul_i32 s13, s39, s13
	s_add_u32 s12, s12, s13
	s_mul_hi_u32 s14, s39, s4
	s_addc_u32 s5, s5, s15
	s_addc_u32 s12, s14, 0
	s_mul_i32 s4, s39, s4
	s_add_u32 s4, s5, s4
	s_addc_u32 s5, 0, s12
	s_mul_i32 s5, s33, s5
	s_mul_hi_u32 s12, s33, s4
	s_add_i32 s12, s12, s5
	s_mul_i32 s4, s33, s4
	s_sub_u32 s13, s16, s4
	s_cselect_b64 s[4:5], -1, 0
	s_cmp_lg_u64 s[4:5], 0
	s_subb_u32 s12, s39, s12
	s_sub_u32 s14, s13, s33
	s_cselect_b64 s[4:5], -1, 0
	s_cmp_lg_u64 s[4:5], 0
	s_subb_u32 s15, s12, 0
	;; [unrolled: 4-line block ×3, first 2 shown]
	s_cmp_ge_u32 s14, s33
	s_cselect_b32 s5, -1, 0
	s_cmp_eq_u32 s15, 0
	s_cselect_b32 s5, s5, -1
	s_cmp_lg_u32 s5, 0
	s_cselect_b32 s4, s4, s15
	s_cselect_b32 s14, s16, s14
	s_cmp_ge_u32 s13, s33
	s_cselect_b32 s5, -1, 0
	s_cmp_eq_u32 s12, 0
	s_cselect_b32 s5, s5, -1
	s_cmp_lg_u32 s5, 0
	s_cselect_b32 s5, s4, s12
	s_cselect_b32 s4, s14, s13
	s_cbranch_execnz .LBB216_340
.LBB216_339:                            ;   in Loop: Header=BB216_6 Depth=1
	v_cvt_f32_u32_e32 v6, s33
	s_sub_i32 s4, 0, s33
	v_readlane_b32 s12, v52, 32
	v_rcp_iflag_f32_e32 v6, v6
	v_mul_f32_e32 v6, 0x4f7ffffe, v6
	v_cvt_u32_f32_e32 v6, v6
	v_readfirstlane_b32 s5, v6
	s_mul_i32 s4, s4, s5
	s_mul_hi_u32 s4, s5, s4
	s_add_i32 s5, s5, s4
	s_mul_hi_u32 s4, s12, s5
	s_mul_i32 s4, s4, s33
	s_sub_i32 s4, s12, s4
	s_sub_i32 s5, s4, s33
	s_cmp_ge_u32 s4, s33
	s_cselect_b32 s4, s5, s4
	s_sub_i32 s5, s4, s33
	s_cmp_ge_u32 s4, s33
	s_cselect_b32 s54, s5, s4
	s_mov_b64 s[4:5], s[54:55]
	v_readlane_b32 s54, v52, 46
.LBB216_340:                            ;   in Loop: Header=BB216_6 Depth=1
	v_readlane_b32 s12, v52, 32
	s_sub_u32 s14, s12, s4
	v_readlane_b32 s12, v52, 34
	v_readlane_b32 s13, v52, 35
	s_subb_u32 s15, s13, s5
	v_cmp_gt_u64_e32 vcc, s[14:15], v[0:1]
                                        ; implicit-def: $vgpr47
	s_and_saveexec_b64 s[12:13], vcc
	s_cbranch_execz .LBB216_349
; %bb.341:                              ;   in Loop: Header=BB216_6 Depth=1
	v_mov_b32_e32 v6, v12
	v_mov_b32_e32 v9, v1
	s_mov_b64 s[4:5], 0
	v_mov_b32_e32 v7, v13
	v_mov_b32_e32 v8, v0
                                        ; implicit-def: $sgpr16_sgpr17
	s_branch .LBB216_344
.LBB216_342:                            ;   in Loop: Header=BB216_344 Depth=2
	s_or_b64 exec, exec, s[36:37]
	s_waitcnt lgkmcnt(0)
	s_barrier
	ds_read_b32 v10, v3 offset:3072
	s_mov_b64 s[36:37], -1
	s_mov_b64 s[38:39], -1
	s_waitcnt lgkmcnt(0)
	s_barrier
	v_and_b32_e32 v11, 0x7fff, v10
	v_cmp_eq_u32_e32 vcc, 0, v11
	s_cbranch_vccnz .LBB216_347
.LBB216_343:                            ;   in Loop: Header=BB216_344 Depth=2
	s_and_b64 s[36:37], exec, s[36:37]
	s_or_b64 s[4:5], s[36:37], s[4:5]
	s_andn2_b64 s[16:17], s[16:17], exec
	s_and_b64 s[36:37], s[38:39], exec
	s_or_b64 s[16:17], s[16:17], s[36:37]
	s_andn2_b64 exec, exec, s[4:5]
	s_cbranch_execz .LBB216_348
.LBB216_344:                            ;   Parent Loop BB216_6 Depth=1
                                        ; =>  This Inner Loop Header: Depth=2
	v_cmp_gt_u64_e32 vcc, s[28:29], v[8:9]
	s_and_saveexec_b64 s[36:37], vcc
	s_cbranch_execz .LBB216_342
; %bb.345:                              ;   in Loop: Header=BB216_344 Depth=2
	global_load_ushort v10, v[6:7], off
	s_waitcnt vmcnt(0)
	v_cmp_lt_i16_e32 vcc, -1, v10
	v_cndmask_b32_e32 v11, v41, v42, vcc
	v_lshlrev_b32_e32 v24, 16, v10
	v_cmp_o_f32_e32 vcc, v24, v24
	v_xor_b32_sdwa v11, v11, v10 dst_sel:DWORD dst_unused:UNUSED_PAD src0_sel:DWORD src1_sel:WORD_0
	v_cndmask_b32_e32 v11, v41, v11, vcc
	v_and_b32_e32 v11, v11, v46
	v_cmp_eq_u32_e32 vcc, v11, v38
	s_and_b64 exec, exec, vcc
	s_cbranch_execz .LBB216_342
; %bb.346:                              ;   in Loop: Header=BB216_344 Depth=2
	s_movk_i32 s38, 0x3f80
	v_perm_b32 v10, v10, s38, v45
	ds_write_b32 v3, v10 offset:3072
	s_branch .LBB216_342
.LBB216_347:                            ;   in Loop: Header=BB216_344 Depth=2
	v_add_co_u32_e32 v8, vcc, s33, v8
	v_addc_co_u32_e32 v9, vcc, 0, v9, vcc
	v_mov_b32_e32 v11, s35
	v_add_co_u32_e32 v6, vcc, s34, v6
	v_addc_co_u32_e32 v7, vcc, v7, v11, vcc
	v_cmp_le_u64_e32 vcc, s[14:15], v[8:9]
	s_mov_b64 s[38:39], 0
	s_orn2_b64 s[36:37], vcc, exec
	s_branch .LBB216_343
.LBB216_348:                            ;   in Loop: Header=BB216_6 Depth=1
	s_or_b64 exec, exec, s[4:5]
	s_andn2_b64 s[4:5], s[10:11], exec
	s_and_b64 s[10:11], s[16:17], exec
	v_lshrrev_b32_e32 v47, 16, v10
	s_or_b64 s[10:11], s[4:5], s[10:11]
.LBB216_349:                            ;   in Loop: Header=BB216_6 Depth=1
	s_or_b64 exec, exec, s[12:13]
	s_mov_b64 s[12:13], 0
	s_mov_b64 s[14:15], -1
.LBB216_350:                            ;   in Loop: Header=BB216_6 Depth=1
	s_orn2_b64 s[4:5], s[10:11], exec
.LBB216_351:                            ;   in Loop: Header=BB216_6 Depth=1
	s_or_b64 exec, exec, s[20:21]
	s_mov_b64 s[10:11], 0
	s_and_saveexec_b64 s[36:37], s[4:5]
	s_cbranch_execz .LBB216_460
; %bb.352:                              ;   in Loop: Header=BB216_6 Depth=1
	v_mov_b32_e32 v6, 1
	s_xor_b64 s[4:5], s[8:9], -1
	v_mov_b32_e32 v2, 1
	v_mov_b32_e32 v7, 0
	s_and_saveexec_b64 s[8:9], s[4:5]
	s_cbranch_execz .LBB216_361
; %bb.353:                              ;   in Loop: Header=BB216_6 Depth=1
	v_cmp_ge_u64_e32 vcc, s[42:43], v[4:5]
	s_and_saveexec_b64 s[4:5], vcc
	s_xor_b64 s[4:5], exec, s[4:5]
	s_cbranch_execz .LBB216_358
; %bb.354:                              ;   in Loop: Header=BB216_6 Depth=1
	ds_read_b64 v[6:7], v3 offset:5120
	v_and_b32_e32 v2, s60, v38
	v_lshl_or_b32 v38, 2, s62, v2
	v_or_b32_e32 v46, s63, v46
	s_waitcnt lgkmcnt(0)
	v_cmp_ne_u64_e32 vcc, 0, v[6:7]
	s_cbranch_vccnz .LBB216_358
; %bb.355:                              ;   in Loop: Header=BB216_6 Depth=1
	s_mov_b64 s[10:11], exec
	v_readlane_b32 s16, v52, 8
	v_readlane_b32 s17, v52, 9
	s_and_b64 s[16:17], s[10:11], s[16:17]
	s_mov_b64 exec, s[16:17]
; %bb.356:                              ;   in Loop: Header=BB216_6 Depth=1
	v_mov_b32_e32 v6, s42
	v_mov_b32_e32 v7, s43
	ds_write_b64 v3, v[6:7] offset:5128
; %bb.357:                              ;   in Loop: Header=BB216_6 Depth=1
	s_or_b64 exec, exec, s[10:11]
	s_waitcnt lgkmcnt(0)
	s_barrier
.LBB216_358:                            ;   in Loop: Header=BB216_6 Depth=1
	s_or_saveexec_b64 s[4:5], s[4:5]
	s_mov_b64 s[10:11], 0
	v_mov_b32_e32 v2, 5
	s_xor_b64 exec, exec, s[4:5]
; %bb.359:                              ;   in Loop: Header=BB216_6 Depth=1
	v_subrev_co_u32_e32 v4, vcc, s42, v4
	v_mov_b32_e32 v2, s43
	v_subb_co_u32_e32 v5, vcc, v5, v2, vcc
	v_mov_b32_e32 v2, 0
	s_mov_b64 s[10:11], exec
; %bb.360:                              ;   in Loop: Header=BB216_6 Depth=1
	s_or_b64 exec, exec, s[4:5]
	v_mov_b32_e32 v7, v5
	s_and_b64 s[10:11], s[10:11], exec
	v_mov_b32_e32 v6, v4
.LBB216_361:                            ;   in Loop: Header=BB216_6 Depth=1
	s_or_b64 exec, exec, s[8:9]
	s_mov_b64 s[4:5], -1
                                        ; implicit-def: $sgpr20_sgpr21
                                        ; implicit-def: $sgpr42_sgpr43
	s_and_saveexec_b64 s[38:39], s[10:11]
	s_cbranch_execz .LBB216_459
; %bb.362:                              ;   in Loop: Header=BB216_6 Depth=1
	s_cmp_eq_u64 s[94:95], 1
	v_cmp_eq_u64_e32 vcc, 1, v[6:7]
	s_cselect_b64 s[4:5], -1, 0
	s_and_b64 s[8:9], s[4:5], vcc
	s_mov_b64 s[4:5], -1
                                        ; implicit-def: $sgpr42_sgpr43
                                        ; implicit-def: $sgpr20_sgpr21
	s_and_saveexec_b64 s[40:41], s[8:9]
	s_cbranch_execz .LBB216_396
; %bb.363:                              ;   in Loop: Header=BB216_6 Depth=1
	ds_read_b64 v[4:5], v3 offset:5120
	s_waitcnt lgkmcnt(0)
	s_barrier
	v_readfirstlane_b32 s44, v4
	v_readfirstlane_b32 s45, v5
	s_mov_b64 s[4:5], exec
	v_readlane_b32 s10, v52, 28
	v_readlane_b32 s11, v52, 29
	s_and_b64 s[10:11], s[4:5], s[10:11]
	s_mov_b64 exec, s[10:11]
; %bb.364:                              ;   in Loop: Header=BB216_6 Depth=1
	ds_write_b16 v40, v3
; %bb.365:                              ;   in Loop: Header=BB216_6 Depth=1
	s_or_b64 exec, exec, s[4:5]
	v_and_b32_e32 v4, s60, v38
	v_lshl_or_b32 v38, 1, s62, v4
	v_or_b32_e32 v46, s63, v46
	s_mov_b64 s[20:21], -1
	s_mov_b64 s[42:43], 0
	s_cmp_eq_u64 s[44:45], 0
	s_mov_b64 s[10:11], 0
	s_mov_b64 s[58:59], -1
	s_waitcnt lgkmcnt(0)
	s_barrier
                                        ; implicit-def: $vgpr47
	s_cbranch_scc1 .LBB216_381
; %bb.366:                              ;   in Loop: Header=BB216_6 Depth=1
	s_add_u32 s52, s44, s61
	v_readlane_b32 s4, v52, 33
	s_addc_u32 s11, s45, s4
	s_mov_b32 s10, s55
	s_cmp_lg_u64 s[10:11], 0
	s_cbranch_scc0 .LBB216_413
; %bb.367:                              ;   in Loop: Header=BB216_6 Depth=1
	v_cvt_f32_u32_e32 v4, s33
	s_sub_u32 s10, 0, s33
	s_subb_u32 s16, 0, 0
	v_mac_f32_e32 v4, 0, v43
	v_rcp_f32_e32 v4, v4
	v_mul_f32_e32 v4, 0x5f7ffffc, v4
	v_mul_f32_e32 v5, 0x2f800000, v4
	v_trunc_f32_e32 v5, v5
	v_mac_f32_e32 v4, 0xcf800000, v5
	v_cvt_u32_f32_e32 v5, v5
	v_cvt_u32_f32_e32 v4, v4
	v_readfirstlane_b32 s17, v5
	v_readfirstlane_b32 s4, v4
	s_mul_i32 s5, s10, s17
	s_mul_hi_u32 s54, s10, s4
	s_mul_i32 s53, s16, s4
	s_add_i32 s5, s54, s5
	s_mul_i32 s56, s10, s4
	s_add_i32 s5, s5, s53
	s_mul_hi_u32 s54, s4, s56
	s_mul_i32 s57, s4, s5
	s_mul_hi_u32 s53, s4, s5
	s_add_u32 s54, s54, s57
	s_addc_u32 s53, 0, s53
	s_mul_hi_u32 s58, s17, s56
	s_mul_i32 s56, s17, s56
	s_add_u32 s54, s54, s56
	s_mul_hi_u32 s57, s17, s5
	s_addc_u32 s53, s53, s58
	s_addc_u32 s54, s57, 0
	s_mul_i32 s5, s17, s5
	s_add_u32 s5, s53, s5
	s_addc_u32 s53, 0, s54
	s_add_u32 s54, s4, s5
	s_cselect_b64 s[4:5], -1, 0
	s_cmp_lg_u64 s[4:5], 0
	s_addc_u32 s17, s17, s53
	s_mul_i32 s4, s10, s17
	s_mul_hi_u32 s5, s10, s54
	s_add_i32 s4, s5, s4
	s_mul_i32 s16, s16, s54
	s_add_i32 s4, s4, s16
	s_mul_i32 s10, s10, s54
	s_mul_hi_u32 s16, s17, s10
	s_mul_i32 s53, s17, s10
	s_mul_i32 s57, s54, s4
	s_mul_hi_u32 s10, s54, s10
	s_mul_hi_u32 s56, s54, s4
	s_add_u32 s10, s10, s57
	s_addc_u32 s56, 0, s56
	s_add_u32 s10, s10, s53
	s_mul_hi_u32 s5, s17, s4
	s_addc_u32 s10, s56, s16
	s_addc_u32 s5, s5, 0
	s_mul_i32 s4, s17, s4
	s_add_u32 s4, s10, s4
	s_addc_u32 s10, 0, s5
	s_add_u32 s16, s54, s4
	s_cselect_b64 s[4:5], -1, 0
	s_cmp_lg_u64 s[4:5], 0
	s_addc_u32 s4, s17, s10
	s_mul_i32 s10, s52, s4
	s_mul_hi_u32 s17, s52, s16
	s_mul_hi_u32 s5, s52, s4
	s_add_u32 s10, s17, s10
	s_addc_u32 s5, 0, s5
	s_mul_hi_u32 s53, s11, s16
	s_mul_i32 s16, s11, s16
	s_add_u32 s10, s10, s16
	s_mul_hi_u32 s17, s11, s4
	s_addc_u32 s5, s5, s53
	s_addc_u32 s10, s17, 0
	s_mul_i32 s4, s11, s4
	s_add_u32 s4, s5, s4
	s_addc_u32 s5, 0, s10
	s_mul_i32 s5, s33, s5
	s_mul_hi_u32 s10, s33, s4
	s_add_i32 s10, s10, s5
	s_mul_i32 s4, s33, s4
	s_sub_u32 s16, s52, s4
	s_cselect_b64 s[4:5], -1, 0
	s_cmp_lg_u64 s[4:5], 0
	s_subb_u32 s10, s11, s10
	s_sub_u32 s17, s16, s33
	s_cselect_b64 s[4:5], -1, 0
	s_cmp_lg_u64 s[4:5], 0
	s_subb_u32 s53, s10, 0
	;; [unrolled: 4-line block ×3, first 2 shown]
	s_cmp_ge_u32 s17, s33
	s_cselect_b32 s5, -1, 0
	s_cmp_eq_u32 s53, 0
	s_cselect_b32 s5, s5, -1
	s_cmp_lg_u32 s5, 0
	s_cselect_b32 s4, s4, s53
	s_cselect_b32 s17, s54, s17
	s_cmp_ge_u32 s16, s33
	s_cselect_b32 s5, -1, 0
	s_cmp_eq_u32 s10, 0
	s_cselect_b32 s5, s5, -1
	s_cmp_lg_u32 s5, 0
	s_cselect_b32 s5, s4, s10
	s_cselect_b32 s4, s17, s16
	s_cbranch_execnz .LBB216_369
.LBB216_368:                            ;   in Loop: Header=BB216_6 Depth=1
	v_cvt_f32_u32_e32 v4, s33
	s_sub_i32 s4, 0, s33
	v_rcp_iflag_f32_e32 v4, v4
	v_mul_f32_e32 v4, 0x4f7ffffe, v4
	v_cvt_u32_f32_e32 v4, v4
	v_readfirstlane_b32 s5, v4
	s_mul_i32 s4, s4, s5
	s_mul_hi_u32 s4, s5, s4
	s_add_i32 s5, s5, s4
	s_mul_hi_u32 s4, s52, s5
	s_mul_i32 s4, s4, s33
	s_sub_i32 s4, s52, s4
	s_sub_i32 s5, s4, s33
	s_cmp_ge_u32 s4, s33
	s_cselect_b32 s4, s5, s4
	s_sub_i32 s5, s4, s33
	s_cmp_ge_u32 s4, s33
	s_cselect_b32 s54, s5, s4
	s_mov_b64 s[4:5], s[54:55]
.LBB216_369:                            ;   in Loop: Header=BB216_6 Depth=1
	s_sub_u32 s4, s52, s4
	s_subb_u32 s5, s11, s5
	v_cmp_gt_u64_e32 vcc, s[4:5], v[0:1]
	s_mov_b64 s[58:59], 0
	s_mov_b64 s[10:11], 0
                                        ; implicit-def: $vgpr47
	s_and_saveexec_b64 s[16:17], vcc
	v_readlane_b32 s54, v52, 46
	s_cbranch_execz .LBB216_380
; %bb.370:                              ;   in Loop: Header=BB216_6 Depth=1
	v_mov_b32_e32 v5, v1
	v_mov_b32_e32 v8, v39
	;; [unrolled: 1-line block ×3, first 2 shown]
                                        ; implicit-def: $sgpr64_sgpr65
	s_branch .LBB216_373
.LBB216_371:                            ;   in Loop: Header=BB216_373 Depth=2
	s_or_b64 exec, exec, s[66:67]
	s_waitcnt lgkmcnt(0)
	s_barrier
	ds_read_b32 v9, v3 offset:3072
	s_mov_b64 s[52:53], -1
	s_mov_b64 s[56:57], -1
	s_waitcnt lgkmcnt(0)
	s_barrier
	v_and_b32_e32 v10, 0x7fff, v9
	v_cmp_ne_u32_e32 vcc, 0, v10
	s_cbranch_vccz .LBB216_376
.LBB216_372:                            ;   in Loop: Header=BB216_373 Depth=2
	s_and_b64 s[52:53], exec, s[52:53]
	s_or_b64 s[10:11], s[52:53], s[10:11]
	s_andn2_b64 s[52:53], s[64:65], exec
	s_and_b64 s[56:57], s[56:57], exec
	s_or_b64 s[64:65], s[52:53], s[56:57]
	s_andn2_b64 exec, exec, s[10:11]
	s_cbranch_execz .LBB216_379
.LBB216_373:                            ;   Parent Loop BB216_6 Depth=1
                                        ; =>  This Inner Loop Header: Depth=2
	v_cmp_gt_u64_e32 vcc, s[44:45], v[4:5]
	s_and_saveexec_b64 s[66:67], vcc
	s_cbranch_execz .LBB216_371
; %bb.374:                              ;   in Loop: Header=BB216_373 Depth=2
	ds_read_u16 v9, v8
	s_waitcnt lgkmcnt(0)
	v_cmp_lt_i16_e32 vcc, -1, v9
	v_cndmask_b32_e32 v10, v41, v42, vcc
	v_lshlrev_b32_e32 v11, 16, v9
	v_cmp_o_f32_e32 vcc, v11, v11
	v_xor_b32_sdwa v10, v10, v9 dst_sel:DWORD dst_unused:UNUSED_PAD src0_sel:DWORD src1_sel:WORD_0
	v_cndmask_b32_e32 v10, v41, v10, vcc
	v_and_b32_e32 v10, v10, v46
	v_cmp_eq_u32_e32 vcc, v10, v38
	s_and_b64 exec, exec, vcc
	s_cbranch_execz .LBB216_371
; %bb.375:                              ;   in Loop: Header=BB216_373 Depth=2
	s_movk_i32 s52, 0x3f80
	v_perm_b32 v9, v9, s52, v45
	ds_write_b32 v3, v9 offset:3072
	s_branch .LBB216_371
.LBB216_376:                            ;   in Loop: Header=BB216_373 Depth=2
	v_add_co_u32_e32 v4, vcc, s33, v4
	v_addc_co_u32_e32 v5, vcc, 0, v5, vcc
	v_cmp_le_u64_e32 vcc, s[4:5], v[4:5]
	v_add_u32_e32 v8, s69, v8
	s_mov_b64 s[56:57], 0
	s_orn2_b64 s[52:53], vcc, exec
	s_branch .LBB216_372
.LBB216_377:                            ;   in Loop: Header=BB216_6 Depth=1
                                        ; implicit-def: $sgpr4_sgpr5
	s_branch .LBB216_323
.LBB216_378:                            ;   in Loop: Header=BB216_6 Depth=1
                                        ; implicit-def: $sgpr4_sgpr5
	s_branch .LBB216_339
.LBB216_379:                            ;   in Loop: Header=BB216_6 Depth=1
	s_or_b64 exec, exec, s[10:11]
	v_lshrrev_b32_e32 v47, 16, v9
	s_and_b64 s[10:11], s[64:65], exec
.LBB216_380:                            ;   in Loop: Header=BB216_6 Depth=1
	s_or_b64 exec, exec, s[16:17]
	v_readlane_b32 s52, v52, 44
	v_readlane_b32 s53, v52, 45
.LBB216_381:                            ;   in Loop: Header=BB216_6 Depth=1
	s_and_b64 vcc, exec, s[58:59]
	s_cbranch_vccz .LBB216_395
; %bb.382:                              ;   in Loop: Header=BB216_6 Depth=1
	v_readlane_b32 s56, v52, 34
	v_readlane_b32 s57, v52, 35
	s_mov_b32 s56, s55
	s_cmp_lg_u64 s[56:57], 0
	v_writelane_b32 v52, s56, 34
	v_writelane_b32 v52, s57, 35
	s_cbranch_scc0 .LBB216_414
; %bb.383:                              ;   in Loop: Header=BB216_6 Depth=1
	v_cvt_f32_u32_e32 v4, s33
	s_sub_u32 s16, 0, s33
	s_subb_u32 s17, 0, 0
	v_mac_f32_e32 v4, 0, v43
	v_rcp_f32_e32 v4, v4
	v_mul_f32_e32 v4, 0x5f7ffffc, v4
	v_mul_f32_e32 v5, 0x2f800000, v4
	v_trunc_f32_e32 v5, v5
	v_mac_f32_e32 v4, 0xcf800000, v5
	v_cvt_u32_f32_e32 v5, v5
	v_cvt_u32_f32_e32 v4, v4
	v_readfirstlane_b32 s20, v5
	v_readfirstlane_b32 s4, v4
	s_mul_i32 s5, s16, s20
	s_mul_hi_u32 s42, s16, s4
	s_mul_i32 s21, s17, s4
	s_add_i32 s5, s42, s5
	s_mul_i32 s43, s16, s4
	s_add_i32 s5, s5, s21
	s_mul_hi_u32 s42, s4, s43
	s_mul_i32 s44, s4, s5
	s_mul_hi_u32 s21, s4, s5
	s_add_u32 s42, s42, s44
	s_addc_u32 s21, 0, s21
	s_mul_hi_u32 s45, s20, s43
	s_mul_i32 s43, s20, s43
	s_add_u32 s42, s42, s43
	s_mul_hi_u32 s44, s20, s5
	s_addc_u32 s21, s21, s45
	s_addc_u32 s42, s44, 0
	s_mul_i32 s5, s20, s5
	s_add_u32 s5, s21, s5
	s_addc_u32 s21, 0, s42
	s_add_u32 s42, s4, s5
	s_cselect_b64 s[4:5], -1, 0
	s_cmp_lg_u64 s[4:5], 0
	s_addc_u32 s20, s20, s21
	s_mul_i32 s4, s16, s20
	s_mul_hi_u32 s5, s16, s42
	s_add_i32 s4, s5, s4
	s_mul_i32 s17, s17, s42
	s_add_i32 s4, s4, s17
	s_mul_i32 s16, s16, s42
	s_mul_hi_u32 s17, s20, s16
	s_mul_i32 s21, s20, s16
	s_mul_i32 s44, s42, s4
	s_mul_hi_u32 s16, s42, s16
	s_mul_hi_u32 s43, s42, s4
	s_add_u32 s16, s16, s44
	s_addc_u32 s43, 0, s43
	s_add_u32 s16, s16, s21
	s_mul_hi_u32 s5, s20, s4
	s_addc_u32 s16, s43, s17
	s_addc_u32 s5, s5, 0
	s_mul_i32 s4, s20, s4
	s_add_u32 s4, s16, s4
	s_addc_u32 s16, 0, s5
	s_add_u32 s17, s42, s4
	s_cselect_b64 s[4:5], -1, 0
	s_cmp_lg_u64 s[4:5], 0
	s_addc_u32 s4, s20, s16
	v_readlane_b32 s42, v52, 32
	s_mul_i32 s16, s42, s4
	s_mul_hi_u32 s20, s42, s17
	s_mul_hi_u32 s5, s42, s4
	s_add_u32 s16, s20, s16
	s_addc_u32 s5, 0, s5
	s_mul_hi_u32 s21, s57, s17
	s_mul_i32 s17, s57, s17
	s_add_u32 s16, s16, s17
	s_mul_hi_u32 s20, s57, s4
	s_addc_u32 s5, s5, s21
	s_addc_u32 s16, s20, 0
	s_mul_i32 s4, s57, s4
	s_add_u32 s4, s5, s4
	s_addc_u32 s5, 0, s16
	s_mul_i32 s5, s33, s5
	s_mul_hi_u32 s16, s33, s4
	s_add_i32 s16, s16, s5
	s_mul_i32 s4, s33, s4
	s_sub_u32 s17, s42, s4
	s_cselect_b64 s[4:5], -1, 0
	s_cmp_lg_u64 s[4:5], 0
	s_subb_u32 s16, s57, s16
	s_sub_u32 s20, s17, s33
	s_cselect_b64 s[4:5], -1, 0
	s_cmp_lg_u64 s[4:5], 0
	s_subb_u32 s21, s16, 0
	;; [unrolled: 4-line block ×3, first 2 shown]
	s_cmp_ge_u32 s20, s33
	s_cselect_b32 s5, -1, 0
	s_cmp_eq_u32 s21, 0
	s_cselect_b32 s5, s5, -1
	s_cmp_lg_u32 s5, 0
	s_cselect_b32 s4, s4, s21
	s_cselect_b32 s20, s42, s20
	s_cmp_ge_u32 s17, s33
	s_cselect_b32 s5, -1, 0
	s_cmp_eq_u32 s16, 0
	s_cselect_b32 s5, s5, -1
	s_cmp_lg_u32 s5, 0
	s_cselect_b32 s5, s4, s16
	s_cselect_b32 s4, s20, s17
	s_cbranch_execnz .LBB216_385
.LBB216_384:                            ;   in Loop: Header=BB216_6 Depth=1
	v_cvt_f32_u32_e32 v4, s33
	s_sub_i32 s4, 0, s33
	v_readlane_b32 s16, v52, 32
	v_rcp_iflag_f32_e32 v4, v4
	v_mul_f32_e32 v4, 0x4f7ffffe, v4
	v_cvt_u32_f32_e32 v4, v4
	v_readfirstlane_b32 s5, v4
	s_mul_i32 s4, s4, s5
	s_mul_hi_u32 s4, s5, s4
	s_add_i32 s5, s5, s4
	s_mul_hi_u32 s4, s16, s5
	s_mul_i32 s4, s4, s33
	s_sub_i32 s4, s16, s4
	s_sub_i32 s5, s4, s33
	s_cmp_ge_u32 s4, s33
	s_cselect_b32 s4, s5, s4
	s_sub_i32 s5, s4, s33
	s_cmp_ge_u32 s4, s33
	s_cselect_b32 s54, s5, s4
	s_mov_b64 s[4:5], s[54:55]
	v_readlane_b32 s54, v52, 46
.LBB216_385:                            ;   in Loop: Header=BB216_6 Depth=1
	v_readlane_b32 s16, v52, 32
	s_sub_u32 s20, s16, s4
	v_readlane_b32 s16, v52, 34
	v_readlane_b32 s17, v52, 35
	s_subb_u32 s21, s17, s5
	v_cmp_gt_u64_e32 vcc, s[20:21], v[0:1]
                                        ; implicit-def: $vgpr47
	s_and_saveexec_b64 s[16:17], vcc
	s_cbranch_execz .LBB216_394
; %bb.386:                              ;   in Loop: Header=BB216_6 Depth=1
	v_mov_b32_e32 v4, v12
	v_mov_b32_e32 v9, v1
	s_mov_b64 s[4:5], 0
	v_mov_b32_e32 v5, v13
	v_mov_b32_e32 v8, v0
                                        ; implicit-def: $sgpr42_sgpr43
	s_branch .LBB216_389
.LBB216_387:                            ;   in Loop: Header=BB216_389 Depth=2
	s_or_b64 exec, exec, s[44:45]
	s_waitcnt lgkmcnt(0)
	s_barrier
	ds_read_b32 v10, v3 offset:3072
	s_mov_b64 s[44:45], -1
	s_mov_b64 s[52:53], -1
	s_waitcnt lgkmcnt(0)
	s_barrier
	v_and_b32_e32 v11, 0x7fff, v10
	v_cmp_eq_u32_e32 vcc, 0, v11
	s_cbranch_vccnz .LBB216_392
.LBB216_388:                            ;   in Loop: Header=BB216_389 Depth=2
	s_and_b64 s[44:45], exec, s[44:45]
	s_or_b64 s[4:5], s[44:45], s[4:5]
	s_andn2_b64 s[42:43], s[42:43], exec
	s_and_b64 s[44:45], s[52:53], exec
	s_or_b64 s[42:43], s[42:43], s[44:45]
	s_andn2_b64 exec, exec, s[4:5]
	s_cbranch_execz .LBB216_393
.LBB216_389:                            ;   Parent Loop BB216_6 Depth=1
                                        ; =>  This Inner Loop Header: Depth=2
	v_cmp_gt_u64_e32 vcc, s[28:29], v[8:9]
	s_and_saveexec_b64 s[44:45], vcc
	s_cbranch_execz .LBB216_387
; %bb.390:                              ;   in Loop: Header=BB216_389 Depth=2
	global_load_ushort v10, v[4:5], off
	s_waitcnt vmcnt(0)
	v_cmp_lt_i16_e32 vcc, -1, v10
	v_cndmask_b32_e32 v11, v41, v42, vcc
	v_lshlrev_b32_e32 v24, 16, v10
	v_cmp_o_f32_e32 vcc, v24, v24
	v_xor_b32_sdwa v11, v11, v10 dst_sel:DWORD dst_unused:UNUSED_PAD src0_sel:DWORD src1_sel:WORD_0
	v_cndmask_b32_e32 v11, v41, v11, vcc
	v_and_b32_e32 v11, v11, v46
	v_cmp_eq_u32_e32 vcc, v11, v38
	s_and_b64 exec, exec, vcc
	s_cbranch_execz .LBB216_387
; %bb.391:                              ;   in Loop: Header=BB216_389 Depth=2
	s_movk_i32 s52, 0x3f80
	v_perm_b32 v10, v10, s52, v45
	ds_write_b32 v3, v10 offset:3072
	s_branch .LBB216_387
.LBB216_392:                            ;   in Loop: Header=BB216_389 Depth=2
	v_add_co_u32_e32 v8, vcc, s33, v8
	v_addc_co_u32_e32 v9, vcc, 0, v9, vcc
	v_mov_b32_e32 v11, s35
	v_add_co_u32_e32 v4, vcc, s34, v4
	v_addc_co_u32_e32 v5, vcc, v5, v11, vcc
	v_cmp_le_u64_e32 vcc, s[20:21], v[8:9]
	s_mov_b64 s[52:53], 0
	s_orn2_b64 s[44:45], vcc, exec
	s_branch .LBB216_388
.LBB216_393:                            ;   in Loop: Header=BB216_6 Depth=1
	s_or_b64 exec, exec, s[4:5]
	s_andn2_b64 s[4:5], s[10:11], exec
	s_and_b64 s[10:11], s[42:43], exec
	v_readlane_b32 s52, v52, 44
	v_lshrrev_b32_e32 v47, 16, v10
	s_or_b64 s[10:11], s[4:5], s[10:11]
	v_readlane_b32 s53, v52, 45
.LBB216_394:                            ;   in Loop: Header=BB216_6 Depth=1
	s_or_b64 exec, exec, s[16:17]
	s_mov_b64 s[20:21], 0
	s_mov_b64 s[42:43], -1
.LBB216_395:                            ;   in Loop: Header=BB216_6 Depth=1
	s_orn2_b64 s[4:5], s[10:11], exec
.LBB216_396:                            ;   in Loop: Header=BB216_6 Depth=1
	s_or_b64 exec, exec, s[40:41]
	s_mov_b64 s[10:11], 0
	s_and_saveexec_b64 s[44:45], s[4:5]
	s_cbranch_execz .LBB216_458
; %bb.397:                              ;   in Loop: Header=BB216_6 Depth=1
	v_mov_b32_e32 v4, 1
	s_xor_b64 s[4:5], s[8:9], -1
	v_mov_b32_e32 v2, 1
	v_mov_b32_e32 v5, 0
	s_mov_b64 s[16:17], 0
	s_and_saveexec_b64 s[8:9], s[4:5]
	s_cbranch_execz .LBB216_406
; %bb.398:                              ;   in Loop: Header=BB216_6 Depth=1
	v_cmp_ge_u64_e32 vcc, s[94:95], v[6:7]
	s_and_saveexec_b64 s[4:5], vcc
	s_xor_b64 s[4:5], exec, s[4:5]
	s_cbranch_execz .LBB216_403
; %bb.399:                              ;   in Loop: Header=BB216_6 Depth=1
	ds_read_b64 v[4:5], v3 offset:5120
	v_and_b32_e32 v2, s60, v38
	v_lshl_or_b32 v38, 1, s62, v2
	v_or_b32_e32 v46, s63, v46
	s_waitcnt lgkmcnt(0)
	v_cmp_ne_u64_e32 vcc, 0, v[4:5]
	s_cbranch_vccnz .LBB216_403
; %bb.400:                              ;   in Loop: Header=BB216_6 Depth=1
	s_mov_b64 s[10:11], exec
	v_readlane_b32 s16, v52, 8
	v_readlane_b32 s17, v52, 9
	s_and_b64 s[16:17], s[10:11], s[16:17]
	s_mov_b64 exec, s[16:17]
; %bb.401:                              ;   in Loop: Header=BB216_6 Depth=1
	v_mov_b32_e32 v4, s94
	v_mov_b32_e32 v5, s95
	ds_write_b64 v3, v[4:5] offset:5128
; %bb.402:                              ;   in Loop: Header=BB216_6 Depth=1
	s_or_b64 exec, exec, s[10:11]
	s_waitcnt lgkmcnt(0)
	s_barrier
.LBB216_403:                            ;   in Loop: Header=BB216_6 Depth=1
	s_or_saveexec_b64 s[4:5], s[4:5]
	s_mov_b64 s[10:11], 0
	v_mov_b32_e32 v2, 5
	s_xor_b64 exec, exec, s[4:5]
; %bb.404:                              ;   in Loop: Header=BB216_6 Depth=1
	v_subrev_co_u32_e32 v6, vcc, s94, v6
	v_mov_b32_e32 v2, s95
	v_subb_co_u32_e32 v7, vcc, v7, v2, vcc
	v_mov_b32_e32 v2, 0
	s_mov_b64 s[10:11], exec
; %bb.405:                              ;   in Loop: Header=BB216_6 Depth=1
	s_or_b64 exec, exec, s[4:5]
	v_mov_b32_e32 v4, v6
	s_and_b64 s[16:17], s[10:11], exec
	v_mov_b32_e32 v5, v7
.LBB216_406:                            ;   in Loop: Header=BB216_6 Depth=1
	s_or_b64 exec, exec, s[8:9]
	s_mov_b64 s[4:5], -1
                                        ; implicit-def: $sgpr66_sgpr67
                                        ; implicit-def: $sgpr56_sgpr57
	s_and_saveexec_b64 s[40:41], s[16:17]
	s_cbranch_execz .LBB216_457
; %bb.407:                              ;   in Loop: Header=BB216_6 Depth=1
	s_cmp_eq_u64 s[22:23], 1
	v_cmp_eq_u64_e32 vcc, 1, v[4:5]
	s_cselect_b64 s[4:5], -1, 0
	s_and_b64 s[8:9], s[4:5], vcc
	s_mov_b64 s[4:5], -1
                                        ; implicit-def: $sgpr66_sgpr67
                                        ; implicit-def: $sgpr56_sgpr57
	s_mov_b64 s[10:11], exec
	v_writelane_b32 v52, s8, 50
	v_writelane_b32 v52, s9, 51
	;; [unrolled: 1-line block ×3, first 2 shown]
	s_and_b64 s[8:9], s[10:11], s[8:9]
	v_writelane_b32 v52, s11, 53
	s_mov_b64 exec, s[8:9]
	s_cbranch_execz .LBB216_445
; %bb.408:                              ;   in Loop: Header=BB216_6 Depth=1
	ds_read_b64 v[6:7], v3 offset:5120
	s_waitcnt lgkmcnt(0)
	s_barrier
	v_readfirstlane_b32 s58, v6
	v_readfirstlane_b32 s59, v7
	s_mov_b64 s[4:5], exec
	v_readlane_b32 s8, v52, 28
	v_readlane_b32 s9, v52, 29
	s_and_b64 s[8:9], s[4:5], s[8:9]
	s_mov_b64 exec, s[8:9]
; %bb.409:                              ;   in Loop: Header=BB216_6 Depth=1
	ds_write_b16 v40, v3
; %bb.410:                              ;   in Loop: Header=BB216_6 Depth=1
	s_or_b64 exec, exec, s[4:5]
	v_and_b32_e32 v38, s60, v38
	v_or_b32_e32 v46, s63, v46
	s_mov_b64 s[56:57], -1
	s_mov_b64 s[66:67], 0
	s_cmp_eq_u64 s[58:59], 0
	s_mov_b64 s[94:95], 0
	s_mov_b64 s[8:9], -1
	s_waitcnt lgkmcnt(0)
	s_barrier
                                        ; implicit-def: $vgpr47
	s_cbranch_scc1 .LBB216_428
; %bb.411:                              ;   in Loop: Header=BB216_6 Depth=1
	s_add_u32 s10, s58, s61
	v_readlane_b32 s4, v52, 33
	s_addc_u32 s95, s59, s4
	s_mov_b32 s94, s55
	s_cmp_lg_u64 s[94:95], 0
	s_cbranch_scc0 .LBB216_415
; %bb.412:                              ;   in Loop: Header=BB216_6 Depth=1
	v_cvt_f32_u32_e32 v6, s33
	s_sub_u32 s8, 0, s33
	s_subb_u32 s9, 0, 0
	v_mac_f32_e32 v6, 0, v43
	v_rcp_f32_e32 v6, v6
	v_mul_f32_e32 v6, 0x5f7ffffc, v6
	v_mul_f32_e32 v7, 0x2f800000, v6
	v_trunc_f32_e32 v7, v7
	v_mac_f32_e32 v6, 0xcf800000, v7
	v_cvt_u32_f32_e32 v7, v7
	v_cvt_u32_f32_e32 v6, v6
	v_readfirstlane_b32 s11, v7
	v_readfirstlane_b32 s4, v6
	s_mul_i32 s5, s8, s11
	s_mul_hi_u32 s17, s8, s4
	s_mul_i32 s16, s9, s4
	s_add_i32 s5, s17, s5
	s_mul_i32 s52, s8, s4
	s_add_i32 s5, s5, s16
	s_mul_hi_u32 s17, s4, s52
	s_mul_i32 s53, s4, s5
	s_mul_hi_u32 s16, s4, s5
	s_add_u32 s17, s17, s53
	s_addc_u32 s16, 0, s16
	s_mul_hi_u32 s54, s11, s52
	s_mul_i32 s52, s11, s52
	s_add_u32 s17, s17, s52
	s_mul_hi_u32 s53, s11, s5
	s_addc_u32 s16, s16, s54
	s_addc_u32 s17, s53, 0
	s_mul_i32 s5, s11, s5
	s_add_u32 s5, s16, s5
	s_addc_u32 s16, 0, s17
	s_add_u32 s17, s4, s5
	s_cselect_b64 s[4:5], -1, 0
	s_cmp_lg_u64 s[4:5], 0
	s_addc_u32 s11, s11, s16
	s_mul_i32 s4, s8, s11
	s_mul_hi_u32 s5, s8, s17
	s_add_i32 s4, s5, s4
	s_mul_i32 s9, s9, s17
	s_add_i32 s4, s4, s9
	s_mul_i32 s8, s8, s17
	s_mul_hi_u32 s9, s11, s8
	s_mul_i32 s16, s11, s8
	s_mul_i32 s53, s17, s4
	s_mul_hi_u32 s8, s17, s8
	s_mul_hi_u32 s52, s17, s4
	s_add_u32 s8, s8, s53
	s_addc_u32 s52, 0, s52
	s_add_u32 s8, s8, s16
	s_mul_hi_u32 s5, s11, s4
	s_addc_u32 s8, s52, s9
	s_addc_u32 s5, s5, 0
	s_mul_i32 s4, s11, s4
	s_add_u32 s4, s8, s4
	s_addc_u32 s8, 0, s5
	s_add_u32 s9, s17, s4
	s_cselect_b64 s[4:5], -1, 0
	s_cmp_lg_u64 s[4:5], 0
	s_addc_u32 s4, s11, s8
	s_mul_i32 s8, s10, s4
	s_mul_hi_u32 s11, s10, s9
	s_mul_hi_u32 s5, s10, s4
	s_add_u32 s8, s11, s8
	s_addc_u32 s5, 0, s5
	s_mul_hi_u32 s16, s95, s9
	s_mul_i32 s9, s95, s9
	s_add_u32 s8, s8, s9
	s_mul_hi_u32 s11, s95, s4
	s_addc_u32 s5, s5, s16
	s_addc_u32 s8, s11, 0
	s_mul_i32 s4, s95, s4
	s_add_u32 s4, s5, s4
	s_addc_u32 s5, 0, s8
	s_mul_i32 s5, s33, s5
	s_mul_hi_u32 s8, s33, s4
	s_add_i32 s8, s8, s5
	s_mul_i32 s4, s33, s4
	s_sub_u32 s9, s10, s4
	s_cselect_b64 s[4:5], -1, 0
	s_cmp_lg_u64 s[4:5], 0
	s_subb_u32 s8, s95, s8
	s_sub_u32 s11, s9, s33
	s_cselect_b64 s[4:5], -1, 0
	s_cmp_lg_u64 s[4:5], 0
	s_subb_u32 s16, s8, 0
	;; [unrolled: 4-line block ×3, first 2 shown]
	s_cmp_ge_u32 s11, s33
	s_cselect_b32 s5, -1, 0
	s_cmp_eq_u32 s16, 0
	s_cselect_b32 s5, s5, -1
	s_cmp_lg_u32 s5, 0
	s_cselect_b32 s4, s4, s16
	s_cselect_b32 s11, s17, s11
	s_cmp_ge_u32 s9, s33
	s_cselect_b32 s5, -1, 0
	s_cmp_eq_u32 s8, 0
	s_cselect_b32 s5, s5, -1
	s_cmp_lg_u32 s5, 0
	s_cselect_b32 s5, s4, s8
	s_cselect_b32 s4, s11, s9
	s_mov_b64 s[8:9], 0
	s_branch .LBB216_416
.LBB216_413:                            ;   in Loop: Header=BB216_6 Depth=1
                                        ; implicit-def: $sgpr4_sgpr5
	s_branch .LBB216_368
.LBB216_414:                            ;   in Loop: Header=BB216_6 Depth=1
                                        ; implicit-def: $sgpr4_sgpr5
	s_branch .LBB216_384
.LBB216_415:                            ;   in Loop: Header=BB216_6 Depth=1
                                        ; implicit-def: $sgpr4_sgpr5
.LBB216_416:                            ;   in Loop: Header=BB216_6 Depth=1
	s_andn2_b64 vcc, exec, s[8:9]
	s_cbranch_vccnz .LBB216_418
; %bb.417:                              ;   in Loop: Header=BB216_6 Depth=1
	v_cvt_f32_u32_e32 v6, s33
	s_sub_i32 s4, 0, s33
	v_rcp_iflag_f32_e32 v6, v6
	v_mul_f32_e32 v6, 0x4f7ffffe, v6
	v_cvt_u32_f32_e32 v6, v6
	v_readfirstlane_b32 s5, v6
	s_mul_i32 s4, s4, s5
	s_mul_hi_u32 s4, s5, s4
	s_add_i32 s5, s5, s4
	s_mul_hi_u32 s4, s10, s5
	s_mul_i32 s4, s4, s33
	s_sub_i32 s4, s10, s4
	s_sub_i32 s5, s4, s33
	s_cmp_ge_u32 s4, s33
	s_cselect_b32 s4, s5, s4
	s_sub_i32 s5, s4, s33
	s_cmp_ge_u32 s4, s33
	s_cselect_b32 s54, s5, s4
	s_mov_b64 s[4:5], s[54:55]
.LBB216_418:                            ;   in Loop: Header=BB216_6 Depth=1
	s_sub_u32 s4, s10, s4
	s_subb_u32 s5, s95, s5
	v_cmp_gt_u64_e32 vcc, s[4:5], v[0:1]
	s_mov_b64 s[8:9], 0
	s_mov_b64 s[94:95], 0
                                        ; implicit-def: $vgpr47
	s_and_saveexec_b64 s[16:17], vcc
	v_readlane_b32 s54, v52, 46
	s_cbranch_execz .LBB216_427
; %bb.419:                              ;   in Loop: Header=BB216_6 Depth=1
	v_mov_b32_e32 v7, v1
	v_mov_b32_e32 v8, v39
	;; [unrolled: 1-line block ×3, first 2 shown]
                                        ; implicit-def: $sgpr64_sgpr65
	s_branch .LBB216_422
.LBB216_420:                            ;   in Loop: Header=BB216_422 Depth=2
	s_or_b64 exec, exec, s[10:11]
	s_waitcnt lgkmcnt(0)
	s_barrier
	ds_read_b32 v9, v3 offset:3072
	s_mov_b64 s[10:11], -1
	s_mov_b64 s[52:53], -1
	s_waitcnt lgkmcnt(0)
	s_barrier
	v_and_b32_e32 v10, 0x7fff, v9
	v_cmp_ne_u32_e32 vcc, 0, v10
	s_cbranch_vccz .LBB216_425
.LBB216_421:                            ;   in Loop: Header=BB216_422 Depth=2
	s_and_b64 s[10:11], exec, s[10:11]
	s_or_b64 s[94:95], s[10:11], s[94:95]
	s_andn2_b64 s[10:11], s[64:65], exec
	s_and_b64 s[52:53], s[52:53], exec
	s_or_b64 s[64:65], s[10:11], s[52:53]
	s_andn2_b64 exec, exec, s[94:95]
	s_cbranch_execz .LBB216_426
.LBB216_422:                            ;   Parent Loop BB216_6 Depth=1
                                        ; =>  This Inner Loop Header: Depth=2
	v_cmp_gt_u64_e32 vcc, s[58:59], v[6:7]
	s_and_saveexec_b64 s[10:11], vcc
	s_cbranch_execz .LBB216_420
; %bb.423:                              ;   in Loop: Header=BB216_422 Depth=2
	ds_read_u16 v9, v8
	s_waitcnt lgkmcnt(0)
	v_cmp_lt_i16_e32 vcc, -1, v9
	v_cndmask_b32_e32 v10, v41, v42, vcc
	v_lshlrev_b32_e32 v11, 16, v9
	v_cmp_o_f32_e32 vcc, v11, v11
	v_xor_b32_sdwa v10, v10, v9 dst_sel:DWORD dst_unused:UNUSED_PAD src0_sel:DWORD src1_sel:WORD_0
	v_cndmask_b32_e32 v10, v41, v10, vcc
	v_and_b32_e32 v10, v10, v46
	v_cmp_eq_u32_e32 vcc, v10, v38
	s_and_b64 exec, exec, vcc
	s_cbranch_execz .LBB216_420
; %bb.424:                              ;   in Loop: Header=BB216_422 Depth=2
	s_movk_i32 s52, 0x3f80
	v_perm_b32 v9, v9, s52, v45
	ds_write_b32 v3, v9 offset:3072
	s_branch .LBB216_420
.LBB216_425:                            ;   in Loop: Header=BB216_422 Depth=2
	v_add_co_u32_e32 v6, vcc, s33, v6
	v_addc_co_u32_e32 v7, vcc, 0, v7, vcc
	v_cmp_le_u64_e32 vcc, s[4:5], v[6:7]
	v_add_u32_e32 v8, s69, v8
	s_mov_b64 s[52:53], 0
	s_orn2_b64 s[10:11], vcc, exec
	s_branch .LBB216_421
.LBB216_426:                            ;   in Loop: Header=BB216_6 Depth=1
	s_or_b64 exec, exec, s[94:95]
	v_lshrrev_b32_e32 v47, 16, v9
	s_and_b64 s[94:95], s[64:65], exec
.LBB216_427:                            ;   in Loop: Header=BB216_6 Depth=1
	s_or_b64 exec, exec, s[16:17]
	v_readlane_b32 s52, v52, 44
	v_readlane_b32 s53, v52, 45
.LBB216_428:                            ;   in Loop: Header=BB216_6 Depth=1
	s_and_b64 vcc, exec, s[8:9]
	s_cbranch_vccz .LBB216_444
; %bb.429:                              ;   in Loop: Header=BB216_6 Depth=1
	v_readlane_b32 s56, v52, 34
	v_readlane_b32 s57, v52, 35
	s_mov_b32 s56, s55
	s_cmp_lg_u64 s[56:57], 0
	v_writelane_b32 v52, s56, 34
	v_writelane_b32 v52, s57, 35
	s_cbranch_scc0 .LBB216_431
; %bb.430:                              ;   in Loop: Header=BB216_6 Depth=1
	v_cvt_f32_u32_e32 v6, s33
	s_sub_u32 s8, 0, s33
	s_subb_u32 s9, 0, 0
	v_mac_f32_e32 v6, 0, v43
	v_rcp_f32_e32 v6, v6
	v_mul_f32_e32 v6, 0x5f7ffffc, v6
	v_mul_f32_e32 v7, 0x2f800000, v6
	v_trunc_f32_e32 v7, v7
	v_mac_f32_e32 v6, 0xcf800000, v7
	v_cvt_u32_f32_e32 v7, v7
	v_cvt_u32_f32_e32 v6, v6
	v_readfirstlane_b32 s10, v7
	v_readfirstlane_b32 s4, v6
	s_mul_i32 s5, s8, s10
	s_mul_hi_u32 s16, s8, s4
	s_mul_i32 s11, s9, s4
	s_add_i32 s5, s16, s5
	s_mul_i32 s17, s8, s4
	s_add_i32 s5, s5, s11
	s_mul_hi_u32 s16, s4, s17
	s_mul_i32 s52, s4, s5
	s_mul_hi_u32 s11, s4, s5
	s_add_u32 s16, s16, s52
	s_addc_u32 s11, 0, s11
	s_mul_hi_u32 s53, s10, s17
	s_mul_i32 s17, s10, s17
	s_add_u32 s16, s16, s17
	s_mul_hi_u32 s52, s10, s5
	s_addc_u32 s11, s11, s53
	s_addc_u32 s16, s52, 0
	s_mul_i32 s5, s10, s5
	s_add_u32 s5, s11, s5
	s_addc_u32 s11, 0, s16
	s_add_u32 s16, s4, s5
	s_cselect_b64 s[4:5], -1, 0
	s_cmp_lg_u64 s[4:5], 0
	s_addc_u32 s10, s10, s11
	s_mul_i32 s4, s8, s10
	s_mul_hi_u32 s5, s8, s16
	s_add_i32 s4, s5, s4
	s_mul_i32 s9, s9, s16
	s_add_i32 s4, s4, s9
	s_mul_i32 s8, s8, s16
	s_mul_hi_u32 s9, s10, s8
	s_mul_i32 s11, s10, s8
	s_mul_i32 s52, s16, s4
	s_mul_hi_u32 s8, s16, s8
	s_mul_hi_u32 s17, s16, s4
	s_add_u32 s8, s8, s52
	s_addc_u32 s17, 0, s17
	s_add_u32 s8, s8, s11
	s_mul_hi_u32 s5, s10, s4
	s_addc_u32 s8, s17, s9
	s_addc_u32 s5, s5, 0
	s_mul_i32 s4, s10, s4
	s_add_u32 s4, s8, s4
	s_addc_u32 s8, 0, s5
	s_add_u32 s9, s16, s4
	s_cselect_b64 s[4:5], -1, 0
	s_cmp_lg_u64 s[4:5], 0
	s_addc_u32 s4, s10, s8
	v_readlane_b32 s16, v52, 32
	s_mul_i32 s8, s16, s4
	s_mul_hi_u32 s10, s16, s9
	s_mul_hi_u32 s5, s16, s4
	s_add_u32 s8, s10, s8
	s_addc_u32 s5, 0, s5
	s_mul_hi_u32 s11, s57, s9
	s_mul_i32 s9, s57, s9
	s_add_u32 s8, s8, s9
	s_mul_hi_u32 s10, s57, s4
	s_addc_u32 s5, s5, s11
	s_addc_u32 s8, s10, 0
	s_mul_i32 s4, s57, s4
	s_add_u32 s4, s5, s4
	s_addc_u32 s5, 0, s8
	s_mul_i32 s5, s33, s5
	s_mul_hi_u32 s8, s33, s4
	s_add_i32 s8, s8, s5
	s_mul_i32 s4, s33, s4
	s_sub_u32 s9, s16, s4
	s_cselect_b64 s[4:5], -1, 0
	s_cmp_lg_u64 s[4:5], 0
	s_subb_u32 s8, s57, s8
	s_sub_u32 s10, s9, s33
	s_cselect_b64 s[4:5], -1, 0
	s_cmp_lg_u64 s[4:5], 0
	s_subb_u32 s11, s8, 0
	;; [unrolled: 4-line block ×3, first 2 shown]
	s_cmp_ge_u32 s10, s33
	s_cselect_b32 s5, -1, 0
	s_cmp_eq_u32 s11, 0
	s_cselect_b32 s5, s5, -1
	s_cmp_lg_u32 s5, 0
	s_cselect_b32 s4, s4, s11
	s_cselect_b32 s10, s16, s10
	s_cmp_ge_u32 s9, s33
	s_cselect_b32 s5, -1, 0
	s_cmp_eq_u32 s8, 0
	s_cselect_b32 s5, s5, -1
	v_readlane_b32 s52, v52, 44
	s_cmp_lg_u32 s5, 0
	v_readlane_b32 s53, v52, 45
	s_cselect_b32 s5, s4, s8
	s_cselect_b32 s4, s10, s9
	s_mov_b64 s[8:9], 0
	s_branch .LBB216_432
.LBB216_431:                            ;   in Loop: Header=BB216_6 Depth=1
	s_mov_b64 s[8:9], -1
                                        ; implicit-def: $sgpr4_sgpr5
.LBB216_432:                            ;   in Loop: Header=BB216_6 Depth=1
	s_andn2_b64 vcc, exec, s[8:9]
	s_cbranch_vccnz .LBB216_434
; %bb.433:                              ;   in Loop: Header=BB216_6 Depth=1
	v_cvt_f32_u32_e32 v6, s33
	s_sub_i32 s4, 0, s33
	v_readlane_b32 s8, v52, 32
	v_rcp_iflag_f32_e32 v6, v6
	v_mul_f32_e32 v6, 0x4f7ffffe, v6
	v_cvt_u32_f32_e32 v6, v6
	v_readfirstlane_b32 s5, v6
	s_mul_i32 s4, s4, s5
	s_mul_hi_u32 s4, s5, s4
	s_add_i32 s5, s5, s4
	s_mul_hi_u32 s4, s8, s5
	s_mul_i32 s4, s4, s33
	s_sub_i32 s4, s8, s4
	s_sub_i32 s5, s4, s33
	s_cmp_ge_u32 s4, s33
	s_cselect_b32 s4, s5, s4
	s_sub_i32 s5, s4, s33
	s_cmp_ge_u32 s4, s33
	s_cselect_b32 s54, s5, s4
	s_mov_b64 s[4:5], s[54:55]
	v_readlane_b32 s54, v52, 46
.LBB216_434:                            ;   in Loop: Header=BB216_6 Depth=1
	v_readlane_b32 s8, v52, 32
	s_sub_u32 s10, s8, s4
	v_readlane_b32 s8, v52, 34
	v_readlane_b32 s9, v52, 35
	s_subb_u32 s11, s9, s5
	v_cmp_gt_u64_e32 vcc, s[10:11], v[0:1]
                                        ; implicit-def: $vgpr47
	s_and_saveexec_b64 s[8:9], vcc
	s_cbranch_execz .LBB216_443
; %bb.435:                              ;   in Loop: Header=BB216_6 Depth=1
	v_mov_b32_e32 v6, v12
	v_mov_b32_e32 v9, v1
	s_mov_b64 s[4:5], 0
	v_mov_b32_e32 v7, v13
	v_mov_b32_e32 v8, v0
                                        ; implicit-def: $sgpr16_sgpr17
	s_branch .LBB216_438
.LBB216_436:                            ;   in Loop: Header=BB216_438 Depth=2
	s_or_b64 exec, exec, s[58:59]
	s_waitcnt lgkmcnt(0)
	s_barrier
	ds_read_b32 v10, v3 offset:3072
	s_mov_b64 s[52:53], -1
	s_mov_b64 s[56:57], -1
	s_waitcnt lgkmcnt(0)
	s_barrier
	v_and_b32_e32 v11, 0x7fff, v10
	v_cmp_eq_u32_e32 vcc, 0, v11
	s_cbranch_vccnz .LBB216_441
.LBB216_437:                            ;   in Loop: Header=BB216_438 Depth=2
	s_and_b64 s[52:53], exec, s[52:53]
	s_or_b64 s[4:5], s[52:53], s[4:5]
	s_andn2_b64 s[16:17], s[16:17], exec
	s_and_b64 s[52:53], s[56:57], exec
	s_or_b64 s[16:17], s[16:17], s[52:53]
	s_andn2_b64 exec, exec, s[4:5]
	s_cbranch_execz .LBB216_442
.LBB216_438:                            ;   Parent Loop BB216_6 Depth=1
                                        ; =>  This Inner Loop Header: Depth=2
	v_cmp_gt_u64_e32 vcc, s[28:29], v[8:9]
	s_and_saveexec_b64 s[58:59], vcc
	s_cbranch_execz .LBB216_436
; %bb.439:                              ;   in Loop: Header=BB216_438 Depth=2
	global_load_ushort v10, v[6:7], off
	s_waitcnt vmcnt(0)
	v_cmp_lt_i16_e32 vcc, -1, v10
	v_cndmask_b32_e32 v11, v41, v42, vcc
	v_lshlrev_b32_e32 v24, 16, v10
	v_cmp_o_f32_e32 vcc, v24, v24
	v_xor_b32_sdwa v11, v11, v10 dst_sel:DWORD dst_unused:UNUSED_PAD src0_sel:DWORD src1_sel:WORD_0
	v_cndmask_b32_e32 v11, v41, v11, vcc
	v_and_b32_e32 v11, v11, v46
	v_cmp_eq_u32_e32 vcc, v11, v38
	s_and_b64 exec, exec, vcc
	s_cbranch_execz .LBB216_436
; %bb.440:                              ;   in Loop: Header=BB216_438 Depth=2
	s_movk_i32 s52, 0x3f80
	v_perm_b32 v10, v10, s52, v45
	ds_write_b32 v3, v10 offset:3072
	s_branch .LBB216_436
.LBB216_441:                            ;   in Loop: Header=BB216_438 Depth=2
	v_add_co_u32_e32 v8, vcc, s33, v8
	v_addc_co_u32_e32 v9, vcc, 0, v9, vcc
	v_mov_b32_e32 v11, s35
	v_add_co_u32_e32 v6, vcc, s34, v6
	v_addc_co_u32_e32 v7, vcc, v7, v11, vcc
	v_cmp_le_u64_e32 vcc, s[10:11], v[8:9]
	s_mov_b64 s[56:57], 0
	s_orn2_b64 s[52:53], vcc, exec
	s_branch .LBB216_437
.LBB216_442:                            ;   in Loop: Header=BB216_6 Depth=1
	s_or_b64 exec, exec, s[4:5]
	s_andn2_b64 s[4:5], s[94:95], exec
	s_and_b64 s[10:11], s[16:17], exec
	v_readlane_b32 s52, v52, 44
	v_lshrrev_b32_e32 v47, 16, v10
	s_or_b64 s[94:95], s[4:5], s[10:11]
	v_readlane_b32 s53, v52, 45
.LBB216_443:                            ;   in Loop: Header=BB216_6 Depth=1
	s_or_b64 exec, exec, s[8:9]
	s_mov_b64 s[56:57], 0
	s_mov_b64 s[66:67], -1
.LBB216_444:                            ;   in Loop: Header=BB216_6 Depth=1
	s_orn2_b64 s[4:5], s[94:95], exec
.LBB216_445:                            ;   in Loop: Header=BB216_6 Depth=1
	v_readlane_b32 s8, v52, 52
	v_readlane_b32 s9, v52, 53
	s_or_b64 exec, exec, s[8:9]
	s_mov_b64 s[8:9], 0
	s_and_saveexec_b64 s[58:59], s[4:5]
	s_cbranch_execz .LBB216_456
; %bb.446:                              ;   in Loop: Header=BB216_6 Depth=1
	v_readlane_b32 s4, v52, 50
	v_readlane_b32 s5, v52, 51
	v_mov_b32_e32 v6, 1
	s_xor_b64 s[8:9], s[4:5], -1
	v_mov_b32_e32 v7, 0
	v_mov_b32_e32 v2, 1
	s_and_saveexec_b64 s[4:5], s[8:9]
	s_cbranch_execz .LBB216_455
; %bb.447:                              ;   in Loop: Header=BB216_6 Depth=1
	v_cmp_ge_u64_e32 vcc, s[22:23], v[4:5]
	s_and_saveexec_b64 s[8:9], vcc
	s_xor_b64 s[8:9], exec, s[8:9]
	s_cbranch_execz .LBB216_452
; %bb.448:                              ;   in Loop: Header=BB216_6 Depth=1
	ds_read_b64 v[6:7], v3 offset:5120
	v_and_b32_e32 v38, s60, v38
	v_or_b32_e32 v46, s63, v46
	s_waitcnt lgkmcnt(0)
	v_cmp_ne_u64_e32 vcc, 0, v[6:7]
	s_cbranch_vccnz .LBB216_452
; %bb.449:                              ;   in Loop: Header=BB216_6 Depth=1
	s_mov_b64 s[10:11], exec
	v_readlane_b32 s16, v52, 8
	v_readlane_b32 s17, v52, 9
	s_and_b64 s[16:17], s[10:11], s[16:17]
	s_mov_b64 exec, s[16:17]
; %bb.450:                              ;   in Loop: Header=BB216_6 Depth=1
	v_mov_b32_e32 v6, s22
	v_mov_b32_e32 v7, s23
	ds_write_b64 v3, v[6:7] offset:5128
; %bb.451:                              ;   in Loop: Header=BB216_6 Depth=1
	s_or_b64 exec, exec, s[10:11]
	s_waitcnt lgkmcnt(0)
	s_barrier
.LBB216_452:                            ;   in Loop: Header=BB216_6 Depth=1
	s_andn2_saveexec_b64 s[8:9], s[8:9]
; %bb.453:                              ;   in Loop: Header=BB216_6 Depth=1
	v_mov_b32_e32 v2, s23
	v_subrev_co_u32_e32 v4, vcc, s22, v4
	v_subb_co_u32_e32 v5, vcc, v5, v2, vcc
; %bb.454:                              ;   in Loop: Header=BB216_6 Depth=1
	s_or_b64 exec, exec, s[8:9]
	v_mov_b32_e32 v7, v5
	v_mov_b32_e32 v2, 5
	;; [unrolled: 1-line block ×3, first 2 shown]
.LBB216_455:                            ;   in Loop: Header=BB216_6 Depth=1
	s_or_b64 exec, exec, s[4:5]
	v_mov_b32_e32 v4, v6
	s_mov_b64 s[8:9], exec
	v_mov_b32_e32 v5, v7
.LBB216_456:                            ;   in Loop: Header=BB216_6 Depth=1
	s_or_b64 exec, exec, s[58:59]
	s_orn2_b64 s[4:5], s[8:9], exec
.LBB216_457:                            ;   in Loop: Header=BB216_6 Depth=1
	s_or_b64 exec, exec, s[40:41]
	s_andn2_b64 s[8:9], s[42:43], exec
	s_and_b64 s[10:11], s[66:67], exec
	s_or_b64 s[42:43], s[8:9], s[10:11]
	s_andn2_b64 s[8:9], s[20:21], exec
	s_and_b64 s[10:11], s[56:57], exec
	v_mov_b32_e32 v7, v5
	s_or_b64 s[20:21], s[8:9], s[10:11]
	s_and_b64 s[10:11], s[4:5], exec
	v_mov_b32_e32 v6, v4
.LBB216_458:                            ;   in Loop: Header=BB216_6 Depth=1
	s_or_b64 exec, exec, s[44:45]
	s_orn2_b64 s[4:5], s[10:11], exec
.LBB216_459:                            ;   in Loop: Header=BB216_6 Depth=1
	s_or_b64 exec, exec, s[38:39]
	s_andn2_b64 s[8:9], s[14:15], exec
	s_and_b64 s[10:11], s[42:43], exec
	s_or_b64 s[14:15], s[8:9], s[10:11]
	s_andn2_b64 s[8:9], s[12:13], exec
	s_and_b64 s[10:11], s[20:21], exec
	v_mov_b32_e32 v4, v6
	s_or_b64 s[12:13], s[8:9], s[10:11]
	s_and_b64 s[10:11], s[4:5], exec
	v_mov_b32_e32 v5, v7
.LBB216_460:                            ;   in Loop: Header=BB216_6 Depth=1
	s_or_b64 exec, exec, s[36:37]
	s_orn2_b64 s[4:5], s[10:11], exec
.LBB216_461:                            ;   in Loop: Header=BB216_6 Depth=1
	s_or_b64 exec, exec, s[6:7]
	s_mov_b64 s[6:7], s[48:49]
	s_mov_b64 s[8:9], s[46:47]
	s_and_saveexec_b64 s[10:11], s[4:5]
; %bb.462:                              ;   in Loop: Header=BB216_6 Depth=1
	v_cmp_ne_u32_e64 s[6:7], 5, v2
	v_cmp_eq_u32_e32 vcc, 5, v2
	s_andn2_b64 s[4:5], s[46:47], exec
	s_and_b64 s[6:7], s[6:7], exec
	s_or_b64 s[8:9], s[4:5], s[6:7]
	s_andn2_b64 s[4:5], s[48:49], exec
	s_and_b64 s[6:7], vcc, exec
	s_or_b64 s[6:7], s[4:5], s[6:7]
; %bb.463:                              ;   in Loop: Header=BB216_6 Depth=1
	s_or_b64 exec, exec, s[10:11]
	s_andn2_b64 s[4:5], s[18:19], exec
	s_and_b64 s[10:11], s[14:15], exec
	s_or_b64 s[18:19], s[4:5], s[10:11]
	s_andn2_b64 s[4:5], s[24:25], exec
	s_and_b64 s[10:11], s[12:13], exec
	s_or_b64 s[24:25], s[4:5], s[10:11]
	;; [unrolled: 3-line block ×4, first 2 shown]
.LBB216_464:                            ;   in Loop: Header=BB216_6 Depth=1
	s_or_b64 exec, exec, s[2:3]
	s_mov_b64 s[14:15], 0
	s_mov_b64 s[2:3], 0
	s_and_saveexec_b64 s[4:5], s[48:49]
.LBB216_465:                            ;   in Loop: Header=BB216_6 Depth=1
	v_mov_b32_e32 v2, 0
	s_or_b64 s[46:47], s[46:47], exec
.LBB216_466:                            ;   in Loop: Header=BB216_6 Depth=1
	s_or_b64 exec, exec, s[4:5]
	s_andn2_b64 s[6:7], s[90:91], exec
	s_and_b64 s[8:9], s[18:19], exec
	s_or_b64 s[90:91], s[6:7], s[8:9]
	s_andn2_b64 s[6:7], s[88:89], exec
	s_and_b64 s[8:9], s[24:25], exec
	s_or_b64 s[88:89], s[6:7], s[8:9]
	;; [unrolled: 3-line block ×3, first 2 shown]
	s_andn2_b64 s[2:3], s[84:85], exec
	s_and_b64 s[6:7], s[14:15], exec
	v_mov_b32_e32 v25, v5
	s_mov_b64 s[4:5], -1
	s_andn2_b64 s[92:93], s[92:93], exec
	s_or_b64 s[84:85], s[2:3], s[6:7]
	v_mov_b32_e32 v24, v4
	s_and_saveexec_b64 s[2:3], s[46:47]
	v_readlane_b32 s20, v52, 48
	s_xor_b64 s[2:3], exec, s[2:3]
	v_readlane_b32 s17, v52, 47
	v_readlane_b32 s21, v52, 49
	s_cbranch_execz .LBB216_5
; %bb.467:                              ;   in Loop: Header=BB216_6 Depth=1
	v_cmp_eq_u32_e32 vcc, 0, v2
	s_mov_b64 s[6:7], -1
	s_and_saveexec_b64 s[8:9], vcc
	s_cbranch_execz .LBB216_4
; %bb.468:                              ;   in Loop: Header=BB216_6 Depth=1
	v_readlane_b32 s4, v52, 43
	s_xor_b32 s4, s4, 1
	s_add_i32 s10, s62, -2
	s_cmp_eq_u32 s62, 0
	v_writelane_b32 v52, s4, 43
	s_cselect_b64 s[4:5], -1, 0
	s_xor_b64 s[6:7], exec, -1
	s_orn2_b64 s[4:5], s[4:5], exec
	s_mov_b32 s62, s10
	s_branch .LBB216_4
.LBB216_469:
	s_or_b64 exec, exec, s[72:73]
	s_xor_b64 s[4:5], s[82:83], -1
	s_xor_b64 s[12:13], s[78:79], -1
	;; [unrolled: 1-line block ×5, first 2 shown]
	s_mov_b64 s[6:7], 0
	s_and_saveexec_b64 s[14:15], s[8:9]
	s_xor_b64 s[8:9], exec, s[14:15]
	s_cbranch_execnz .LBB216_474
; %bb.470:
	s_andn2_saveexec_b64 s[0:1], s[8:9]
	s_cbranch_execnz .LBB216_493
.LBB216_471:
	s_or_b64 exec, exec, s[0:1]
	s_and_saveexec_b64 s[0:1], s[6:7]
.LBB216_472:
	; divergent unreachable
.LBB216_473:
	s_endpgm
.LBB216_474:
	s_and_saveexec_b64 s[14:15], s[10:11]
	s_xor_b64 s[10:11], exec, s[14:15]
	s_cbranch_execz .LBB216_491
; %bb.475:
	s_and_saveexec_b64 s[14:15], s[12:13]
	s_xor_b64 s[12:13], exec, s[14:15]
	s_cbranch_execz .LBB216_489
; %bb.476:
	;; [unrolled: 4-line block ×3, first 2 shown]
	s_and_saveexec_b64 s[4:5], s[2:3]
	s_xor_b64 s[2:3], exec, s[4:5]
; %bb.478:
	v_and_b32_e32 v2, 0x8000, v38
	v_mov_b32_e32 v3, 0x8000
	v_mov_b32_e32 v4, 0xffff
	v_cmp_eq_u32_e32 vcc, 0, v2
	v_cndmask_b32_e32 v2, v3, v4, vcc
	v_xor_b32_e32 v47, v2, v38
; %bb.479:
	s_or_b64 exec, exec, s[2:3]
	s_mov_b64 s[2:3], exec
	v_readlane_b32 s6, v52, 10
	v_readlane_b32 s7, v52, 11
	s_load_dwordx2 s[52:53], s[6:7], 0x0
	v_readlane_b32 s4, v52, 8
	v_readlane_b32 s5, v52, 9
	;; [unrolled: 1-line block ×3, first 2 shown]
	s_and_b64 s[4:5], s[2:3], s[4:5]
	v_readlane_b32 s55, v52, 17
	s_mov_b64 exec, s[4:5]
; %bb.480:
	v_mov_b32_e32 v2, 0
	v_mov_b32_e32 v3, v2
	ds_write_b64 v2, v[2:3] offset:5136
; %bb.481:
	s_or_b64 exec, exec, s[2:3]
	v_mov_b32_e32 v19, 0
	s_waitcnt lgkmcnt(0)
	s_barrier
	s_mov_b64 s[2:3], exec
	v_readlane_b32 s4, v52, 22
	v_readlane_b32 s5, v52, 23
	s_and_b64 s[4:5], s[2:3], s[4:5]
	s_mov_b64 exec, s[4:5]
	s_cbranch_execz .LBB216_483
; %bb.482:
	global_load_ushort v19, v[12:13], off
.LBB216_483:
	s_or_b64 exec, exec, s[2:3]
	s_add_u32 s2, s28, 63
	s_addc_u32 s17, s29, 0
	s_and_b32 s16, s2, 0xffffffc0
	v_readlane_b32 s2, v52, 12
	v_readlane_b32 s4, v52, 4
	;; [unrolled: 1-line block ×3, first 2 shown]
	s_mov_b32 s18, s2
	v_readlane_b32 s5, v52, 5
	v_readlane_b32 s20, v52, 0
	s_mul_i32 s2, s5, s2
	s_mul_hi_u32 s3, s4, s18
	v_readlane_b32 s21, v52, 1
	s_add_i32 s3, s3, s2
	s_mul_i32 s2, s4, s18
	s_mul_i32 s4, s21, s18
	s_mul_hi_u32 s5, s20, s18
	s_add_i32 s5, s5, s4
	s_mul_i32 s4, s20, s18
	s_lshl_b64 s[2:3], s[2:3], 1
	v_readlane_b32 s18, v52, 6
	v_readlane_b32 s19, v52, 7
	s_add_u32 s46, s18, s2
	v_mov_b32_e32 v17, 0xffff
	v_mov_b32_e32 v18, 0x8000
	v_cmp_lt_i16_e32 vcc, -1, v47
	s_addc_u32 s47, s19, s3
	s_load_dwordx2 s[18:19], s[6:7], 0x368
	s_load_dwordx2 s[20:21], s[6:7], 0x510
	v_cndmask_b32_e32 v2, v17, v18, vcc
	v_lshlrev_b32_e32 v3, 16, v47
	v_xor_b32_sdwa v2, v2, v47 dst_sel:DWORD dst_unused:UNUSED_PAD src0_sel:DWORD src1_sel:WORD_0
	v_cmp_o_f32_e32 vcc, v3, v3
	s_lshl_b64 s[2:3], s[4:5], 3
	v_readlane_b32 s4, v52, 2
	v_cndmask_b32_e32 v16, v17, v2, vcc
	v_readlane_b32 s5, v52, 3
	s_add_u32 s48, s4, s2
	v_cmp_gt_u64_e32 vcc, s[16:17], v[0:1]
	s_addc_u32 s49, s5, s3
	s_mov_b64 s[24:25], -1
	s_mov_b64 s[2:3], 0
	s_mov_b64 s[4:5], 0
	s_and_saveexec_b64 s[22:23], vcc
	s_cbranch_execnz .LBB216_494
; %bb.484:
	s_or_b64 exec, exec, s[22:23]
	s_and_saveexec_b64 s[6:7], s[24:25]
	s_cbranch_execnz .LBB216_511
.LBB216_485:
	s_or_b64 exec, exec, s[6:7]
	s_and_saveexec_b64 s[0:1], s[4:5]
	s_xor_b64 s[0:1], exec, s[0:1]
	s_cbranch_execnz .LBB216_536
.LBB216_486:
	s_or_b64 exec, exec, s[0:1]
	s_and_b64 s[6:7], s[2:3], exec
.LBB216_487:
	s_andn2_saveexec_b64 s[0:1], s[14:15]
	s_cbranch_execnz .LBB216_538
.LBB216_488:
	s_or_b64 exec, exec, s[0:1]
	s_and_b64 s[6:7], s[6:7], exec
.LBB216_489:
	s_andn2_saveexec_b64 s[0:1], s[12:13]
	s_cbranch_execnz .LBB216_537
.LBB216_490:
	s_or_b64 exec, exec, s[0:1]
	s_and_b64 s[6:7], s[6:7], exec
.LBB216_491:
	s_andn2_saveexec_b64 s[0:1], s[10:11]
	s_cbranch_execnz .LBB216_532
.LBB216_492:
	s_or_b64 exec, exec, s[0:1]
	s_and_b64 s[6:7], s[6:7], exec
	s_andn2_saveexec_b64 s[0:1], s[8:9]
	s_cbranch_execz .LBB216_471
.LBB216_493:
	s_or_b64 s[6:7], s[6:7], exec
	s_trap 2
	s_or_b64 exec, exec, s[0:1]
	s_and_saveexec_b64 s[0:1], s[6:7]
	s_cbranch_execnz .LBB216_472
	s_branch .LBB216_473
.LBB216_494:
	v_add_co_u32_e64 v2, s[4:5], s33, v0
	v_addc_co_u32_e64 v3, s[4:5], 0, 0, s[4:5]
	v_mul_lo_u32 v4, s27, v2
	v_mul_lo_u32 v5, s26, v3
	v_mad_u64_u32 v[2:3], s[4:5], s26, v2, 0
	v_readlane_b32 s4, v52, 14
	v_readlane_b32 s5, v52, 15
	v_add3_u32 v3, v3, v5, v4
	v_lshlrev_b64 v[2:3], 1, v[2:3]
	s_add_u32 s4, s52, s4
	s_addc_u32 s5, s53, s5
	v_mov_b32_e32 v4, s5
	v_add_co_u32_e64 v2, s[4:5], s4, v2
	v_mov_b32_e32 v11, v1
	v_addc_co_u32_e64 v3, s[4:5], v4, v3, s[4:5]
	s_mov_b64 s[24:25], 0
	v_mov_b32_e32 v5, 0
	v_mov_b32_e32 v10, v0
                                        ; implicit-def: $sgpr36_sgpr37
                                        ; implicit-def: $vgpr8_vgpr9
	s_branch .LBB216_496
.LBB216_495:                            ;   in Loop: Header=BB216_496 Depth=1
	s_or_b64 exec, exec, s[38:39]
	s_xor_b64 s[4:5], s[40:41], -1
	s_and_b64 s[6:7], exec, s[6:7]
	s_or_b64 s[24:25], s[6:7], s[24:25]
	s_andn2_b64 s[6:7], s[36:37], exec
	s_and_b64 s[4:5], s[4:5], exec
	v_mov_b32_e32 v11, v7
	s_or_b64 s[36:37], s[6:7], s[4:5]
	v_mov_b32_e32 v10, v6
	s_waitcnt vmcnt(0)
	v_mov_b32_e32 v19, v20
	s_andn2_b64 exec, exec, s[24:25]
	s_cbranch_execz .LBB216_510
.LBB216_496:                            ; =>This Inner Loop Header: Depth=1
	v_add_co_u32_e64 v6, s[4:5], s33, v10
	v_addc_co_u32_e64 v7, s[4:5], 0, v11, s[4:5]
	v_cmp_gt_u64_e64 s[4:5], s[28:29], v[6:7]
	v_mov_b32_e32 v20, 0
	s_and_saveexec_b64 s[6:7], s[4:5]
	s_cbranch_execz .LBB216_498
; %bb.497:                              ;   in Loop: Header=BB216_496 Depth=1
	global_load_ushort v20, v[2:3], off
.LBB216_498:                            ;   in Loop: Header=BB216_496 Depth=1
	s_or_b64 exec, exec, s[6:7]
	v_cmp_gt_u64_e64 s[4:5], s[28:29], v[10:11]
	s_mov_b64 s[38:39], 0
	s_and_saveexec_b64 s[6:7], s[4:5]
	s_cbranch_execz .LBB216_500
; %bb.499:                              ;   in Loop: Header=BB216_496 Depth=1
	s_waitcnt vmcnt(0)
	v_cmp_lt_i16_e64 s[4:5], -1, v19
	v_cndmask_b32_e64 v4, v17, v18, s[4:5]
	v_lshlrev_b32_e32 v14, 16, v19
	v_xor_b32_sdwa v4, v4, v19 dst_sel:DWORD dst_unused:UNUSED_PAD src0_sel:DWORD src1_sel:WORD_0
	v_cmp_o_f32_e64 s[4:5], v14, v14
	v_cndmask_b32_e64 v4, v17, v4, s[4:5]
	v_cmp_gt_u32_e64 s[4:5], v4, v16
	v_cndmask_b32_e64 v14, 0, 1, s[4:5]
	v_cmp_lt_u32_e64 s[4:5], v4, v16
	v_cndmask_b32_e64 v4, 0, 1, s[4:5]
	v_cndmask_b32_e64 v4, v4, v14, s[54:55]
	v_and_b32_e32 v4, 1, v4
	v_cmp_eq_u32_e64 s[4:5], 1, v4
	s_and_b64 s[38:39], s[4:5], exec
.LBB216_500:                            ;   in Loop: Header=BB216_496 Depth=1
	s_or_b64 exec, exec, s[6:7]
	v_cndmask_b32_e64 v4, 0, 1, s[38:39]
	v_cmp_ne_u32_e64 s[4:5], 0, v4
	s_cmp_lg_u64 s[4:5], 0
	s_cselect_b64 s[6:7], -1, 0
	s_and_b64 s[6:7], s[0:1], s[6:7]
	s_and_saveexec_b64 s[40:41], s[6:7]
	s_cbranch_execz .LBB216_504
; %bb.501:                              ;   in Loop: Header=BB216_496 Depth=1
	s_mov_b64 s[44:45], exec
	v_mbcnt_lo_u32_b32 v4, s44, 0
	v_mbcnt_hi_u32_b32 v14, s45, v4
	s_bcnt1_i32_b64 s50, s[4:5]
	v_cmp_eq_u32_e64 s[6:7], 0, v14
                                        ; implicit-def: $vgpr8_vgpr9
	s_and_saveexec_b64 s[42:43], s[6:7]
	s_cbranch_execz .LBB216_503
; %bb.502:                              ;   in Loop: Header=BB216_496 Depth=1
	s_bcnt1_i32_b64 s6, s[44:45]
	s_mul_i32 s6, s50, s6
	v_mov_b32_e32 v4, s6
	s_waitcnt lgkmcnt(0)
	ds_add_rtn_u64 v[8:9], v5, v[4:5] offset:5136
.LBB216_503:                            ;   in Loop: Header=BB216_496 Depth=1
	s_or_b64 exec, exec, s[42:43]
	s_waitcnt lgkmcnt(0)
	v_readfirstlane_b32 s6, v9
	v_readfirstlane_b32 s7, v8
	v_mov_b32_e32 v8, s7
	v_mov_b32_e32 v9, s6
	v_mad_u64_u32 v[8:9], s[6:7], s50, v14, v[8:9]
.LBB216_504:                            ;   in Loop: Header=BB216_496 Depth=1
	s_or_b64 exec, exec, s[40:41]
	s_waitcnt lgkmcnt(0)
	ds_bpermute_b32 v8, v30, v8
	ds_bpermute_b32 v9, v30, v9
	s_mov_b64 s[6:7], -1
	s_mov_b64 s[42:43], -1
	s_and_saveexec_b64 s[40:41], s[38:39]
	s_cbranch_execz .LBB216_508
; %bb.505:                              ;   in Loop: Header=BB216_496 Depth=1
	v_and_b32_e32 v14, s4, v29
	v_and_b32_e32 v4, s5, v28
	v_bcnt_u32_b32 v14, v14, 0
	v_bcnt_u32_b32 v4, v4, v14
	s_waitcnt lgkmcnt(0)
	v_add_co_u32_e64 v14, s[4:5], v8, v4
	v_addc_co_u32_e64 v15, s[4:5], 0, v9, s[4:5]
	v_cmp_gt_u64_e64 s[4:5], s[30:31], v[14:15]
	s_mov_b64 s[38:39], 0
	s_and_saveexec_b64 s[42:43], s[4:5]
	s_cbranch_execz .LBB216_507
; %bb.506:                              ;   in Loop: Header=BB216_496 Depth=1
	v_mul_lo_u32 v4, v15, s18
	v_mul_lo_u32 v23, v14, s19
	v_mad_u64_u32 v[21:22], s[4:5], v14, s18, 0
	v_mul_lo_u32 v24, v15, s20
	v_mul_lo_u32 v25, v14, s21
	v_mad_u64_u32 v[14:15], s[4:5], v14, s20, 0
	v_add3_u32 v22, v22, v23, v4
	v_lshlrev_b64 v[21:22], 1, v[21:22]
	v_add3_u32 v15, v15, v25, v24
	v_mov_b32_e32 v4, s47
	v_add_co_u32_e64 v21, s[4:5], s46, v21
	v_lshlrev_b64 v[14:15], 3, v[14:15]
	v_addc_co_u32_e64 v22, s[4:5], v4, v22, s[4:5]
	v_mov_b32_e32 v4, s49
	v_add_co_u32_e64 v14, s[4:5], s48, v14
	s_mov_b64 s[38:39], exec
	v_addc_co_u32_e64 v15, s[4:5], v4, v15, s[4:5]
	s_waitcnt vmcnt(0)
	global_store_short v[21:22], v19, off
	global_store_dwordx2 v[14:15], v[10:11], off
.LBB216_507:                            ;   in Loop: Header=BB216_496 Depth=1
	s_or_b64 exec, exec, s[42:43]
	s_orn2_b64 s[42:43], s[38:39], exec
.LBB216_508:                            ;   in Loop: Header=BB216_496 Depth=1
	s_or_b64 exec, exec, s[40:41]
	s_mov_b64 s[40:41], -1
	s_and_saveexec_b64 s[38:39], s[42:43]
	s_cbranch_execz .LBB216_495
; %bb.509:                              ;   in Loop: Header=BB216_496 Depth=1
	v_mov_b32_e32 v4, s35
	v_add_co_u32_e64 v2, s[4:5], s34, v2
	v_addc_co_u32_e64 v3, s[4:5], v3, v4, s[4:5]
	v_cmp_le_u64_e64 s[4:5], s[16:17], v[6:7]
	s_xor_b64 s[40:41], exec, -1
	s_orn2_b64 s[6:7], s[4:5], exec
	s_branch .LBB216_495
.LBB216_510:
	s_or_b64 exec, exec, s[24:25]
	s_mov_b64 s[4:5], exec
	s_orn2_b64 s[24:25], s[36:37], exec
	s_or_b64 exec, exec, s[22:23]
	s_and_saveexec_b64 s[6:7], s[24:25]
	s_cbranch_execz .LBB216_485
.LBB216_511:
	v_mov_b32_e32 v15, 0
	s_waitcnt vmcnt(0) lgkmcnt(0)
	s_barrier
	s_mov_b64 s[2:3], exec
	v_readlane_b32 s22, v52, 22
	v_readlane_b32 s23, v52, 23
	s_and_b64 s[22:23], s[2:3], s[22:23]
	s_mov_b64 exec, s[22:23]
	s_cbranch_execz .LBB216_513
; %bb.512:
	global_load_ushort v15, v[12:13], off
.LBB216_513:
	s_or_b64 exec, exec, s[2:3]
	s_mov_b64 s[2:3], 0
	s_and_saveexec_b64 s[22:23], vcc
	s_cbranch_execz .LBB216_535
; %bb.514:
	v_add_co_u32_e32 v2, vcc, s33, v0
	v_addc_co_u32_e64 v3, s[2:3], 0, 0, vcc
	v_mul_lo_u32 v4, s27, v2
	v_mul_lo_u32 v5, s26, v3
	v_mad_u64_u32 v[2:3], s[2:3], s26, v2, 0
	v_readlane_b32 s2, v52, 14
	v_readlane_b32 s3, v52, 15
	v_add3_u32 v3, v3, v5, v4
	v_lshlrev_b64 v[2:3], 1, v[2:3]
	s_add_u32 s2, s52, s2
	s_addc_u32 s3, s53, s3
	v_mov_b32_e32 v4, s3
	v_add_co_u32_e32 v2, vcc, s2, v2
	v_addc_co_u32_e32 v3, vcc, v4, v3, vcc
	s_mov_b64 s[24:25], 0
	v_mov_b32_e32 v5, 0
	v_mov_b32_e32 v12, 0xffff
	;; [unrolled: 1-line block ×3, first 2 shown]
                                        ; implicit-def: $sgpr26_sgpr27
                                        ; implicit-def: $vgpr8_vgpr9
	s_branch .LBB216_517
.LBB216_515:                            ;   in Loop: Header=BB216_517 Depth=1
	s_or_b64 exec, exec, s[38:39]
	s_orn2_b64 s[40:41], s[42:43], exec
	s_orn2_b64 s[38:39], s[36:37], exec
.LBB216_516:                            ;   in Loop: Header=BB216_517 Depth=1
	s_or_b64 exec, exec, s[2:3]
	s_xor_b64 s[2:3], s[40:41], -1
	s_and_b64 s[36:37], exec, s[38:39]
	s_or_b64 s[24:25], s[36:37], s[24:25]
	s_andn2_b64 s[26:27], s[26:27], exec
	s_and_b64 s[2:3], s[2:3], exec
	v_mov_b32_e32 v0, v6
	s_or_b64 s[26:27], s[26:27], s[2:3]
	v_mov_b32_e32 v1, v7
	s_waitcnt vmcnt(0)
	v_mov_b32_e32 v15, v14
	s_andn2_b64 exec, exec, s[24:25]
	s_cbranch_execz .LBB216_533
.LBB216_517:                            ; =>This Inner Loop Header: Depth=1
	v_add_co_u32_e32 v6, vcc, s33, v0
	v_addc_co_u32_e32 v7, vcc, 0, v1, vcc
	v_cmp_gt_u64_e32 vcc, s[28:29], v[6:7]
	v_mov_b32_e32 v14, 0
	s_and_saveexec_b64 s[2:3], vcc
	s_cbranch_execz .LBB216_519
; %bb.518:                              ;   in Loop: Header=BB216_517 Depth=1
	global_load_ushort v14, v[2:3], off
.LBB216_519:                            ;   in Loop: Header=BB216_517 Depth=1
	s_or_b64 exec, exec, s[2:3]
	v_cmp_gt_u64_e32 vcc, s[28:29], v[0:1]
	s_mov_b64 s[36:37], 0
	s_and_saveexec_b64 s[2:3], vcc
	s_cbranch_execz .LBB216_521
; %bb.520:                              ;   in Loop: Header=BB216_517 Depth=1
	s_waitcnt vmcnt(0)
	v_cmp_lt_i16_e32 vcc, -1, v15
	v_cndmask_b32_e32 v4, v12, v13, vcc
	v_lshlrev_b32_e32 v10, 16, v15
	v_xor_b32_sdwa v4, v4, v15 dst_sel:DWORD dst_unused:UNUSED_PAD src0_sel:DWORD src1_sel:WORD_0
	v_cmp_o_f32_e32 vcc, v10, v10
	v_cndmask_b32_e32 v4, v12, v4, vcc
	v_cmp_eq_u32_e32 vcc, v4, v16
	s_and_b64 s[36:37], vcc, exec
.LBB216_521:                            ;   in Loop: Header=BB216_517 Depth=1
	s_or_b64 exec, exec, s[2:3]
	v_cndmask_b32_e64 v4, 0, 1, s[36:37]
	v_cmp_ne_u32_e32 vcc, 0, v4
	s_cmp_lg_u64 vcc, 0
	s_cselect_b64 s[2:3], -1, 0
	s_and_b64 s[2:3], s[0:1], s[2:3]
	s_and_saveexec_b64 s[38:39], s[2:3]
	s_cbranch_execz .LBB216_525
; %bb.522:                              ;   in Loop: Header=BB216_517 Depth=1
	s_mov_b64 s[42:43], exec
	v_mbcnt_lo_u32_b32 v4, s42, 0
	v_mbcnt_hi_u32_b32 v10, s43, v4
	s_bcnt1_i32_b64 s44, vcc
	v_cmp_eq_u32_e64 s[2:3], 0, v10
                                        ; implicit-def: $vgpr8_vgpr9
	s_and_saveexec_b64 s[40:41], s[2:3]
; %bb.523:                              ;   in Loop: Header=BB216_517 Depth=1
	s_bcnt1_i32_b64 s2, s[42:43]
	s_mul_i32 s2, s44, s2
	v_mov_b32_e32 v4, s2
	ds_add_rtn_u64 v[8:9], v5, v[4:5] offset:5136
; %bb.524:                              ;   in Loop: Header=BB216_517 Depth=1
	s_or_b64 exec, exec, s[40:41]
	s_waitcnt lgkmcnt(0)
	v_readfirstlane_b32 s2, v9
	v_readfirstlane_b32 s3, v8
	v_mov_b32_e32 v8, s3
	v_mov_b32_e32 v9, s2
	v_mad_u64_u32 v[8:9], s[2:3], s44, v10, v[8:9]
.LBB216_525:                            ;   in Loop: Header=BB216_517 Depth=1
	s_or_b64 exec, exec, s[38:39]
	ds_bpermute_b32 v8, v30, v8
	ds_bpermute_b32 v9, v30, v9
	s_cmp_eq_u64 vcc, 0
	s_cselect_b64 s[40:41], -1, 0
	s_mov_b64 s[38:39], -1
	s_waitcnt lgkmcnt(0)
	v_cmp_gt_u64_e64 s[2:3], s[30:31], v[8:9]
	s_or_b64 s[42:43], s[40:41], s[2:3]
	s_mov_b64 s[40:41], -1
	s_and_saveexec_b64 s[2:3], s[42:43]
	s_cbranch_execz .LBB216_516
; %bb.526:                              ;   in Loop: Header=BB216_517 Depth=1
	v_and_b32_e32 v10, vcc_lo, v29
	v_and_b32_e32 v4, vcc_hi, v28
	v_bcnt_u32_b32 v10, v10, 0
	v_bcnt_u32_b32 v4, v4, v10
	v_mov_b32_e32 v11, s31
	v_sub_co_u32_e32 v10, vcc, s30, v8
	v_subb_co_u32_e32 v11, vcc, v11, v9, vcc
	v_cmp_gt_u64_e32 vcc, v[10:11], v[4:5]
	s_mov_b64 s[42:43], -1
	s_and_b64 s[44:45], s[36:37], vcc
	s_mov_b64 s[36:37], -1
	s_and_saveexec_b64 s[38:39], s[44:45]
	s_cbranch_execz .LBB216_530
; %bb.527:                              ;   in Loop: Header=BB216_517 Depth=1
	v_add_co_u32_e32 v10, vcc, v8, v4
	v_addc_co_u32_e32 v11, vcc, 0, v9, vcc
	v_cmp_gt_u64_e32 vcc, s[30:31], v[10:11]
	s_mov_b64 s[40:41], 0
	s_and_saveexec_b64 s[42:43], vcc
	s_cbranch_execz .LBB216_529
; %bb.528:                              ;   in Loop: Header=BB216_517 Depth=1
	v_mul_lo_u32 v4, v11, s18
	v_mul_lo_u32 v19, v10, s19
	v_mad_u64_u32 v[17:18], s[44:45], v10, s18, 0
	v_mul_lo_u32 v20, v11, s20
	v_mul_lo_u32 v21, v10, s21
	v_mad_u64_u32 v[10:11], s[44:45], v10, s20, 0
	v_add3_u32 v18, v18, v19, v4
	v_lshlrev_b64 v[17:18], 1, v[17:18]
	v_add3_u32 v11, v11, v21, v20
	v_mov_b32_e32 v4, s47
	v_add_co_u32_e32 v17, vcc, s46, v17
	v_lshlrev_b64 v[10:11], 3, v[10:11]
	v_addc_co_u32_e32 v18, vcc, v4, v18, vcc
	v_mov_b32_e32 v4, s49
	v_add_co_u32_e32 v10, vcc, s48, v10
	s_mov_b64 s[40:41], exec
	v_addc_co_u32_e32 v11, vcc, v4, v11, vcc
	s_waitcnt vmcnt(0)
	global_store_short v[17:18], v15, off
	global_store_dwordx2 v[10:11], v[0:1], off
.LBB216_529:                            ;   in Loop: Header=BB216_517 Depth=1
	s_or_b64 exec, exec, s[42:43]
	s_xor_b64 s[42:43], exec, -1
	s_orn2_b64 s[40:41], s[40:41], exec
.LBB216_530:                            ;   in Loop: Header=BB216_517 Depth=1
	s_or_b64 exec, exec, s[38:39]
	s_and_saveexec_b64 s[38:39], s[40:41]
	s_cbranch_execz .LBB216_515
; %bb.531:                              ;   in Loop: Header=BB216_517 Depth=1
	v_mov_b32_e32 v0, s35
	v_add_co_u32_e32 v2, vcc, s34, v2
	v_addc_co_u32_e32 v3, vcc, v3, v0, vcc
	v_cmp_le_u64_e32 vcc, s[16:17], v[6:7]
	s_or_b64 s[42:43], s[42:43], exec
	s_orn2_b64 s[36:37], vcc, exec
	s_branch .LBB216_515
.LBB216_532:
	s_or_b64 s[6:7], s[6:7], exec
	s_trap 2
	s_branch .LBB216_492
.LBB216_533:
	s_or_b64 exec, exec, s[24:25]
	s_mov_b64 s[0:1], 0
	s_and_saveexec_b64 s[2:3], s[26:27]
	s_xor_b64 s[2:3], exec, s[2:3]
	s_cbranch_execnz .LBB216_539
.LBB216_534:
	s_or_b64 exec, exec, s[2:3]
	s_and_b64 s[2:3], s[0:1], exec
.LBB216_535:
	s_or_b64 exec, exec, s[22:23]
	s_and_b64 s[2:3], s[2:3], exec
	s_andn2_b64 s[4:5], s[4:5], exec
	s_or_b64 exec, exec, s[6:7]
	s_and_saveexec_b64 s[0:1], s[4:5]
	s_xor_b64 s[0:1], exec, s[0:1]
	s_cbranch_execz .LBB216_486
.LBB216_536:
	s_trap 2
	s_or_b64 s[2:3], s[2:3], exec
	s_branch .LBB216_486
.LBB216_537:
	s_or_b64 s[6:7], s[6:7], exec
	s_trap 2
	s_branch .LBB216_490
.LBB216_538:
	s_trap 2
	s_or_b64 s[6:7], s[6:7], exec
	s_branch .LBB216_488
.LBB216_539:
	s_mov_b64 s[0:1], exec
	s_trap 2
	s_branch .LBB216_534
	.section	.rodata,"a",@progbits
	.p2align	6, 0x0
	.amdhsa_kernel _ZN2at6native6sbtopk10gatherTopKIN3c108BFloat16EmLi1ELb0EEEvNS_4cuda6detail10TensorInfoIKT_T0_EESA_SA_bSA_SA_NS7_IS8_SA_EESA_NS7_IlSA_EESA_PS8_
		.amdhsa_group_segment_fixed_size 5152
		.amdhsa_private_segment_fixed_size 0
		.amdhsa_kernarg_size 1568
		.amdhsa_user_sgpr_count 6
		.amdhsa_user_sgpr_private_segment_buffer 1
		.amdhsa_user_sgpr_dispatch_ptr 0
		.amdhsa_user_sgpr_queue_ptr 0
		.amdhsa_user_sgpr_kernarg_segment_ptr 1
		.amdhsa_user_sgpr_dispatch_id 0
		.amdhsa_user_sgpr_flat_scratch_init 0
		.amdhsa_user_sgpr_private_segment_size 0
		.amdhsa_uses_dynamic_stack 0
		.amdhsa_system_sgpr_private_segment_wavefront_offset 0
		.amdhsa_system_sgpr_workgroup_id_x 1
		.amdhsa_system_sgpr_workgroup_id_y 1
		.amdhsa_system_sgpr_workgroup_id_z 1
		.amdhsa_system_sgpr_workgroup_info 0
		.amdhsa_system_vgpr_workitem_id 0
		.amdhsa_next_free_vgpr 53
		.amdhsa_next_free_sgpr 96
		.amdhsa_reserve_vcc 1
		.amdhsa_reserve_flat_scratch 0
		.amdhsa_float_round_mode_32 0
		.amdhsa_float_round_mode_16_64 0
		.amdhsa_float_denorm_mode_32 3
		.amdhsa_float_denorm_mode_16_64 3
		.amdhsa_dx10_clamp 1
		.amdhsa_ieee_mode 1
		.amdhsa_fp16_overflow 0
		.amdhsa_exception_fp_ieee_invalid_op 0
		.amdhsa_exception_fp_denorm_src 0
		.amdhsa_exception_fp_ieee_div_zero 0
		.amdhsa_exception_fp_ieee_overflow 0
		.amdhsa_exception_fp_ieee_underflow 0
		.amdhsa_exception_fp_ieee_inexact 0
		.amdhsa_exception_int_div_zero 0
	.end_amdhsa_kernel
	.section	.text._ZN2at6native6sbtopk10gatherTopKIN3c108BFloat16EmLi1ELb0EEEvNS_4cuda6detail10TensorInfoIKT_T0_EESA_SA_bSA_SA_NS7_IS8_SA_EESA_NS7_IlSA_EESA_PS8_,"axG",@progbits,_ZN2at6native6sbtopk10gatherTopKIN3c108BFloat16EmLi1ELb0EEEvNS_4cuda6detail10TensorInfoIKT_T0_EESA_SA_bSA_SA_NS7_IS8_SA_EESA_NS7_IlSA_EESA_PS8_,comdat
.Lfunc_end216:
	.size	_ZN2at6native6sbtopk10gatherTopKIN3c108BFloat16EmLi1ELb0EEEvNS_4cuda6detail10TensorInfoIKT_T0_EESA_SA_bSA_SA_NS7_IS8_SA_EESA_NS7_IlSA_EESA_PS8_, .Lfunc_end216-_ZN2at6native6sbtopk10gatherTopKIN3c108BFloat16EmLi1ELb0EEEvNS_4cuda6detail10TensorInfoIKT_T0_EESA_SA_bSA_SA_NS7_IS8_SA_EESA_NS7_IlSA_EESA_PS8_
                                        ; -- End function
	.set _ZN2at6native6sbtopk10gatherTopKIN3c108BFloat16EmLi1ELb0EEEvNS_4cuda6detail10TensorInfoIKT_T0_EESA_SA_bSA_SA_NS7_IS8_SA_EESA_NS7_IlSA_EESA_PS8_.num_vgpr, 53
	.set _ZN2at6native6sbtopk10gatherTopKIN3c108BFloat16EmLi1ELb0EEEvNS_4cuda6detail10TensorInfoIKT_T0_EESA_SA_bSA_SA_NS7_IS8_SA_EESA_NS7_IlSA_EESA_PS8_.num_agpr, 0
	.set _ZN2at6native6sbtopk10gatherTopKIN3c108BFloat16EmLi1ELb0EEEvNS_4cuda6detail10TensorInfoIKT_T0_EESA_SA_bSA_SA_NS7_IS8_SA_EESA_NS7_IlSA_EESA_PS8_.numbered_sgpr, 96
	.set _ZN2at6native6sbtopk10gatherTopKIN3c108BFloat16EmLi1ELb0EEEvNS_4cuda6detail10TensorInfoIKT_T0_EESA_SA_bSA_SA_NS7_IS8_SA_EESA_NS7_IlSA_EESA_PS8_.num_named_barrier, 0
	.set _ZN2at6native6sbtopk10gatherTopKIN3c108BFloat16EmLi1ELb0EEEvNS_4cuda6detail10TensorInfoIKT_T0_EESA_SA_bSA_SA_NS7_IS8_SA_EESA_NS7_IlSA_EESA_PS8_.private_seg_size, 0
	.set _ZN2at6native6sbtopk10gatherTopKIN3c108BFloat16EmLi1ELb0EEEvNS_4cuda6detail10TensorInfoIKT_T0_EESA_SA_bSA_SA_NS7_IS8_SA_EESA_NS7_IlSA_EESA_PS8_.uses_vcc, 1
	.set _ZN2at6native6sbtopk10gatherTopKIN3c108BFloat16EmLi1ELb0EEEvNS_4cuda6detail10TensorInfoIKT_T0_EESA_SA_bSA_SA_NS7_IS8_SA_EESA_NS7_IlSA_EESA_PS8_.uses_flat_scratch, 0
	.set _ZN2at6native6sbtopk10gatherTopKIN3c108BFloat16EmLi1ELb0EEEvNS_4cuda6detail10TensorInfoIKT_T0_EESA_SA_bSA_SA_NS7_IS8_SA_EESA_NS7_IlSA_EESA_PS8_.has_dyn_sized_stack, 0
	.set _ZN2at6native6sbtopk10gatherTopKIN3c108BFloat16EmLi1ELb0EEEvNS_4cuda6detail10TensorInfoIKT_T0_EESA_SA_bSA_SA_NS7_IS8_SA_EESA_NS7_IlSA_EESA_PS8_.has_recursion, 0
	.set _ZN2at6native6sbtopk10gatherTopKIN3c108BFloat16EmLi1ELb0EEEvNS_4cuda6detail10TensorInfoIKT_T0_EESA_SA_bSA_SA_NS7_IS8_SA_EESA_NS7_IlSA_EESA_PS8_.has_indirect_call, 0
	.section	.AMDGPU.csdata,"",@progbits
; Kernel info:
; codeLenInByte = 27164
; TotalNumSgprs: 100
; NumVgprs: 53
; ScratchSize: 0
; MemoryBound: 0
; FloatMode: 240
; IeeeMode: 1
; LDSByteSize: 5152 bytes/workgroup (compile time only)
; SGPRBlocks: 12
; VGPRBlocks: 13
; NumSGPRsForWavesPerEU: 100
; NumVGPRsForWavesPerEU: 53
; Occupancy: 4
; WaveLimiterHint : 1
; COMPUTE_PGM_RSRC2:SCRATCH_EN: 0
; COMPUTE_PGM_RSRC2:USER_SGPR: 6
; COMPUTE_PGM_RSRC2:TRAP_HANDLER: 0
; COMPUTE_PGM_RSRC2:TGID_X_EN: 1
; COMPUTE_PGM_RSRC2:TGID_Y_EN: 1
; COMPUTE_PGM_RSRC2:TGID_Z_EN: 1
; COMPUTE_PGM_RSRC2:TIDIG_COMP_CNT: 0
	.section	.text._ZN2at6native6mbtopk23computeBlockDigitCountsIN3c108BFloat16EmjLi2EEEvNS_4cuda6detail10TensorInfoIKT_T0_EEjPjjSA_iijT1_PSD_Ps,"axG",@progbits,_ZN2at6native6mbtopk23computeBlockDigitCountsIN3c108BFloat16EmjLi2EEEvNS_4cuda6detail10TensorInfoIKT_T0_EEjPjjSA_iijT1_PSD_Ps,comdat
	.protected	_ZN2at6native6mbtopk23computeBlockDigitCountsIN3c108BFloat16EmjLi2EEEvNS_4cuda6detail10TensorInfoIKT_T0_EEjPjjSA_iijT1_PSD_Ps ; -- Begin function _ZN2at6native6mbtopk23computeBlockDigitCountsIN3c108BFloat16EmjLi2EEEvNS_4cuda6detail10TensorInfoIKT_T0_EEjPjjSA_iijT1_PSD_Ps
	.globl	_ZN2at6native6mbtopk23computeBlockDigitCountsIN3c108BFloat16EmjLi2EEEvNS_4cuda6detail10TensorInfoIKT_T0_EEjPjjSA_iijT1_PSD_Ps
	.p2align	8
	.type	_ZN2at6native6mbtopk23computeBlockDigitCountsIN3c108BFloat16EmjLi2EEEvNS_4cuda6detail10TensorInfoIKT_T0_EEjPjjSA_iijT1_PSD_Ps,@function
_ZN2at6native6mbtopk23computeBlockDigitCountsIN3c108BFloat16EmjLi2EEEvNS_4cuda6detail10TensorInfoIKT_T0_EEjPjjSA_iijT1_PSD_Ps: ; @_ZN2at6native6mbtopk23computeBlockDigitCountsIN3c108BFloat16EmjLi2EEEvNS_4cuda6detail10TensorInfoIKT_T0_EEjPjjSA_iijT1_PSD_Ps
; %bb.0:
	s_load_dwordx4 s[0:3], s[4:5], 0x1c0
	s_load_dword s9, s[4:5], 0x1b0
	s_load_dwordx2 s[10:11], s[4:5], 0x1e0
	s_waitcnt lgkmcnt(0)
	v_cvt_f32_u32_e32 v1, s2
	s_mul_i32 s8, s11, s8
	s_add_i32 s7, s8, s7
	v_rcp_iflag_f32_e32 v1, v1
	s_mul_i32 s18, s7, s10
	s_sub_i32 s11, 0, s2
	s_add_i32 s18, s18, s6
	v_mul_f32_e32 v1, 0x4f7ffffe, v1
	v_cvt_u32_f32_e32 v1, v1
	v_readfirstlane_b32 s6, v1
	s_mul_i32 s11, s11, s6
	s_mul_hi_u32 s7, s6, s11
	s_add_i32 s6, s6, s7
	s_mul_hi_u32 s6, s18, s6
	s_mul_i32 s7, s6, s2
	s_sub_i32 s7, s18, s7
	s_add_i32 s8, s6, 1
	s_sub_i32 s10, s7, s2
	s_cmp_ge_u32 s7, s2
	s_cselect_b32 s6, s8, s6
	s_cselect_b32 s7, s10, s7
	s_add_i32 s8, s6, 1
	s_cmp_ge_u32 s7, s2
	s_cselect_b32 s6, s8, s6
	s_cmp_ge_u32 s6, s9
	s_mov_b32 s7, 0
	s_cbranch_scc1 .LBB217_23
; %bb.1:
	s_load_dwordx4 s[8:11], s[4:5], 0x1d0
	s_load_dwordx2 s[12:13], s[4:5], 0x10
	s_lshl_b64 s[14:15], s[6:7], 2
	s_waitcnt lgkmcnt(0)
	s_add_u32 s8, s8, s14
	v_mov_b32_e32 v1, s12
	v_mov_b32_e32 v2, s13
	v_cmp_lt_u64_e32 vcc, s[6:7], v[1:2]
	s_addc_u32 s9, s9, s15
	s_mov_b64 s[14:15], 0
	s_cbranch_vccnz .LBB217_3
; %bb.2:
	v_cvt_f32_u32_e32 v1, s12
	s_sub_i32 s7, 0, s12
	v_rcp_iflag_f32_e32 v1, v1
	v_mul_f32_e32 v1, 0x4f7ffffe, v1
	v_cvt_u32_f32_e32 v1, v1
	v_readfirstlane_b32 s14, v1
	s_mul_i32 s7, s7, s14
	s_mul_hi_u32 s7, s14, s7
	s_add_i32 s14, s14, s7
	s_mul_hi_u32 s7, s6, s14
	s_mul_i32 s15, s7, s12
	s_sub_i32 s15, s6, s15
	s_add_i32 s14, s7, 1
	s_sub_i32 s16, s15, s12
	s_cmp_ge_u32 s15, s12
	s_cselect_b32 s7, s14, s7
	s_cselect_b32 s15, s16, s15
	s_add_i32 s14, s7, 1
	s_cmp_ge_u32 s15, s12
	s_cselect_b32 s14, s14, s7
.LBB217_3:
	s_movk_i32 s7, 0x100
	v_cmp_gt_u32_e32 vcc, s7, v0
	v_lshlrev_b32_e32 v1, 2, v0
	s_and_saveexec_b64 s[16:17], vcc
; %bb.4:
	v_mov_b32_e32 v2, 0
	ds_write_b32 v1, v2
; %bb.5:
	s_or_b64 exec, exec, s[16:17]
	s_load_dword s15, s[4:5], 0x1a0
	s_mul_i32 s7, s6, s2
	s_sub_i32 s7, s18, s7
	s_add_i32 s19, s7, 1
	s_mul_i32 s7, s1, s7
	s_lshl_b32 s7, s7, 8
	s_waitcnt lgkmcnt(0)
	s_sub_i32 s16, s15, s7
	s_add_u32 s16, s16, 0xff
	s_addc_u32 s17, 0, 0
	s_lshr_b64 s[16:17], s[16:17], 8
	s_cmp_lt_u32 s19, s2
	s_cselect_b32 s16, s1, s16
	s_cmp_lt_i32 s16, 1
	s_mov_b32 s1, 0
	s_barrier
	s_cbranch_scc1 .LBB217_21
; %bb.6:
	s_load_dwordx2 s[24:25], s[4:5], 0x0
	s_load_dwordx4 s[20:23], s[4:5], 0xd0
	s_load_dword s2, s[8:9], 0x0
	s_mul_i32 s8, s14, s13
	s_mul_hi_u32 s9, s14, s12
	s_add_i32 s9, s9, s8
	s_mul_i32 s8, s14, s12
	s_sub_u32 s6, s6, s8
	s_subb_u32 s8, 0, s9
	s_waitcnt lgkmcnt(0)
	s_mul_i32 s9, s6, s23
	s_mul_hi_u32 s12, s6, s22
	s_add_i32 s9, s12, s9
	s_mul_i32 s8, s8, s22
	s_add_i32 s9, s9, s8
	s_mul_i32 s8, s6, s22
	s_mul_i32 s6, s14, s21
	s_mul_hi_u32 s12, s14, s20
	s_add_i32 s13, s12, s6
	s_mul_i32 s12, s14, s20
	s_lshl_b64 s[12:13], s[12:13], 1
	s_add_u32 s6, s24, s12
	s_load_dwordx2 s[4:5], s[4:5], 0x1b8
	s_addc_u32 s14, s25, s13
	s_lshl_b64 s[12:13], s[8:9], 1
	s_add_u32 s9, s6, s12
	s_addc_u32 s12, s14, s13
	s_and_b32 s8, s0, 0xff
	s_cmp_eq_u32 s16, 1
	v_add_u32_e32 v2, s7, v0
	s_cbranch_scc1 .LBB217_16
; %bb.7:
	s_and_b32 s13, s16, 0x7ffffffe
	s_mov_b32 s14, 0
	v_mov_b32_e32 v3, 1
	v_mov_b32_e32 v4, 0xffff
	;; [unrolled: 1-line block ×4, first 2 shown]
	s_branch .LBB217_9
.LBB217_8:                              ;   in Loop: Header=BB217_9 Depth=1
	s_or_b64 exec, exec, s[6:7]
	s_add_i32 s14, s14, 2
	s_cmp_eq_u32 s13, s14
	v_add_u32_e32 v6, 0x200, v6
	s_cbranch_scc1 .LBB217_15
.LBB217_9:                              ; =>This Inner Loop Header: Depth=1
	v_cmp_gt_u32_e64 s[0:1], s15, v6
	s_and_saveexec_b64 s[6:7], s[0:1]
	s_cbranch_execz .LBB217_12
; %bb.10:                               ;   in Loop: Header=BB217_9 Depth=1
	s_waitcnt lgkmcnt(0)
	v_mad_u64_u32 v[7:8], s[0:1], s4, v6, 0
	v_mad_u64_u32 v[8:9], s[0:1], s5, v6, v[8:9]
	v_mov_b32_e32 v9, s12
	v_lshlrev_b64 v[7:8], 1, v[7:8]
	v_add_co_u32_e64 v7, s[0:1], s9, v7
	v_addc_co_u32_e64 v8, s[0:1], v9, v8, s[0:1]
	global_load_ushort v7, v[7:8], off
	s_waitcnt vmcnt(0)
	v_cmp_lt_i16_e64 s[0:1], -1, v7
	v_cndmask_b32_e64 v8, v4, v5, s[0:1]
	v_lshlrev_b32_e32 v9, 16, v7
	v_xor_b32_sdwa v7, v8, v7 dst_sel:DWORD dst_unused:UNUSED_PAD src0_sel:DWORD src1_sel:WORD_0
	v_cmp_o_f32_e64 s[0:1], v9, v9
	v_cndmask_b32_e64 v7, v4, v7, s[0:1]
	v_xor_b32_e32 v8, s2, v7
	v_and_b32_e32 v8, s3, v8
	v_cmp_eq_u32_e64 s[0:1], 0, v8
	s_and_b64 exec, exec, s[0:1]
; %bb.11:                               ;   in Loop: Header=BB217_9 Depth=1
	v_bfe_u32 v7, v7, s8, 8
	v_lshlrev_b32_e32 v7, 2, v7
	ds_add_u32 v7, v3
.LBB217_12:                             ;   in Loop: Header=BB217_9 Depth=1
	s_or_b64 exec, exec, s[6:7]
	v_add_u32_e32 v7, 0x100, v6
	v_cmp_gt_u32_e64 s[0:1], s15, v7
	s_and_saveexec_b64 s[6:7], s[0:1]
	s_cbranch_execz .LBB217_8
; %bb.13:                               ;   in Loop: Header=BB217_9 Depth=1
	s_waitcnt lgkmcnt(0)
	v_mad_u64_u32 v[8:9], s[0:1], s4, v7, 0
	v_mad_u64_u32 v[9:10], s[0:1], s5, v7, v[9:10]
	v_mov_b32_e32 v10, s12
	v_lshlrev_b64 v[7:8], 1, v[8:9]
	v_add_co_u32_e64 v7, s[0:1], s9, v7
	v_addc_co_u32_e64 v8, s[0:1], v10, v8, s[0:1]
	global_load_ushort v7, v[7:8], off
	s_waitcnt vmcnt(0)
	v_cmp_lt_i16_e64 s[0:1], -1, v7
	v_cndmask_b32_e64 v8, v4, v5, s[0:1]
	v_lshlrev_b32_e32 v9, 16, v7
	v_xor_b32_sdwa v7, v8, v7 dst_sel:DWORD dst_unused:UNUSED_PAD src0_sel:DWORD src1_sel:WORD_0
	v_cmp_o_f32_e64 s[0:1], v9, v9
	v_cndmask_b32_e64 v7, v4, v7, s[0:1]
	v_xor_b32_e32 v8, s2, v7
	v_and_b32_e32 v8, s3, v8
	v_cmp_eq_u32_e64 s[0:1], 0, v8
	s_and_b64 exec, exec, s[0:1]
	s_cbranch_execz .LBB217_8
; %bb.14:                               ;   in Loop: Header=BB217_9 Depth=1
	v_bfe_u32 v7, v7, s8, 8
	v_lshlrev_b32_e32 v7, 2, v7
	ds_add_u32 v7, v3
	s_branch .LBB217_8
.LBB217_15:
	s_lshl_b32 s1, s13, 8
.LBB217_16:
	s_bitcmp0_b32 s16, 0
	s_cbranch_scc1 .LBB217_21
; %bb.17:
	v_add_u32_e32 v2, s1, v2
	v_cmp_gt_u32_e64 s[0:1], s15, v2
	s_and_saveexec_b64 s[6:7], s[0:1]
	s_cbranch_execz .LBB217_20
; %bb.18:
	s_waitcnt lgkmcnt(0)
	v_mad_u64_u32 v[3:4], s[0:1], s4, v2, 0
	v_mad_u64_u32 v[4:5], s[0:1], s5, v2, v[4:5]
	v_mov_b32_e32 v5, s12
	v_lshlrev_b64 v[2:3], 1, v[3:4]
	v_mov_b32_e32 v4, 0x8000
	v_add_co_u32_e64 v2, s[0:1], s9, v2
	v_addc_co_u32_e64 v3, s[0:1], v5, v3, s[0:1]
	global_load_ushort v2, v[2:3], off
	v_mov_b32_e32 v3, 0xffff
	s_waitcnt vmcnt(0)
	v_cmp_lt_i16_e64 s[0:1], -1, v2
	v_cndmask_b32_e64 v4, v3, v4, s[0:1]
	v_lshlrev_b32_e32 v5, 16, v2
	v_xor_b32_sdwa v2, v4, v2 dst_sel:DWORD dst_unused:UNUSED_PAD src0_sel:DWORD src1_sel:WORD_0
	v_cmp_o_f32_e64 s[0:1], v5, v5
	v_cndmask_b32_e64 v2, v3, v2, s[0:1]
	v_xor_b32_e32 v3, s2, v2
	v_and_b32_e32 v3, s3, v3
	v_cmp_eq_u32_e64 s[0:1], 0, v3
	s_and_b64 exec, exec, s[0:1]
; %bb.19:
	v_bfe_u32 v2, v2, s8, 8
	v_lshlrev_b32_e32 v2, 2, v2
	v_mov_b32_e32 v3, 1
	ds_add_u32 v2, v3
.LBB217_20:
	s_or_b64 exec, exec, s[6:7]
.LBB217_21:
	s_waitcnt lgkmcnt(0)
	s_barrier
	s_and_saveexec_b64 s[0:1], vcc
	s_cbranch_execz .LBB217_23
; %bb.22:
	v_lshl_or_b32 v2, s18, 8, v0
	v_mov_b32_e32 v3, 0
	ds_read_b32 v5, v1
	v_lshlrev_b64 v[2:3], 1, v[2:3]
	v_mov_b32_e32 v4, s11
	v_add_co_u32_e32 v0, vcc, s10, v2
	v_addc_co_u32_e32 v1, vcc, v4, v3, vcc
	s_waitcnt lgkmcnt(0)
	global_store_short v[0:1], v5, off
.LBB217_23:
	s_endpgm
	.section	.rodata,"a",@progbits
	.p2align	6, 0x0
	.amdhsa_kernel _ZN2at6native6mbtopk23computeBlockDigitCountsIN3c108BFloat16EmjLi2EEEvNS_4cuda6detail10TensorInfoIKT_T0_EEjPjjSA_iijT1_PSD_Ps
		.amdhsa_group_segment_fixed_size 1024
		.amdhsa_private_segment_fixed_size 0
		.amdhsa_kernarg_size 736
		.amdhsa_user_sgpr_count 6
		.amdhsa_user_sgpr_private_segment_buffer 1
		.amdhsa_user_sgpr_dispatch_ptr 0
		.amdhsa_user_sgpr_queue_ptr 0
		.amdhsa_user_sgpr_kernarg_segment_ptr 1
		.amdhsa_user_sgpr_dispatch_id 0
		.amdhsa_user_sgpr_flat_scratch_init 0
		.amdhsa_user_sgpr_private_segment_size 0
		.amdhsa_uses_dynamic_stack 0
		.amdhsa_system_sgpr_private_segment_wavefront_offset 0
		.amdhsa_system_sgpr_workgroup_id_x 1
		.amdhsa_system_sgpr_workgroup_id_y 1
		.amdhsa_system_sgpr_workgroup_id_z 1
		.amdhsa_system_sgpr_workgroup_info 0
		.amdhsa_system_vgpr_workitem_id 0
		.amdhsa_next_free_vgpr 11
		.amdhsa_next_free_sgpr 26
		.amdhsa_reserve_vcc 1
		.amdhsa_reserve_flat_scratch 0
		.amdhsa_float_round_mode_32 0
		.amdhsa_float_round_mode_16_64 0
		.amdhsa_float_denorm_mode_32 3
		.amdhsa_float_denorm_mode_16_64 3
		.amdhsa_dx10_clamp 1
		.amdhsa_ieee_mode 1
		.amdhsa_fp16_overflow 0
		.amdhsa_exception_fp_ieee_invalid_op 0
		.amdhsa_exception_fp_denorm_src 0
		.amdhsa_exception_fp_ieee_div_zero 0
		.amdhsa_exception_fp_ieee_overflow 0
		.amdhsa_exception_fp_ieee_underflow 0
		.amdhsa_exception_fp_ieee_inexact 0
		.amdhsa_exception_int_div_zero 0
	.end_amdhsa_kernel
	.section	.text._ZN2at6native6mbtopk23computeBlockDigitCountsIN3c108BFloat16EmjLi2EEEvNS_4cuda6detail10TensorInfoIKT_T0_EEjPjjSA_iijT1_PSD_Ps,"axG",@progbits,_ZN2at6native6mbtopk23computeBlockDigitCountsIN3c108BFloat16EmjLi2EEEvNS_4cuda6detail10TensorInfoIKT_T0_EEjPjjSA_iijT1_PSD_Ps,comdat
.Lfunc_end217:
	.size	_ZN2at6native6mbtopk23computeBlockDigitCountsIN3c108BFloat16EmjLi2EEEvNS_4cuda6detail10TensorInfoIKT_T0_EEjPjjSA_iijT1_PSD_Ps, .Lfunc_end217-_ZN2at6native6mbtopk23computeBlockDigitCountsIN3c108BFloat16EmjLi2EEEvNS_4cuda6detail10TensorInfoIKT_T0_EEjPjjSA_iijT1_PSD_Ps
                                        ; -- End function
	.set _ZN2at6native6mbtopk23computeBlockDigitCountsIN3c108BFloat16EmjLi2EEEvNS_4cuda6detail10TensorInfoIKT_T0_EEjPjjSA_iijT1_PSD_Ps.num_vgpr, 11
	.set _ZN2at6native6mbtopk23computeBlockDigitCountsIN3c108BFloat16EmjLi2EEEvNS_4cuda6detail10TensorInfoIKT_T0_EEjPjjSA_iijT1_PSD_Ps.num_agpr, 0
	.set _ZN2at6native6mbtopk23computeBlockDigitCountsIN3c108BFloat16EmjLi2EEEvNS_4cuda6detail10TensorInfoIKT_T0_EEjPjjSA_iijT1_PSD_Ps.numbered_sgpr, 26
	.set _ZN2at6native6mbtopk23computeBlockDigitCountsIN3c108BFloat16EmjLi2EEEvNS_4cuda6detail10TensorInfoIKT_T0_EEjPjjSA_iijT1_PSD_Ps.num_named_barrier, 0
	.set _ZN2at6native6mbtopk23computeBlockDigitCountsIN3c108BFloat16EmjLi2EEEvNS_4cuda6detail10TensorInfoIKT_T0_EEjPjjSA_iijT1_PSD_Ps.private_seg_size, 0
	.set _ZN2at6native6mbtopk23computeBlockDigitCountsIN3c108BFloat16EmjLi2EEEvNS_4cuda6detail10TensorInfoIKT_T0_EEjPjjSA_iijT1_PSD_Ps.uses_vcc, 1
	.set _ZN2at6native6mbtopk23computeBlockDigitCountsIN3c108BFloat16EmjLi2EEEvNS_4cuda6detail10TensorInfoIKT_T0_EEjPjjSA_iijT1_PSD_Ps.uses_flat_scratch, 0
	.set _ZN2at6native6mbtopk23computeBlockDigitCountsIN3c108BFloat16EmjLi2EEEvNS_4cuda6detail10TensorInfoIKT_T0_EEjPjjSA_iijT1_PSD_Ps.has_dyn_sized_stack, 0
	.set _ZN2at6native6mbtopk23computeBlockDigitCountsIN3c108BFloat16EmjLi2EEEvNS_4cuda6detail10TensorInfoIKT_T0_EEjPjjSA_iijT1_PSD_Ps.has_recursion, 0
	.set _ZN2at6native6mbtopk23computeBlockDigitCountsIN3c108BFloat16EmjLi2EEEvNS_4cuda6detail10TensorInfoIKT_T0_EEjPjjSA_iijT1_PSD_Ps.has_indirect_call, 0
	.section	.AMDGPU.csdata,"",@progbits
; Kernel info:
; codeLenInByte = 1204
; TotalNumSgprs: 30
; NumVgprs: 11
; ScratchSize: 0
; MemoryBound: 0
; FloatMode: 240
; IeeeMode: 1
; LDSByteSize: 1024 bytes/workgroup (compile time only)
; SGPRBlocks: 3
; VGPRBlocks: 2
; NumSGPRsForWavesPerEU: 30
; NumVGPRsForWavesPerEU: 11
; Occupancy: 10
; WaveLimiterHint : 1
; COMPUTE_PGM_RSRC2:SCRATCH_EN: 0
; COMPUTE_PGM_RSRC2:USER_SGPR: 6
; COMPUTE_PGM_RSRC2:TRAP_HANDLER: 0
; COMPUTE_PGM_RSRC2:TGID_X_EN: 1
; COMPUTE_PGM_RSRC2:TGID_Y_EN: 1
; COMPUTE_PGM_RSRC2:TGID_Z_EN: 1
; COMPUTE_PGM_RSRC2:TIDIG_COMP_CNT: 0
	.section	.text._ZN2at6native6mbtopk10gatherTopKIN3c108BFloat16EmLi2EEEvNS_4cuda6detail10TensorInfoIKT_T0_EESA_SA_bjSA_NS7_IS8_SA_EESA_NS7_IlSA_EESA_jjPS8_PjSF_j,"axG",@progbits,_ZN2at6native6mbtopk10gatherTopKIN3c108BFloat16EmLi2EEEvNS_4cuda6detail10TensorInfoIKT_T0_EESA_SA_bjSA_NS7_IS8_SA_EESA_NS7_IlSA_EESA_jjPS8_PjSF_j,comdat
	.protected	_ZN2at6native6mbtopk10gatherTopKIN3c108BFloat16EmLi2EEEvNS_4cuda6detail10TensorInfoIKT_T0_EESA_SA_bjSA_NS7_IS8_SA_EESA_NS7_IlSA_EESA_jjPS8_PjSF_j ; -- Begin function _ZN2at6native6mbtopk10gatherTopKIN3c108BFloat16EmLi2EEEvNS_4cuda6detail10TensorInfoIKT_T0_EESA_SA_bjSA_NS7_IS8_SA_EESA_NS7_IlSA_EESA_jjPS8_PjSF_j
	.globl	_ZN2at6native6mbtopk10gatherTopKIN3c108BFloat16EmLi2EEEvNS_4cuda6detail10TensorInfoIKT_T0_EESA_SA_bjSA_NS7_IS8_SA_EESA_NS7_IlSA_EESA_jjPS8_PjSF_j
	.p2align	8
	.type	_ZN2at6native6mbtopk10gatherTopKIN3c108BFloat16EmLi2EEEvNS_4cuda6detail10TensorInfoIKT_T0_EESA_SA_bjSA_NS7_IS8_SA_EESA_NS7_IlSA_EESA_jjPS8_PjSF_j,@function
_ZN2at6native6mbtopk10gatherTopKIN3c108BFloat16EmLi2EEEvNS_4cuda6detail10TensorInfoIKT_T0_EESA_SA_bjSA_NS7_IS8_SA_EESA_NS7_IlSA_EESA_jjPS8_PjSF_j: ; @_ZN2at6native6mbtopk10gatherTopKIN3c108BFloat16EmLi2EEEvNS_4cuda6detail10TensorInfoIKT_T0_EESA_SA_bjSA_NS7_IS8_SA_EESA_NS7_IlSA_EESA_jjPS8_PjSF_j
; %bb.0:
	s_load_dwordx2 s[0:1], s[4:5], 0x538
	s_load_dword s2, s[4:5], 0x530
	s_waitcnt lgkmcnt(0)
	s_mul_i32 s1, s1, s8
	s_add_i32 s1, s1, s7
	s_mul_i32 s0, s1, s0
	s_add_i32 s0, s0, s6
	s_cmp_ge_u32 s0, s2
	s_cbranch_scc1 .LBB218_48
; %bb.1:
	s_load_dwordx2 s[34:35], s[4:5], 0x510
	s_load_dwordx2 s[38:39], s[4:5], 0x1d0
	s_load_dwordx4 s[8:11], s[4:5], 0x1a0
	s_load_dwordx2 s[36:37], s[4:5], 0x10
	s_mov_b32 s7, 0
	s_waitcnt lgkmcnt(0)
	v_cvt_f32_u32_e32 v1, s35
	s_sub_i32 s2, 0, s35
	s_lshl_b32 s1, s34, 8
	v_rcp_iflag_f32_e32 v1, v1
	v_mul_f32_e32 v1, 0x4f7ffffe, v1
	v_cvt_u32_f32_e32 v1, v1
	v_readfirstlane_b32 s3, v1
	s_mul_i32 s2, s2, s3
	s_mul_hi_u32 s2, s3, s2
	s_add_i32 s3, s3, s2
	s_mul_hi_u32 s2, s0, s3
	s_mul_i32 s3, s2, s35
	s_sub_i32 s3, s0, s3
	s_add_i32 s6, s2, 1
	s_sub_i32 s12, s3, s35
	s_cmp_ge_u32 s3, s35
	s_cselect_b32 s2, s6, s2
	s_cselect_b32 s3, s12, s3
	s_add_i32 s6, s2, 1
	s_cmp_ge_u32 s3, s35
	s_cselect_b32 s6, s6, s2
	s_mul_i32 s20, s6, s35
	s_sub_i32 s28, s0, s20
	s_add_i32 s0, s28, 1
	s_cmp_lt_u32 s0, s35
	s_mul_i32 s33, s28, s1
	s_cbranch_scc1 .LBB218_3
; %bb.2:
	s_sub_u32 s0, s8, s33
	s_subb_u32 s1, s9, 0
	s_add_u32 s0, s0, 0xff
	s_addc_u32 s1, s1, 0
	s_ashr_i32 s2, s1, 31
	s_lshr_b32 s2, s2, 24
	s_add_u32 s0, s0, s2
	s_addc_u32 s1, s1, 0
	s_lshr_b64 s[0:1], s[0:1], 8
	s_mov_b32 s34, s0
.LBB218_3:
	s_load_dwordx2 s[40:41], s[4:5], 0x378
	v_mov_b32_e32 v1, s36
	v_mov_b32_e32 v2, s37
	v_cmp_lt_u64_e32 vcc, s[6:7], v[1:2]
	s_mov_b64 s[44:45], 0
	s_mov_b64 s[42:43], 0
	s_cbranch_vccnz .LBB218_5
; %bb.4:
	v_cvt_f32_u32_e32 v1, s36
	s_sub_i32 s0, 0, s36
	v_rcp_iflag_f32_e32 v1, v1
	v_mul_f32_e32 v1, 0x4f7ffffe, v1
	v_cvt_u32_f32_e32 v1, v1
	v_readfirstlane_b32 s1, v1
	s_mul_i32 s0, s0, s1
	s_mul_hi_u32 s0, s1, s0
	s_add_i32 s1, s1, s0
	s_mul_hi_u32 s0, s6, s1
	s_mul_i32 s2, s0, s36
	s_sub_i32 s2, s6, s2
	s_add_i32 s1, s0, 1
	s_sub_i32 s3, s2, s36
	s_cmp_ge_u32 s2, s36
	s_cselect_b32 s0, s1, s0
	s_cselect_b32 s2, s3, s2
	s_add_i32 s1, s0, 1
	s_cmp_ge_u32 s2, s36
	s_cselect_b32 s42, s1, s0
.LBB218_5:
	v_mov_b32_e32 v1, s38
	v_mov_b32_e32 v2, s39
	v_cmp_lt_u64_e32 vcc, s[6:7], v[1:2]
	s_cbranch_vccnz .LBB218_7
; %bb.6:
	v_cvt_f32_u32_e32 v1, s38
	s_sub_i32 s0, 0, s38
	v_rcp_iflag_f32_e32 v1, v1
	v_mul_f32_e32 v1, 0x4f7ffffe, v1
	v_cvt_u32_f32_e32 v1, v1
	v_readfirstlane_b32 s1, v1
	s_mul_i32 s0, s0, s1
	s_mul_hi_u32 s0, s1, s0
	s_add_i32 s1, s1, s0
	s_mul_hi_u32 s0, s6, s1
	s_mul_i32 s2, s0, s38
	s_sub_i32 s2, s6, s2
	s_add_i32 s1, s0, 1
	s_sub_i32 s3, s2, s38
	s_cmp_ge_u32 s2, s38
	s_cselect_b32 s0, s1, s0
	s_cselect_b32 s2, s3, s2
	s_add_i32 s1, s0, 1
	s_cmp_ge_u32 s2, s38
	s_cselect_b32 s44, s1, s0
.LBB218_7:
	s_waitcnt lgkmcnt(0)
	v_mov_b32_e32 v1, s40
	v_mov_b32_e32 v2, s41
	v_cmp_lt_u64_e32 vcc, s[6:7], v[1:2]
	s_mov_b64 s[46:47], 0
	s_cbranch_vccnz .LBB218_9
; %bb.8:
	v_cvt_f32_u32_e32 v1, s40
	s_sub_i32 s0, 0, s40
	v_rcp_iflag_f32_e32 v1, v1
	v_mul_f32_e32 v1, 0x4f7ffffe, v1
	v_cvt_u32_f32_e32 v1, v1
	v_readfirstlane_b32 s1, v1
	s_mul_i32 s0, s0, s1
	s_mul_hi_u32 s0, s1, s0
	s_add_i32 s1, s1, s0
	s_mul_hi_u32 s0, s6, s1
	s_mul_i32 s2, s0, s40
	s_sub_i32 s2, s6, s2
	s_add_i32 s1, s0, 1
	s_sub_i32 s3, s2, s40
	s_cmp_ge_u32 s2, s40
	s_cselect_b32 s0, s1, s0
	s_cselect_b32 s2, s3, s2
	s_add_i32 s1, s0, 1
	s_cmp_ge_u32 s2, s40
	s_cselect_b32 s46, s1, s0
.LBB218_9:
	s_load_dwordx4 s[12:15], s[4:5], 0x518
	s_load_dwordx2 s[48:49], s[4:5], 0x0
	s_lshl_b64 s[0:1], s[6:7], 1
	v_mov_b32_e32 v1, 0
	s_mov_b32 s21, 0
	s_waitcnt lgkmcnt(0)
	s_add_u32 s0, s12, s0
	s_addc_u32 s1, s13, s1
	global_load_ushort v1, v1, s[0:1]
	v_cmp_ne_u32_e64 s[0:1], 0, v0
	v_cmp_eq_u32_e64 s[2:3], 0, v0
	s_waitcnt vmcnt(0)
	v_readfirstlane_b32 s7, v1
	s_and_saveexec_b64 s[12:13], s[2:3]
	s_cbranch_execz .LBB218_25
; %bb.10:
	s_load_dwordx2 s[22:23], s[4:5], 0x528
	s_lshl_b64 s[24:25], s[20:21], 2
	s_add_u32 s16, s14, s24
	s_addc_u32 s17, s15, s25
	s_mov_b32 s20, 0
	s_waitcnt lgkmcnt(0)
	s_add_u32 s18, s22, s24
	s_addc_u32 s19, s23, s25
	s_mov_b32 s29, 0
	s_cmp_lt_u32 s35, 4
	s_cbranch_scc1 .LBB218_22
; %bb.11:
	s_mov_b32 s30, 0
.LBB218_12:                             ; =>This Inner Loop Header: Depth=1
	s_add_u32 s26, s14, s24
	s_addc_u32 s27, s15, s25
	s_load_dwordx4 s[16:19], s[26:27], 0x0
	s_add_u32 s26, s22, s24
	s_addc_u32 s27, s23, s25
	s_cmp_ge_u32 s30, s28
	s_cbranch_scc0 .LBB218_19
; %bb.13:                               ;   in Loop: Header=BB218_12 Depth=1
	s_add_i32 s31, s30, 1
	s_cmp_ge_u32 s31, s28
	s_cbranch_scc0 .LBB218_20
.LBB218_14:                             ;   in Loop: Header=BB218_12 Depth=1
	s_add_i32 s31, s31, 1
	s_cmp_ge_u32 s31, s28
	s_cbranch_scc0 .LBB218_21
.LBB218_15:                             ;   in Loop: Header=BB218_12 Depth=1
	s_add_i32 s31, s31, 1
	s_cmp_ge_u32 s31, s28
	s_cbranch_scc1 .LBB218_17
.LBB218_16:                             ;   in Loop: Header=BB218_12 Depth=1
	s_load_dword s26, s[26:27], 0xc
	s_waitcnt lgkmcnt(0)
	s_add_i32 s21, s21, s19
	s_add_i32 s20, s26, s20
.LBB218_17:                             ;   in Loop: Header=BB218_12 Depth=1
	s_waitcnt lgkmcnt(0)
	s_add_i32 s16, s16, s29
	s_add_i32 s16, s16, s17
	;; [unrolled: 1-line block ×4, first 2 shown]
	s_add_u32 s14, s14, 16
	s_addc_u32 s15, s15, 0
	s_add_u32 s22, s22, 16
	s_addc_u32 s23, s23, 0
	s_add_i32 s27, s31, 4
	s_add_u32 s18, s22, s24
	s_addc_u32 s19, s23, s25
	s_add_u32 s16, s14, s24
	s_addc_u32 s17, s15, s25
	s_add_i32 s26, s31, 1
	s_cmp_ge_u32 s27, s35
	s_cbranch_scc1 .LBB218_23
; %bb.18:                               ;   in Loop: Header=BB218_12 Depth=1
	s_mov_b32 s30, s26
	s_branch .LBB218_12
.LBB218_19:                             ;   in Loop: Header=BB218_12 Depth=1
	s_load_dword s31, s[26:27], 0x0
	s_waitcnt lgkmcnt(0)
	s_add_i32 s21, s16, s21
	s_add_i32 s20, s31, s20
	;; [unrolled: 1-line block ×3, first 2 shown]
	s_cmp_ge_u32 s31, s28
	s_cbranch_scc1 .LBB218_14
.LBB218_20:                             ;   in Loop: Header=BB218_12 Depth=1
	s_load_dword s43, s[26:27], 0x4
	s_waitcnt lgkmcnt(0)
	s_add_i32 s21, s21, s17
	s_add_i32 s20, s43, s20
	s_add_i32 s31, s31, 1
	s_cmp_ge_u32 s31, s28
	s_cbranch_scc1 .LBB218_15
.LBB218_21:                             ;   in Loop: Header=BB218_12 Depth=1
	s_load_dword s43, s[26:27], 0x8
	s_waitcnt lgkmcnt(0)
	s_add_i32 s21, s21, s18
	s_add_i32 s20, s43, s20
	;; [unrolled: 1-line block ×3, first 2 shown]
	s_cmp_ge_u32 s31, s28
	s_cbranch_scc0 .LBB218_16
	s_branch .LBB218_17
.LBB218_22:
	s_mov_b32 s14, 0
	s_cmp_ge_u32 s14, s35
	s_cbranch_scc0 .LBB218_46
	s_branch .LBB218_24
.LBB218_23:
	s_add_i32 s14, s30, 4
	s_cmp_ge_u32 s14, s35
	s_cbranch_scc0 .LBB218_46
.LBB218_24:
	v_mov_b32_e32 v1, s20
	v_mov_b32_e32 v2, s29
	;; [unrolled: 1-line block ×4, first 2 shown]
	ds_write_b96 v4, v[1:3] offset:1056
.LBB218_25:
	s_or_b64 exec, exec, s[12:13]
	s_load_dwordx4 s[12:15], s[4:5], 0x1b8
	s_load_dwordx4 s[24:27], s[4:5], 0xd0
	;; [unrolled: 1-line block ×5, first 2 shown]
	s_cmp_eq_u32 s34, 0
	s_waitcnt lgkmcnt(0)
	s_barrier
	s_cbranch_scc1 .LBB218_48
; %bb.26:
	s_mul_i32 s35, s44, s39
	s_mul_hi_u32 s39, s44, s38
	s_add_i32 s39, s39, s35
	s_mul_i32 s35, s44, s38
	s_sub_u32 s35, s6, s35
	s_subb_u32 s38, 0, s39
	s_mul_i32 s31, s35, s31
	s_mul_hi_u32 s39, s35, s30
	s_mul_i32 s38, s38, s30
	s_mul_i32 s30, s35, s30
	;; [unrolled: 1-line block ×3, first 2 shown]
	s_mul_hi_u32 s35, s44, s28
	s_add_i32 s31, s39, s31
	s_add_i32 s29, s35, s29
	s_mul_i32 s35, s42, s37
	s_mul_hi_u32 s37, s42, s36
	s_add_i32 s31, s31, s38
	s_add_i32 s37, s37, s35
	s_mul_i32 s35, s42, s36
	s_sub_u32 s35, s6, s35
	s_subb_u32 s36, 0, s37
	s_mul_i32 s27, s35, s27
	s_mul_hi_u32 s37, s35, s26
	s_add_i32 s27, s37, s27
	s_mul_i32 s36, s36, s26
	s_mul_i32 s26, s35, s26
	;; [unrolled: 1-line block ×3, first 2 shown]
	s_mul_hi_u32 s35, s42, s24
	s_add_i32 s27, s27, s36
	s_add_i32 s25, s35, s25
	s_mul_i32 s35, s46, s41
	s_mul_hi_u32 s36, s46, s40
	s_add_i32 s36, s36, s35
	s_mul_i32 s35, s46, s40
	s_sub_u32 s6, s6, s35
	s_subb_u32 s35, 0, s36
	s_mul_i32 s23, s6, s23
	s_mul_hi_u32 s36, s6, s22
	s_mul_i32 s24, s42, s24
	s_add_i32 s23, s36, s23
	s_mul_i32 s35, s35, s22
	s_mul_i32 s36, s6, s22
	;; [unrolled: 1-line block ×3, first 2 shown]
	s_mul_hi_u32 s21, s46, s20
	s_add_i32 s37, s23, s35
	s_add_i32 s39, s21, s6
	s_mul_i32 s38, s46, s20
	s_lshl_b64 s[20:21], s[24:25], 1
	s_add_u32 s6, s48, s20
	s_addc_u32 s22, s49, s21
	s_lshl_b64 s[20:21], s[26:27], 1
	s_mul_i32 s28, s44, s28
	s_add_u32 s20, s6, s20
	s_addc_u32 s21, s22, s21
	s_lshl_b64 s[22:23], s[28:29], 1
	s_add_u32 s6, s14, s22
	s_addc_u32 s23, s15, s23
	s_lshl_b64 s[14:15], s[30:31], 1
	;; [unrolled: 3-line block ×4, first 2 shown]
	v_mov_b32_e32 v5, 0
	s_add_u32 s24, s6, s14
	ds_read_b96 v[1:3], v5 offset:1056
	s_addc_u32 s25, s18, s15
	s_and_b32 s14, 0xffff, s7
	s_sext_i32_i16 s6, s7
	s_cmp_gt_i32 s6, -1
	s_mov_b32 s6, 0x8000
	s_cselect_b32 s15, s6, 0xffff
	s_lshl_b32 s6, s7, 16
	v_cmp_o_f32_e64 s[6:7], s6, s6
	s_xor_b32 s14, s15, s14
	s_and_b64 s[6:7], s[6:7], exec
	s_waitcnt lgkmcnt(0)
	v_add_u32_e32 v1, v1, v2
	v_lshrrev_b32_e32 v2, 3, v0
	s_load_dword s6, s[4:5], 0x1b0
	v_and_b32_e32 v2, 28, v2
	v_lshl_add_u32 v8, v0, 2, v2
	v_lshrrev_b32_e32 v2, 1, v0
	s_cselect_b32 s26, s14, 0xffff
	s_load_dwordx2 s[14:15], s[4:5], 0x508
	v_and_b32_e32 v9, 0x7c, v2
	v_add_u32_e32 v2, -1, v0
	v_lshrrev_b32_e32 v4, 3, v2
	v_and_b32_e32 v4, 0x1ffffffc, v4
	s_waitcnt lgkmcnt(0)
	s_bitcmp1_b32 s6, 0
	v_lshl_add_u32 v11, v2, 2, v4
	v_mbcnt_lo_u32_b32 v2, -1, 0
	s_cselect_b64 s[4:5], -1, 0
	v_cmp_gt_u32_e64 s[6:7], 64, v0
	v_lshlrev_b32_e32 v10, 4, v0
	v_add_u32_e32 v4, s33, v0
	v_mov_b32_e32 v0, 0xffff
	v_mov_b32_e32 v12, 0x8000
	v_mbcnt_hi_u32_b32 v13, -1, v2
                                        ; implicit-def: $vgpr14
	s_branch .LBB218_29
.LBB218_27:                             ;   in Loop: Header=BB218_29 Depth=1
	s_or_b64 exec, exec, s[18:19]
	v_add_u32_e32 v1, v2, v1
.LBB218_28:                             ;   in Loop: Header=BB218_29 Depth=1
	s_add_i32 s34, s34, -1
	v_add_u32_e32 v3, v15, v3
	s_cmp_lg_u32 s34, 0
	v_add_u32_e32 v4, 0x100, v4
	s_cbranch_scc0 .LBB218_48
.LBB218_29:                             ; =>This Inner Loop Header: Depth=1
	v_cmp_gt_u64_e32 vcc, s[8:9], v[4:5]
	v_mov_b32_e32 v2, v5
	v_mov_b32_e32 v6, v5
	s_and_saveexec_b64 s[18:19], vcc
	s_cbranch_execz .LBB218_31
; %bb.30:                               ;   in Loop: Header=BB218_29 Depth=1
	v_mad_u64_u32 v[6:7], s[28:29], s12, v4, 0
	v_mov_b32_e32 v2, v7
	v_mad_u64_u32 v[14:15], s[28:29], s13, v4, v[2:3]
	v_mov_b32_e32 v2, s21
	v_mov_b32_e32 v7, v14
	v_lshlrev_b64 v[6:7], 1, v[6:7]
	v_add_co_u32_e32 v6, vcc, s20, v6
	v_addc_co_u32_e32 v7, vcc, v2, v7, vcc
	global_load_ushort v14, v[6:7], off
	s_waitcnt vmcnt(0)
	v_cmp_lt_i16_e32 vcc, -1, v14
	v_cndmask_b32_e32 v2, v0, v12, vcc
	v_lshlrev_b32_e32 v6, 16, v14
	v_xor_b32_sdwa v2, v2, v14 dst_sel:DWORD dst_unused:UNUSED_PAD src0_sel:DWORD src1_sel:WORD_0
	v_cmp_o_f32_e32 vcc, v6, v6
	v_cndmask_b32_e32 v6, v0, v2, vcc
	v_cmp_lt_u32_e32 vcc, s26, v6
	v_cndmask_b32_e64 v2, 0, 1, vcc
	v_cmp_gt_u32_e32 vcc, s26, v6
	v_cndmask_b32_e64 v7, 0, 1, vcc
	v_cndmask_b32_e64 v2, v7, v2, s[4:5]
	v_cmp_eq_u32_e32 vcc, s26, v6
	v_and_b32_e32 v2, 1, v2
	v_cndmask_b32_e64 v6, 0, 1, vcc
.LBB218_31:                             ;   in Loop: Header=BB218_29 Depth=1
	s_or_b64 exec, exec, s[18:19]
	ds_write_b32 v8, v2
	s_waitcnt vmcnt(0) lgkmcnt(0)
	s_barrier
	s_and_saveexec_b64 s[18:19], s[6:7]
	s_cbranch_execz .LBB218_33
; %bb.32:                               ;   in Loop: Header=BB218_29 Depth=1
	v_add_u32_e32 v7, v9, v10
	ds_read2_b32 v[15:16], v7 offset1:1
	ds_read2_b32 v[17:18], v7 offset0:2 offset1:3
	v_and_b32_e32 v19, 15, v13
	v_cmp_ne_u32_e32 vcc, 0, v19
	s_waitcnt lgkmcnt(1)
	v_add_u32_e32 v16, v16, v15
	s_waitcnt lgkmcnt(0)
	v_add3_u32 v16, v16, v17, v18
	v_bfe_i32 v18, v13, 4, 1
	; wave barrier
	s_nop 0
	v_mov_b32_dpp v17, v16 row_shr:1 row_mask:0xf bank_mask:0xf
	v_cndmask_b32_e32 v17, 0, v17, vcc
	v_add_u32_e32 v16, v17, v16
	v_cmp_lt_u32_e32 vcc, 1, v19
	s_nop 0
	v_mov_b32_dpp v17, v16 row_shr:2 row_mask:0xf bank_mask:0xf
	v_cndmask_b32_e32 v17, 0, v17, vcc
	v_add_u32_e32 v16, v16, v17
	v_cmp_lt_u32_e32 vcc, 3, v19
	;; [unrolled: 5-line block ×4, first 2 shown]
	s_nop 0
	v_mov_b32_dpp v17, v16 row_bcast:15 row_mask:0xf bank_mask:0xf
	v_and_b32_e32 v17, v18, v17
	v_add_u32_e32 v16, v16, v17
	v_and_b32_e32 v18, 64, v13
	s_nop 0
	v_mov_b32_dpp v17, v16 row_bcast:31 row_mask:0xf bank_mask:0xf
	v_cndmask_b32_e32 v17, 0, v17, vcc
	v_add_u32_e32 v16, v16, v17
	v_add_u32_e32 v17, -1, v13
	v_cmp_lt_i32_e32 vcc, v17, v18
	v_cndmask_b32_e32 v17, v17, v13, vcc
	v_lshlrev_b32_e32 v17, 2, v17
	ds_bpermute_b32 v16, v17, v16
	s_waitcnt lgkmcnt(0)
	v_add_u32_e32 v15, v16, v15
	v_cndmask_b32_e64 v17, v15, v2, s[2:3]
	ds_write_b32 v7, v17
	; wave barrier
	ds_read2_b32 v[15:16], v7 offset0:1 offset1:2
	ds_read_b32 v18, v7 offset:12
	s_waitcnt lgkmcnt(1)
	v_add_u32_e32 v15, v15, v17
	v_add_u32_e32 v16, v16, v15
	ds_write2_b32 v7, v15, v16 offset0:1 offset1:2
	s_waitcnt lgkmcnt(1)
	v_add_u32_e32 v15, v18, v16
	ds_write_b32 v7, v15 offset:12
.LBB218_33:                             ;   in Loop: Header=BB218_29 Depth=1
	s_or_b64 exec, exec, s[18:19]
	v_mov_b32_e32 v7, 0
	s_waitcnt lgkmcnt(0)
	s_barrier
	s_and_saveexec_b64 s[18:19], s[0:1]
; %bb.34:                               ;   in Loop: Header=BB218_29 Depth=1
	ds_read_b32 v7, v11
; %bb.35:                               ;   in Loop: Header=BB218_29 Depth=1
	s_or_b64 exec, exec, s[18:19]
	ds_read_b32 v15, v5 offset:1048
	v_cmp_ne_u32_e32 vcc, 0, v2
	s_waitcnt lgkmcnt(0)
	s_barrier
	s_and_saveexec_b64 s[18:19], vcc
	s_cbranch_execz .LBB218_37
; %bb.36:                               ;   in Loop: Header=BB218_29 Depth=1
	v_add_u32_e32 v7, v7, v3
	v_mad_u64_u32 v[16:17], s[28:29], s16, v7, 0
	v_mad_u64_u32 v[18:19], s[28:29], s14, v7, 0
	v_mov_b32_e32 v2, v17
	v_mad_u64_u32 v[20:21], s[28:29], s17, v7, v[2:3]
	v_mov_b32_e32 v2, v19
	v_mov_b32_e32 v21, s23
	;; [unrolled: 1-line block ×3, first 2 shown]
	v_lshlrev_b64 v[16:17], 1, v[16:17]
	v_mad_u64_u32 v[19:20], s[28:29], s15, v7, v[2:3]
	v_add_co_u32_e32 v16, vcc, s22, v16
	v_addc_co_u32_e32 v17, vcc, v21, v17, vcc
	global_store_short v[16:17], v14, off
	v_lshlrev_b64 v[16:17], 3, v[18:19]
	v_mov_b32_e32 v2, s25
	v_add_co_u32_e32 v16, vcc, s24, v16
	v_addc_co_u32_e32 v17, vcc, v2, v17, vcc
	global_store_dwordx2 v[16:17], v[4:5], off
.LBB218_37:                             ;   in Loop: Header=BB218_29 Depth=1
	s_or_b64 exec, exec, s[18:19]
	v_mov_b32_e32 v2, v5
	v_cmp_le_u64_e32 vcc, s[10:11], v[1:2]
	s_cbranch_vccnz .LBB218_28
; %bb.38:                               ;   in Loop: Header=BB218_29 Depth=1
	ds_write_b32 v8, v6
	s_waitcnt vmcnt(0) lgkmcnt(0)
	s_barrier
	s_and_saveexec_b64 s[18:19], s[6:7]
	s_cbranch_execz .LBB218_40
; %bb.39:                               ;   in Loop: Header=BB218_29 Depth=1
	v_add_u32_e32 v2, v9, v10
	ds_read2_b32 v[16:17], v2 offset1:1
	ds_read2_b32 v[18:19], v2 offset0:2 offset1:3
	v_and_b32_e32 v7, 15, v13
	v_cmp_ne_u32_e32 vcc, 0, v7
	s_waitcnt lgkmcnt(1)
	v_add_u32_e32 v17, v17, v16
	s_waitcnt lgkmcnt(0)
	v_add3_u32 v17, v17, v18, v19
	; wave barrier
	s_nop 1
	v_mov_b32_dpp v18, v17 row_shr:1 row_mask:0xf bank_mask:0xf
	v_cndmask_b32_e32 v18, 0, v18, vcc
	v_add_u32_e32 v17, v18, v17
	v_cmp_lt_u32_e32 vcc, 1, v7
	s_nop 0
	v_mov_b32_dpp v18, v17 row_shr:2 row_mask:0xf bank_mask:0xf
	v_cndmask_b32_e32 v18, 0, v18, vcc
	v_add_u32_e32 v17, v17, v18
	v_cmp_lt_u32_e32 vcc, 3, v7
	;; [unrolled: 5-line block ×3, first 2 shown]
	s_nop 0
	v_mov_b32_dpp v18, v17 row_shr:8 row_mask:0xf bank_mask:0xf
	v_cndmask_b32_e32 v7, 0, v18, vcc
	v_add_u32_e32 v7, v17, v7
	v_bfe_i32 v18, v13, 4, 1
	v_cmp_lt_u32_e32 vcc, 31, v13
	v_mov_b32_dpp v17, v7 row_bcast:15 row_mask:0xf bank_mask:0xf
	v_and_b32_e32 v17, v18, v17
	v_add_u32_e32 v7, v7, v17
	v_and_b32_e32 v18, 64, v13
	s_nop 0
	v_mov_b32_dpp v17, v7 row_bcast:31 row_mask:0xf bank_mask:0xf
	v_cndmask_b32_e32 v17, 0, v17, vcc
	v_add_u32_e32 v7, v7, v17
	v_add_u32_e32 v17, -1, v13
	v_cmp_lt_i32_e32 vcc, v17, v18
	v_cndmask_b32_e32 v17, v17, v13, vcc
	v_lshlrev_b32_e32 v17, 2, v17
	ds_bpermute_b32 v7, v17, v7
	s_waitcnt lgkmcnt(0)
	v_add_u32_e32 v7, v7, v16
	v_cndmask_b32_e64 v7, v7, v6, s[2:3]
	ds_write_b32 v2, v7
	; wave barrier
	ds_read2_b32 v[16:17], v2 offset0:1 offset1:2
	ds_read_b32 v18, v2 offset:12
	s_waitcnt lgkmcnt(1)
	v_add_u32_e32 v7, v16, v7
	v_add_u32_e32 v16, v17, v7
	ds_write2_b32 v2, v7, v16 offset0:1 offset1:2
	s_waitcnt lgkmcnt(1)
	v_add_u32_e32 v7, v18, v16
	ds_write_b32 v2, v7 offset:12
.LBB218_40:                             ;   in Loop: Header=BB218_29 Depth=1
	s_or_b64 exec, exec, s[18:19]
	v_mov_b32_e32 v7, 0
	s_waitcnt lgkmcnt(0)
	s_barrier
	s_and_saveexec_b64 s[18:19], s[0:1]
; %bb.41:                               ;   in Loop: Header=BB218_29 Depth=1
	ds_read_b32 v7, v11
; %bb.42:                               ;   in Loop: Header=BB218_29 Depth=1
	s_or_b64 exec, exec, s[18:19]
	ds_read_b32 v2, v5 offset:1048
	v_cmp_ne_u32_e32 vcc, 0, v6
	s_waitcnt lgkmcnt(0)
	s_barrier
	s_and_saveexec_b64 s[18:19], vcc
	s_cbranch_execz .LBB218_27
; %bb.43:                               ;   in Loop: Header=BB218_29 Depth=1
	v_add_u32_e32 v6, v7, v1
	v_mov_b32_e32 v7, v5
	v_cmp_gt_u64_e32 vcc, s[10:11], v[6:7]
	s_and_b64 exec, exec, vcc
	s_cbranch_execz .LBB218_27
; %bb.44:                               ;   in Loop: Header=BB218_29 Depth=1
	v_mad_u64_u32 v[16:17], s[28:29], s16, v6, 0
	v_mad_u64_u32 v[18:19], s[28:29], s14, v6, 0
	v_mov_b32_e32 v7, v17
	v_mad_u64_u32 v[20:21], s[28:29], s17, v6, v[7:8]
	v_mov_b32_e32 v7, v19
	;; [unrolled: 2-line block ×3, first 2 shown]
	v_lshlrev_b64 v[16:17], 1, v[16:17]
	v_mov_b32_e32 v19, v6
	v_mov_b32_e32 v21, s23
	v_add_co_u32_e32 v16, vcc, s22, v16
	v_lshlrev_b64 v[6:7], 3, v[18:19]
	v_addc_co_u32_e32 v17, vcc, v21, v17, vcc
	global_store_short v[16:17], v14, off
	v_mov_b32_e32 v16, s25
	v_add_co_u32_e32 v6, vcc, s24, v6
	v_addc_co_u32_e32 v7, vcc, v16, v7, vcc
	global_store_dwordx2 v[6:7], v[4:5], off
	s_branch .LBB218_27
.LBB218_45:                             ;   in Loop: Header=BB218_46 Depth=1
	s_add_u32 s16, s16, 4
	s_addc_u32 s17, s17, 0
	s_waitcnt lgkmcnt(0)
	s_add_i32 s29, s15, s29
	s_add_u32 s18, s18, 4
	s_addc_u32 s19, s19, 0
	s_add_i32 s14, s14, 1
	s_cmp_lt_u32 s14, s35
	s_cbranch_scc0 .LBB218_24
.LBB218_46:                             ; =>This Inner Loop Header: Depth=1
	s_load_dword s15, s[16:17], 0x0
	s_cmp_ge_u32 s14, s28
	s_cbranch_scc1 .LBB218_45
; %bb.47:                               ;   in Loop: Header=BB218_46 Depth=1
	s_load_dword s22, s[18:19], 0x0
	s_waitcnt lgkmcnt(0)
	s_add_i32 s21, s15, s21
	s_add_i32 s20, s22, s20
	s_branch .LBB218_45
.LBB218_48:
	s_endpgm
	.section	.rodata,"a",@progbits
	.p2align	6, 0x0
	.amdhsa_kernel _ZN2at6native6mbtopk10gatherTopKIN3c108BFloat16EmLi2EEEvNS_4cuda6detail10TensorInfoIKT_T0_EESA_SA_bjSA_NS7_IS8_SA_EESA_NS7_IlSA_EESA_jjPS8_PjSF_j
		.amdhsa_group_segment_fixed_size 1068
		.amdhsa_private_segment_fixed_size 0
		.amdhsa_kernarg_size 1592
		.amdhsa_user_sgpr_count 6
		.amdhsa_user_sgpr_private_segment_buffer 1
		.amdhsa_user_sgpr_dispatch_ptr 0
		.amdhsa_user_sgpr_queue_ptr 0
		.amdhsa_user_sgpr_kernarg_segment_ptr 1
		.amdhsa_user_sgpr_dispatch_id 0
		.amdhsa_user_sgpr_flat_scratch_init 0
		.amdhsa_user_sgpr_private_segment_size 0
		.amdhsa_uses_dynamic_stack 0
		.amdhsa_system_sgpr_private_segment_wavefront_offset 0
		.amdhsa_system_sgpr_workgroup_id_x 1
		.amdhsa_system_sgpr_workgroup_id_y 1
		.amdhsa_system_sgpr_workgroup_id_z 1
		.amdhsa_system_sgpr_workgroup_info 0
		.amdhsa_system_vgpr_workitem_id 0
		.amdhsa_next_free_vgpr 22
		.amdhsa_next_free_sgpr 50
		.amdhsa_reserve_vcc 1
		.amdhsa_reserve_flat_scratch 0
		.amdhsa_float_round_mode_32 0
		.amdhsa_float_round_mode_16_64 0
		.amdhsa_float_denorm_mode_32 3
		.amdhsa_float_denorm_mode_16_64 3
		.amdhsa_dx10_clamp 1
		.amdhsa_ieee_mode 1
		.amdhsa_fp16_overflow 0
		.amdhsa_exception_fp_ieee_invalid_op 0
		.amdhsa_exception_fp_denorm_src 0
		.amdhsa_exception_fp_ieee_div_zero 0
		.amdhsa_exception_fp_ieee_overflow 0
		.amdhsa_exception_fp_ieee_underflow 0
		.amdhsa_exception_fp_ieee_inexact 0
		.amdhsa_exception_int_div_zero 0
	.end_amdhsa_kernel
	.section	.text._ZN2at6native6mbtopk10gatherTopKIN3c108BFloat16EmLi2EEEvNS_4cuda6detail10TensorInfoIKT_T0_EESA_SA_bjSA_NS7_IS8_SA_EESA_NS7_IlSA_EESA_jjPS8_PjSF_j,"axG",@progbits,_ZN2at6native6mbtopk10gatherTopKIN3c108BFloat16EmLi2EEEvNS_4cuda6detail10TensorInfoIKT_T0_EESA_SA_bjSA_NS7_IS8_SA_EESA_NS7_IlSA_EESA_jjPS8_PjSF_j,comdat
.Lfunc_end218:
	.size	_ZN2at6native6mbtopk10gatherTopKIN3c108BFloat16EmLi2EEEvNS_4cuda6detail10TensorInfoIKT_T0_EESA_SA_bjSA_NS7_IS8_SA_EESA_NS7_IlSA_EESA_jjPS8_PjSF_j, .Lfunc_end218-_ZN2at6native6mbtopk10gatherTopKIN3c108BFloat16EmLi2EEEvNS_4cuda6detail10TensorInfoIKT_T0_EESA_SA_bjSA_NS7_IS8_SA_EESA_NS7_IlSA_EESA_jjPS8_PjSF_j
                                        ; -- End function
	.set _ZN2at6native6mbtopk10gatherTopKIN3c108BFloat16EmLi2EEEvNS_4cuda6detail10TensorInfoIKT_T0_EESA_SA_bjSA_NS7_IS8_SA_EESA_NS7_IlSA_EESA_jjPS8_PjSF_j.num_vgpr, 22
	.set _ZN2at6native6mbtopk10gatherTopKIN3c108BFloat16EmLi2EEEvNS_4cuda6detail10TensorInfoIKT_T0_EESA_SA_bjSA_NS7_IS8_SA_EESA_NS7_IlSA_EESA_jjPS8_PjSF_j.num_agpr, 0
	.set _ZN2at6native6mbtopk10gatherTopKIN3c108BFloat16EmLi2EEEvNS_4cuda6detail10TensorInfoIKT_T0_EESA_SA_bjSA_NS7_IS8_SA_EESA_NS7_IlSA_EESA_jjPS8_PjSF_j.numbered_sgpr, 50
	.set _ZN2at6native6mbtopk10gatherTopKIN3c108BFloat16EmLi2EEEvNS_4cuda6detail10TensorInfoIKT_T0_EESA_SA_bjSA_NS7_IS8_SA_EESA_NS7_IlSA_EESA_jjPS8_PjSF_j.num_named_barrier, 0
	.set _ZN2at6native6mbtopk10gatherTopKIN3c108BFloat16EmLi2EEEvNS_4cuda6detail10TensorInfoIKT_T0_EESA_SA_bjSA_NS7_IS8_SA_EESA_NS7_IlSA_EESA_jjPS8_PjSF_j.private_seg_size, 0
	.set _ZN2at6native6mbtopk10gatherTopKIN3c108BFloat16EmLi2EEEvNS_4cuda6detail10TensorInfoIKT_T0_EESA_SA_bjSA_NS7_IS8_SA_EESA_NS7_IlSA_EESA_jjPS8_PjSF_j.uses_vcc, 1
	.set _ZN2at6native6mbtopk10gatherTopKIN3c108BFloat16EmLi2EEEvNS_4cuda6detail10TensorInfoIKT_T0_EESA_SA_bjSA_NS7_IS8_SA_EESA_NS7_IlSA_EESA_jjPS8_PjSF_j.uses_flat_scratch, 0
	.set _ZN2at6native6mbtopk10gatherTopKIN3c108BFloat16EmLi2EEEvNS_4cuda6detail10TensorInfoIKT_T0_EESA_SA_bjSA_NS7_IS8_SA_EESA_NS7_IlSA_EESA_jjPS8_PjSF_j.has_dyn_sized_stack, 0
	.set _ZN2at6native6mbtopk10gatherTopKIN3c108BFloat16EmLi2EEEvNS_4cuda6detail10TensorInfoIKT_T0_EESA_SA_bjSA_NS7_IS8_SA_EESA_NS7_IlSA_EESA_jjPS8_PjSF_j.has_recursion, 0
	.set _ZN2at6native6mbtopk10gatherTopKIN3c108BFloat16EmLi2EEEvNS_4cuda6detail10TensorInfoIKT_T0_EESA_SA_bjSA_NS7_IS8_SA_EESA_NS7_IlSA_EESA_jjPS8_PjSF_j.has_indirect_call, 0
	.section	.AMDGPU.csdata,"",@progbits
; Kernel info:
; codeLenInByte = 2820
; TotalNumSgprs: 54
; NumVgprs: 22
; ScratchSize: 0
; MemoryBound: 0
; FloatMode: 240
; IeeeMode: 1
; LDSByteSize: 1068 bytes/workgroup (compile time only)
; SGPRBlocks: 6
; VGPRBlocks: 5
; NumSGPRsForWavesPerEU: 54
; NumVGPRsForWavesPerEU: 22
; Occupancy: 10
; WaveLimiterHint : 1
; COMPUTE_PGM_RSRC2:SCRATCH_EN: 0
; COMPUTE_PGM_RSRC2:USER_SGPR: 6
; COMPUTE_PGM_RSRC2:TRAP_HANDLER: 0
; COMPUTE_PGM_RSRC2:TGID_X_EN: 1
; COMPUTE_PGM_RSRC2:TGID_Y_EN: 1
; COMPUTE_PGM_RSRC2:TGID_Z_EN: 1
; COMPUTE_PGM_RSRC2:TIDIG_COMP_CNT: 0
	.section	.text._ZN2at6native6sbtopk10gatherTopKIN3c108BFloat16EmLi2ELb0EEEvNS_4cuda6detail10TensorInfoIKT_T0_EESA_SA_bSA_SA_NS7_IS8_SA_EESA_NS7_IlSA_EESA_PS8_,"axG",@progbits,_ZN2at6native6sbtopk10gatherTopKIN3c108BFloat16EmLi2ELb0EEEvNS_4cuda6detail10TensorInfoIKT_T0_EESA_SA_bSA_SA_NS7_IS8_SA_EESA_NS7_IlSA_EESA_PS8_,comdat
	.protected	_ZN2at6native6sbtopk10gatherTopKIN3c108BFloat16EmLi2ELb0EEEvNS_4cuda6detail10TensorInfoIKT_T0_EESA_SA_bSA_SA_NS7_IS8_SA_EESA_NS7_IlSA_EESA_PS8_ ; -- Begin function _ZN2at6native6sbtopk10gatherTopKIN3c108BFloat16EmLi2ELb0EEEvNS_4cuda6detail10TensorInfoIKT_T0_EESA_SA_bSA_SA_NS7_IS8_SA_EESA_NS7_IlSA_EESA_PS8_
	.globl	_ZN2at6native6sbtopk10gatherTopKIN3c108BFloat16EmLi2ELb0EEEvNS_4cuda6detail10TensorInfoIKT_T0_EESA_SA_bSA_SA_NS7_IS8_SA_EESA_NS7_IlSA_EESA_PS8_
	.p2align	8
	.type	_ZN2at6native6sbtopk10gatherTopKIN3c108BFloat16EmLi2ELb0EEEvNS_4cuda6detail10TensorInfoIKT_T0_EESA_SA_bSA_SA_NS7_IS8_SA_EESA_NS7_IlSA_EESA_PS8_,@function
_ZN2at6native6sbtopk10gatherTopKIN3c108BFloat16EmLi2ELb0EEEvNS_4cuda6detail10TensorInfoIKT_T0_EESA_SA_bSA_SA_NS7_IS8_SA_EESA_NS7_IlSA_EESA_PS8_: ; @_ZN2at6native6sbtopk10gatherTopKIN3c108BFloat16EmLi2ELb0EEEvNS_4cuda6detail10TensorInfoIKT_T0_EESA_SA_bSA_SA_NS7_IS8_SA_EESA_NS7_IlSA_EESA_PS8_
; %bb.0:
	s_load_dwordx2 s[12:13], s[4:5], 0x520
	s_load_dwordx4 s[60:63], s[4:5], 0x1b8
	s_add_u32 s20, s4, 0x520
	s_addc_u32 s21, s5, 0
	s_mov_b32 s23, 0
	s_waitcnt lgkmcnt(0)
	s_mul_i32 s0, s13, s8
	s_add_i32 s0, s0, s7
	s_mul_i32 s0, s0, s12
	s_add_i32 s22, s0, s6
	v_mov_b32_e32 v1, s22
	v_mov_b32_e32 v2, s23
	v_cmp_le_u64_e32 vcc, s[60:61], v[1:2]
	s_cbranch_vccnz .LBB219_480
; %bb.1:
	s_load_dwordx2 s[8:9], s[4:5], 0x10
	s_load_dwordx2 s[16:17], s[4:5], 0x380
	s_load_dwordx2 s[14:15], s[4:5], 0x1d8
	s_mov_b64 s[0:1], 0
                                        ; implicit-def: $vgpr47 : SGPR spill to VGPR lane
	s_mov_b64 s[10:11], 0
	s_waitcnt lgkmcnt(0)
	v_mov_b32_e32 v1, s8
	v_mov_b32_e32 v2, s9
	v_cmp_lt_u64_e32 vcc, s[22:23], v[1:2]
	v_writelane_b32 v47, s0, 0
	v_writelane_b32 v47, s1, 1
	s_cbranch_vccnz .LBB219_3
; %bb.2:
	v_cvt_f32_u32_e32 v1, s8
	s_sub_i32 s0, 0, s8
	v_rcp_iflag_f32_e32 v1, v1
	v_mul_f32_e32 v1, 0x4f7ffffe, v1
	v_cvt_u32_f32_e32 v1, v1
	v_readfirstlane_b32 s1, v1
	s_mul_i32 s0, s0, s1
	s_mul_hi_u32 s0, s1, s0
	s_add_i32 s1, s1, s0
	s_mul_hi_u32 s0, s22, s1
	s_mul_i32 s2, s0, s8
	s_sub_i32 s2, s22, s2
	s_add_i32 s1, s0, 1
	s_sub_i32 s3, s2, s8
	s_cmp_ge_u32 s2, s8
	s_cselect_b32 s0, s1, s0
	s_cselect_b32 s2, s3, s2
	s_add_i32 s1, s0, 1
	s_cmp_ge_u32 s2, s8
	s_cselect_b32 s10, s1, s0
.LBB219_3:
	v_mov_b32_e32 v1, s14
	v_mov_b32_e32 v2, s15
	v_cmp_lt_u64_e32 vcc, s[22:23], v[1:2]
	s_cbranch_vccnz .LBB219_5
; %bb.4:
	v_cvt_f32_u32_e32 v1, s14
	s_sub_i32 s0, 0, s14
	v_rcp_iflag_f32_e32 v1, v1
	v_mul_f32_e32 v1, 0x4f7ffffe, v1
	v_cvt_u32_f32_e32 v1, v1
	v_readfirstlane_b32 s1, v1
	s_mul_i32 s0, s0, s1
	s_mul_hi_u32 s0, s1, s0
	s_add_i32 s1, s1, s0
	s_mul_hi_u32 s0, s22, s1
	s_mul_i32 s2, s0, s14
	s_sub_i32 s2, s22, s2
	s_add_i32 s1, s0, 1
	s_sub_i32 s3, s2, s14
	s_cmp_ge_u32 s2, s14
	s_cselect_b32 s0, s1, s0
	s_cselect_b32 s2, s3, s2
	s_add_i32 s1, s0, 1
	s_cmp_ge_u32 s2, s14
	s_cselect_b32 s0, s1, s0
	v_writelane_b32 v47, s0, 0
	v_writelane_b32 v47, s1, 1
.LBB219_5:
	v_writelane_b32 v47, s14, 2
	v_writelane_b32 v47, s15, 3
	s_load_dwordx2 s[14:15], s[4:5], 0x0
	v_mov_b32_e32 v1, s16
	v_mov_b32_e32 v2, s17
	v_cmp_lt_u64_e32 vcc, s[22:23], v[1:2]
	s_mov_b64 s[0:1], 0
	v_writelane_b32 v47, s0, 4
	v_writelane_b32 v47, s1, 5
	s_cbranch_vccnz .LBB219_7
; %bb.6:
	v_cvt_f32_u32_e32 v1, s16
	s_sub_i32 s0, 0, s16
	v_rcp_iflag_f32_e32 v1, v1
	v_mul_f32_e32 v1, 0x4f7ffffe, v1
	v_cvt_u32_f32_e32 v1, v1
	v_readfirstlane_b32 s1, v1
	s_mul_i32 s0, s0, s1
	s_mul_hi_u32 s0, s1, s0
	s_add_i32 s1, s1, s0
	s_mul_hi_u32 s0, s22, s1
	s_mul_i32 s2, s0, s16
	s_sub_i32 s2, s22, s2
	s_add_i32 s1, s0, 1
	s_sub_i32 s3, s2, s16
	s_cmp_ge_u32 s2, s16
	s_cselect_b32 s0, s1, s0
	s_cselect_b32 s2, s3, s2
	s_add_i32 s1, s0, 1
	s_cmp_ge_u32 s2, s16
	s_cselect_b32 s0, s1, s0
	v_writelane_b32 v47, s0, 4
	v_writelane_b32 v47, s1, 5
.LBB219_7:
	s_load_dwordx2 s[0:1], s[4:5], 0x370
	v_writelane_b32 v47, s16, 6
	v_writelane_b32 v47, s17, 7
	s_mov_b32 s89, 0
	v_cmp_eq_u32_e64 s[18:19], 0, v0
	s_waitcnt lgkmcnt(0)
	v_writelane_b32 v47, s0, 8
	v_writelane_b32 v47, s1, 9
	s_load_dwordx2 s[0:1], s[4:5], 0x1c8
	s_waitcnt lgkmcnt(0)
	v_writelane_b32 v47, s0, 10
	v_writelane_b32 v47, s1, 11
	s_load_dwordx4 s[0:3], s[4:5], 0xd0
	s_load_dwordx4 s[64:67], s[4:5], 0x1a0
	s_mov_b64 s[16:17], exec
	v_writelane_b32 v47, s18, 12
	v_writelane_b32 v47, s19, 13
	s_and_b64 s[18:19], s[16:17], s[18:19]
	s_mov_b64 exec, s[18:19]
	s_cbranch_execz .LBB219_9
; %bb.8:
	v_mov_b32_e32 v1, 0
	s_waitcnt lgkmcnt(0)
	v_mov_b32_e32 v3, s64
	v_mov_b32_e32 v4, s65
	;; [unrolled: 1-line block ×3, first 2 shown]
	ds_write_b32 v1, v1 offset:5144
	ds_write_b128 v1, v[1:4] offset:5120
.LBB219_9:
	s_or_b64 exec, exec, s[16:17]
	s_mul_i32 s7, s10, s9
	s_mul_hi_u32 s9, s10, s8
	s_add_i32 s9, s9, s7
	s_mul_i32 s7, s10, s8
	s_mov_b32 s8, s22
	v_writelane_b32 v47, s8, 14
	s_sub_u32 s7, s22, s7
	v_writelane_b32 v47, s9, 15
	s_subb_u32 s8, 0, s9
	s_waitcnt lgkmcnt(0)
	s_mul_i32 s3, s7, s3
	s_mul_hi_u32 s9, s7, s2
	s_add_i32 s3, s9, s3
	s_mul_i32 s8, s8, s2
	s_add_i32 s3, s3, s8
	s_mul_i32 s2, s7, s2
	s_mul_i32 s1, s10, s1
	s_mul_hi_u32 s7, s10, s0
	s_mul_i32 s0, s10, s0
	s_load_dwordx4 s[8:11], s[4:5], 0x298
	s_add_i32 s1, s7, s1
	s_lshl_b64 s[0:1], s[0:1], 1
	s_add_u32 s7, s14, s0
	v_mbcnt_lo_u32_b32 v1, -1, 0
	s_waitcnt lgkmcnt(0)
	v_writelane_b32 v47, s8, 16
	v_writelane_b32 v47, s9, 17
	;; [unrolled: 1-line block ×4, first 2 shown]
	s_load_dword s8, s[4:5], 0x1b0
	s_addc_u32 s9, s15, s1
	s_lshl_b64 s[0:1], s[2:3], 1
	s_add_u32 s33, s7, s0
	s_addc_u32 s86, s9, s1
	s_waitcnt lgkmcnt(0)
	s_bitcmp1_b32 s8, 0
	s_cselect_b64 s[0:1], -1, 0
	v_writelane_b32 v47, s0, 20
	v_mad_u64_u32 v[4:5], s[2:3], s62, v0, 0
	v_writelane_b32 v47, s1, 21
	s_xor_b64 s[0:1], s[0:1], -1
	v_mbcnt_hi_u32_b32 v26, -1, v1
	v_writelane_b32 v47, s0, 22
	v_cmp_gt_u32_e32 vcc, 64, v0
	v_cmp_gt_i32_e64 s[10:11], 4, v26
	v_writelane_b32 v47, s1, 23
	s_and_b64 s[2:3], vcc, s[10:11]
	v_writelane_b32 v47, s2, 24
	v_mov_b32_e32 v1, 0x600
	v_mov_b32_e32 v3, v5
	v_writelane_b32 v47, s3, 25
	v_mov_b32_e32 v2, 0
	v_mad_u64_u32 v[5:6], s[2:3], s63, v0, v[3:4]
	v_cmp_gt_u64_e64 s[2:3], s[64:65], v[1:2]
	v_mov_b32_e32 v3, 0
	v_writelane_b32 v47, s2, 26
	v_mov_b32_e32 v1, v3
	v_writelane_b32 v47, s3, 27
	v_cmp_gt_u64_e64 s[2:3], s[64:65], v[0:1]
	v_writelane_b32 v47, s2, 28
	v_writelane_b32 v47, s3, 29
	v_cmp_gt_u32_e64 s[2:3], 2, v0
	v_writelane_b32 v47, s2, 30
	s_barrier
	v_writelane_b32 v47, s3, 31
	s_load_dword s2, s[20:21], 0xc
	v_lshlrev_b64 v[4:5], 1, v[4:5]
	v_mov_b32_e32 v2, s86
	v_add_co_u32_e32 v12, vcc, s33, v4
	s_waitcnt lgkmcnt(0)
	s_and_b32 s87, s2, 0xffff
	s_bfe_u32 s2, s2, 0xa0006
	s_cmp_gt_u32 s87, 63
	s_cselect_b64 s[8:9], -1, 0
	v_addc_co_u32_e32 v13, vcc, v2, v5, vcc
	v_lshlrev_b32_e32 v2, 2, v26
	v_writelane_b32 v47, s8, 32
	s_add_u32 s3, s87, -1
	v_and_b32_e32 v23, 0x100, v2
	v_writelane_b32 v47, s9, 33
	s_addc_u32 s7, 0, -1
	v_lshrrev_b32_e32 v2, 1, v0
	v_writelane_b32 v47, s3, 34
	s_add_u32 s3, s3, s64
	v_and_b32_e32 v2, 0x1e0, v2
	v_lshlrev_b64 v[4:5], v26, -1
	v_writelane_b32 v47, s3, 35
	v_or_b32_e32 v29, 0xc00, v2
	v_add_u32_e32 v2, 2, v0
	v_writelane_b32 v47, s7, 36
	s_addc_u32 s3, s7, s65
	v_cmp_gt_u64_e32 vcc, s[64:65], v[2:3]
	v_not_b32_e32 v25, v4
	v_writelane_b32 v47, s2, 37
	s_cmp_lt_u32 s6, s12
	v_mov_b32_e32 v4, s65
	v_not_b32_e32 v24, v5
	v_writelane_b32 v47, s3, 38
	s_cselect_b32 s3, 12, 18
	v_cndmask_b32_e32 v5, 0, v4, vcc
	v_mov_b32_e32 v4, s64
	s_add_u32 s6, s20, s3
	v_cndmask_b32_e32 v2, v2, v4, vcc
	v_not_b32_e32 v4, v0
	s_addc_u32 s7, s21, 0
	v_add_co_u32_e32 v4, vcc, v2, v4
	v_writelane_b32 v47, s6, 39
	v_addc_co_u32_e32 v5, vcc, -1, v5, vcc
	v_writelane_b32 v47, s7, 40
	v_cmp_lt_u64_e64 s[6:7], 1, v[4:5]
	v_and_b32_e32 v16, -2, v4
	v_writelane_b32 v47, s6, 41
	v_mov_b32_e32 v17, v5
	v_writelane_b32 v47, s7, 42
	v_cmp_ne_u64_e64 s[6:7], v[4:5], v[16:17]
	s_add_i32 s3, s2, -1
	v_writelane_b32 v47, s6, 43
	v_writelane_b32 v47, s7, 44
	s_bfe_u32 s6, s87, 0x30006
	s_and_b32 s3, s3, 0xffff
	s_cmp_gt_u32 s3, 6
	s_cselect_b64 s[8:9], -1, 0
	v_writelane_b32 v47, s8, 45
	s_and_b32 s84, s2, 0x3f8
	v_writelane_b32 v47, s9, 46
	s_cmp_lg_u32 s6, 0
	v_writelane_b32 v47, s6, 47
	s_cselect_b64 s[2:3], -1, 0
	v_writelane_b32 v47, s2, 48
	v_writelane_b32 v47, s3, 49
	s_lshl_b32 s2, s87, 1
	v_writelane_b32 v47, s2, 50
	v_writelane_b32 v47, s4, 51
	s_load_dwordx4 s[8:11], s[4:5], 0x440
	v_writelane_b32 v47, s5, 52
	s_mov_b32 s4, 0
	v_lshlrev_b32_e32 v27, 1, v0
	s_mov_b32 s23, s62
	s_waitcnt lgkmcnt(0)
	v_writelane_b32 v47, s8, 53
	v_writelane_b32 v47, s9, 54
	;; [unrolled: 1-line block ×4, first 2 shown]
	v_mov_b32_e32 v2, 0xc00
	v_mov_b32_e32 v19, s66
	v_writelane_b32 v47, s4, 57
	v_cmp_eq_u32_e64 s[0:1], 0, v26
	v_lshlrev_b32_e32 v14, 2, v0
	v_mov_b32_e32 v15, v3
	v_add_u32_e32 v28, 0xc00, v27
	s_mov_b32 s24, s63
	v_lshlrev_b32_e32 v31, 3, v0
	v_lshl_or_b32 v32, v26, 3, v2
	s_mov_b32 s85, 14
	s_mov_b64 s[72:73], 0
	v_mov_b32_e32 v33, 0xffff
	v_mov_b32_e32 v34, 0x8000
	;; [unrolled: 1-line block ×3, first 2 shown]
	v_mov_b32_e32 v36, -1
	v_mov_b32_e32 v37, 0x5040100
	v_mov_b32_e32 v39, 0
	;; [unrolled: 1-line block ×3, first 2 shown]
	v_add_co_u32_e32 v18, vcc, v16, v0
	v_mov_b32_e32 v20, s67
	v_mov_b32_e32 v38, 0
	v_writelane_b32 v47, s23, 58
                                        ; implicit-def: $sgpr74_sgpr75
                                        ; implicit-def: $sgpr16_sgpr17
                                        ; implicit-def: $sgpr82_sgpr83
                                        ; implicit-def: $sgpr2_sgpr3
                                        ; implicit-def: $sgpr80_sgpr81
                                        ; implicit-def: $sgpr14_sgpr15
                                        ; implicit-def: $sgpr60_sgpr61
                                        ; implicit-def: $sgpr78_sgpr79
                                        ; implicit-def: $sgpr42_sgpr43
                                        ; implicit-def: $sgpr68_sgpr69
	v_writelane_b32 v47, s24, 59
	s_branch .LBB219_12
.LBB219_10:                             ;   in Loop: Header=BB219_12 Depth=1
	s_or_b64 exec, exec, s[10:11]
	s_andn2_b64 s[10:11], s[68:69], exec
	s_and_b64 s[8:9], s[8:9], exec
	v_mov_b32_e32 v20, v5
	s_or_b64 s[68:69], s[10:11], s[8:9]
	s_andn2_b64 s[42:43], s[42:43], exec
	s_andn2_b64 s[78:79], s[78:79], exec
	;; [unrolled: 1-line block ×4, first 2 shown]
	s_orn2_b64 s[6:7], s[6:7], exec
	v_mov_b32_e32 v19, v4
.LBB219_11:                             ;   in Loop: Header=BB219_12 Depth=1
	s_or_b64 exec, exec, s[4:5]
	s_and_b64 s[4:5], exec, s[6:7]
	s_or_b64 s[72:73], s[4:5], s[72:73]
	s_andn2_b64 s[4:5], s[80:81], exec
	s_and_b64 s[6:7], s[68:69], exec
	s_or_b64 s[80:81], s[4:5], s[6:7]
	s_andn2_b64 s[2:3], s[2:3], exec
	s_and_b64 s[4:5], s[42:43], exec
	;; [unrolled: 3-line block ×5, first 2 shown]
	s_or_b64 s[74:75], s[4:5], s[6:7]
	s_andn2_b64 exec, exec, s[72:73]
	s_cbranch_execz .LBB219_476
.LBB219_12:                             ; =>This Loop Header: Depth=1
                                        ;     Child Loop BB219_17 Depth 2
                                        ;     Child Loop BB219_31 Depth 2
	;; [unrolled: 1-line block ×25, first 2 shown]
	ds_read_b128 v[4:7], v3 offset:5120
	s_waitcnt lgkmcnt(0)
	v_readfirstlane_b32 s71, v5
	v_readfirstlane_b32 s70, v4
	s_cmp_lg_u64 s[70:71], 0
	s_cbranch_scc1 .LBB219_44
; %bb.13:                               ;   in Loop: Header=BB219_12 Depth=1
	v_readlane_b32 s4, v47, 26
	v_readlane_b32 s5, v47, 27
	s_and_b64 vcc, exec, s[4:5]
	s_cbranch_vccz .LBB219_25
; %bb.14:                               ;   in Loop: Header=BB219_12 Depth=1
	s_mov_b64 s[4:5], 0x601
	v_cmp_gt_u64_e32 vcc, s[4:5], v[6:7]
	s_mov_b64 s[4:5], 0
	s_mov_b64 s[6:7], 0
	s_cbranch_vccz .LBB219_26
; %bb.15:                               ;   in Loop: Header=BB219_12 Depth=1
	v_readlane_b32 s6, v47, 39
	v_readlane_b32 s7, v47, 40
	global_load_ushort v6, v[12:13], off
	v_mov_b32_e32 v5, v1
	s_mov_b64 s[8:9], 0
	v_mov_b32_e32 v4, v0
	s_nop 0
	global_load_ushort v2, v3, s[6:7]
	s_branch .LBB219_17
.LBB219_16:                             ;   in Loop: Header=BB219_17 Depth=2
	s_or_b64 exec, exec, s[6:7]
	s_waitcnt vmcnt(0)
	v_mov_b32_e32 v6, v7
	s_andn2_b64 exec, exec, s[8:9]
	s_cbranch_execz .LBB219_99
.LBB219_17:                             ;   Parent Loop BB219_12 Depth=1
                                        ; =>  This Inner Loop Header: Depth=2
	s_waitcnt vmcnt(0)
	v_add_co_u32_sdwa v4, vcc, v4, v2 dst_sel:DWORD dst_unused:UNUSED_PAD src0_sel:DWORD src1_sel:WORD_0
	v_addc_co_u32_e32 v5, vcc, 0, v5, vcc
	v_cmp_gt_u64_e64 s[6:7], s[64:65], v[4:5]
	v_cmp_le_u64_e32 vcc, s[64:65], v[4:5]
	s_waitcnt lgkmcnt(0)
	v_mov_b32_e32 v8, 0
	v_mov_b32_e32 v7, 0
	s_and_saveexec_b64 s[10:11], s[6:7]
	s_cbranch_execz .LBB219_19
; %bb.18:                               ;   in Loop: Header=BB219_17 Depth=2
	v_mul_lo_u32 v7, v5, s62
	v_mul_lo_u32 v11, v4, s63
	v_mad_u64_u32 v[9:10], s[6:7], v4, s62, 0
	v_add3_u32 v10, v10, v11, v7
	v_lshlrev_b64 v[9:10], 1, v[9:10]
	v_mov_b32_e32 v7, s86
	v_add_co_u32_e64 v9, s[6:7], s33, v9
	v_addc_co_u32_e64 v10, s[6:7], v7, v10, s[6:7]
	global_load_ushort v7, v[9:10], off
.LBB219_19:                             ;   in Loop: Header=BB219_17 Depth=2
	s_or_b64 exec, exec, s[10:11]
	v_cmp_lt_i16_e64 s[6:7], -1, v6
	v_cndmask_b32_e64 v9, v33, v34, s[6:7]
	v_lshlrev_b32_e32 v10, 16, v6
	v_xor_b32_sdwa v9, v9, v6 dst_sel:DWORD dst_unused:UNUSED_PAD src0_sel:DWORD src1_sel:WORD_0
	v_cmp_o_f32_e64 s[6:7], v10, v10
	v_cndmask_b32_e64 v9, v33, v9, s[6:7]
	v_and_b32_e32 v9, v9, v38
	v_cmp_eq_u32_e64 s[18:19], v9, v30
	s_cmp_lg_u64 s[18:19], 0
	s_cselect_b64 s[6:7], -1, 0
	s_and_b64 s[6:7], s[0:1], s[6:7]
	s_and_saveexec_b64 s[10:11], s[6:7]
	s_cbranch_execz .LBB219_23
; %bb.20:                               ;   in Loop: Header=BB219_17 Depth=2
	s_mov_b64 s[20:21], exec
	v_mbcnt_lo_u32_b32 v8, s20, 0
	v_mbcnt_hi_u32_b32 v8, s21, v8
	s_bcnt1_i32_b64 s22, s[18:19]
	v_cmp_eq_u32_e64 s[6:7], 0, v8
                                        ; implicit-def: $vgpr9
	s_and_saveexec_b64 s[12:13], s[6:7]
; %bb.21:                               ;   in Loop: Header=BB219_17 Depth=2
	s_bcnt1_i32_b64 s6, s[20:21]
	s_mul_i32 s6, s22, s6
	v_mov_b32_e32 v9, s6
	ds_add_rtn_u32 v9, v3, v9 offset:5144
; %bb.22:                               ;   in Loop: Header=BB219_17 Depth=2
	s_or_b64 exec, exec, s[12:13]
	s_waitcnt lgkmcnt(0)
	v_readfirstlane_b32 s6, v9
	v_mov_b32_e32 v9, s6
	v_mad_u32_u24 v8, s22, v8, v9
.LBB219_23:                             ;   in Loop: Header=BB219_17 Depth=2
	s_or_b64 exec, exec, s[10:11]
	ds_bpermute_b32 v8, v23, v8
	s_and_b64 s[6:7], exec, vcc
	s_or_b64 s[8:9], s[6:7], s[8:9]
	s_and_saveexec_b64 s[6:7], s[18:19]
	s_cbranch_execz .LBB219_16
; %bb.24:                               ;   in Loop: Header=BB219_17 Depth=2
	v_and_b32_e32 v10, s18, v25
	v_and_b32_e32 v9, s19, v24
	v_bcnt_u32_b32 v10, v10, 0
	v_bcnt_u32_b32 v9, v9, v10
	v_lshlrev_b32_e32 v9, 1, v9
	s_waitcnt lgkmcnt(0)
	v_lshl_add_u32 v8, v8, 1, v9
	ds_write_b16 v8, v6
	s_branch .LBB219_16
.LBB219_25:                             ;   in Loop: Header=BB219_12 Depth=1
	s_mov_b64 s[4:5], -1
	s_mov_b64 s[6:7], 0
.LBB219_26:                             ;   in Loop: Header=BB219_12 Depth=1
	s_and_b64 vcc, exec, s[4:5]
	s_cbranch_vccz .LBB219_42
.LBB219_27:                             ;   in Loop: Header=BB219_12 Depth=1
	s_mov_b64 s[4:5], exec
	v_readlane_b32 s6, v47, 28
	v_readlane_b32 s7, v47, 29
	s_and_b64 s[6:7], s[4:5], s[6:7]
	s_mov_b64 exec, s[6:7]
	s_cbranch_execz .LBB219_39
; %bb.28:                               ;   in Loop: Header=BB219_12 Depth=1
	v_readlane_b32 s6, v47, 39
	v_readlane_b32 s7, v47, 40
	s_nop 4
	global_load_ushort v2, v3, s[6:7]
	global_load_ushort v10, v[12:13], off
	v_mov_b32_e32 v6, v0
	s_waitcnt vmcnt(1)
	v_readfirstlane_b32 s8, v2
	v_add_u32_sdwa v2, v2, v0 dst_sel:DWORD dst_unused:UNUSED_PAD src0_sel:WORD_0 src1_sel:DWORD
	v_cmp_gt_u64_e32 vcc, s[64:65], v[2:3]
	s_and_saveexec_b64 s[6:7], vcc
	s_cbranch_execz .LBB219_38
; %bb.29:                               ;   in Loop: Header=BB219_12 Depth=1
	s_and_b32 s12, s8, 0xffff
	s_cmp_eq_u32 s12, 1
	v_readlane_b32 s10, v47, 41
                                        ; implicit-def: $vgpr6_vgpr7
	s_cselect_b64 s[8:9], -1, 0
	v_readlane_b32 s11, v47, 42
	v_mov_b32_e32 v5, v1
	v_mov_b32_e32 v8, v3
	s_and_b64 s[18:19], s[10:11], s[8:9]
	s_mov_b64 s[10:11], -1
	v_mov_b32_e32 v4, v0
	v_mov_b32_e32 v7, v2
	s_and_saveexec_b64 s[8:9], s[18:19]
	s_cbranch_execz .LBB219_33
; %bb.30:                               ;   in Loop: Header=BB219_12 Depth=1
	v_add_co_u32_e32 v4, vcc, 1, v2
	v_addc_co_u32_e64 v5, s[10:11], 0, 0, vcc
	v_mov_b32_e32 v8, v16
	v_mov_b32_e32 v7, v5
	s_waitcnt vmcnt(0)
	v_lshlrev_b32_e32 v21, 16, v10
	s_mov_b64 s[10:11], 0
	v_mov_b32_e32 v9, v17
	v_mov_b32_e32 v11, v27
	;; [unrolled: 1-line block ×5, first 2 shown]
.LBB219_31:                             ;   Parent Loop BB219_12 Depth=1
                                        ; =>  This Inner Loop Header: Depth=2
	v_mul_lo_u32 v44, v5, s23
	v_mul_lo_u32 v45, v4, s24
	v_mad_u64_u32 v[42:43], s[18:19], v4, s23, 0
	v_mul_lo_u32 v10, v7, s62
	v_mul_lo_u32 v22, v6, s63
	v_mad_u64_u32 v[40:41], s[18:19], v6, s62, 0
	v_add3_u32 v43, v43, v45, v44
	v_lshlrev_b64 v[42:43], 1, v[42:43]
	v_add3_u32 v41, v41, v22, v10
	v_mov_b32_e32 v46, s86
	v_lshlrev_b64 v[40:41], 1, v[40:41]
	v_add_co_u32_e32 v42, vcc, s33, v42
	v_addc_co_u32_e32 v43, vcc, v46, v43, vcc
	v_add_co_u32_e32 v40, vcc, s33, v40
	v_addc_co_u32_e32 v41, vcc, v46, v41, vcc
	global_load_ushort v22, v[42:43], off
	global_load_ushort v10, v[40:41], off
	v_add_co_u32_e32 v6, vcc, 2, v6
	v_addc_co_u32_e32 v7, vcc, 0, v7, vcc
	v_add_co_u32_e32 v4, vcc, 2, v4
	v_addc_co_u32_e32 v5, vcc, 0, v5, vcc
	v_add_co_u32_e32 v8, vcc, -2, v8
	v_addc_co_u32_e32 v9, vcc, -1, v9, vcc
	s_mov_b32 s13, 0x5040100
	v_cmp_eq_u64_e32 vcc, 0, v[8:9]
	s_or_b64 s[10:11], vcc, s[10:11]
	s_waitcnt vmcnt(1)
	v_alignbit_b32 v21, v22, v21, 16
	s_waitcnt vmcnt(0)
	v_perm_b32 v40, v10, v22, s13
	ds_write_b32 v11, v21
	v_add_u32_e32 v11, 4, v11
	v_mov_b32_e32 v21, v40
	s_andn2_b64 exec, exec, s[10:11]
	s_cbranch_execnz .LBB219_31
; %bb.32:                               ;   in Loop: Header=BB219_12 Depth=1
	s_or_b64 exec, exec, s[10:11]
	v_readlane_b32 s10, v47, 43
	v_add_co_u32_e32 v7, vcc, v2, v16
	v_readlane_b32 s11, v47, 44
	v_addc_co_u32_e32 v8, vcc, 0, v17, vcc
	v_add_co_u32_e32 v6, vcc, -1, v7
	s_orn2_b64 s[10:11], s[10:11], exec
	v_mov_b32_e32 v4, v18
	v_mov_b32_e32 v5, v19
.LBB219_33:                             ;   in Loop: Header=BB219_12 Depth=1
	s_or_b64 exec, exec, s[8:9]
	s_and_saveexec_b64 s[8:9], s[10:11]
	s_cbranch_execz .LBB219_37
; %bb.34:                               ;   in Loop: Header=BB219_12 Depth=1
	s_mov_b64 s[10:11], 0
	s_sub_u32 s13, 0, s12
.LBB219_35:                             ;   Parent Loop BB219_12 Depth=1
                                        ; =>  This Inner Loop Header: Depth=2
	s_waitcnt vmcnt(0)
	v_mov_b32_e32 v2, v10
	v_mul_lo_u32 v9, v8, s62
	v_mul_lo_u32 v10, v7, s63
	v_mad_u64_u32 v[5:6], s[18:19], v7, s62, 0
	v_mov_b32_e32 v11, s86
	v_lshlrev_b32_e32 v4, 1, v4
	v_add3_u32 v6, v6, v10, v9
	v_lshlrev_b64 v[5:6], 1, v[5:6]
	ds_write_b16 v4, v2
	v_add_co_u32_e32 v5, vcc, s33, v5
	v_addc_co_u32_e32 v6, vcc, v11, v6, vcc
	global_load_ushort v10, v[5:6], off
	v_mov_b32_e32 v4, v7
	v_mov_b32_e32 v5, v8
	v_add_co_u32_e32 v7, vcc, s12, v7
	v_addc_co_u32_e32 v8, vcc, 0, v8, vcc
	v_cmp_le_u64_e32 vcc, s[64:65], v[7:8]
	s_or_b64 s[10:11], vcc, s[10:11]
	v_add_co_u32_e32 v6, vcc, s13, v7
	s_andn2_b64 exec, exec, s[10:11]
	s_cbranch_execnz .LBB219_35
; %bb.36:                               ;   in Loop: Header=BB219_12 Depth=1
	s_or_b64 exec, exec, s[10:11]
.LBB219_37:                             ;   in Loop: Header=BB219_12 Depth=1
	s_or_b64 exec, exec, s[8:9]
.LBB219_38:                             ;   in Loop: Header=BB219_12 Depth=1
	s_or_b64 exec, exec, s[6:7]
	v_lshlrev_b32_e32 v2, 1, v6
	s_waitcnt vmcnt(0)
	ds_write_b16 v2, v10
.LBB219_39:                             ;   in Loop: Header=BB219_12 Depth=1
	s_or_b64 exec, exec, s[4:5]
	s_waitcnt lgkmcnt(0)
	s_barrier
	s_mov_b64 s[4:5], exec
	v_readlane_b32 s6, v47, 12
	v_readlane_b32 s7, v47, 13
	s_and_b64 s[6:7], s[4:5], s[6:7]
	s_mov_b64 exec, s[6:7]
; %bb.40:                               ;   in Loop: Header=BB219_12 Depth=1
	v_mov_b32_e32 v4, s64
	v_mov_b32_e32 v5, s65
	ds_write_b64 v3, v[4:5] offset:5120
; %bb.41:                               ;   in Loop: Header=BB219_12 Depth=1
	s_or_b64 exec, exec, s[4:5]
	s_mov_b64 s[6:7], -1
	s_waitcnt lgkmcnt(0)
	s_barrier
.LBB219_42:                             ;   in Loop: Header=BB219_12 Depth=1
	s_mov_b64 s[70:71], 0
	s_and_b64 vcc, exec, s[6:7]
	s_cbranch_vccz .LBB219_44
; %bb.43:                               ;   in Loop: Header=BB219_12 Depth=1
	ds_read_b64 v[4:5], v3 offset:5120
	s_waitcnt lgkmcnt(0)
	v_readfirstlane_b32 s70, v4
.LBB219_44:                             ;   in Loop: Header=BB219_12 Depth=1
	s_cmp_lt_i32 s70, 1
	s_mov_b64 s[4:5], -1
                                        ; implicit-def: $vgpr4_vgpr5
                                        ; implicit-def: $vgpr8_vgpr9
	s_cbranch_scc0 .LBB219_59
; %bb.45:                               ;   in Loop: Header=BB219_12 Depth=1
	v_readlane_b32 s4, v47, 39
	v_readlane_b32 s5, v47, 40
	s_nop 4
	global_load_ushort v2, v3, s[4:5]
	s_mov_b32 s4, s89
	s_waitcnt vmcnt(0)
	v_readfirstlane_b32 s5, v2
	s_and_b32 s5, 0xffff, s5
	s_lshl_b32 s71, s5, 2
	s_mov_b32 s5, s65
	s_cmp_lg_u64 s[4:5], 0
	s_cbranch_scc0 .LBB219_77
; %bb.46:                               ;   in Loop: Header=BB219_12 Depth=1
	v_cvt_f32_u32_e32 v4, s71
	s_sub_u32 s6, 0, s71
	s_subb_u32 s7, 0, 0
	v_mac_f32_e32 v4, 0, v35
	v_rcp_f32_e32 v4, v4
	v_mul_f32_e32 v4, 0x5f7ffffc, v4
	v_mul_f32_e32 v5, 0x2f800000, v4
	v_trunc_f32_e32 v5, v5
	v_mac_f32_e32 v4, 0xcf800000, v5
	v_cvt_u32_f32_e32 v5, v5
	v_cvt_u32_f32_e32 v4, v4
	v_readfirstlane_b32 s8, v5
	v_readfirstlane_b32 s4, v4
	s_mul_i32 s5, s6, s8
	s_mul_hi_u32 s10, s6, s4
	s_mul_i32 s9, s7, s4
	s_add_i32 s5, s10, s5
	s_mul_i32 s11, s6, s4
	s_add_i32 s5, s5, s9
	s_mul_hi_u32 s10, s4, s11
	s_mul_i32 s12, s4, s5
	s_mul_hi_u32 s9, s4, s5
	s_add_u32 s10, s10, s12
	s_addc_u32 s9, 0, s9
	s_mul_hi_u32 s13, s8, s11
	s_mul_i32 s11, s8, s11
	s_add_u32 s10, s10, s11
	s_mul_hi_u32 s12, s8, s5
	s_addc_u32 s9, s9, s13
	s_addc_u32 s10, s12, 0
	s_mul_i32 s5, s8, s5
	s_add_u32 s5, s9, s5
	s_addc_u32 s9, 0, s10
	s_add_u32 s10, s4, s5
	s_cselect_b64 s[4:5], -1, 0
	s_cmp_lg_u64 s[4:5], 0
	s_addc_u32 s8, s8, s9
	s_mul_i32 s4, s6, s8
	s_mul_hi_u32 s5, s6, s10
	s_add_i32 s4, s5, s4
	s_mul_i32 s7, s7, s10
	s_add_i32 s4, s4, s7
	s_mul_i32 s6, s6, s10
	s_mul_hi_u32 s7, s8, s6
	s_mul_i32 s9, s8, s6
	s_mul_i32 s12, s10, s4
	s_mul_hi_u32 s6, s10, s6
	s_mul_hi_u32 s11, s10, s4
	s_add_u32 s6, s6, s12
	s_addc_u32 s11, 0, s11
	s_add_u32 s6, s6, s9
	s_mul_hi_u32 s5, s8, s4
	s_addc_u32 s6, s11, s7
	s_addc_u32 s5, s5, 0
	s_mul_i32 s4, s8, s4
	s_add_u32 s4, s6, s4
	s_addc_u32 s6, 0, s5
	s_add_u32 s7, s10, s4
	s_cselect_b64 s[4:5], -1, 0
	s_cmp_lg_u64 s[4:5], 0
	s_addc_u32 s4, s8, s6
	s_mul_i32 s6, s64, s4
	s_mul_hi_u32 s8, s64, s7
	s_mul_hi_u32 s5, s64, s4
	s_add_u32 s6, s8, s6
	s_addc_u32 s5, 0, s5
	s_mul_hi_u32 s9, s65, s7
	s_mul_i32 s7, s65, s7
	s_add_u32 s6, s6, s7
	s_mul_hi_u32 s8, s65, s4
	s_addc_u32 s5, s5, s9
	s_addc_u32 s6, s8, 0
	s_mul_i32 s4, s65, s4
	s_add_u32 s4, s5, s4
	s_addc_u32 s5, 0, s6
	s_mul_i32 s5, s71, s5
	s_mul_hi_u32 s6, s71, s4
	s_add_i32 s6, s6, s5
	s_mul_i32 s4, s71, s4
	s_sub_u32 s7, s64, s4
	s_cselect_b64 s[4:5], -1, 0
	s_cmp_lg_u64 s[4:5], 0
	s_subb_u32 s6, s65, s6
	s_sub_u32 s8, s7, s71
	s_cselect_b64 s[4:5], -1, 0
	s_cmp_lg_u64 s[4:5], 0
	s_subb_u32 s9, s6, 0
	;; [unrolled: 4-line block ×3, first 2 shown]
	s_cmp_ge_u32 s8, s71
	s_cselect_b32 s5, -1, 0
	s_cmp_eq_u32 s9, 0
	s_cselect_b32 s5, s5, -1
	s_cmp_lg_u32 s5, 0
	s_cselect_b32 s4, s4, s9
	s_cselect_b32 s8, s10, s8
	s_cmp_ge_u32 s7, s71
	s_cselect_b32 s5, -1, 0
	s_cmp_eq_u32 s6, 0
	s_cselect_b32 s5, s5, -1
	s_cmp_lg_u32 s5, 0
	s_cselect_b32 s5, s4, s6
	s_cselect_b32 s4, s8, s7
	s_cbranch_execnz .LBB219_48
.LBB219_47:                             ;   in Loop: Header=BB219_12 Depth=1
	v_cvt_f32_u32_e32 v4, s71
	s_sub_i32 s4, 0, s71
	v_rcp_iflag_f32_e32 v4, v4
	v_mul_f32_e32 v4, 0x4f7ffffe, v4
	v_cvt_u32_f32_e32 v4, v4
	v_readfirstlane_b32 s5, v4
	s_mul_i32 s4, s4, s5
	s_mul_hi_u32 s4, s5, s4
	s_add_i32 s5, s5, s4
	s_mul_hi_u32 s4, s64, s5
	s_mul_i32 s4, s4, s71
	s_sub_i32 s4, s64, s4
	s_sub_i32 s5, s4, s71
	s_cmp_ge_u32 s4, s71
	s_cselect_b32 s4, s5, s4
	s_sub_i32 s5, s4, s71
	s_cmp_ge_u32 s4, s71
	s_cselect_b32 s88, s5, s4
	s_mov_b64 s[4:5], s[88:89]
.LBB219_48:                             ;   in Loop: Header=BB219_12 Depth=1
	s_sub_u32 s58, s64, s4
	s_subb_u32 s59, s65, s5
	v_cmp_gt_u64_e32 vcc, s[58:59], v[14:15]
	v_mov_b32_e32 v4, 0
	v_mov_b32_e32 v6, 0
	;; [unrolled: 1-line block ×8, first 2 shown]
	s_and_saveexec_b64 s[8:9], vcc
	s_cbranch_execz .LBB219_52
; %bb.49:                               ;   in Loop: Header=BB219_12 Depth=1
	v_mov_b32_e32 v22, v15
	s_mov_b64 s[10:11], 0
	s_mov_b64 s[76:77], 0
	s_mov_b64 s[94:95], 0
	s_mov_b64 s[12:13], 0
	s_mov_b64 s[4:5], 0
	v_mov_b32_e32 v21, v14
.LBB219_50:                             ;   Parent Loop BB219_12 Depth=1
                                        ; =>  This Inner Loop Header: Depth=2
	v_mul_lo_u32 v6, v22, s62
	v_mul_lo_u32 v7, v21, s63
	v_mad_u64_u32 v[4:5], s[6:7], v21, s62, 0
	v_mov_b32_e32 v8, s86
	s_lshl_b64 s[18:19], s[62:63], 1
	v_add3_u32 v5, v5, v7, v6
	v_lshlrev_b64 v[4:5], 1, v[4:5]
	v_mov_b32_e32 v9, s19
	v_add_co_u32_e64 v4, s[6:7], s33, v4
	v_addc_co_u32_e64 v5, s[6:7], v8, v5, s[6:7]
	global_load_ushort v6, v[4:5], off
	v_add_co_u32_e64 v4, s[6:7], s18, v4
	v_addc_co_u32_e64 v5, s[6:7], v5, v9, s[6:7]
	global_load_ushort v7, v[4:5], off
	;; [unrolled: 3-line block ×4, first 2 shown]
	v_add_co_u32_e32 v21, vcc, s71, v21
	v_addc_co_u32_e32 v22, vcc, 0, v22, vcc
	v_cmp_le_u64_e32 vcc, s[58:59], v[21:22]
	s_waitcnt vmcnt(3)
	v_cmp_lt_i16_e64 s[6:7], -1, v6
	v_lshlrev_b32_e32 v5, 16, v6
	v_cndmask_b32_e64 v9, v33, v34, s[6:7]
	v_xor_b32_sdwa v6, v9, v6 dst_sel:DWORD dst_unused:UNUSED_PAD src0_sel:DWORD src1_sel:WORD_0
	v_cmp_o_f32_e64 s[6:7], v5, v5
	s_waitcnt vmcnt(2)
	v_cmp_lt_i16_e64 s[18:19], -1, v7
	v_lshlrev_b32_e32 v10, 16, v7
	v_cndmask_b32_e64 v5, v33, v34, s[18:19]
	v_cndmask_b32_e64 v6, v33, v6, s[6:7]
	v_xor_b32_sdwa v5, v5, v7 dst_sel:DWORD dst_unused:UNUSED_PAD src0_sel:DWORD src1_sel:WORD_0
	s_waitcnt vmcnt(1)
	v_cmp_lt_i16_e64 s[6:7], -1, v8
	v_lshlrev_b32_e32 v9, 16, v8
	v_cmp_o_f32_e64 s[18:19], v10, v10
	v_cndmask_b32_e64 v7, v33, v34, s[6:7]
	v_cndmask_b32_e64 v5, v33, v5, s[18:19]
	s_waitcnt vmcnt(0)
	v_cmp_lt_i16_e64 s[6:7], -1, v4
	v_lshlrev_b32_e32 v10, 16, v4
	v_xor_b32_sdwa v7, v7, v8 dst_sel:DWORD dst_unused:UNUSED_PAD src0_sel:DWORD src1_sel:WORD_0
	v_cndmask_b32_e64 v8, v33, v34, s[6:7]
	v_and_b32_e32 v11, v6, v38
	v_bfe_u32 v6, v6, s85, 2
	v_cmp_o_f32_e64 s[6:7], v9, v9
	v_cndmask_b32_e64 v7, v33, v7, s[6:7]
	v_xor_b32_sdwa v4, v8, v4 dst_sel:DWORD dst_unused:UNUSED_PAD src0_sel:DWORD src1_sel:WORD_0
	v_cmp_eq_u32_e64 s[20:21], v11, v30
	v_and_b32_e32 v8, v5, v38
	v_bfe_u32 v5, v5, s85, 2
	v_cmp_eq_u32_e64 s[6:7], 0, v6
	v_cmp_o_f32_e64 s[18:19], v10, v10
	v_cndmask_b32_e64 v4, v33, v4, s[18:19]
	v_cmp_eq_u32_e64 s[18:19], v8, v30
	v_cmp_eq_u32_e64 s[30:31], 0, v5
	s_and_b64 s[6:7], s[20:21], s[6:7]
	v_cmp_eq_u32_e64 s[44:45], 1, v6
	v_cmp_eq_u32_e64 s[36:37], 2, v6
	;; [unrolled: 1-line block ×3, first 2 shown]
	v_and_b32_e32 v6, v7, v38
	v_bfe_u32 v7, v7, s85, 2
	v_cmp_eq_u32_e64 s[46:47], 1, v5
	v_cmp_eq_u32_e64 s[38:39], 2, v5
	;; [unrolled: 1-line block ×3, first 2 shown]
	v_cndmask_b32_e64 v5, 0, 1, s[6:7]
	s_and_b64 s[30:31], s[18:19], s[30:31]
	v_cmp_eq_u32_e64 s[26:27], v6, v30
	v_and_b32_e32 v6, v4, v38
	v_bfe_u32 v4, v4, s85, 2
	v_cmp_eq_u32_e64 s[6:7], 0, v7
	v_cmp_ne_u32_e64 s[50:51], 0, v5
	v_cndmask_b32_e64 v5, 0, 1, s[30:31]
	v_cmp_eq_u32_e64 s[30:31], v6, v30
	v_cmp_eq_u32_e64 s[52:53], 0, v4
	s_bcnt1_i32_b64 s88, s[50:51]
	v_cmp_ne_u32_e64 s[50:51], 0, v5
	s_and_b64 s[6:7], s[26:27], s[6:7]
	v_cmp_eq_u32_e64 s[54:55], 1, v4
	v_cmp_eq_u32_e64 s[56:57], 2, v4
	;; [unrolled: 1-line block ×3, first 2 shown]
	v_cndmask_b32_e64 v4, 0, 1, s[6:7]
	s_bcnt1_i32_b64 s90, s[50:51]
	s_and_b64 s[50:51], s[30:31], s[52:53]
	v_cmp_ne_u32_e64 s[6:7], 0, v4
	v_cndmask_b32_e64 v4, 0, 1, s[50:51]
	s_bcnt1_i32_b64 s50, s[6:7]
	v_cmp_ne_u32_e64 s[6:7], 0, v4
	s_bcnt1_i32_b64 s6, s[6:7]
	s_add_u32 s4, s88, s4
	s_addc_u32 s5, 0, s5
	s_add_u32 s4, s4, s90
	s_addc_u32 s5, s5, 0
	;; [unrolled: 2-line block ×4, first 2 shown]
	s_and_b64 s[6:7], s[20:21], s[44:45]
	v_cmp_eq_u32_e64 s[48:49], 1, v7
	v_cndmask_b32_e64 v6, 0, 1, s[6:7]
	s_and_b64 s[6:7], s[18:19], s[46:47]
	v_cmp_eq_u32_e64 s[40:41], 2, v7
	v_cmp_eq_u32_e64 s[28:29], 3, v7
	v_cndmask_b32_e64 v7, 0, 1, s[6:7]
	s_and_b64 s[6:7], s[26:27], s[48:49]
	v_cndmask_b32_e64 v8, 0, 1, s[6:7]
	s_and_b64 s[6:7], s[30:31], s[54:55]
	v_cndmask_b32_e64 v9, 0, 1, s[6:7]
	v_cmp_ne_u32_e64 s[6:7], 0, v6
	v_cmp_ne_u32_e64 s[44:45], 0, v7
	v_cmp_ne_u32_e64 s[46:47], 0, v8
	v_cmp_ne_u32_e64 s[48:49], 0, v9
	s_bcnt1_i32_b64 s6, s[6:7]
	s_bcnt1_i32_b64 s7, s[44:45]
	;; [unrolled: 1-line block ×4, first 2 shown]
	s_add_u32 s6, s6, s12
	s_addc_u32 s12, 0, s13
	s_add_u32 s6, s6, s7
	s_addc_u32 s7, s12, 0
	;; [unrolled: 2-line block ×4, first 2 shown]
	s_and_b64 s[6:7], s[20:21], s[36:37]
	v_cndmask_b32_e64 v8, 0, 1, s[6:7]
	s_and_b64 s[6:7], s[18:19], s[38:39]
	v_cndmask_b32_e64 v9, 0, 1, s[6:7]
	;; [unrolled: 2-line block ×4, first 2 shown]
	v_cmp_ne_u32_e64 s[6:7], 0, v8
	v_cmp_ne_u32_e64 s[36:37], 0, v9
	;; [unrolled: 1-line block ×4, first 2 shown]
	s_bcnt1_i32_b64 s6, s[6:7]
	s_bcnt1_i32_b64 s7, s[36:37]
	;; [unrolled: 1-line block ×4, first 2 shown]
	s_add_u32 s6, s6, s94
	s_addc_u32 s38, 0, s95
	s_add_u32 s6, s6, s7
	s_addc_u32 s7, s38, 0
	s_add_u32 s6, s6, s36
	s_addc_u32 s7, s7, 0
	s_add_u32 s94, s6, s37
	s_addc_u32 s95, s7, 0
	s_and_b64 s[6:7], s[20:21], s[22:23]
	v_cndmask_b32_e64 v10, 0, 1, s[6:7]
	s_and_b64 s[6:7], s[18:19], s[24:25]
	v_cndmask_b32_e64 v11, 0, 1, s[6:7]
	;; [unrolled: 2-line block ×4, first 2 shown]
	v_cmp_ne_u32_e64 s[6:7], 0, v10
	v_cmp_ne_u32_e64 s[18:19], 0, v11
	;; [unrolled: 1-line block ×4, first 2 shown]
	s_bcnt1_i32_b64 s6, s[6:7]
	s_bcnt1_i32_b64 s7, s[18:19]
	;; [unrolled: 1-line block ×4, first 2 shown]
	s_add_u32 s6, s6, s76
	s_addc_u32 s20, 0, s77
	s_add_u32 s6, s6, s7
	s_addc_u32 s7, s20, 0
	s_add_u32 s6, s6, s18
	s_addc_u32 s7, s7, 0
	s_add_u32 s76, s6, s19
	v_mov_b32_e32 v4, s4
	v_mov_b32_e32 v6, s12
	;; [unrolled: 1-line block ×3, first 2 shown]
	s_addc_u32 s77, s7, 0
	v_mov_b32_e32 v10, s76
	v_mov_b32_e32 v5, s5
	;; [unrolled: 1-line block ×4, first 2 shown]
	s_or_b64 s[10:11], vcc, s[10:11]
	v_mov_b32_e32 v11, s77
	s_andn2_b64 exec, exec, s[10:11]
	s_cbranch_execnz .LBB219_50
; %bb.51:                               ;   in Loop: Header=BB219_12 Depth=1
	s_or_b64 exec, exec, s[10:11]
.LBB219_52:                             ;   in Loop: Header=BB219_12 Depth=1
	s_or_b64 exec, exec, s[8:9]
	v_mov_b32_e32 v22, s59
	v_add_co_u32_e32 v21, vcc, s58, v0
	v_addc_co_u32_e32 v22, vcc, 0, v22, vcc
	v_cmp_gt_u64_e32 vcc, s[64:65], v[21:22]
	s_and_saveexec_b64 s[4:5], vcc
	s_cbranch_execz .LBB219_58
; %bb.53:                               ;   in Loop: Header=BB219_12 Depth=1
	v_mul_lo_u32 v42, v22, s62
	v_mul_lo_u32 v43, v21, s63
	v_mad_u64_u32 v[40:41], s[6:7], v21, s62, 0
	s_mov_b64 s[8:9], 0
	v_add3_u32 v41, v41, v43, v42
	v_lshlrev_b64 v[40:41], 1, v[40:41]
	v_mov_b32_e32 v42, s86
	v_add_co_u32_e32 v40, vcc, s33, v40
	v_addc_co_u32_e32 v41, vcc, v42, v41, vcc
	global_load_ushort v41, v[40:41], off
	s_branch .LBB219_55
.LBB219_54:                             ;   in Loop: Header=BB219_55 Depth=2
	s_or_b64 exec, exec, s[10:11]
	s_and_b64 s[6:7], exec, vcc
	s_waitcnt vmcnt(0)
	v_cmp_lt_i16_e32 vcc, -1, v41
	v_cndmask_b32_e32 v42, v33, v34, vcc
	v_lshlrev_b32_e32 v43, 16, v41
	v_xor_b32_sdwa v41, v42, v41 dst_sel:DWORD dst_unused:UNUSED_PAD src0_sel:DWORD src1_sel:WORD_0
	v_cmp_o_f32_e32 vcc, v43, v43
	v_cndmask_b32_e32 v41, v33, v41, vcc
	v_and_b32_e32 v42, v41, v38
	v_bfe_u32 v41, v41, s85, 2
	s_or_b64 s[8:9], s[6:7], s[8:9]
	v_cmp_eq_u32_e32 vcc, v42, v30
	v_cmp_eq_u32_e64 s[6:7], 0, v41
	s_and_b64 s[6:7], vcc, s[6:7]
	v_cndmask_b32_e64 v42, 0, 1, s[6:7]
	v_cmp_ne_u32_e64 s[6:7], 0, v42
	s_bcnt1_i32_b64 s6, s[6:7]
	v_add_co_u32_e64 v4, s[6:7], s6, v4
	v_addc_co_u32_e64 v5, s[6:7], 0, v5, s[6:7]
	v_cmp_eq_u32_e64 s[6:7], 1, v41
	s_and_b64 s[6:7], vcc, s[6:7]
	v_cndmask_b32_e64 v42, 0, 1, s[6:7]
	v_cmp_ne_u32_e64 s[6:7], 0, v42
	s_bcnt1_i32_b64 s6, s[6:7]
	v_add_co_u32_e64 v6, s[6:7], s6, v6
	v_addc_co_u32_e64 v7, s[6:7], 0, v7, s[6:7]
	;; [unrolled: 7-line block ×3, first 2 shown]
	v_cmp_eq_u32_e64 s[6:7], 3, v41
	s_and_b64 s[6:7], vcc, s[6:7]
	v_cndmask_b32_e64 v41, 0, 1, s[6:7]
	v_cmp_ne_u32_e32 vcc, 0, v41
	s_bcnt1_i32_b64 s6, vcc
	v_add_co_u32_e32 v10, vcc, s6, v10
	v_addc_co_u32_e32 v11, vcc, 0, v11, vcc
	v_mov_b32_e32 v41, v40
	s_andn2_b64 exec, exec, s[8:9]
	s_cbranch_execz .LBB219_57
.LBB219_55:                             ;   Parent Loop BB219_12 Depth=1
                                        ; =>  This Inner Loop Header: Depth=2
	v_add_co_u32_sdwa v21, vcc, v21, v2 dst_sel:DWORD dst_unused:UNUSED_PAD src0_sel:DWORD src1_sel:WORD_0
	v_addc_co_u32_e32 v22, vcc, 0, v22, vcc
	v_cmp_gt_u64_e64 s[6:7], s[64:65], v[21:22]
	v_cmp_le_u64_e32 vcc, s[64:65], v[21:22]
	v_mov_b32_e32 v40, 0
	s_and_saveexec_b64 s[10:11], s[6:7]
	s_cbranch_execz .LBB219_54
; %bb.56:                               ;   in Loop: Header=BB219_55 Depth=2
	v_mul_lo_u32 v40, v22, s62
	v_mul_lo_u32 v44, v21, s63
	v_mad_u64_u32 v[42:43], s[6:7], v21, s62, 0
	v_add3_u32 v43, v43, v44, v40
	v_lshlrev_b64 v[42:43], 1, v[42:43]
	v_mov_b32_e32 v40, s86
	v_add_co_u32_e64 v42, s[6:7], s33, v42
	v_addc_co_u32_e64 v43, s[6:7], v40, v43, s[6:7]
	global_load_ushort v40, v[42:43], off
	s_branch .LBB219_54
.LBB219_57:                             ;   in Loop: Header=BB219_12 Depth=1
	s_or_b64 exec, exec, s[8:9]
.LBB219_58:                             ;   in Loop: Header=BB219_12 Depth=1
	s_or_b64 exec, exec, s[4:5]
	s_mov_b64 s[4:5], 0
.LBB219_59:                             ;   in Loop: Header=BB219_12 Depth=1
	s_and_b64 vcc, exec, s[4:5]
	s_cbranch_vccz .LBB219_69
; %bb.60:                               ;   in Loop: Header=BB219_12 Depth=1
	v_readlane_b32 s4, v47, 39
	v_readlane_b32 s5, v47, 40
	v_mov_b32_e32 v8, 0
	v_mov_b32_e32 v9, 0
	s_nop 2
	global_load_ushort v2, v3, s[4:5]
	s_waitcnt vmcnt(0)
	v_readfirstlane_b32 s4, v2
	s_and_b32 s71, 0xffff, s4
	s_lshl_b32 s88, s71, 2
	v_cvt_f32_u32_e32 v4, s88
	s_sub_i32 s4, 0, s88
	v_rcp_iflag_f32_e32 v6, v4
	v_mov_b32_e32 v4, 0
	v_mov_b32_e32 v5, 0
	v_mul_f32_e32 v6, 0x4f7ffffe, v6
	v_cvt_u32_f32_e32 v10, v6
	v_mov_b32_e32 v6, 0
	v_mov_b32_e32 v7, 0
	v_readfirstlane_b32 s5, v10
	s_mul_i32 s4, s4, s5
	s_mul_hi_u32 s4, s5, s4
	s_add_i32 s5, s5, s4
	s_mul_hi_u32 s4, s70, s5
	s_mul_i32 s5, s4, s88
	s_sub_i32 s5, s70, s5
	s_add_i32 s6, s4, 1
	s_sub_i32 s7, s5, s88
	s_cmp_ge_u32 s5, s88
	s_cselect_b32 s4, s6, s4
	s_cselect_b32 s5, s7, s5
	s_add_i32 s6, s4, 1
	s_cmp_ge_u32 s5, s88
	s_cselect_b32 s4, s6, s4
	s_mul_hi_u32 s5, s71, s4
	s_mul_i32 s4, s71, s4
	s_lshl_b64 s[8:9], s[4:5], 2
	v_cmp_gt_u64_e32 vcc, s[8:9], v[14:15]
	v_mov_b32_e32 v10, 0
	v_mov_b32_e32 v11, 0
	s_and_saveexec_b64 s[10:11], vcc
	s_cbranch_execz .LBB219_64
; %bb.61:                               ;   in Loop: Header=BB219_12 Depth=1
	v_mov_b32_e32 v22, v15
	s_lshl_b32 s5, s71, 3
	s_mov_b64 s[12:13], 0
	v_mov_b32_e32 v40, v31
	s_mov_b64 s[76:77], 0
	s_mov_b64 s[94:95], 0
	;; [unrolled: 1-line block ×4, first 2 shown]
	v_mov_b32_e32 v21, v14
.LBB219_62:                             ;   Parent Loop BB219_12 Depth=1
                                        ; =>  This Inner Loop Header: Depth=2
	ds_read_b64 v[4:5], v40
	v_add_co_u32_e32 v21, vcc, s88, v21
	v_addc_co_u32_e32 v22, vcc, 0, v22, vcc
	s_waitcnt lgkmcnt(0)
	v_cmp_lt_i16_e64 s[6:7], -1, v4
	v_cndmask_b32_e64 v10, v33, v34, s[6:7]
	v_cmp_gt_i16_sdwa s[6:7], v4, v36 src0_sel:WORD_1 src1_sel:DWORD
	v_lshlrev_b32_e32 v6, 16, v4
	v_cndmask_b32_e64 v11, v33, v34, s[6:7]
	v_cmp_lt_i16_e64 s[6:7], -1, v5
	v_and_b32_e32 v7, 0xffff0000, v4
	v_cndmask_b32_e64 v41, v33, v34, s[6:7]
	v_cmp_gt_i16_sdwa s[6:7], v5, v36 src0_sel:WORD_1 src1_sel:DWORD
	v_xor_b32_sdwa v11, v11, v4 dst_sel:DWORD dst_unused:UNUSED_PAD src0_sel:DWORD src1_sel:WORD_1
	v_xor_b32_sdwa v4, v10, v4 dst_sel:DWORD dst_unused:UNUSED_PAD src0_sel:DWORD src1_sel:WORD_0
	v_cmp_o_f32_e64 s[22:23], v6, v6
	v_lshlrev_b32_e32 v8, 16, v5
	v_cndmask_b32_e64 v42, v33, v34, s[6:7]
	v_cmp_o_f32_e64 s[6:7], v7, v7
	v_cndmask_b32_e64 v4, v33, v4, s[22:23]
	v_and_b32_e32 v9, 0xffff0000, v5
	v_xor_b32_sdwa v7, v41, v5 dst_sel:DWORD dst_unused:UNUSED_PAD src0_sel:DWORD src1_sel:WORD_0
	v_cmp_o_f32_e64 s[18:19], v8, v8
	v_cndmask_b32_e64 v6, v33, v11, s[6:7]
	v_and_b32_e32 v8, v4, v38
	v_bfe_u32 v4, v4, s85, 2
	v_xor_b32_sdwa v5, v42, v5 dst_sel:DWORD dst_unused:UNUSED_PAD src0_sel:DWORD src1_sel:WORD_1
	v_cmp_o_f32_e64 s[20:21], v9, v9
	v_cndmask_b32_e64 v7, v33, v7, s[18:19]
	v_and_b32_e32 v9, v6, v38
	v_bfe_u32 v6, v6, s85, 2
	v_cmp_eq_u32_e64 s[24:25], v8, v30
	v_cmp_eq_u32_e64 s[6:7], 0, v4
	v_cndmask_b32_e64 v5, v33, v5, s[20:21]
	v_and_b32_e32 v10, v7, v38
	v_bfe_u32 v7, v7, s85, 2
	v_cmp_eq_u32_e64 s[22:23], v9, v30
	v_cmp_eq_u32_e64 s[40:41], 0, v6
	s_and_b64 s[6:7], s[24:25], s[6:7]
	v_and_b32_e32 v11, v5, v38
	v_bfe_u32 v5, v5, s85, 2
	v_cmp_eq_u32_e64 s[20:21], v10, v30
	v_cmp_eq_u32_e64 s[44:45], 0, v7
	v_cmp_eq_u32_e64 s[48:49], 1, v4
	v_cmp_eq_u32_e64 s[56:57], 2, v4
	v_cmp_eq_u32_e64 s[34:35], 3, v4
	v_cndmask_b32_e64 v4, 0, 1, s[6:7]
	s_and_b64 s[6:7], s[22:23], s[40:41]
	v_cmp_eq_u32_e64 s[18:19], v11, v30
	v_cmp_eq_u32_e64 s[46:47], 0, v5
	;; [unrolled: 1-line block ×5, first 2 shown]
	v_cndmask_b32_e64 v5, 0, 1, s[6:7]
	s_and_b64 s[6:7], s[20:21], s[44:45]
	v_cmp_eq_u32_e64 s[50:51], 1, v6
	v_cmp_eq_u32_e64 s[58:59], 2, v6
	v_cmp_eq_u32_e64 s[30:31], 3, v6
	v_cndmask_b32_e64 v6, 0, 1, s[6:7]
	s_and_b64 s[6:7], s[18:19], s[46:47]
	v_cmp_eq_u32_e64 s[52:53], 1, v7
	v_cmp_eq_u32_e64 s[38:39], 2, v7
	;; [unrolled: 1-line block ×3, first 2 shown]
	v_cndmask_b32_e64 v7, 0, 1, s[6:7]
	v_cmp_ne_u32_e64 s[6:7], 0, v4
	v_cmp_ne_u32_e64 s[40:41], 0, v5
	v_cmp_ne_u32_e64 s[44:45], 0, v6
	v_cmp_ne_u32_e64 s[46:47], 0, v7
	s_bcnt1_i32_b64 s6, s[6:7]
	s_bcnt1_i32_b64 s7, s[40:41]
	s_bcnt1_i32_b64 s40, s[44:45]
	s_bcnt1_i32_b64 s41, s[46:47]
	s_add_u32 s6, s6, s92
	s_addc_u32 s44, 0, s93
	s_add_u32 s6, s6, s7
	s_addc_u32 s7, s44, 0
	s_add_u32 s6, s6, s40
	s_addc_u32 s7, s7, 0
	s_add_u32 s92, s6, s41
	s_addc_u32 s93, s7, 0
	s_and_b64 s[6:7], s[24:25], s[48:49]
	v_cndmask_b32_e64 v6, 0, 1, s[6:7]
	s_and_b64 s[6:7], s[22:23], s[50:51]
	v_cndmask_b32_e64 v7, 0, 1, s[6:7]
	s_and_b64 s[6:7], s[20:21], s[52:53]
	v_cndmask_b32_e64 v8, 0, 1, s[6:7]
	s_and_b64 s[6:7], s[18:19], s[54:55]
	v_cndmask_b32_e64 v9, 0, 1, s[6:7]
	v_cmp_ne_u32_e64 s[6:7], 0, v6
	v_cmp_ne_u32_e64 s[40:41], 0, v7
	v_cmp_ne_u32_e64 s[44:45], 0, v8
	v_cmp_ne_u32_e64 s[46:47], 0, v9
	s_bcnt1_i32_b64 s6, s[6:7]
	s_bcnt1_i32_b64 s7, s[40:41]
	s_bcnt1_i32_b64 s40, s[44:45]
	s_bcnt1_i32_b64 s41, s[46:47]
	s_add_u32 s6, s6, s90
	s_addc_u32 s44, 0, s91
	s_add_u32 s6, s6, s7
	s_addc_u32 s7, s44, 0
	s_add_u32 s6, s6, s40
	s_addc_u32 s7, s7, 0
	s_add_u32 s90, s6, s41
	s_addc_u32 s91, s7, 0
	s_and_b64 s[6:7], s[24:25], s[56:57]
	v_cndmask_b32_e64 v8, 0, 1, s[6:7]
	s_and_b64 s[6:7], s[22:23], s[58:59]
	v_cndmask_b32_e64 v9, 0, 1, s[6:7]
	s_and_b64 s[6:7], s[20:21], s[38:39]
	v_cndmask_b32_e64 v10, 0, 1, s[6:7]
	s_and_b64 s[6:7], s[18:19], s[36:37]
	v_cndmask_b32_e64 v11, 0, 1, s[6:7]
	v_cmp_ne_u32_e64 s[6:7], 0, v8
	v_cmp_ne_u32_e64 s[36:37], 0, v9
	v_cmp_ne_u32_e64 s[38:39], 0, v10
	v_cmp_ne_u32_e64 s[40:41], 0, v11
	s_bcnt1_i32_b64 s6, s[6:7]
	s_bcnt1_i32_b64 s7, s[36:37]
	s_bcnt1_i32_b64 s36, s[38:39]
	s_bcnt1_i32_b64 s37, s[40:41]
	s_add_u32 s6, s6, s94
	s_addc_u32 s38, 0, s95
	s_add_u32 s6, s6, s7
	s_addc_u32 s7, s38, 0
	s_add_u32 s6, s6, s36
	s_addc_u32 s7, s7, 0
	s_add_u32 s94, s6, s37
	s_addc_u32 s95, s7, 0
	s_and_b64 s[6:7], s[24:25], s[34:35]
	v_cndmask_b32_e64 v10, 0, 1, s[6:7]
	s_and_b64 s[6:7], s[22:23], s[30:31]
	v_cndmask_b32_e64 v11, 0, 1, s[6:7]
	s_and_b64 s[6:7], s[20:21], s[28:29]
	v_cndmask_b32_e64 v41, 0, 1, s[6:7]
	s_and_b64 s[6:7], s[18:19], s[26:27]
	v_cndmask_b32_e64 v42, 0, 1, s[6:7]
	v_cmp_ne_u32_e64 s[6:7], 0, v10
	v_cmp_ne_u32_e64 s[18:19], 0, v11
	;; [unrolled: 1-line block ×4, first 2 shown]
	s_bcnt1_i32_b64 s6, s[6:7]
	s_bcnt1_i32_b64 s7, s[18:19]
	;; [unrolled: 1-line block ×4, first 2 shown]
	s_add_u32 s6, s6, s76
	s_addc_u32 s20, 0, s77
	s_add_u32 s6, s6, s7
	s_addc_u32 s7, s20, 0
	;; [unrolled: 2-line block ×3, first 2 shown]
	v_cmp_le_u64_e32 vcc, s[8:9], v[21:22]
	s_add_u32 s76, s6, s19
	v_mov_b32_e32 v4, s92
	v_mov_b32_e32 v6, s90
	;; [unrolled: 1-line block ×3, first 2 shown]
	s_addc_u32 s77, s7, 0
	v_mov_b32_e32 v10, s76
	v_add_u32_e32 v40, s5, v40
	v_mov_b32_e32 v5, s93
	v_mov_b32_e32 v7, s91
	;; [unrolled: 1-line block ×3, first 2 shown]
	s_or_b64 s[12:13], vcc, s[12:13]
	v_mov_b32_e32 v11, s77
	s_andn2_b64 exec, exec, s[12:13]
	s_cbranch_execnz .LBB219_62
; %bb.63:                               ;   in Loop: Header=BB219_12 Depth=1
	s_or_b64 exec, exec, s[12:13]
.LBB219_64:                             ;   in Loop: Header=BB219_12 Depth=1
	s_or_b64 exec, exec, s[10:11]
	v_mov_b32_e32 v22, s9
	v_add_co_u32_e32 v21, vcc, s8, v0
	s_and_b32 s88, s70, 0x7fffffff
	v_addc_co_u32_e32 v22, vcc, 0, v22, vcc
	v_cmp_gt_u64_e32 vcc, s[88:89], v[21:22]
	s_and_saveexec_b64 s[8:9], vcc
	s_cbranch_execz .LBB219_68
; %bb.65:                               ;   in Loop: Header=BB219_12 Depth=1
	v_lshl_add_u32 v40, s4, 3, v27
	s_lshl_b32 s10, s71, 1
	s_mov_b64 s[4:5], 0
.LBB219_66:                             ;   Parent Loop BB219_12 Depth=1
                                        ; =>  This Inner Loop Header: Depth=2
	ds_read_u16 v41, v40
	v_add_co_u32_sdwa v21, vcc, v21, v2 dst_sel:DWORD dst_unused:UNUSED_PAD src0_sel:DWORD src1_sel:WORD_0
	v_addc_co_u32_e32 v22, vcc, 0, v22, vcc
	s_waitcnt lgkmcnt(0)
	v_cmp_lt_i16_e64 s[6:7], -1, v41
	v_lshlrev_b32_e32 v42, 16, v41
	v_cndmask_b32_e64 v43, v33, v34, s[6:7]
	v_xor_b32_sdwa v41, v43, v41 dst_sel:DWORD dst_unused:UNUSED_PAD src0_sel:DWORD src1_sel:WORD_0
	v_cmp_o_f32_e64 s[6:7], v42, v42
	v_cndmask_b32_e64 v41, v33, v41, s[6:7]
	v_and_b32_e32 v42, v41, v38
	v_bfe_u32 v41, v41, s85, 2
	v_cmp_eq_u32_e64 s[6:7], v42, v30
	v_cmp_eq_u32_e64 s[18:19], 0, v41
	;; [unrolled: 1-line block ×3, first 2 shown]
	s_and_b64 s[12:13], s[6:7], s[18:19]
	v_cmp_eq_u32_e64 s[22:23], 2, v41
	v_cmp_eq_u32_e64 s[24:25], 3, v41
	v_cndmask_b32_e64 v41, 0, 1, s[12:13]
	s_and_b64 s[12:13], s[6:7], s[20:21]
	v_cndmask_b32_e64 v42, 0, 1, s[12:13]
	s_and_b64 s[12:13], s[6:7], s[22:23]
	s_and_b64 s[6:7], s[6:7], s[24:25]
	v_cndmask_b32_e64 v43, 0, 1, s[12:13]
	v_cndmask_b32_e64 v44, 0, 1, s[6:7]
	v_cmp_le_u64_e32 vcc, s[88:89], v[21:22]
	v_cmp_ne_u32_e64 s[6:7], 0, v41
	v_cmp_ne_u32_e64 s[18:19], 0, v42
	;; [unrolled: 1-line block ×4, first 2 shown]
	s_bcnt1_i32_b64 s6, s[6:7]
	s_bcnt1_i32_b64 s7, s[18:19]
	;; [unrolled: 1-line block ×4, first 2 shown]
	s_or_b64 s[4:5], vcc, s[4:5]
	v_add_co_u32_e32 v4, vcc, s6, v4
	v_addc_co_u32_e32 v5, vcc, 0, v5, vcc
	v_add_co_u32_e32 v6, vcc, s7, v6
	v_addc_co_u32_e32 v7, vcc, 0, v7, vcc
	;; [unrolled: 2-line block ×3, first 2 shown]
	v_add_co_u32_e32 v10, vcc, s12, v10
	v_add_u32_e32 v40, s10, v40
	v_addc_co_u32_e32 v11, vcc, 0, v11, vcc
	s_andn2_b64 exec, exec, s[4:5]
	s_cbranch_execnz .LBB219_66
; %bb.67:                               ;   in Loop: Header=BB219_12 Depth=1
	s_or_b64 exec, exec, s[4:5]
.LBB219_68:                             ;   in Loop: Header=BB219_12 Depth=1
	s_or_b64 exec, exec, s[8:9]
.LBB219_69:                             ;   in Loop: Header=BB219_12 Depth=1
	v_readlane_b32 s4, v47, 57
	s_lshl_b32 s6, s4, 6
	s_and_saveexec_b64 s[4:5], s[0:1]
	s_cbranch_execz .LBB219_71
; %bb.70:                               ;   in Loop: Header=BB219_12 Depth=1
	v_lshl_add_u32 v2, s6, 3, v29
	ds_write_b128 v2, v[4:7]
	ds_write_b128 v2, v[8:11] offset:16
.LBB219_71:                             ;   in Loop: Header=BB219_12 Depth=1
	s_or_b64 exec, exec, s[4:5]
	s_waitcnt lgkmcnt(0)
	s_barrier
	s_mov_b64 s[4:5], exec
	v_readlane_b32 s8, v47, 24
	v_readlane_b32 s9, v47, 25
	s_and_b64 s[8:9], s[4:5], s[8:9]
	s_mov_b64 exec, s[8:9]
	s_cbranch_execz .LBB219_83
; %bb.72:                               ;   in Loop: Header=BB219_12 Depth=1
	v_readlane_b32 s8, v47, 32
	v_mov_b32_e32 v4, 0
	v_readlane_b32 s9, v47, 33
	v_mov_b32_e32 v5, 0
	s_andn2_b64 vcc, exec, s[8:9]
	s_cbranch_vccnz .LBB219_82
; %bb.73:                               ;   in Loop: Header=BB219_12 Depth=1
	v_readlane_b32 s8, v47, 45
	v_readlane_b32 s9, v47, 46
	s_andn2_b64 vcc, exec, s[8:9]
	s_cbranch_vccnz .LBB219_78
; %bb.74:                               ;   in Loop: Header=BB219_12 Depth=1
	v_readlane_b32 s7, v47, 57
	v_mov_b32_e32 v4, 0
	v_lshl_add_u32 v2, s7, 9, v32
	v_mov_b32_e32 v5, 0
	s_mov_b32 s7, 0
.LBB219_75:                             ;   Parent Loop BB219_12 Depth=1
                                        ; =>  This Inner Loop Header: Depth=2
	ds_read2_b64 v[6:9], v2 offset1:4
	s_add_i32 s7, s7, 8
	s_cmp_eq_u32 s84, s7
	s_waitcnt lgkmcnt(0)
	v_add_co_u32_e32 v4, vcc, v6, v4
	v_addc_co_u32_e32 v5, vcc, v7, v5, vcc
	v_add_co_u32_e32 v8, vcc, v8, v4
	v_addc_co_u32_e32 v9, vcc, v9, v5, vcc
	ds_read2_b64 v[4:7], v2 offset0:8 offset1:12
	s_waitcnt lgkmcnt(0)
	v_add_co_u32_e32 v4, vcc, v4, v8
	v_addc_co_u32_e32 v5, vcc, v5, v9, vcc
	v_add_co_u32_e32 v8, vcc, v6, v4
	v_addc_co_u32_e32 v9, vcc, v7, v5, vcc
	ds_read2_b64 v[4:7], v2 offset0:16 offset1:20
	s_waitcnt lgkmcnt(0)
	v_add_co_u32_e32 v4, vcc, v4, v8
	v_addc_co_u32_e32 v5, vcc, v5, v9, vcc
	v_add_co_u32_e32 v8, vcc, v6, v4
	v_addc_co_u32_e32 v9, vcc, v7, v5, vcc
	ds_read2_b64 v[4:7], v2 offset0:24 offset1:28
	v_add_u32_e32 v2, 0x100, v2
	s_waitcnt lgkmcnt(0)
	v_add_co_u32_e32 v4, vcc, v4, v8
	v_addc_co_u32_e32 v5, vcc, v5, v9, vcc
	v_add_co_u32_e32 v4, vcc, v6, v4
	v_addc_co_u32_e32 v5, vcc, v7, v5, vcc
	s_cbranch_scc0 .LBB219_75
; %bb.76:                               ;   in Loop: Header=BB219_12 Depth=1
	s_mov_b32 s7, s84
	s_branch .LBB219_79
.LBB219_77:                             ;   in Loop: Header=BB219_12 Depth=1
                                        ; implicit-def: $sgpr4_sgpr5
	s_branch .LBB219_47
.LBB219_78:                             ;   in Loop: Header=BB219_12 Depth=1
	v_mov_b32_e32 v4, 0
	v_mov_b32_e32 v5, 0
	s_mov_b32 s7, 0
.LBB219_79:                             ;   in Loop: Header=BB219_12 Depth=1
	v_readlane_b32 s8, v47, 48
	v_readlane_b32 s9, v47, 49
	s_andn2_b64 vcc, exec, s[8:9]
	s_cbranch_vccnz .LBB219_82
; %bb.80:                               ;   in Loop: Header=BB219_12 Depth=1
	v_readlane_b32 s8, v47, 57
	s_lshl_b32 s8, s8, 9
	s_lshl_b32 s7, s7, 5
	s_add_i32 s8, s8, s7
	v_add_u32_e32 v2, s8, v32
	v_readlane_b32 s7, v47, 47
.LBB219_81:                             ;   Parent Loop BB219_12 Depth=1
                                        ; =>  This Inner Loop Header: Depth=2
	ds_read_b64 v[6:7], v2
	s_add_i32 s7, s7, -1
	v_add_u32_e32 v2, 32, v2
	s_cmp_lg_u32 s7, 0
	s_waitcnt lgkmcnt(0)
	v_add_co_u32_e32 v4, vcc, v6, v4
	v_addc_co_u32_e32 v5, vcc, v7, v5, vcc
	s_cbranch_scc1 .LBB219_81
.LBB219_82:                             ;   in Loop: Header=BB219_12 Depth=1
	v_add_lshl_u32 v2, s6, v26, 3
	ds_write_b64 v2, v[4:5] offset:3072
.LBB219_83:                             ;   in Loop: Header=BB219_12 Depth=1
	s_or_b64 exec, exec, s[4:5]
	s_lshl_b32 s4, s6, 3
	v_mov_b32_e32 v2, s4
	s_waitcnt lgkmcnt(0)
	s_barrier
	ds_read_b128 v[4:7], v2 offset:3072
	ds_read_b128 v[8:11], v2 offset:3088
	v_readlane_b32 s4, v47, 22
	s_lshl_b32 s92, 3, s85
	v_cmp_eq_u64_e64 s[18:19], 1, v[19:20]
	v_readlane_b32 s5, v47, 23
	s_waitcnt lgkmcnt(1)
	v_readfirstlane_b32 s21, v5
	v_readfirstlane_b32 s20, v4
	;; [unrolled: 1-line block ×4, first 2 shown]
	s_waitcnt lgkmcnt(0)
	v_readfirstlane_b32 s27, v9
	v_readfirstlane_b32 s26, v8
	;; [unrolled: 1-line block ×4, first 2 shown]
	s_not_b32 s93, s92
	s_mov_b64 s[40:41], -1
	s_mov_b64 s[22:23], 0
	s_andn2_b64 vcc, exec, s[4:5]
	s_mov_b64 s[34:35], 0
	s_mov_b64 s[30:31], 0
                                        ; implicit-def: $sgpr36_sgpr37
                                        ; implicit-def: $sgpr38_sgpr39
                                        ; implicit-def: $vgpr4_vgpr5
                                        ; implicit-def: $vgpr2
                                        ; implicit-def: $vgpr9
                                        ; implicit-def: $vgpr8
                                        ; implicit-def: $vgpr10
	s_cbranch_vccnz .LBB219_279
; %bb.84:                               ;   in Loop: Header=BB219_12 Depth=1
	s_cmp_eq_u64 s[20:21], 1
	s_cselect_b64 s[4:5], -1, 0
	s_and_b64 s[6:7], s[4:5], s[18:19]
	s_mov_b64 s[4:5], -1
	v_mov_b32_e32 v9, v30
	v_mov_b32_e32 v8, v38
	;; [unrolled: 1-line block ×3, first 2 shown]
                                        ; implicit-def: $sgpr38_sgpr39
                                        ; implicit-def: $sgpr36_sgpr37
	s_and_saveexec_b64 s[30:31], s[6:7]
	s_cbranch_execz .LBB219_119
; %bb.85:                               ;   in Loop: Header=BB219_12 Depth=1
	ds_read_b64 v[4:5], v3 offset:5120
	s_waitcnt lgkmcnt(0)
	s_barrier
	v_readfirstlane_b32 s8, v4
	v_readfirstlane_b32 s9, v5
	s_mov_b64 s[4:5], exec
	v_readlane_b32 s10, v47, 30
	v_readlane_b32 s11, v47, 31
	s_and_b64 s[10:11], s[4:5], s[10:11]
	s_mov_b64 exec, s[10:11]
; %bb.86:                               ;   in Loop: Header=BB219_12 Depth=1
	ds_write_b16 v28, v3
; %bb.87:                               ;   in Loop: Header=BB219_12 Depth=1
	s_or_b64 exec, exec, s[4:5]
	v_and_b32_e32 v9, s93, v30
	v_or_b32_e32 v8, s92, v38
	s_mov_b64 s[36:37], -1
	s_mov_b64 s[38:39], 0
	s_cmp_eq_u64 s[8:9], 0
	s_mov_b64 s[4:5], 0
	s_mov_b64 s[10:11], -1
	s_waitcnt lgkmcnt(0)
	s_barrier
                                        ; implicit-def: $vgpr10
	s_cbranch_scc1 .LBB219_104
; %bb.88:                               ;   in Loop: Header=BB219_12 Depth=1
	v_readlane_b32 s4, v47, 34
	s_add_u32 s34, s8, s4
	v_readlane_b32 s4, v47, 36
	s_addc_u32 s5, s9, s4
	s_mov_b32 s4, s89
	s_cmp_lg_u64 s[4:5], 0
	s_cbranch_scc0 .LBB219_145
; %bb.89:                               ;   in Loop: Header=BB219_12 Depth=1
	v_cvt_f32_u32_e32 v2, s87
	s_sub_u32 s4, 0, s87
	s_subb_u32 s12, 0, 0
	v_mac_f32_e32 v2, 0, v35
	v_rcp_f32_e32 v2, v2
	v_mul_f32_e32 v2, 0x5f7ffffc, v2
	v_mul_f32_e32 v4, 0x2f800000, v2
	v_trunc_f32_e32 v4, v4
	v_mac_f32_e32 v2, 0xcf800000, v4
	v_cvt_u32_f32_e32 v4, v4
	v_cvt_u32_f32_e32 v2, v2
	v_readfirstlane_b32 s13, v4
	v_readfirstlane_b32 s10, v2
	s_mul_i32 s11, s4, s13
	s_mul_hi_u32 s40, s4, s10
	s_mul_i32 s35, s12, s10
	s_add_i32 s11, s40, s11
	s_mul_i32 s41, s4, s10
	s_add_i32 s11, s11, s35
	s_mul_hi_u32 s40, s10, s41
	s_mul_i32 s44, s10, s11
	s_mul_hi_u32 s35, s10, s11
	s_add_u32 s40, s40, s44
	s_addc_u32 s35, 0, s35
	s_mul_hi_u32 s45, s13, s41
	s_mul_i32 s41, s13, s41
	s_add_u32 s40, s40, s41
	s_mul_hi_u32 s44, s13, s11
	s_addc_u32 s35, s35, s45
	s_addc_u32 s40, s44, 0
	s_mul_i32 s11, s13, s11
	s_add_u32 s11, s35, s11
	s_addc_u32 s35, 0, s40
	s_add_u32 s40, s10, s11
	s_cselect_b64 s[10:11], -1, 0
	s_cmp_lg_u64 s[10:11], 0
	s_addc_u32 s13, s13, s35
	s_mul_i32 s10, s4, s13
	s_mul_hi_u32 s11, s4, s40
	s_add_i32 s10, s11, s10
	s_mul_i32 s12, s12, s40
	s_add_i32 s10, s10, s12
	s_mul_i32 s4, s4, s40
	s_mul_hi_u32 s12, s13, s4
	s_mul_i32 s35, s13, s4
	s_mul_i32 s44, s40, s10
	s_mul_hi_u32 s4, s40, s4
	s_mul_hi_u32 s41, s40, s10
	s_add_u32 s4, s4, s44
	s_addc_u32 s41, 0, s41
	s_add_u32 s4, s4, s35
	s_mul_hi_u32 s11, s13, s10
	s_addc_u32 s4, s41, s12
	s_addc_u32 s11, s11, 0
	s_mul_i32 s10, s13, s10
	s_add_u32 s4, s4, s10
	s_addc_u32 s12, 0, s11
	s_add_u32 s4, s40, s4
	s_cselect_b64 s[10:11], -1, 0
	s_cmp_lg_u64 s[10:11], 0
	s_addc_u32 s10, s13, s12
	s_mul_i32 s12, s34, s10
	s_mul_hi_u32 s13, s34, s4
	s_mul_hi_u32 s11, s34, s10
	s_add_u32 s12, s13, s12
	s_addc_u32 s11, 0, s11
	s_mul_hi_u32 s35, s5, s4
	s_mul_i32 s4, s5, s4
	s_add_u32 s4, s12, s4
	s_mul_hi_u32 s13, s5, s10
	s_addc_u32 s4, s11, s35
	s_addc_u32 s11, s13, 0
	s_mul_i32 s10, s5, s10
	s_add_u32 s4, s4, s10
	s_addc_u32 s10, 0, s11
	s_mul_i32 s10, s87, s10
	s_mul_hi_u32 s11, s87, s4
	s_add_i32 s12, s11, s10
	s_mul_i32 s4, s87, s4
	s_sub_u32 s4, s34, s4
	s_cselect_b64 s[10:11], -1, 0
	s_cmp_lg_u64 s[10:11], 0
	s_subb_u32 s12, s5, s12
	s_sub_u32 s13, s4, s87
	s_cselect_b64 s[10:11], -1, 0
	s_cmp_lg_u64 s[10:11], 0
	s_subb_u32 s35, s12, 0
	;; [unrolled: 4-line block ×3, first 2 shown]
	s_cmp_ge_u32 s13, s87
	s_cselect_b32 s11, -1, 0
	s_cmp_eq_u32 s35, 0
	s_cselect_b32 s11, s11, -1
	s_cmp_lg_u32 s11, 0
	s_cselect_b32 s10, s10, s35
	s_cselect_b32 s13, s40, s13
	s_cmp_ge_u32 s4, s87
	s_cselect_b32 s11, -1, 0
	s_cmp_eq_u32 s12, 0
	s_cselect_b32 s11, s11, -1
	s_cmp_lg_u32 s11, 0
	s_cselect_b32 s11, s10, s12
	s_cselect_b32 s10, s13, s4
	s_cbranch_execnz .LBB219_91
.LBB219_90:                             ;   in Loop: Header=BB219_12 Depth=1
	v_cvt_f32_u32_e32 v2, s87
	s_sub_i32 s4, 0, s87
	v_rcp_iflag_f32_e32 v2, v2
	v_mul_f32_e32 v2, 0x4f7ffffe, v2
	v_cvt_u32_f32_e32 v2, v2
	v_readfirstlane_b32 s10, v2
	s_mul_i32 s4, s4, s10
	s_mul_hi_u32 s4, s10, s4
	s_add_i32 s10, s10, s4
	s_mul_hi_u32 s4, s34, s10
	s_mul_i32 s4, s4, s87
	s_sub_i32 s4, s34, s4
	s_sub_i32 s10, s4, s87
	s_cmp_ge_u32 s4, s87
	s_cselect_b32 s4, s10, s4
	s_sub_i32 s10, s4, s87
	s_cmp_ge_u32 s4, s87
	s_cselect_b32 s88, s10, s4
	s_mov_b64 s[10:11], s[88:89]
.LBB219_91:                             ;   in Loop: Header=BB219_12 Depth=1
	s_sub_u32 s34, s34, s10
	s_subb_u32 s35, s5, s11
	v_cmp_gt_u64_e32 vcc, s[34:35], v[0:1]
	s_mov_b64 s[10:11], 0
	s_mov_b64 s[4:5], 0
                                        ; implicit-def: $vgpr10
	s_and_saveexec_b64 s[12:13], vcc
	s_cbranch_execz .LBB219_103
; %bb.92:                               ;   in Loop: Header=BB219_12 Depth=1
	v_mov_b32_e32 v5, v1
	v_mov_b32_e32 v2, v27
	;; [unrolled: 1-line block ×3, first 2 shown]
                                        ; implicit-def: $sgpr40_sgpr41
	s_branch .LBB219_95
.LBB219_93:                             ;   in Loop: Header=BB219_95 Depth=2
	s_or_b64 exec, exec, s[44:45]
	s_waitcnt lgkmcnt(0)
	s_barrier
	ds_read_b32 v6, v3 offset:3072
	s_mov_b64 s[44:45], -1
	s_mov_b64 s[46:47], -1
	s_waitcnt lgkmcnt(0)
	s_barrier
	v_and_b32_e32 v7, 0x7fff, v6
	v_cmp_ne_u32_e32 vcc, 0, v7
	s_cbranch_vccz .LBB219_98
.LBB219_94:                             ;   in Loop: Header=BB219_95 Depth=2
	s_and_b64 s[44:45], exec, s[44:45]
	s_or_b64 s[4:5], s[44:45], s[4:5]
	s_andn2_b64 s[40:41], s[40:41], exec
	s_and_b64 s[44:45], s[46:47], exec
	s_or_b64 s[40:41], s[40:41], s[44:45]
	s_andn2_b64 exec, exec, s[4:5]
	s_cbranch_execz .LBB219_102
.LBB219_95:                             ;   Parent Loop BB219_12 Depth=1
                                        ; =>  This Inner Loop Header: Depth=2
	v_cmp_gt_u64_e32 vcc, s[8:9], v[4:5]
	s_and_saveexec_b64 s[44:45], vcc
	s_cbranch_execz .LBB219_93
; %bb.96:                               ;   in Loop: Header=BB219_95 Depth=2
	ds_read_u16 v6, v2
	s_waitcnt lgkmcnt(0)
	v_cmp_lt_i16_e32 vcc, -1, v6
	v_cndmask_b32_e32 v7, v33, v34, vcc
	v_lshlrev_b32_e32 v10, 16, v6
	v_cmp_o_f32_e32 vcc, v10, v10
	v_xor_b32_sdwa v7, v7, v6 dst_sel:DWORD dst_unused:UNUSED_PAD src0_sel:DWORD src1_sel:WORD_0
	v_cndmask_b32_e32 v7, v33, v7, vcc
	v_and_b32_e32 v7, v7, v8
	v_cmp_eq_u32_e32 vcc, v7, v9
	s_and_b64 exec, exec, vcc
	s_cbranch_execz .LBB219_93
; %bb.97:                               ;   in Loop: Header=BB219_95 Depth=2
	s_movk_i32 s46, 0x3f80
	v_perm_b32 v6, v6, s46, v37
	ds_write_b32 v3, v6 offset:3072
	s_branch .LBB219_93
.LBB219_98:                             ;   in Loop: Header=BB219_95 Depth=2
	v_add_co_u32_e32 v4, vcc, s87, v4
	v_addc_co_u32_e32 v5, vcc, 0, v5, vcc
	v_cmp_le_u64_e32 vcc, s[34:35], v[4:5]
	v_readlane_b32 s44, v47, 50
	v_add_u32_e32 v2, s44, v2
	s_mov_b64 s[46:47], 0
	s_orn2_b64 s[44:45], vcc, exec
	s_branch .LBB219_94
.LBB219_99:                             ;   in Loop: Header=BB219_12 Depth=1
	s_or_b64 exec, exec, s[8:9]
	s_waitcnt lgkmcnt(0)
	s_barrier
	s_mov_b64 s[6:7], exec
	v_readlane_b32 s8, v47, 12
	v_readlane_b32 s9, v47, 13
	s_and_b64 s[8:9], s[6:7], s[8:9]
	s_mov_b64 exec, s[8:9]
	s_cbranch_execz .LBB219_101
; %bb.100:                              ;   in Loop: Header=BB219_12 Depth=1
	ds_read_b32 v4, v3 offset:5144
	s_waitcnt lgkmcnt(0)
	v_ashrrev_i32_e32 v5, 31, v4
	ds_write_b64 v3, v[4:5] offset:5120
.LBB219_101:                            ;   in Loop: Header=BB219_12 Depth=1
	s_or_b64 exec, exec, s[6:7]
	s_waitcnt lgkmcnt(0)
	s_barrier
	s_mov_b64 s[6:7], -1
	s_and_b64 vcc, exec, s[4:5]
	s_cbranch_vccnz .LBB219_27
	s_branch .LBB219_42
.LBB219_102:                            ;   in Loop: Header=BB219_12 Depth=1
	s_or_b64 exec, exec, s[4:5]
	v_lshrrev_b32_e32 v10, 16, v6
	s_and_b64 s[4:5], s[40:41], exec
.LBB219_103:                            ;   in Loop: Header=BB219_12 Depth=1
	s_or_b64 exec, exec, s[12:13]
.LBB219_104:                            ;   in Loop: Header=BB219_12 Depth=1
	s_and_b64 vcc, exec, s[10:11]
	s_cbranch_vccz .LBB219_118
; %bb.105:                              ;   in Loop: Header=BB219_12 Depth=1
	v_readlane_b32 s38, v47, 37
	v_readlane_b32 s39, v47, 38
	s_mov_b32 s38, s89
	s_cmp_lg_u64 s[38:39], 0
	v_writelane_b32 v47, s38, 37
	v_writelane_b32 v47, s39, 38
	s_cbranch_scc0 .LBB219_146
; %bb.106:                              ;   in Loop: Header=BB219_12 Depth=1
	v_cvt_f32_u32_e32 v2, s87
	s_sub_u32 s10, 0, s87
	s_subb_u32 s11, 0, 0
	v_mac_f32_e32 v2, 0, v35
	v_rcp_f32_e32 v2, v2
	v_mul_f32_e32 v2, 0x5f7ffffc, v2
	v_mul_f32_e32 v4, 0x2f800000, v2
	v_trunc_f32_e32 v4, v4
	v_mac_f32_e32 v2, 0xcf800000, v4
	v_cvt_u32_f32_e32 v4, v4
	v_cvt_u32_f32_e32 v2, v2
	v_readfirstlane_b32 s12, v4
	v_readfirstlane_b32 s8, v2
	s_mul_i32 s9, s10, s12
	s_mul_hi_u32 s34, s10, s8
	s_mul_i32 s13, s11, s8
	s_add_i32 s9, s34, s9
	s_mul_i32 s35, s10, s8
	s_add_i32 s9, s9, s13
	s_mul_hi_u32 s34, s8, s35
	s_mul_i32 s36, s8, s9
	s_mul_hi_u32 s13, s8, s9
	s_add_u32 s34, s34, s36
	s_addc_u32 s13, 0, s13
	s_mul_hi_u32 s37, s12, s35
	s_mul_i32 s35, s12, s35
	s_add_u32 s34, s34, s35
	s_mul_hi_u32 s36, s12, s9
	s_addc_u32 s13, s13, s37
	s_addc_u32 s34, s36, 0
	s_mul_i32 s9, s12, s9
	s_add_u32 s9, s13, s9
	s_addc_u32 s13, 0, s34
	s_add_u32 s34, s8, s9
	s_cselect_b64 s[8:9], -1, 0
	s_cmp_lg_u64 s[8:9], 0
	s_addc_u32 s12, s12, s13
	s_mul_i32 s8, s10, s12
	s_mul_hi_u32 s9, s10, s34
	s_add_i32 s8, s9, s8
	s_mul_i32 s11, s11, s34
	s_add_i32 s8, s8, s11
	s_mul_i32 s10, s10, s34
	s_mul_hi_u32 s11, s12, s10
	s_mul_i32 s13, s12, s10
	s_mul_i32 s36, s34, s8
	s_mul_hi_u32 s10, s34, s10
	s_mul_hi_u32 s35, s34, s8
	s_add_u32 s10, s10, s36
	s_addc_u32 s35, 0, s35
	s_add_u32 s10, s10, s13
	s_mul_hi_u32 s9, s12, s8
	s_addc_u32 s10, s35, s11
	s_addc_u32 s9, s9, 0
	s_mul_i32 s8, s12, s8
	s_add_u32 s8, s10, s8
	s_addc_u32 s10, 0, s9
	s_add_u32 s11, s34, s8
	s_cselect_b64 s[8:9], -1, 0
	s_cmp_lg_u64 s[8:9], 0
	s_addc_u32 s8, s12, s10
	v_readlane_b32 s34, v47, 35
	s_mul_i32 s10, s34, s8
	s_mul_hi_u32 s12, s34, s11
	s_mul_hi_u32 s9, s34, s8
	s_add_u32 s10, s12, s10
	s_addc_u32 s9, 0, s9
	s_mul_hi_u32 s13, s39, s11
	s_mul_i32 s11, s39, s11
	s_add_u32 s10, s10, s11
	s_mul_hi_u32 s12, s39, s8
	s_addc_u32 s9, s9, s13
	s_addc_u32 s10, s12, 0
	s_mul_i32 s8, s39, s8
	s_add_u32 s8, s9, s8
	s_addc_u32 s9, 0, s10
	s_mul_i32 s9, s87, s9
	s_mul_hi_u32 s10, s87, s8
	s_add_i32 s10, s10, s9
	s_mul_i32 s8, s87, s8
	s_sub_u32 s11, s34, s8
	s_cselect_b64 s[8:9], -1, 0
	s_cmp_lg_u64 s[8:9], 0
	s_subb_u32 s10, s39, s10
	s_sub_u32 s12, s11, s87
	s_cselect_b64 s[8:9], -1, 0
	s_cmp_lg_u64 s[8:9], 0
	s_subb_u32 s13, s10, 0
	s_sub_u32 s34, s12, s87
	s_cselect_b64 s[8:9], -1, 0
	s_cmp_lg_u64 s[8:9], 0
	s_subb_u32 s8, s13, 0
	s_cmp_ge_u32 s12, s87
	s_cselect_b32 s9, -1, 0
	s_cmp_eq_u32 s13, 0
	s_cselect_b32 s9, s9, -1
	s_cmp_lg_u32 s9, 0
	s_cselect_b32 s8, s8, s13
	s_cselect_b32 s12, s34, s12
	s_cmp_ge_u32 s11, s87
	s_cselect_b32 s9, -1, 0
	s_cmp_eq_u32 s10, 0
	s_cselect_b32 s9, s9, -1
	s_cmp_lg_u32 s9, 0
	s_cselect_b32 s9, s8, s10
	s_cselect_b32 s8, s12, s11
	s_cbranch_execnz .LBB219_108
.LBB219_107:                            ;   in Loop: Header=BB219_12 Depth=1
	v_cvt_f32_u32_e32 v2, s87
	s_sub_i32 s8, 0, s87
	v_readlane_b32 s10, v47, 35
	v_rcp_iflag_f32_e32 v2, v2
	v_mul_f32_e32 v2, 0x4f7ffffe, v2
	v_cvt_u32_f32_e32 v2, v2
	v_readfirstlane_b32 s9, v2
	s_mul_i32 s8, s8, s9
	s_mul_hi_u32 s8, s9, s8
	s_add_i32 s9, s9, s8
	s_mul_hi_u32 s8, s10, s9
	s_mul_i32 s8, s8, s87
	s_sub_i32 s8, s10, s8
	s_sub_i32 s9, s8, s87
	s_cmp_ge_u32 s8, s87
	s_cselect_b32 s8, s9, s8
	s_sub_i32 s9, s8, s87
	s_cmp_ge_u32 s8, s87
	s_cselect_b32 s88, s9, s8
	s_mov_b64 s[8:9], s[88:89]
.LBB219_108:                            ;   in Loop: Header=BB219_12 Depth=1
	v_readlane_b32 s10, v47, 35
	v_readlane_b32 s12, v47, 37
	s_sub_u32 s10, s10, s8
	v_readlane_b32 s13, v47, 38
	s_subb_u32 s11, s13, s9
	v_cmp_gt_u64_e32 vcc, s[10:11], v[0:1]
                                        ; implicit-def: $vgpr10
	s_and_saveexec_b64 s[8:9], vcc
	s_cbranch_execz .LBB219_117
; %bb.109:                              ;   in Loop: Header=BB219_12 Depth=1
	v_mov_b32_e32 v5, v1
	s_mov_b64 s[12:13], 0
	v_mov_b32_e32 v4, v0
                                        ; implicit-def: $sgpr34_sgpr35
	s_branch .LBB219_112
.LBB219_110:                            ;   in Loop: Header=BB219_112 Depth=2
	s_or_b64 exec, exec, s[36:37]
	s_waitcnt lgkmcnt(0)
	s_barrier
	ds_read_b32 v2, v3 offset:3072
	s_mov_b64 s[36:37], -1
	s_mov_b64 s[38:39], -1
	s_waitcnt lgkmcnt(0)
	s_barrier
	v_and_b32_e32 v6, 0x7fff, v2
	v_cmp_ne_u32_e32 vcc, 0, v6
	s_cbranch_vccz .LBB219_115
.LBB219_111:                            ;   in Loop: Header=BB219_112 Depth=2
	s_and_b64 s[36:37], exec, s[36:37]
	s_or_b64 s[12:13], s[36:37], s[12:13]
	s_andn2_b64 s[34:35], s[34:35], exec
	s_and_b64 s[36:37], s[38:39], exec
	s_or_b64 s[34:35], s[34:35], s[36:37]
	s_andn2_b64 exec, exec, s[12:13]
	s_cbranch_execz .LBB219_116
.LBB219_112:                            ;   Parent Loop BB219_12 Depth=1
                                        ; =>  This Inner Loop Header: Depth=2
	v_cmp_gt_u64_e32 vcc, s[64:65], v[4:5]
	s_and_saveexec_b64 s[36:37], vcc
	s_cbranch_execz .LBB219_110
; %bb.113:                              ;   in Loop: Header=BB219_112 Depth=2
	v_mul_lo_u32 v2, v5, s62
	v_mul_lo_u32 v10, v4, s63
	v_mad_u64_u32 v[6:7], s[38:39], v4, s62, 0
	v_add3_u32 v7, v7, v10, v2
	v_lshlrev_b64 v[6:7], 1, v[6:7]
	v_mov_b32_e32 v2, s86
	v_add_co_u32_e32 v6, vcc, s33, v6
	v_addc_co_u32_e32 v7, vcc, v2, v7, vcc
	global_load_ushort v2, v[6:7], off
	s_waitcnt vmcnt(0)
	v_cmp_lt_i16_e32 vcc, -1, v2
	v_cndmask_b32_e32 v6, v33, v34, vcc
	v_lshlrev_b32_e32 v7, 16, v2
	v_xor_b32_sdwa v6, v6, v2 dst_sel:DWORD dst_unused:UNUSED_PAD src0_sel:DWORD src1_sel:WORD_0
	v_cmp_o_f32_e32 vcc, v7, v7
	v_cndmask_b32_e32 v6, v33, v6, vcc
	v_and_b32_e32 v6, v6, v8
	v_cmp_eq_u32_e32 vcc, v6, v9
	s_and_b64 exec, exec, vcc
	s_cbranch_execz .LBB219_110
; %bb.114:                              ;   in Loop: Header=BB219_112 Depth=2
	s_movk_i32 s38, 0x3f80
	v_perm_b32 v2, v2, s38, v37
	ds_write_b32 v3, v2 offset:3072
	s_branch .LBB219_110
.LBB219_115:                            ;   in Loop: Header=BB219_112 Depth=2
	v_add_co_u32_e32 v4, vcc, s87, v4
	v_addc_co_u32_e32 v5, vcc, 0, v5, vcc
	v_cmp_le_u64_e32 vcc, s[10:11], v[4:5]
	s_mov_b64 s[38:39], 0
	s_orn2_b64 s[36:37], vcc, exec
	s_branch .LBB219_111
.LBB219_116:                            ;   in Loop: Header=BB219_12 Depth=1
	s_or_b64 exec, exec, s[12:13]
	s_andn2_b64 s[4:5], s[4:5], exec
	s_and_b64 s[10:11], s[34:35], exec
	v_lshrrev_b32_e32 v10, 16, v2
	s_or_b64 s[4:5], s[4:5], s[10:11]
.LBB219_117:                            ;   in Loop: Header=BB219_12 Depth=1
	s_or_b64 exec, exec, s[8:9]
	s_mov_b64 s[36:37], 0
	s_mov_b64 s[38:39], -1
.LBB219_118:                            ;   in Loop: Header=BB219_12 Depth=1
	s_orn2_b64 s[4:5], s[4:5], exec
.LBB219_119:                            ;   in Loop: Header=BB219_12 Depth=1
	s_or_b64 exec, exec, s[30:31]
	s_mov_b64 s[40:41], 0
	s_mov_b64 s[34:35], 0
	s_mov_b64 s[30:31], 0
                                        ; implicit-def: $vgpr4_vgpr5
                                        ; implicit-def: $vgpr2
	s_and_saveexec_b64 s[44:45], s[4:5]
	s_cbranch_execz .LBB219_278
; %bb.120:                              ;   in Loop: Header=BB219_12 Depth=1
	v_mov_b32_e32 v4, 1
	s_xor_b64 s[8:9], s[6:7], -1
	v_mov_b32_e32 v2, 1
	v_mov_b32_e32 v5, 0
	s_mov_b64 s[6:7], 0
	s_and_saveexec_b64 s[4:5], s[8:9]
	s_cbranch_execz .LBB219_129
; %bb.121:                              ;   in Loop: Header=BB219_12 Depth=1
	v_cmp_ge_u64_e32 vcc, s[20:21], v[19:20]
	s_and_saveexec_b64 s[6:7], vcc
	s_xor_b64 s[6:7], exec, s[6:7]
	s_cbranch_execz .LBB219_126
; %bb.122:                              ;   in Loop: Header=BB219_12 Depth=1
	ds_read_b64 v[4:5], v3 offset:5120
	v_and_b32_e32 v9, s93, v9
	v_or_b32_e32 v8, s92, v8
	s_waitcnt lgkmcnt(0)
	v_cmp_ne_u64_e32 vcc, 0, v[4:5]
	s_cbranch_vccnz .LBB219_126
; %bb.123:                              ;   in Loop: Header=BB219_12 Depth=1
	s_mov_b64 s[8:9], exec
	v_readlane_b32 s10, v47, 12
	v_readlane_b32 s11, v47, 13
	s_and_b64 s[10:11], s[8:9], s[10:11]
	s_mov_b64 exec, s[10:11]
; %bb.124:                              ;   in Loop: Header=BB219_12 Depth=1
	v_mov_b32_e32 v4, s20
	v_mov_b32_e32 v5, s21
	ds_write_b64 v3, v[4:5] offset:5128
; %bb.125:                              ;   in Loop: Header=BB219_12 Depth=1
	s_or_b64 exec, exec, s[8:9]
	s_waitcnt lgkmcnt(0)
	s_barrier
.LBB219_126:                            ;   in Loop: Header=BB219_12 Depth=1
	s_or_saveexec_b64 s[6:7], s[6:7]
	v_mov_b32_e32 v4, v19
	s_mov_b64 s[8:9], 0
	v_mov_b32_e32 v2, 8
	v_mov_b32_e32 v5, v20
	s_xor_b64 exec, exec, s[6:7]
; %bb.127:                              ;   in Loop: Header=BB219_12 Depth=1
	v_subrev_co_u32_e32 v4, vcc, s20, v19
	v_mov_b32_e32 v2, s21
	v_subb_co_u32_e32 v5, vcc, v20, v2, vcc
	v_mov_b32_e32 v2, 0
	s_mov_b64 s[8:9], exec
; %bb.128:                              ;   in Loop: Header=BB219_12 Depth=1
	s_or_b64 exec, exec, s[6:7]
	s_and_b64 s[6:7], s[8:9], exec
.LBB219_129:                            ;   in Loop: Header=BB219_12 Depth=1
	s_or_b64 exec, exec, s[4:5]
	s_mov_b64 s[4:5], -1
                                        ; implicit-def: $sgpr30_sgpr31
                                        ; implicit-def: $sgpr34_sgpr35
	s_and_saveexec_b64 s[8:9], s[6:7]
	s_xor_b64 s[6:7], exec, s[8:9]
	s_cbranch_execz .LBB219_275
; %bb.130:                              ;   in Loop: Header=BB219_12 Depth=1
	s_cmp_eq_u64 s[24:25], 1
	v_cmp_eq_u64_e32 vcc, 1, v[4:5]
	s_cselect_b64 s[4:5], -1, 0
	s_and_b64 s[48:49], s[4:5], vcc
	s_mov_b64 s[4:5], -1
                                        ; implicit-def: $sgpr34_sgpr35
                                        ; implicit-def: $sgpr30_sgpr31
	s_and_saveexec_b64 s[46:47], s[48:49]
	s_cbranch_execz .LBB219_164
; %bb.131:                              ;   in Loop: Header=BB219_12 Depth=1
	ds_read_b64 v[6:7], v3 offset:5120
	s_waitcnt lgkmcnt(0)
	s_barrier
	v_readfirstlane_b32 s8, v6
	v_readfirstlane_b32 s9, v7
	s_mov_b64 s[4:5], exec
	v_readlane_b32 s10, v47, 30
	v_readlane_b32 s11, v47, 31
	s_and_b64 s[10:11], s[4:5], s[10:11]
	s_mov_b64 exec, s[10:11]
; %bb.132:                              ;   in Loop: Header=BB219_12 Depth=1
	ds_write_b16 v28, v3
; %bb.133:                              ;   in Loop: Header=BB219_12 Depth=1
	s_or_b64 exec, exec, s[4:5]
	v_and_b32_e32 v6, s93, v9
	v_lshl_or_b32 v9, 1, s85, v6
	v_or_b32_e32 v8, s92, v8
	s_mov_b64 s[30:31], -1
	s_mov_b64 s[34:35], 0
	s_cmp_eq_u64 s[8:9], 0
	s_mov_b64 s[4:5], 0
	s_mov_b64 s[10:11], -1
	s_waitcnt lgkmcnt(0)
	s_barrier
                                        ; implicit-def: $vgpr10
	s_cbranch_scc1 .LBB219_149
; %bb.134:                              ;   in Loop: Header=BB219_12 Depth=1
	v_readlane_b32 s4, v47, 34
	s_add_u32 s50, s8, s4
	v_readlane_b32 s4, v47, 36
	s_addc_u32 s5, s9, s4
	s_mov_b32 s4, s89
	s_cmp_lg_u64 s[4:5], 0
	s_cbranch_scc0 .LBB219_190
; %bb.135:                              ;   in Loop: Header=BB219_12 Depth=1
	v_cvt_f32_u32_e32 v6, s87
	s_sub_u32 s4, 0, s87
	s_subb_u32 s12, 0, 0
	v_mac_f32_e32 v6, 0, v35
	v_rcp_f32_e32 v6, v6
	v_mul_f32_e32 v6, 0x5f7ffffc, v6
	v_mul_f32_e32 v7, 0x2f800000, v6
	v_trunc_f32_e32 v7, v7
	v_mac_f32_e32 v6, 0xcf800000, v7
	v_cvt_u32_f32_e32 v7, v7
	v_cvt_u32_f32_e32 v6, v6
	v_readfirstlane_b32 s13, v7
	v_readfirstlane_b32 s10, v6
	s_mul_i32 s11, s4, s13
	s_mul_hi_u32 s52, s4, s10
	s_mul_i32 s51, s12, s10
	s_add_i32 s11, s52, s11
	s_mul_i32 s53, s4, s10
	s_add_i32 s11, s11, s51
	s_mul_hi_u32 s52, s10, s53
	s_mul_i32 s54, s10, s11
	s_mul_hi_u32 s51, s10, s11
	s_add_u32 s52, s52, s54
	s_addc_u32 s51, 0, s51
	s_mul_hi_u32 s55, s13, s53
	s_mul_i32 s53, s13, s53
	s_add_u32 s52, s52, s53
	s_mul_hi_u32 s54, s13, s11
	s_addc_u32 s51, s51, s55
	s_addc_u32 s52, s54, 0
	s_mul_i32 s11, s13, s11
	s_add_u32 s11, s51, s11
	s_addc_u32 s51, 0, s52
	s_add_u32 s52, s10, s11
	s_cselect_b64 s[10:11], -1, 0
	s_cmp_lg_u64 s[10:11], 0
	s_addc_u32 s13, s13, s51
	s_mul_i32 s10, s4, s13
	s_mul_hi_u32 s11, s4, s52
	s_add_i32 s10, s11, s10
	s_mul_i32 s12, s12, s52
	s_add_i32 s10, s10, s12
	s_mul_i32 s4, s4, s52
	s_mul_hi_u32 s12, s13, s4
	s_mul_i32 s51, s13, s4
	s_mul_i32 s54, s52, s10
	s_mul_hi_u32 s4, s52, s4
	s_mul_hi_u32 s53, s52, s10
	s_add_u32 s4, s4, s54
	s_addc_u32 s53, 0, s53
	s_add_u32 s4, s4, s51
	s_mul_hi_u32 s11, s13, s10
	s_addc_u32 s4, s53, s12
	s_addc_u32 s11, s11, 0
	s_mul_i32 s10, s13, s10
	s_add_u32 s4, s4, s10
	s_addc_u32 s12, 0, s11
	s_add_u32 s4, s52, s4
	s_cselect_b64 s[10:11], -1, 0
	s_cmp_lg_u64 s[10:11], 0
	s_addc_u32 s10, s13, s12
	s_mul_i32 s12, s50, s10
	s_mul_hi_u32 s13, s50, s4
	s_mul_hi_u32 s11, s50, s10
	s_add_u32 s12, s13, s12
	s_addc_u32 s11, 0, s11
	s_mul_hi_u32 s51, s5, s4
	s_mul_i32 s4, s5, s4
	s_add_u32 s4, s12, s4
	s_mul_hi_u32 s13, s5, s10
	s_addc_u32 s4, s11, s51
	s_addc_u32 s11, s13, 0
	s_mul_i32 s10, s5, s10
	s_add_u32 s4, s4, s10
	s_addc_u32 s10, 0, s11
	s_mul_i32 s10, s87, s10
	s_mul_hi_u32 s11, s87, s4
	s_add_i32 s12, s11, s10
	s_mul_i32 s4, s87, s4
	s_sub_u32 s4, s50, s4
	s_cselect_b64 s[10:11], -1, 0
	s_cmp_lg_u64 s[10:11], 0
	s_subb_u32 s12, s5, s12
	s_sub_u32 s13, s4, s87
	s_cselect_b64 s[10:11], -1, 0
	s_cmp_lg_u64 s[10:11], 0
	s_subb_u32 s51, s12, 0
	;; [unrolled: 4-line block ×3, first 2 shown]
	s_cmp_ge_u32 s13, s87
	s_cselect_b32 s11, -1, 0
	s_cmp_eq_u32 s51, 0
	s_cselect_b32 s11, s11, -1
	s_cmp_lg_u32 s11, 0
	s_cselect_b32 s10, s10, s51
	s_cselect_b32 s13, s52, s13
	s_cmp_ge_u32 s4, s87
	s_cselect_b32 s11, -1, 0
	s_cmp_eq_u32 s12, 0
	s_cselect_b32 s11, s11, -1
	s_cmp_lg_u32 s11, 0
	s_cselect_b32 s11, s10, s12
	s_cselect_b32 s10, s13, s4
	s_cbranch_execnz .LBB219_137
.LBB219_136:                            ;   in Loop: Header=BB219_12 Depth=1
	v_cvt_f32_u32_e32 v6, s87
	s_sub_i32 s4, 0, s87
	v_rcp_iflag_f32_e32 v6, v6
	v_mul_f32_e32 v6, 0x4f7ffffe, v6
	v_cvt_u32_f32_e32 v6, v6
	v_readfirstlane_b32 s10, v6
	s_mul_i32 s4, s4, s10
	s_mul_hi_u32 s4, s10, s4
	s_add_i32 s10, s10, s4
	s_mul_hi_u32 s4, s50, s10
	s_mul_i32 s4, s4, s87
	s_sub_i32 s4, s50, s4
	s_sub_i32 s10, s4, s87
	s_cmp_ge_u32 s4, s87
	s_cselect_b32 s4, s10, s4
	s_sub_i32 s10, s4, s87
	s_cmp_ge_u32 s4, s87
	s_cselect_b32 s88, s10, s4
	s_mov_b64 s[10:11], s[88:89]
.LBB219_137:                            ;   in Loop: Header=BB219_12 Depth=1
	s_sub_u32 s50, s50, s10
	s_subb_u32 s51, s5, s11
	v_cmp_gt_u64_e32 vcc, s[50:51], v[0:1]
	s_mov_b64 s[10:11], 0
	s_mov_b64 s[4:5], 0
                                        ; implicit-def: $vgpr10
	s_and_saveexec_b64 s[12:13], vcc
	s_cbranch_execz .LBB219_148
; %bb.138:                              ;   in Loop: Header=BB219_12 Depth=1
	v_mov_b32_e32 v7, v1
	v_mov_b32_e32 v10, v27
	;; [unrolled: 1-line block ×3, first 2 shown]
                                        ; implicit-def: $sgpr52_sgpr53
	s_branch .LBB219_141
.LBB219_139:                            ;   in Loop: Header=BB219_141 Depth=2
	s_or_b64 exec, exec, s[54:55]
	s_waitcnt lgkmcnt(0)
	s_barrier
	ds_read_b32 v11, v3 offset:3072
	s_mov_b64 s[54:55], -1
	s_mov_b64 s[56:57], -1
	s_waitcnt lgkmcnt(0)
	s_barrier
	v_and_b32_e32 v21, 0x7fff, v11
	v_cmp_ne_u32_e32 vcc, 0, v21
	s_cbranch_vccz .LBB219_144
.LBB219_140:                            ;   in Loop: Header=BB219_141 Depth=2
	s_and_b64 s[54:55], exec, s[54:55]
	s_or_b64 s[4:5], s[54:55], s[4:5]
	s_andn2_b64 s[52:53], s[52:53], exec
	s_and_b64 s[54:55], s[56:57], exec
	s_or_b64 s[52:53], s[52:53], s[54:55]
	s_andn2_b64 exec, exec, s[4:5]
	s_cbranch_execz .LBB219_147
.LBB219_141:                            ;   Parent Loop BB219_12 Depth=1
                                        ; =>  This Inner Loop Header: Depth=2
	v_cmp_gt_u64_e32 vcc, s[8:9], v[6:7]
	s_and_saveexec_b64 s[54:55], vcc
	s_cbranch_execz .LBB219_139
; %bb.142:                              ;   in Loop: Header=BB219_141 Depth=2
	ds_read_u16 v11, v10
	s_waitcnt lgkmcnt(0)
	v_cmp_lt_i16_e32 vcc, -1, v11
	v_cndmask_b32_e32 v21, v33, v34, vcc
	v_lshlrev_b32_e32 v22, 16, v11
	v_cmp_o_f32_e32 vcc, v22, v22
	v_xor_b32_sdwa v21, v21, v11 dst_sel:DWORD dst_unused:UNUSED_PAD src0_sel:DWORD src1_sel:WORD_0
	v_cndmask_b32_e32 v21, v33, v21, vcc
	v_and_b32_e32 v21, v21, v8
	v_cmp_eq_u32_e32 vcc, v21, v9
	s_and_b64 exec, exec, vcc
	s_cbranch_execz .LBB219_139
; %bb.143:                              ;   in Loop: Header=BB219_141 Depth=2
	s_movk_i32 s56, 0x3f80
	v_perm_b32 v11, v11, s56, v37
	ds_write_b32 v3, v11 offset:3072
	s_branch .LBB219_139
.LBB219_144:                            ;   in Loop: Header=BB219_141 Depth=2
	v_add_co_u32_e32 v6, vcc, s87, v6
	v_addc_co_u32_e32 v7, vcc, 0, v7, vcc
	v_cmp_le_u64_e32 vcc, s[50:51], v[6:7]
	v_readlane_b32 s54, v47, 50
	v_add_u32_e32 v10, s54, v10
	s_mov_b64 s[56:57], 0
	s_orn2_b64 s[54:55], vcc, exec
	s_branch .LBB219_140
.LBB219_145:                            ;   in Loop: Header=BB219_12 Depth=1
                                        ; implicit-def: $sgpr10_sgpr11
	s_branch .LBB219_90
.LBB219_146:                            ;   in Loop: Header=BB219_12 Depth=1
                                        ; implicit-def: $sgpr8_sgpr9
	s_branch .LBB219_107
.LBB219_147:                            ;   in Loop: Header=BB219_12 Depth=1
	s_or_b64 exec, exec, s[4:5]
	v_lshrrev_b32_e32 v10, 16, v11
	s_and_b64 s[4:5], s[52:53], exec
.LBB219_148:                            ;   in Loop: Header=BB219_12 Depth=1
	s_or_b64 exec, exec, s[12:13]
.LBB219_149:                            ;   in Loop: Header=BB219_12 Depth=1
	s_and_b64 vcc, exec, s[10:11]
	s_cbranch_vccz .LBB219_163
; %bb.150:                              ;   in Loop: Header=BB219_12 Depth=1
	v_readlane_b32 s50, v47, 37
	v_readlane_b32 s51, v47, 38
	s_mov_b32 s50, s89
	s_cmp_lg_u64 s[50:51], 0
	v_writelane_b32 v47, s50, 37
	v_writelane_b32 v47, s51, 38
	s_cbranch_scc0 .LBB219_191
; %bb.151:                              ;   in Loop: Header=BB219_12 Depth=1
	v_cvt_f32_u32_e32 v6, s87
	s_sub_u32 s10, 0, s87
	s_subb_u32 s11, 0, 0
	v_mac_f32_e32 v6, 0, v35
	v_rcp_f32_e32 v6, v6
	v_mul_f32_e32 v6, 0x5f7ffffc, v6
	v_mul_f32_e32 v7, 0x2f800000, v6
	v_trunc_f32_e32 v7, v7
	v_mac_f32_e32 v6, 0xcf800000, v7
	v_cvt_u32_f32_e32 v7, v7
	v_cvt_u32_f32_e32 v6, v6
	v_readfirstlane_b32 s12, v7
	v_readfirstlane_b32 s8, v6
	s_mul_i32 s9, s10, s12
	s_mul_hi_u32 s30, s10, s8
	s_mul_i32 s13, s11, s8
	s_add_i32 s9, s30, s9
	s_mul_i32 s31, s10, s8
	s_add_i32 s9, s9, s13
	s_mul_hi_u32 s30, s8, s31
	s_mul_i32 s34, s8, s9
	s_mul_hi_u32 s13, s8, s9
	s_add_u32 s30, s30, s34
	s_addc_u32 s13, 0, s13
	s_mul_hi_u32 s35, s12, s31
	s_mul_i32 s31, s12, s31
	s_add_u32 s30, s30, s31
	s_mul_hi_u32 s34, s12, s9
	s_addc_u32 s13, s13, s35
	s_addc_u32 s30, s34, 0
	s_mul_i32 s9, s12, s9
	s_add_u32 s9, s13, s9
	s_addc_u32 s13, 0, s30
	s_add_u32 s30, s8, s9
	s_cselect_b64 s[8:9], -1, 0
	s_cmp_lg_u64 s[8:9], 0
	s_addc_u32 s12, s12, s13
	s_mul_i32 s8, s10, s12
	s_mul_hi_u32 s9, s10, s30
	s_add_i32 s8, s9, s8
	s_mul_i32 s11, s11, s30
	s_add_i32 s8, s8, s11
	s_mul_i32 s10, s10, s30
	s_mul_hi_u32 s11, s12, s10
	s_mul_i32 s13, s12, s10
	s_mul_i32 s34, s30, s8
	s_mul_hi_u32 s10, s30, s10
	s_mul_hi_u32 s31, s30, s8
	s_add_u32 s10, s10, s34
	s_addc_u32 s31, 0, s31
	s_add_u32 s10, s10, s13
	s_mul_hi_u32 s9, s12, s8
	s_addc_u32 s10, s31, s11
	s_addc_u32 s9, s9, 0
	s_mul_i32 s8, s12, s8
	s_add_u32 s8, s10, s8
	s_addc_u32 s10, 0, s9
	s_add_u32 s11, s30, s8
	s_cselect_b64 s[8:9], -1, 0
	s_cmp_lg_u64 s[8:9], 0
	s_addc_u32 s8, s12, s10
	v_readlane_b32 s30, v47, 35
	s_mul_i32 s10, s30, s8
	s_mul_hi_u32 s12, s30, s11
	s_mul_hi_u32 s9, s30, s8
	s_add_u32 s10, s12, s10
	s_addc_u32 s9, 0, s9
	s_mul_hi_u32 s13, s51, s11
	s_mul_i32 s11, s51, s11
	s_add_u32 s10, s10, s11
	s_mul_hi_u32 s12, s51, s8
	s_addc_u32 s9, s9, s13
	s_addc_u32 s10, s12, 0
	s_mul_i32 s8, s51, s8
	s_add_u32 s8, s9, s8
	s_addc_u32 s9, 0, s10
	s_mul_i32 s9, s87, s9
	s_mul_hi_u32 s10, s87, s8
	s_add_i32 s10, s10, s9
	s_mul_i32 s8, s87, s8
	s_sub_u32 s11, s30, s8
	s_cselect_b64 s[8:9], -1, 0
	s_cmp_lg_u64 s[8:9], 0
	s_subb_u32 s10, s51, s10
	s_sub_u32 s12, s11, s87
	s_cselect_b64 s[8:9], -1, 0
	s_cmp_lg_u64 s[8:9], 0
	s_subb_u32 s13, s10, 0
	s_sub_u32 s30, s12, s87
	s_cselect_b64 s[8:9], -1, 0
	s_cmp_lg_u64 s[8:9], 0
	s_subb_u32 s8, s13, 0
	s_cmp_ge_u32 s12, s87
	s_cselect_b32 s9, -1, 0
	s_cmp_eq_u32 s13, 0
	s_cselect_b32 s9, s9, -1
	s_cmp_lg_u32 s9, 0
	s_cselect_b32 s8, s8, s13
	s_cselect_b32 s12, s30, s12
	s_cmp_ge_u32 s11, s87
	s_cselect_b32 s9, -1, 0
	s_cmp_eq_u32 s10, 0
	s_cselect_b32 s9, s9, -1
	s_cmp_lg_u32 s9, 0
	s_cselect_b32 s9, s8, s10
	s_cselect_b32 s8, s12, s11
	s_cbranch_execnz .LBB219_153
.LBB219_152:                            ;   in Loop: Header=BB219_12 Depth=1
	v_cvt_f32_u32_e32 v6, s87
	s_sub_i32 s8, 0, s87
	v_readlane_b32 s10, v47, 35
	v_rcp_iflag_f32_e32 v6, v6
	v_mul_f32_e32 v6, 0x4f7ffffe, v6
	v_cvt_u32_f32_e32 v6, v6
	v_readfirstlane_b32 s9, v6
	s_mul_i32 s8, s8, s9
	s_mul_hi_u32 s8, s9, s8
	s_add_i32 s9, s9, s8
	s_mul_hi_u32 s8, s10, s9
	s_mul_i32 s8, s8, s87
	s_sub_i32 s8, s10, s8
	s_sub_i32 s9, s8, s87
	s_cmp_ge_u32 s8, s87
	s_cselect_b32 s8, s9, s8
	s_sub_i32 s9, s8, s87
	s_cmp_ge_u32 s8, s87
	s_cselect_b32 s88, s9, s8
	s_mov_b64 s[8:9], s[88:89]
.LBB219_153:                            ;   in Loop: Header=BB219_12 Depth=1
	v_readlane_b32 s10, v47, 35
	v_readlane_b32 s12, v47, 37
	s_sub_u32 s10, s10, s8
	v_readlane_b32 s13, v47, 38
	s_subb_u32 s11, s13, s9
	v_cmp_gt_u64_e32 vcc, s[10:11], v[0:1]
                                        ; implicit-def: $vgpr10
	s_and_saveexec_b64 s[8:9], vcc
	s_cbranch_execz .LBB219_162
; %bb.154:                              ;   in Loop: Header=BB219_12 Depth=1
	v_mov_b32_e32 v7, v1
	s_mov_b64 s[12:13], 0
	v_mov_b32_e32 v6, v0
                                        ; implicit-def: $sgpr30_sgpr31
	s_branch .LBB219_157
.LBB219_155:                            ;   in Loop: Header=BB219_157 Depth=2
	s_or_b64 exec, exec, s[34:35]
	s_waitcnt lgkmcnt(0)
	s_barrier
	ds_read_b32 v10, v3 offset:3072
	s_mov_b64 s[34:35], -1
	s_mov_b64 s[50:51], -1
	s_waitcnt lgkmcnt(0)
	s_barrier
	v_and_b32_e32 v11, 0x7fff, v10
	v_cmp_eq_u32_e32 vcc, 0, v11
	s_cbranch_vccnz .LBB219_160
.LBB219_156:                            ;   in Loop: Header=BB219_157 Depth=2
	s_and_b64 s[34:35], exec, s[34:35]
	s_or_b64 s[12:13], s[34:35], s[12:13]
	s_andn2_b64 s[30:31], s[30:31], exec
	s_and_b64 s[34:35], s[50:51], exec
	s_or_b64 s[30:31], s[30:31], s[34:35]
	s_andn2_b64 exec, exec, s[12:13]
	s_cbranch_execz .LBB219_161
.LBB219_157:                            ;   Parent Loop BB219_12 Depth=1
                                        ; =>  This Inner Loop Header: Depth=2
	v_cmp_gt_u64_e32 vcc, s[64:65], v[6:7]
	s_and_saveexec_b64 s[34:35], vcc
	s_cbranch_execz .LBB219_155
; %bb.158:                              ;   in Loop: Header=BB219_157 Depth=2
	v_mul_lo_u32 v21, v7, s62
	v_mul_lo_u32 v22, v6, s63
	v_mad_u64_u32 v[10:11], s[50:51], v6, s62, 0
	v_add3_u32 v11, v11, v22, v21
	v_lshlrev_b64 v[10:11], 1, v[10:11]
	v_mov_b32_e32 v21, s86
	v_add_co_u32_e32 v10, vcc, s33, v10
	v_addc_co_u32_e32 v11, vcc, v21, v11, vcc
	global_load_ushort v10, v[10:11], off
	s_waitcnt vmcnt(0)
	v_cmp_lt_i16_e32 vcc, -1, v10
	v_cndmask_b32_e32 v11, v33, v34, vcc
	v_lshlrev_b32_e32 v21, 16, v10
	v_xor_b32_sdwa v11, v11, v10 dst_sel:DWORD dst_unused:UNUSED_PAD src0_sel:DWORD src1_sel:WORD_0
	v_cmp_o_f32_e32 vcc, v21, v21
	v_cndmask_b32_e32 v11, v33, v11, vcc
	v_and_b32_e32 v11, v11, v8
	v_cmp_eq_u32_e32 vcc, v11, v9
	s_and_b64 exec, exec, vcc
	s_cbranch_execz .LBB219_155
; %bb.159:                              ;   in Loop: Header=BB219_157 Depth=2
	s_movk_i32 s50, 0x3f80
	v_perm_b32 v10, v10, s50, v37
	ds_write_b32 v3, v10 offset:3072
	s_branch .LBB219_155
.LBB219_160:                            ;   in Loop: Header=BB219_157 Depth=2
	v_add_co_u32_e32 v6, vcc, s87, v6
	v_addc_co_u32_e32 v7, vcc, 0, v7, vcc
	v_cmp_le_u64_e32 vcc, s[10:11], v[6:7]
	s_mov_b64 s[50:51], 0
	s_orn2_b64 s[34:35], vcc, exec
	s_branch .LBB219_156
.LBB219_161:                            ;   in Loop: Header=BB219_12 Depth=1
	s_or_b64 exec, exec, s[12:13]
	s_andn2_b64 s[4:5], s[4:5], exec
	s_and_b64 s[10:11], s[30:31], exec
	v_lshrrev_b32_e32 v10, 16, v10
	s_or_b64 s[4:5], s[4:5], s[10:11]
.LBB219_162:                            ;   in Loop: Header=BB219_12 Depth=1
	s_or_b64 exec, exec, s[8:9]
	s_mov_b64 s[30:31], 0
	s_mov_b64 s[34:35], -1
.LBB219_163:                            ;   in Loop: Header=BB219_12 Depth=1
	s_orn2_b64 s[4:5], s[4:5], exec
.LBB219_164:                            ;   in Loop: Header=BB219_12 Depth=1
	s_or_b64 exec, exec, s[46:47]
	s_mov_b64 s[8:9], 0
	s_and_saveexec_b64 s[46:47], s[4:5]
	s_cbranch_execz .LBB219_274
; %bb.165:                              ;   in Loop: Header=BB219_12 Depth=1
	v_mov_b32_e32 v6, 1
	s_xor_b64 s[10:11], s[48:49], -1
	v_mov_b32_e32 v2, 1
	v_mov_b32_e32 v7, 0
	s_and_saveexec_b64 s[4:5], s[10:11]
	s_cbranch_execz .LBB219_174
; %bb.166:                              ;   in Loop: Header=BB219_12 Depth=1
	v_cmp_ge_u64_e32 vcc, s[24:25], v[4:5]
	s_and_saveexec_b64 s[8:9], vcc
	s_xor_b64 s[8:9], exec, s[8:9]
	s_cbranch_execz .LBB219_171
; %bb.167:                              ;   in Loop: Header=BB219_12 Depth=1
	ds_read_b64 v[6:7], v3 offset:5120
	v_and_b32_e32 v2, s93, v9
	v_lshl_or_b32 v9, 1, s85, v2
	v_or_b32_e32 v8, s92, v8
	s_waitcnt lgkmcnt(0)
	v_cmp_ne_u64_e32 vcc, 0, v[6:7]
	s_cbranch_vccnz .LBB219_171
; %bb.168:                              ;   in Loop: Header=BB219_12 Depth=1
	s_mov_b64 s[10:11], exec
	v_readlane_b32 s12, v47, 12
	v_readlane_b32 s13, v47, 13
	s_and_b64 s[12:13], s[10:11], s[12:13]
	s_mov_b64 exec, s[12:13]
; %bb.169:                              ;   in Loop: Header=BB219_12 Depth=1
	v_mov_b32_e32 v6, s24
	v_mov_b32_e32 v7, s25
	ds_write_b64 v3, v[6:7] offset:5128
; %bb.170:                              ;   in Loop: Header=BB219_12 Depth=1
	s_or_b64 exec, exec, s[10:11]
	s_waitcnt lgkmcnt(0)
	s_barrier
.LBB219_171:                            ;   in Loop: Header=BB219_12 Depth=1
	s_or_saveexec_b64 s[8:9], s[8:9]
	s_mov_b64 s[10:11], 0
	v_mov_b32_e32 v2, 8
	s_xor_b64 exec, exec, s[8:9]
; %bb.172:                              ;   in Loop: Header=BB219_12 Depth=1
	v_subrev_co_u32_e32 v4, vcc, s24, v4
	v_mov_b32_e32 v2, s25
	v_subb_co_u32_e32 v5, vcc, v5, v2, vcc
	v_mov_b32_e32 v2, 0
	s_mov_b64 s[10:11], exec
; %bb.173:                              ;   in Loop: Header=BB219_12 Depth=1
	s_or_b64 exec, exec, s[8:9]
	v_mov_b32_e32 v7, v5
	s_and_b64 s[8:9], s[10:11], exec
	v_mov_b32_e32 v6, v4
.LBB219_174:                            ;   in Loop: Header=BB219_12 Depth=1
	s_or_b64 exec, exec, s[4:5]
	s_mov_b64 s[4:5], -1
                                        ; implicit-def: $sgpr50_sgpr51
                                        ; implicit-def: $sgpr52_sgpr53
	s_and_saveexec_b64 s[48:49], s[8:9]
	s_cbranch_execz .LBB219_273
; %bb.175:                              ;   in Loop: Header=BB219_12 Depth=1
	s_cmp_eq_u64 s[26:27], 1
	v_cmp_eq_u64_e32 vcc, 1, v[6:7]
	s_cselect_b64 s[4:5], -1, 0
	s_and_b64 s[56:57], s[4:5], vcc
	s_mov_b64 s[4:5], -1
                                        ; implicit-def: $sgpr52_sgpr53
                                        ; implicit-def: $sgpr50_sgpr51
	s_and_saveexec_b64 s[54:55], s[56:57]
	s_cbranch_execz .LBB219_209
; %bb.176:                              ;   in Loop: Header=BB219_12 Depth=1
	ds_read_b64 v[4:5], v3 offset:5120
	s_waitcnt lgkmcnt(0)
	s_barrier
	v_readfirstlane_b32 s8, v4
	v_readfirstlane_b32 s9, v5
	s_mov_b64 s[4:5], exec
	v_readlane_b32 s10, v47, 30
	v_readlane_b32 s11, v47, 31
	s_and_b64 s[10:11], s[4:5], s[10:11]
	s_mov_b64 exec, s[10:11]
; %bb.177:                              ;   in Loop: Header=BB219_12 Depth=1
	ds_write_b16 v28, v3
; %bb.178:                              ;   in Loop: Header=BB219_12 Depth=1
	s_or_b64 exec, exec, s[4:5]
	v_and_b32_e32 v4, s93, v9
	v_lshl_or_b32 v9, 2, s85, v4
	v_or_b32_e32 v8, s92, v8
	s_mov_b64 s[50:51], -1
	s_mov_b64 s[52:53], 0
	s_cmp_eq_u64 s[8:9], 0
	s_mov_b64 s[4:5], 0
	s_mov_b64 s[10:11], -1
	s_waitcnt lgkmcnt(0)
	s_barrier
                                        ; implicit-def: $vgpr10
	s_cbranch_scc1 .LBB219_194
; %bb.179:                              ;   in Loop: Header=BB219_12 Depth=1
	v_readlane_b32 s4, v47, 34
	s_add_u32 s58, s8, s4
	v_readlane_b32 s4, v47, 36
	s_addc_u32 s5, s9, s4
	s_mov_b32 s4, s89
	s_cmp_lg_u64 s[4:5], 0
	s_cbranch_scc0 .LBB219_226
; %bb.180:                              ;   in Loop: Header=BB219_12 Depth=1
	v_cvt_f32_u32_e32 v4, s87
	s_sub_u32 s4, 0, s87
	s_subb_u32 s12, 0, 0
	v_mac_f32_e32 v4, 0, v35
	v_rcp_f32_e32 v4, v4
	v_mul_f32_e32 v4, 0x5f7ffffc, v4
	v_mul_f32_e32 v5, 0x2f800000, v4
	v_trunc_f32_e32 v5, v5
	v_mac_f32_e32 v4, 0xcf800000, v5
	v_cvt_u32_f32_e32 v5, v5
	v_cvt_u32_f32_e32 v4, v4
	v_readfirstlane_b32 s13, v5
	v_readfirstlane_b32 s10, v4
	s_mul_i32 s11, s4, s13
	s_mul_hi_u32 s70, s4, s10
	s_mul_i32 s59, s12, s10
	s_add_i32 s11, s70, s11
	s_mul_i32 s71, s4, s10
	s_add_i32 s11, s11, s59
	s_mul_hi_u32 s70, s10, s71
	s_mul_i32 s76, s10, s11
	s_mul_hi_u32 s59, s10, s11
	s_add_u32 s70, s70, s76
	s_addc_u32 s59, 0, s59
	s_mul_hi_u32 s77, s13, s71
	s_mul_i32 s71, s13, s71
	s_add_u32 s70, s70, s71
	s_mul_hi_u32 s76, s13, s11
	s_addc_u32 s59, s59, s77
	s_addc_u32 s70, s76, 0
	s_mul_i32 s11, s13, s11
	s_add_u32 s11, s59, s11
	s_addc_u32 s59, 0, s70
	s_add_u32 s70, s10, s11
	s_cselect_b64 s[10:11], -1, 0
	s_cmp_lg_u64 s[10:11], 0
	s_addc_u32 s13, s13, s59
	s_mul_i32 s10, s4, s13
	s_mul_hi_u32 s11, s4, s70
	s_add_i32 s10, s11, s10
	s_mul_i32 s12, s12, s70
	s_add_i32 s10, s10, s12
	s_mul_i32 s4, s4, s70
	s_mul_hi_u32 s12, s13, s4
	s_mul_i32 s59, s13, s4
	s_mul_i32 s76, s70, s10
	s_mul_hi_u32 s4, s70, s4
	s_mul_hi_u32 s71, s70, s10
	s_add_u32 s4, s4, s76
	s_addc_u32 s71, 0, s71
	s_add_u32 s4, s4, s59
	s_mul_hi_u32 s11, s13, s10
	s_addc_u32 s4, s71, s12
	s_addc_u32 s11, s11, 0
	s_mul_i32 s10, s13, s10
	s_add_u32 s4, s4, s10
	s_addc_u32 s12, 0, s11
	s_add_u32 s4, s70, s4
	s_cselect_b64 s[10:11], -1, 0
	s_cmp_lg_u64 s[10:11], 0
	s_addc_u32 s10, s13, s12
	s_mul_i32 s12, s58, s10
	s_mul_hi_u32 s13, s58, s4
	s_mul_hi_u32 s11, s58, s10
	s_add_u32 s12, s13, s12
	s_addc_u32 s11, 0, s11
	s_mul_hi_u32 s59, s5, s4
	s_mul_i32 s4, s5, s4
	s_add_u32 s4, s12, s4
	s_mul_hi_u32 s13, s5, s10
	s_addc_u32 s4, s11, s59
	s_addc_u32 s11, s13, 0
	s_mul_i32 s10, s5, s10
	s_add_u32 s4, s4, s10
	s_addc_u32 s10, 0, s11
	s_mul_i32 s10, s87, s10
	s_mul_hi_u32 s11, s87, s4
	s_add_i32 s12, s11, s10
	s_mul_i32 s4, s87, s4
	s_sub_u32 s4, s58, s4
	s_cselect_b64 s[10:11], -1, 0
	s_cmp_lg_u64 s[10:11], 0
	s_subb_u32 s12, s5, s12
	s_sub_u32 s13, s4, s87
	s_cselect_b64 s[10:11], -1, 0
	s_cmp_lg_u64 s[10:11], 0
	s_subb_u32 s59, s12, 0
	;; [unrolled: 4-line block ×3, first 2 shown]
	s_cmp_ge_u32 s13, s87
	s_cselect_b32 s11, -1, 0
	s_cmp_eq_u32 s59, 0
	s_cselect_b32 s11, s11, -1
	s_cmp_lg_u32 s11, 0
	s_cselect_b32 s10, s10, s59
	s_cselect_b32 s13, s70, s13
	s_cmp_ge_u32 s4, s87
	s_cselect_b32 s11, -1, 0
	s_cmp_eq_u32 s12, 0
	s_cselect_b32 s11, s11, -1
	s_cmp_lg_u32 s11, 0
	s_cselect_b32 s11, s10, s12
	s_cselect_b32 s10, s13, s4
	s_cbranch_execnz .LBB219_182
.LBB219_181:                            ;   in Loop: Header=BB219_12 Depth=1
	v_cvt_f32_u32_e32 v4, s87
	s_sub_i32 s4, 0, s87
	v_rcp_iflag_f32_e32 v4, v4
	v_mul_f32_e32 v4, 0x4f7ffffe, v4
	v_cvt_u32_f32_e32 v4, v4
	v_readfirstlane_b32 s10, v4
	s_mul_i32 s4, s4, s10
	s_mul_hi_u32 s4, s10, s4
	s_add_i32 s10, s10, s4
	s_mul_hi_u32 s4, s58, s10
	s_mul_i32 s4, s4, s87
	s_sub_i32 s4, s58, s4
	s_sub_i32 s10, s4, s87
	s_cmp_ge_u32 s4, s87
	s_cselect_b32 s4, s10, s4
	s_sub_i32 s10, s4, s87
	s_cmp_ge_u32 s4, s87
	s_cselect_b32 s88, s10, s4
	s_mov_b64 s[10:11], s[88:89]
.LBB219_182:                            ;   in Loop: Header=BB219_12 Depth=1
	s_sub_u32 s58, s58, s10
	s_subb_u32 s59, s5, s11
	v_cmp_gt_u64_e32 vcc, s[58:59], v[0:1]
	s_mov_b64 s[10:11], 0
	s_mov_b64 s[4:5], 0
                                        ; implicit-def: $vgpr10
	s_and_saveexec_b64 s[12:13], vcc
	s_cbranch_execz .LBB219_193
; %bb.183:                              ;   in Loop: Header=BB219_12 Depth=1
	v_mov_b32_e32 v5, v1
	v_mov_b32_e32 v10, v27
	;; [unrolled: 1-line block ×3, first 2 shown]
                                        ; implicit-def: $sgpr70_sgpr71
	s_branch .LBB219_186
.LBB219_184:                            ;   in Loop: Header=BB219_186 Depth=2
	s_or_b64 exec, exec, s[76:77]
	s_waitcnt lgkmcnt(0)
	s_barrier
	ds_read_b32 v11, v3 offset:3072
	s_mov_b64 s[76:77], -1
	s_mov_b64 s[90:91], -1
	s_waitcnt lgkmcnt(0)
	s_barrier
	v_and_b32_e32 v21, 0x7fff, v11
	v_cmp_ne_u32_e32 vcc, 0, v21
	s_cbranch_vccz .LBB219_189
.LBB219_185:                            ;   in Loop: Header=BB219_186 Depth=2
	s_and_b64 s[76:77], exec, s[76:77]
	s_or_b64 s[4:5], s[76:77], s[4:5]
	s_andn2_b64 s[70:71], s[70:71], exec
	s_and_b64 s[76:77], s[90:91], exec
	s_or_b64 s[70:71], s[70:71], s[76:77]
	s_andn2_b64 exec, exec, s[4:5]
	s_cbranch_execz .LBB219_192
.LBB219_186:                            ;   Parent Loop BB219_12 Depth=1
                                        ; =>  This Inner Loop Header: Depth=2
	v_cmp_gt_u64_e32 vcc, s[8:9], v[4:5]
	s_and_saveexec_b64 s[76:77], vcc
	s_cbranch_execz .LBB219_184
; %bb.187:                              ;   in Loop: Header=BB219_186 Depth=2
	ds_read_u16 v11, v10
	s_waitcnt lgkmcnt(0)
	v_cmp_lt_i16_e32 vcc, -1, v11
	v_cndmask_b32_e32 v21, v33, v34, vcc
	v_lshlrev_b32_e32 v22, 16, v11
	v_cmp_o_f32_e32 vcc, v22, v22
	v_xor_b32_sdwa v21, v21, v11 dst_sel:DWORD dst_unused:UNUSED_PAD src0_sel:DWORD src1_sel:WORD_0
	v_cndmask_b32_e32 v21, v33, v21, vcc
	v_and_b32_e32 v21, v21, v8
	v_cmp_eq_u32_e32 vcc, v21, v9
	s_and_b64 exec, exec, vcc
	s_cbranch_execz .LBB219_184
; %bb.188:                              ;   in Loop: Header=BB219_186 Depth=2
	s_movk_i32 s88, 0x3f80
	v_perm_b32 v11, v11, s88, v37
	ds_write_b32 v3, v11 offset:3072
	s_branch .LBB219_184
.LBB219_189:                            ;   in Loop: Header=BB219_186 Depth=2
	v_add_co_u32_e32 v4, vcc, s87, v4
	v_addc_co_u32_e32 v5, vcc, 0, v5, vcc
	v_cmp_le_u64_e32 vcc, s[58:59], v[4:5]
	v_readlane_b32 s76, v47, 50
	v_add_u32_e32 v10, s76, v10
	s_mov_b64 s[90:91], 0
	s_orn2_b64 s[76:77], vcc, exec
	s_branch .LBB219_185
.LBB219_190:                            ;   in Loop: Header=BB219_12 Depth=1
                                        ; implicit-def: $sgpr10_sgpr11
	s_branch .LBB219_136
.LBB219_191:                            ;   in Loop: Header=BB219_12 Depth=1
                                        ; implicit-def: $sgpr8_sgpr9
	s_branch .LBB219_152
.LBB219_192:                            ;   in Loop: Header=BB219_12 Depth=1
	s_or_b64 exec, exec, s[4:5]
	v_lshrrev_b32_e32 v10, 16, v11
	s_and_b64 s[4:5], s[70:71], exec
.LBB219_193:                            ;   in Loop: Header=BB219_12 Depth=1
	s_or_b64 exec, exec, s[12:13]
.LBB219_194:                            ;   in Loop: Header=BB219_12 Depth=1
	s_and_b64 vcc, exec, s[10:11]
	s_cbranch_vccz .LBB219_208
; %bb.195:                              ;   in Loop: Header=BB219_12 Depth=1
	v_readlane_b32 s58, v47, 37
	v_readlane_b32 s59, v47, 38
	s_mov_b32 s58, s89
	s_cmp_lg_u64 s[58:59], 0
	v_writelane_b32 v47, s58, 37
	v_writelane_b32 v47, s59, 38
	s_cbranch_scc0 .LBB219_227
; %bb.196:                              ;   in Loop: Header=BB219_12 Depth=1
	v_cvt_f32_u32_e32 v4, s87
	s_sub_u32 s10, 0, s87
	s_subb_u32 s11, 0, 0
	v_mac_f32_e32 v4, 0, v35
	v_rcp_f32_e32 v4, v4
	v_mul_f32_e32 v4, 0x5f7ffffc, v4
	v_mul_f32_e32 v5, 0x2f800000, v4
	v_trunc_f32_e32 v5, v5
	v_mac_f32_e32 v4, 0xcf800000, v5
	v_cvt_u32_f32_e32 v5, v5
	v_cvt_u32_f32_e32 v4, v4
	v_readfirstlane_b32 s12, v5
	v_readfirstlane_b32 s8, v4
	s_mul_i32 s9, s10, s12
	s_mul_hi_u32 s50, s10, s8
	s_mul_i32 s13, s11, s8
	s_add_i32 s9, s50, s9
	s_mul_i32 s51, s10, s8
	s_add_i32 s9, s9, s13
	s_mul_hi_u32 s50, s8, s51
	s_mul_i32 s52, s8, s9
	s_mul_hi_u32 s13, s8, s9
	s_add_u32 s50, s50, s52
	s_addc_u32 s13, 0, s13
	s_mul_hi_u32 s53, s12, s51
	s_mul_i32 s51, s12, s51
	s_add_u32 s50, s50, s51
	s_mul_hi_u32 s52, s12, s9
	s_addc_u32 s13, s13, s53
	s_addc_u32 s50, s52, 0
	s_mul_i32 s9, s12, s9
	s_add_u32 s9, s13, s9
	s_addc_u32 s13, 0, s50
	s_add_u32 s50, s8, s9
	s_cselect_b64 s[8:9], -1, 0
	s_cmp_lg_u64 s[8:9], 0
	s_addc_u32 s12, s12, s13
	s_mul_i32 s8, s10, s12
	s_mul_hi_u32 s9, s10, s50
	s_add_i32 s8, s9, s8
	s_mul_i32 s11, s11, s50
	s_add_i32 s8, s8, s11
	s_mul_i32 s10, s10, s50
	s_mul_hi_u32 s11, s12, s10
	s_mul_i32 s13, s12, s10
	s_mul_i32 s52, s50, s8
	s_mul_hi_u32 s10, s50, s10
	s_mul_hi_u32 s51, s50, s8
	s_add_u32 s10, s10, s52
	s_addc_u32 s51, 0, s51
	s_add_u32 s10, s10, s13
	s_mul_hi_u32 s9, s12, s8
	s_addc_u32 s10, s51, s11
	s_addc_u32 s9, s9, 0
	s_mul_i32 s8, s12, s8
	s_add_u32 s8, s10, s8
	s_addc_u32 s10, 0, s9
	s_add_u32 s11, s50, s8
	s_cselect_b64 s[8:9], -1, 0
	s_cmp_lg_u64 s[8:9], 0
	s_addc_u32 s8, s12, s10
	v_readlane_b32 s50, v47, 35
	s_mul_i32 s10, s50, s8
	s_mul_hi_u32 s12, s50, s11
	s_mul_hi_u32 s9, s50, s8
	s_add_u32 s10, s12, s10
	s_addc_u32 s9, 0, s9
	s_mul_hi_u32 s13, s59, s11
	s_mul_i32 s11, s59, s11
	s_add_u32 s10, s10, s11
	s_mul_hi_u32 s12, s59, s8
	s_addc_u32 s9, s9, s13
	s_addc_u32 s10, s12, 0
	s_mul_i32 s8, s59, s8
	s_add_u32 s8, s9, s8
	s_addc_u32 s9, 0, s10
	s_mul_i32 s9, s87, s9
	s_mul_hi_u32 s10, s87, s8
	s_add_i32 s10, s10, s9
	s_mul_i32 s8, s87, s8
	s_sub_u32 s11, s50, s8
	s_cselect_b64 s[8:9], -1, 0
	s_cmp_lg_u64 s[8:9], 0
	s_subb_u32 s10, s59, s10
	s_sub_u32 s12, s11, s87
	s_cselect_b64 s[8:9], -1, 0
	s_cmp_lg_u64 s[8:9], 0
	s_subb_u32 s13, s10, 0
	;; [unrolled: 4-line block ×3, first 2 shown]
	s_cmp_ge_u32 s12, s87
	s_cselect_b32 s9, -1, 0
	s_cmp_eq_u32 s13, 0
	s_cselect_b32 s9, s9, -1
	s_cmp_lg_u32 s9, 0
	s_cselect_b32 s8, s8, s13
	s_cselect_b32 s12, s50, s12
	s_cmp_ge_u32 s11, s87
	s_cselect_b32 s9, -1, 0
	s_cmp_eq_u32 s10, 0
	s_cselect_b32 s9, s9, -1
	s_cmp_lg_u32 s9, 0
	s_cselect_b32 s9, s8, s10
	s_cselect_b32 s8, s12, s11
	s_cbranch_execnz .LBB219_198
.LBB219_197:                            ;   in Loop: Header=BB219_12 Depth=1
	v_cvt_f32_u32_e32 v4, s87
	s_sub_i32 s8, 0, s87
	v_readlane_b32 s10, v47, 35
	v_rcp_iflag_f32_e32 v4, v4
	v_mul_f32_e32 v4, 0x4f7ffffe, v4
	v_cvt_u32_f32_e32 v4, v4
	v_readfirstlane_b32 s9, v4
	s_mul_i32 s8, s8, s9
	s_mul_hi_u32 s8, s9, s8
	s_add_i32 s9, s9, s8
	s_mul_hi_u32 s8, s10, s9
	s_mul_i32 s8, s8, s87
	s_sub_i32 s8, s10, s8
	s_sub_i32 s9, s8, s87
	s_cmp_ge_u32 s8, s87
	s_cselect_b32 s8, s9, s8
	s_sub_i32 s9, s8, s87
	s_cmp_ge_u32 s8, s87
	s_cselect_b32 s88, s9, s8
	s_mov_b64 s[8:9], s[88:89]
.LBB219_198:                            ;   in Loop: Header=BB219_12 Depth=1
	v_readlane_b32 s10, v47, 35
	v_readlane_b32 s12, v47, 37
	s_sub_u32 s10, s10, s8
	v_readlane_b32 s13, v47, 38
	s_subb_u32 s11, s13, s9
	v_cmp_gt_u64_e32 vcc, s[10:11], v[0:1]
                                        ; implicit-def: $vgpr10
	s_and_saveexec_b64 s[8:9], vcc
	s_cbranch_execz .LBB219_207
; %bb.199:                              ;   in Loop: Header=BB219_12 Depth=1
	v_mov_b32_e32 v5, v1
	s_mov_b64 s[12:13], 0
	v_mov_b32_e32 v4, v0
                                        ; implicit-def: $sgpr50_sgpr51
	s_branch .LBB219_202
.LBB219_200:                            ;   in Loop: Header=BB219_202 Depth=2
	s_or_b64 exec, exec, s[52:53]
	s_waitcnt lgkmcnt(0)
	s_barrier
	ds_read_b32 v10, v3 offset:3072
	s_mov_b64 s[52:53], -1
	s_mov_b64 s[58:59], -1
	s_waitcnt lgkmcnt(0)
	s_barrier
	v_and_b32_e32 v11, 0x7fff, v10
	v_cmp_eq_u32_e32 vcc, 0, v11
	s_cbranch_vccnz .LBB219_205
.LBB219_201:                            ;   in Loop: Header=BB219_202 Depth=2
	s_and_b64 s[52:53], exec, s[52:53]
	s_or_b64 s[12:13], s[52:53], s[12:13]
	s_andn2_b64 s[50:51], s[50:51], exec
	s_and_b64 s[52:53], s[58:59], exec
	s_or_b64 s[50:51], s[50:51], s[52:53]
	s_andn2_b64 exec, exec, s[12:13]
	s_cbranch_execz .LBB219_206
.LBB219_202:                            ;   Parent Loop BB219_12 Depth=1
                                        ; =>  This Inner Loop Header: Depth=2
	v_cmp_gt_u64_e32 vcc, s[64:65], v[4:5]
	s_and_saveexec_b64 s[52:53], vcc
	s_cbranch_execz .LBB219_200
; %bb.203:                              ;   in Loop: Header=BB219_202 Depth=2
	v_mul_lo_u32 v21, v5, s62
	v_mul_lo_u32 v22, v4, s63
	v_mad_u64_u32 v[10:11], s[58:59], v4, s62, 0
	v_add3_u32 v11, v11, v22, v21
	v_lshlrev_b64 v[10:11], 1, v[10:11]
	v_mov_b32_e32 v21, s86
	v_add_co_u32_e32 v10, vcc, s33, v10
	v_addc_co_u32_e32 v11, vcc, v21, v11, vcc
	global_load_ushort v10, v[10:11], off
	s_waitcnt vmcnt(0)
	v_cmp_lt_i16_e32 vcc, -1, v10
	v_cndmask_b32_e32 v11, v33, v34, vcc
	v_lshlrev_b32_e32 v21, 16, v10
	v_xor_b32_sdwa v11, v11, v10 dst_sel:DWORD dst_unused:UNUSED_PAD src0_sel:DWORD src1_sel:WORD_0
	v_cmp_o_f32_e32 vcc, v21, v21
	v_cndmask_b32_e32 v11, v33, v11, vcc
	v_and_b32_e32 v11, v11, v8
	v_cmp_eq_u32_e32 vcc, v11, v9
	s_and_b64 exec, exec, vcc
	s_cbranch_execz .LBB219_200
; %bb.204:                              ;   in Loop: Header=BB219_202 Depth=2
	s_movk_i32 s58, 0x3f80
	v_perm_b32 v10, v10, s58, v37
	ds_write_b32 v3, v10 offset:3072
	s_branch .LBB219_200
.LBB219_205:                            ;   in Loop: Header=BB219_202 Depth=2
	v_add_co_u32_e32 v4, vcc, s87, v4
	v_addc_co_u32_e32 v5, vcc, 0, v5, vcc
	v_cmp_le_u64_e32 vcc, s[10:11], v[4:5]
	s_mov_b64 s[58:59], 0
	s_orn2_b64 s[52:53], vcc, exec
	s_branch .LBB219_201
.LBB219_206:                            ;   in Loop: Header=BB219_12 Depth=1
	s_or_b64 exec, exec, s[12:13]
	s_andn2_b64 s[4:5], s[4:5], exec
	s_and_b64 s[10:11], s[50:51], exec
	v_lshrrev_b32_e32 v10, 16, v10
	s_or_b64 s[4:5], s[4:5], s[10:11]
.LBB219_207:                            ;   in Loop: Header=BB219_12 Depth=1
	s_or_b64 exec, exec, s[8:9]
	s_mov_b64 s[50:51], 0
	s_mov_b64 s[52:53], -1
.LBB219_208:                            ;   in Loop: Header=BB219_12 Depth=1
	s_orn2_b64 s[4:5], s[4:5], exec
.LBB219_209:                            ;   in Loop: Header=BB219_12 Depth=1
	s_or_b64 exec, exec, s[54:55]
	s_mov_b64 s[8:9], 0
	s_and_saveexec_b64 s[54:55], s[4:5]
	s_cbranch_execz .LBB219_272
; %bb.210:                              ;   in Loop: Header=BB219_12 Depth=1
	v_mov_b32_e32 v4, 1
	s_xor_b64 s[8:9], s[56:57], -1
	v_mov_b32_e32 v2, 1
	v_mov_b32_e32 v5, 0
	s_mov_b64 s[12:13], 0
	s_and_saveexec_b64 s[4:5], s[8:9]
	s_cbranch_execz .LBB219_219
; %bb.211:                              ;   in Loop: Header=BB219_12 Depth=1
	v_cmp_ge_u64_e32 vcc, s[26:27], v[6:7]
	s_and_saveexec_b64 s[8:9], vcc
	s_xor_b64 s[8:9], exec, s[8:9]
	s_cbranch_execz .LBB219_216
; %bb.212:                              ;   in Loop: Header=BB219_12 Depth=1
	ds_read_b64 v[4:5], v3 offset:5120
	v_and_b32_e32 v2, s93, v9
	v_lshl_or_b32 v9, 2, s85, v2
	v_or_b32_e32 v8, s92, v8
	s_waitcnt lgkmcnt(0)
	v_cmp_ne_u64_e32 vcc, 0, v[4:5]
	s_cbranch_vccnz .LBB219_216
; %bb.213:                              ;   in Loop: Header=BB219_12 Depth=1
	s_mov_b64 s[10:11], exec
	v_readlane_b32 s12, v47, 12
	v_readlane_b32 s13, v47, 13
	s_and_b64 s[12:13], s[10:11], s[12:13]
	s_mov_b64 exec, s[12:13]
; %bb.214:                              ;   in Loop: Header=BB219_12 Depth=1
	v_mov_b32_e32 v4, s26
	v_mov_b32_e32 v5, s27
	ds_write_b64 v3, v[4:5] offset:5128
; %bb.215:                              ;   in Loop: Header=BB219_12 Depth=1
	s_or_b64 exec, exec, s[10:11]
	s_waitcnt lgkmcnt(0)
	s_barrier
.LBB219_216:                            ;   in Loop: Header=BB219_12 Depth=1
	s_or_saveexec_b64 s[8:9], s[8:9]
	s_mov_b64 s[10:11], 0
	v_mov_b32_e32 v2, 8
	s_xor_b64 exec, exec, s[8:9]
; %bb.217:                              ;   in Loop: Header=BB219_12 Depth=1
	v_subrev_co_u32_e32 v6, vcc, s26, v6
	v_mov_b32_e32 v2, s27
	v_subb_co_u32_e32 v7, vcc, v7, v2, vcc
	v_mov_b32_e32 v2, 0
	s_mov_b64 s[10:11], exec
; %bb.218:                              ;   in Loop: Header=BB219_12 Depth=1
	s_or_b64 exec, exec, s[8:9]
	v_mov_b32_e32 v4, v6
	s_and_b64 s[12:13], s[10:11], exec
	v_mov_b32_e32 v5, v7
.LBB219_219:                            ;   in Loop: Header=BB219_12 Depth=1
	s_or_b64 exec, exec, s[4:5]
	s_mov_b64 s[4:5], -1
                                        ; implicit-def: $sgpr10_sgpr11
                                        ; implicit-def: $sgpr76_sgpr77
	s_and_saveexec_b64 s[56:57], s[12:13]
	s_cbranch_execz .LBB219_271
; %bb.220:                              ;   in Loop: Header=BB219_12 Depth=1
	s_cmp_eq_u64 s[28:29], 1
	v_cmp_eq_u64_e32 vcc, 1, v[4:5]
	s_cselect_b64 s[4:5], -1, 0
	s_mov_b64 s[12:13], -1
	s_and_b64 s[4:5], s[4:5], vcc
                                        ; implicit-def: $sgpr10_sgpr11
                                        ; implicit-def: $sgpr76_sgpr77
	s_mov_b64 s[58:59], exec
	v_writelane_b32 v47, s4, 60
	v_writelane_b32 v47, s5, 61
	s_and_b64 s[4:5], s[58:59], s[4:5]
	s_mov_b64 exec, s[4:5]
	s_cbranch_execz .LBB219_259
; %bb.221:                              ;   in Loop: Header=BB219_12 Depth=1
	ds_read_b64 v[6:7], v3 offset:5120
	s_waitcnt lgkmcnt(0)
	s_barrier
	v_readfirstlane_b32 s12, v6
	v_readfirstlane_b32 s13, v7
	s_mov_b64 s[4:5], exec
	v_readlane_b32 s8, v47, 30
	v_readlane_b32 s9, v47, 31
	s_and_b64 s[8:9], s[4:5], s[8:9]
	s_mov_b64 exec, s[8:9]
; %bb.222:                              ;   in Loop: Header=BB219_12 Depth=1
	ds_write_b16 v28, v3
; %bb.223:                              ;   in Loop: Header=BB219_12 Depth=1
	s_or_b64 exec, exec, s[4:5]
	v_or_b32_e32 v9, s92, v9
	v_or_b32_e32 v8, s92, v8
	s_mov_b64 s[10:11], 0
	s_cmp_eq_u64 s[12:13], 0
	s_mov_b64 s[4:5], 0
	s_mov_b64 s[76:77], -1
	s_waitcnt lgkmcnt(0)
	s_barrier
                                        ; implicit-def: $vgpr10
	s_cbranch_scc1 .LBB219_241
; %bb.224:                              ;   in Loop: Header=BB219_12 Depth=1
	v_writelane_b32 v47, s58, 62
	v_writelane_b32 v47, s59, 63
	v_readlane_b32 s4, v47, 34
	s_add_u32 s8, s12, s4
	v_readlane_b32 s4, v47, 36
	s_addc_u32 s5, s13, s4
	s_mov_b32 s4, s89
	s_cmp_lg_u64 s[4:5], 0
	s_cbranch_scc0 .LBB219_228
; %bb.225:                              ;   in Loop: Header=BB219_12 Depth=1
	v_cvt_f32_u32_e32 v6, s87
	s_sub_u32 s4, 0, s87
	s_subb_u32 s9, 0, 0
	v_mac_f32_e32 v6, 0, v35
	v_rcp_f32_e32 v6, v6
	v_mul_f32_e32 v6, 0x5f7ffffc, v6
	v_mul_f32_e32 v7, 0x2f800000, v6
	v_trunc_f32_e32 v7, v7
	v_mac_f32_e32 v6, 0xcf800000, v7
	v_cvt_u32_f32_e32 v7, v7
	v_cvt_u32_f32_e32 v6, v6
	v_readfirstlane_b32 s70, v7
	v_readfirstlane_b32 s58, v6
	s_mul_i32 s59, s4, s70
	s_mul_hi_u32 s76, s4, s58
	s_mul_i32 s71, s9, s58
	s_add_i32 s59, s76, s59
	s_mul_i32 s77, s4, s58
	s_add_i32 s59, s59, s71
	s_mul_hi_u32 s76, s58, s77
	s_mul_i32 s88, s58, s59
	s_mul_hi_u32 s71, s58, s59
	s_add_u32 s76, s76, s88
	s_addc_u32 s71, 0, s71
	s_mul_hi_u32 s90, s70, s77
	s_mul_i32 s77, s70, s77
	s_add_u32 s76, s76, s77
	s_mul_hi_u32 s88, s70, s59
	s_addc_u32 s71, s71, s90
	s_addc_u32 s76, s88, 0
	s_mul_i32 s59, s70, s59
	s_add_u32 s59, s71, s59
	s_addc_u32 s71, 0, s76
	s_add_u32 s76, s58, s59
	s_cselect_b64 s[58:59], -1, 0
	s_cmp_lg_u64 s[58:59], 0
	s_addc_u32 s70, s70, s71
	s_mul_i32 s58, s4, s70
	s_mul_hi_u32 s59, s4, s76
	s_add_i32 s58, s59, s58
	s_mul_i32 s9, s9, s76
	s_add_i32 s58, s58, s9
	s_mul_i32 s4, s4, s76
	s_mul_hi_u32 s59, s70, s4
	s_mul_i32 s71, s70, s4
	s_mul_i32 s88, s76, s58
	s_mul_hi_u32 s4, s76, s4
	s_mul_hi_u32 s77, s76, s58
	s_add_u32 s4, s4, s88
	s_addc_u32 s77, 0, s77
	s_add_u32 s4, s4, s71
	s_mul_hi_u32 s9, s70, s58
	s_addc_u32 s4, s77, s59
	s_addc_u32 s9, s9, 0
	s_mul_i32 s58, s70, s58
	s_add_u32 s4, s4, s58
	s_addc_u32 s9, 0, s9
	s_add_u32 s4, s76, s4
	s_cselect_b64 s[58:59], -1, 0
	s_cmp_lg_u64 s[58:59], 0
	s_addc_u32 s9, s70, s9
	s_mul_i32 s59, s8, s9
	s_mul_hi_u32 s70, s8, s4
	s_mul_hi_u32 s58, s8, s9
	s_add_u32 s59, s70, s59
	s_addc_u32 s58, 0, s58
	s_mul_hi_u32 s71, s5, s4
	s_mul_i32 s4, s5, s4
	s_add_u32 s4, s59, s4
	s_mul_hi_u32 s70, s5, s9
	s_addc_u32 s4, s58, s71
	s_addc_u32 s58, s70, 0
	s_mul_i32 s9, s5, s9
	s_add_u32 s4, s4, s9
	s_addc_u32 s9, 0, s58
	s_mul_i32 s9, s87, s9
	s_mul_hi_u32 s58, s87, s4
	s_add_i32 s9, s58, s9
	s_mul_i32 s4, s87, s4
	s_sub_u32 s4, s8, s4
	s_cselect_b64 s[58:59], -1, 0
	s_cmp_lg_u64 s[58:59], 0
	s_subb_u32 s9, s5, s9
	s_sub_u32 s70, s4, s87
	s_cselect_b64 s[58:59], -1, 0
	s_cmp_lg_u64 s[58:59], 0
	s_subb_u32 s71, s9, 0
	s_sub_u32 s76, s70, s87
	s_cselect_b64 s[58:59], -1, 0
	s_cmp_lg_u64 s[58:59], 0
	s_subb_u32 s58, s71, 0
	s_cmp_ge_u32 s70, s87
	s_cselect_b32 s59, -1, 0
	s_cmp_eq_u32 s71, 0
	s_cselect_b32 s59, s59, -1
	s_cmp_lg_u32 s59, 0
	s_cselect_b32 s58, s58, s71
	s_cselect_b32 s70, s76, s70
	s_cmp_ge_u32 s4, s87
	s_cselect_b32 s59, -1, 0
	s_cmp_eq_u32 s9, 0
	s_cselect_b32 s59, s59, -1
	s_cmp_lg_u32 s59, 0
	s_cselect_b32 s59, s58, s9
	s_cselect_b32 s58, s70, s4
	s_mov_b64 s[70:71], 0
	s_branch .LBB219_229
.LBB219_226:                            ;   in Loop: Header=BB219_12 Depth=1
                                        ; implicit-def: $sgpr10_sgpr11
	s_branch .LBB219_181
.LBB219_227:                            ;   in Loop: Header=BB219_12 Depth=1
                                        ; implicit-def: $sgpr8_sgpr9
	s_branch .LBB219_197
.LBB219_228:                            ;   in Loop: Header=BB219_12 Depth=1
	s_mov_b64 s[70:71], -1
                                        ; implicit-def: $sgpr58_sgpr59
.LBB219_229:                            ;   in Loop: Header=BB219_12 Depth=1
	s_andn2_b64 vcc, exec, s[70:71]
	s_cbranch_vccnz .LBB219_231
; %bb.230:                              ;   in Loop: Header=BB219_12 Depth=1
	v_cvt_f32_u32_e32 v6, s87
	s_sub_i32 s4, 0, s87
	v_rcp_iflag_f32_e32 v6, v6
	v_mul_f32_e32 v6, 0x4f7ffffe, v6
	v_cvt_u32_f32_e32 v6, v6
	v_readfirstlane_b32 s9, v6
	s_mul_i32 s4, s4, s9
	s_mul_hi_u32 s4, s9, s4
	s_add_i32 s9, s9, s4
	s_mul_hi_u32 s4, s8, s9
	s_mul_i32 s4, s4, s87
	s_sub_i32 s4, s8, s4
	s_sub_i32 s9, s4, s87
	s_cmp_ge_u32 s4, s87
	s_cselect_b32 s4, s9, s4
	s_sub_i32 s9, s4, s87
	s_cmp_ge_u32 s4, s87
	s_cselect_b32 s88, s9, s4
	s_mov_b64 s[58:59], s[88:89]
.LBB219_231:                            ;   in Loop: Header=BB219_12 Depth=1
	s_sub_u32 s8, s8, s58
	s_subb_u32 s9, s5, s59
	v_cmp_gt_u64_e32 vcc, s[8:9], v[0:1]
	s_mov_b64 s[76:77], 0
	s_mov_b64 s[4:5], 0
                                        ; implicit-def: $vgpr10
	s_and_saveexec_b64 s[90:91], vcc
	s_cbranch_execz .LBB219_240
; %bb.232:                              ;   in Loop: Header=BB219_12 Depth=1
	v_mov_b32_e32 v7, v1
	v_mov_b32_e32 v10, v27
	;; [unrolled: 1-line block ×3, first 2 shown]
                                        ; implicit-def: $sgpr94_sgpr95
	s_branch .LBB219_235
.LBB219_233:                            ;   in Loop: Header=BB219_235 Depth=2
	s_or_b64 exec, exec, s[58:59]
	s_waitcnt lgkmcnt(0)
	s_barrier
	ds_read_b32 v11, v3 offset:3072
	s_mov_b64 s[58:59], -1
	s_mov_b64 s[70:71], -1
	s_waitcnt lgkmcnt(0)
	s_barrier
	v_and_b32_e32 v21, 0x7fff, v11
	v_cmp_ne_u32_e32 vcc, 0, v21
	s_cbranch_vccz .LBB219_238
.LBB219_234:                            ;   in Loop: Header=BB219_235 Depth=2
	s_and_b64 s[58:59], exec, s[58:59]
	s_or_b64 s[4:5], s[58:59], s[4:5]
	s_andn2_b64 s[58:59], s[94:95], exec
	s_and_b64 s[70:71], s[70:71], exec
	s_or_b64 s[94:95], s[58:59], s[70:71]
	s_andn2_b64 exec, exec, s[4:5]
	s_cbranch_execz .LBB219_239
.LBB219_235:                            ;   Parent Loop BB219_12 Depth=1
                                        ; =>  This Inner Loop Header: Depth=2
	v_cmp_gt_u64_e32 vcc, s[12:13], v[6:7]
	s_and_saveexec_b64 s[58:59], vcc
	s_cbranch_execz .LBB219_233
; %bb.236:                              ;   in Loop: Header=BB219_235 Depth=2
	ds_read_u16 v11, v10
	s_waitcnt lgkmcnt(0)
	v_cmp_lt_i16_e32 vcc, -1, v11
	v_cndmask_b32_e32 v21, v33, v34, vcc
	v_lshlrev_b32_e32 v22, 16, v11
	v_cmp_o_f32_e32 vcc, v22, v22
	v_xor_b32_sdwa v21, v21, v11 dst_sel:DWORD dst_unused:UNUSED_PAD src0_sel:DWORD src1_sel:WORD_0
	v_cndmask_b32_e32 v21, v33, v21, vcc
	v_and_b32_e32 v21, v21, v8
	v_cmp_eq_u32_e32 vcc, v21, v9
	s_and_b64 exec, exec, vcc
	s_cbranch_execz .LBB219_233
; %bb.237:                              ;   in Loop: Header=BB219_235 Depth=2
	s_movk_i32 s70, 0x3f80
	v_perm_b32 v11, v11, s70, v37
	ds_write_b32 v3, v11 offset:3072
	s_branch .LBB219_233
.LBB219_238:                            ;   in Loop: Header=BB219_235 Depth=2
	v_add_co_u32_e32 v6, vcc, s87, v6
	v_addc_co_u32_e32 v7, vcc, 0, v7, vcc
	v_cmp_le_u64_e32 vcc, s[8:9], v[6:7]
	v_readlane_b32 s58, v47, 50
	v_add_u32_e32 v10, s58, v10
	s_mov_b64 s[70:71], 0
	s_orn2_b64 s[58:59], vcc, exec
	s_branch .LBB219_234
.LBB219_239:                            ;   in Loop: Header=BB219_12 Depth=1
	s_or_b64 exec, exec, s[4:5]
	v_lshrrev_b32_e32 v10, 16, v11
	s_and_b64 s[4:5], s[94:95], exec
.LBB219_240:                            ;   in Loop: Header=BB219_12 Depth=1
	s_or_b64 exec, exec, s[90:91]
	v_readlane_b32 s58, v47, 62
	v_readlane_b32 s59, v47, 63
.LBB219_241:                            ;   in Loop: Header=BB219_12 Depth=1
	s_and_b64 vcc, exec, s[76:77]
	s_cbranch_vccz .LBB219_244
; %bb.242:                              ;   in Loop: Header=BB219_12 Depth=1
	v_readlane_b32 s76, v47, 37
	v_readlane_b32 s77, v47, 38
	s_mov_b32 s76, s89
	s_cmp_lg_u64 s[76:77], 0
	v_writelane_b32 v47, s76, 37
	v_writelane_b32 v47, s77, 38
	s_cbranch_scc0 .LBB219_245
; %bb.243:                              ;   in Loop: Header=BB219_12 Depth=1
	v_cvt_f32_u32_e32 v6, s87
	s_sub_u32 s10, 0, s87
	s_subb_u32 s11, 0, 0
	s_mov_b64 s[90:91], s[58:59]
	v_mac_f32_e32 v6, 0, v35
	v_rcp_f32_e32 v6, v6
	v_mul_f32_e32 v6, 0x5f7ffffc, v6
	v_mul_f32_e32 v7, 0x2f800000, v6
	v_trunc_f32_e32 v7, v7
	v_mac_f32_e32 v6, 0xcf800000, v7
	v_cvt_u32_f32_e32 v7, v7
	v_cvt_u32_f32_e32 v6, v6
	v_readfirstlane_b32 s12, v7
	v_readfirstlane_b32 s8, v6
	s_mul_i32 s9, s10, s12
	s_mul_hi_u32 s58, s10, s8
	s_mul_i32 s13, s11, s8
	s_add_i32 s9, s58, s9
	s_mul_i32 s59, s10, s8
	s_add_i32 s9, s9, s13
	s_mul_hi_u32 s58, s8, s59
	s_mul_i32 s70, s8, s9
	s_mul_hi_u32 s13, s8, s9
	s_add_u32 s58, s58, s70
	s_addc_u32 s13, 0, s13
	s_mul_hi_u32 s71, s12, s59
	s_mul_i32 s59, s12, s59
	s_add_u32 s58, s58, s59
	s_mul_hi_u32 s70, s12, s9
	s_addc_u32 s13, s13, s71
	s_addc_u32 s58, s70, 0
	s_mul_i32 s9, s12, s9
	s_add_u32 s9, s13, s9
	s_addc_u32 s13, 0, s58
	s_add_u32 s58, s8, s9
	s_cselect_b64 s[8:9], -1, 0
	s_cmp_lg_u64 s[8:9], 0
	s_addc_u32 s12, s12, s13
	s_mul_i32 s8, s10, s12
	s_mul_hi_u32 s9, s10, s58
	s_add_i32 s8, s9, s8
	s_mul_i32 s11, s11, s58
	s_add_i32 s8, s8, s11
	s_mul_i32 s10, s10, s58
	s_mul_hi_u32 s11, s12, s10
	s_mul_i32 s13, s12, s10
	s_mul_i32 s70, s58, s8
	s_mul_hi_u32 s10, s58, s10
	s_mul_hi_u32 s59, s58, s8
	s_add_u32 s10, s10, s70
	s_addc_u32 s59, 0, s59
	s_add_u32 s10, s10, s13
	s_mul_hi_u32 s9, s12, s8
	s_addc_u32 s10, s59, s11
	s_addc_u32 s9, s9, 0
	s_mul_i32 s8, s12, s8
	s_add_u32 s8, s10, s8
	s_addc_u32 s10, 0, s9
	s_add_u32 s11, s58, s8
	s_cselect_b64 s[8:9], -1, 0
	s_cmp_lg_u64 s[8:9], 0
	s_addc_u32 s8, s12, s10
	v_readlane_b32 s58, v47, 35
	s_mul_i32 s10, s58, s8
	s_mul_hi_u32 s12, s58, s11
	s_mul_hi_u32 s9, s58, s8
	s_add_u32 s10, s12, s10
	s_addc_u32 s9, 0, s9
	s_mul_hi_u32 s13, s77, s11
	s_mul_i32 s11, s77, s11
	s_add_u32 s10, s10, s11
	s_mul_hi_u32 s12, s77, s8
	s_addc_u32 s9, s9, s13
	s_addc_u32 s10, s12, 0
	s_mul_i32 s8, s77, s8
	s_add_u32 s8, s9, s8
	s_addc_u32 s9, 0, s10
	s_mul_i32 s9, s87, s9
	s_mul_hi_u32 s10, s87, s8
	s_add_i32 s10, s10, s9
	s_mul_i32 s8, s87, s8
	s_sub_u32 s11, s58, s8
	s_cselect_b64 s[8:9], -1, 0
	s_cmp_lg_u64 s[8:9], 0
	s_subb_u32 s10, s77, s10
	s_sub_u32 s12, s11, s87
	s_cselect_b64 s[8:9], -1, 0
	s_cmp_lg_u64 s[8:9], 0
	s_subb_u32 s13, s10, 0
	;; [unrolled: 4-line block ×3, first 2 shown]
	s_cmp_ge_u32 s12, s87
	s_cselect_b32 s9, -1, 0
	s_cmp_eq_u32 s13, 0
	s_cselect_b32 s9, s9, -1
	s_cmp_lg_u32 s9, 0
	s_cselect_b32 s8, s8, s13
	s_cselect_b32 s12, s58, s12
	s_cmp_ge_u32 s11, s87
	s_cselect_b32 s9, -1, 0
	s_cmp_eq_u32 s10, 0
	s_cselect_b32 s9, s9, -1
	s_cmp_lg_u32 s9, 0
	s_mov_b64 s[58:59], s[90:91]
	s_cselect_b32 s9, s8, s10
	s_cselect_b32 s8, s12, s11
	s_mov_b64 s[10:11], 0
	s_branch .LBB219_246
.LBB219_244:                            ;   in Loop: Header=BB219_12 Depth=1
	s_mov_b64 s[76:77], -1
	s_branch .LBB219_258
.LBB219_245:                            ;   in Loop: Header=BB219_12 Depth=1
	s_mov_b64 s[10:11], -1
                                        ; implicit-def: $sgpr8_sgpr9
.LBB219_246:                            ;   in Loop: Header=BB219_12 Depth=1
	s_andn2_b64 vcc, exec, s[10:11]
	s_cbranch_vccnz .LBB219_248
; %bb.247:                              ;   in Loop: Header=BB219_12 Depth=1
	v_cvt_f32_u32_e32 v6, s87
	s_sub_i32 s8, 0, s87
	v_readlane_b32 s10, v47, 35
	v_rcp_iflag_f32_e32 v6, v6
	v_mul_f32_e32 v6, 0x4f7ffffe, v6
	v_cvt_u32_f32_e32 v6, v6
	v_readfirstlane_b32 s9, v6
	s_mul_i32 s8, s8, s9
	s_mul_hi_u32 s8, s9, s8
	s_add_i32 s9, s9, s8
	s_mul_hi_u32 s8, s10, s9
	s_mul_i32 s8, s8, s87
	s_sub_i32 s8, s10, s8
	s_sub_i32 s9, s8, s87
	s_cmp_ge_u32 s8, s87
	s_cselect_b32 s8, s9, s8
	s_sub_i32 s9, s8, s87
	s_cmp_ge_u32 s8, s87
	s_cselect_b32 s88, s9, s8
	s_mov_b64 s[8:9], s[88:89]
.LBB219_248:                            ;   in Loop: Header=BB219_12 Depth=1
	v_readlane_b32 s10, v47, 35
	v_readlane_b32 s12, v47, 37
	s_sub_u32 s10, s10, s8
	v_readlane_b32 s13, v47, 38
	s_subb_u32 s11, s13, s9
	v_cmp_gt_u64_e32 vcc, s[10:11], v[0:1]
                                        ; implicit-def: $vgpr10
	s_and_saveexec_b64 s[8:9], vcc
	s_cbranch_execz .LBB219_257
; %bb.249:                              ;   in Loop: Header=BB219_12 Depth=1
	v_mov_b32_e32 v7, v1
	s_mov_b64 s[94:95], s[58:59]
	s_mov_b64 s[12:13], 0
	v_mov_b32_e32 v6, v0
                                        ; implicit-def: $sgpr76_sgpr77
	s_branch .LBB219_252
.LBB219_250:                            ;   in Loop: Header=BB219_252 Depth=2
	s_or_b64 exec, exec, s[90:91]
	s_waitcnt lgkmcnt(0)
	s_barrier
	ds_read_b32 v10, v3 offset:3072
	s_mov_b64 s[58:59], -1
	s_mov_b64 s[70:71], -1
	s_waitcnt lgkmcnt(0)
	s_barrier
	v_and_b32_e32 v11, 0x7fff, v10
	v_cmp_eq_u32_e32 vcc, 0, v11
	s_cbranch_vccnz .LBB219_255
.LBB219_251:                            ;   in Loop: Header=BB219_252 Depth=2
	s_and_b64 s[58:59], exec, s[58:59]
	s_or_b64 s[12:13], s[58:59], s[12:13]
	s_andn2_b64 s[58:59], s[76:77], exec
	s_and_b64 s[70:71], s[70:71], exec
	s_or_b64 s[76:77], s[58:59], s[70:71]
	s_andn2_b64 exec, exec, s[12:13]
	s_cbranch_execz .LBB219_256
.LBB219_252:                            ;   Parent Loop BB219_12 Depth=1
                                        ; =>  This Inner Loop Header: Depth=2
	v_cmp_gt_u64_e32 vcc, s[64:65], v[6:7]
	s_and_saveexec_b64 s[90:91], vcc
	s_cbranch_execz .LBB219_250
; %bb.253:                              ;   in Loop: Header=BB219_252 Depth=2
	v_mul_lo_u32 v21, v7, s62
	v_mul_lo_u32 v22, v6, s63
	v_mad_u64_u32 v[10:11], s[58:59], v6, s62, 0
	v_add3_u32 v11, v11, v22, v21
	v_lshlrev_b64 v[10:11], 1, v[10:11]
	v_mov_b32_e32 v21, s86
	v_add_co_u32_e32 v10, vcc, s33, v10
	v_addc_co_u32_e32 v11, vcc, v21, v11, vcc
	global_load_ushort v10, v[10:11], off
	s_waitcnt vmcnt(0)
	v_cmp_lt_i16_e32 vcc, -1, v10
	v_cndmask_b32_e32 v11, v33, v34, vcc
	v_lshlrev_b32_e32 v21, 16, v10
	v_xor_b32_sdwa v11, v11, v10 dst_sel:DWORD dst_unused:UNUSED_PAD src0_sel:DWORD src1_sel:WORD_0
	v_cmp_o_f32_e32 vcc, v21, v21
	v_cndmask_b32_e32 v11, v33, v11, vcc
	v_and_b32_e32 v11, v11, v8
	v_cmp_eq_u32_e32 vcc, v11, v9
	s_and_b64 exec, exec, vcc
	s_cbranch_execz .LBB219_250
; %bb.254:                              ;   in Loop: Header=BB219_252 Depth=2
	s_movk_i32 s58, 0x3f80
	v_perm_b32 v10, v10, s58, v37
	ds_write_b32 v3, v10 offset:3072
	s_branch .LBB219_250
.LBB219_255:                            ;   in Loop: Header=BB219_252 Depth=2
	v_add_co_u32_e32 v6, vcc, s87, v6
	v_addc_co_u32_e32 v7, vcc, 0, v7, vcc
	v_cmp_le_u64_e32 vcc, s[10:11], v[6:7]
	s_mov_b64 s[70:71], 0
	s_orn2_b64 s[58:59], vcc, exec
	s_branch .LBB219_251
.LBB219_256:                            ;   in Loop: Header=BB219_12 Depth=1
	s_or_b64 exec, exec, s[12:13]
	s_andn2_b64 s[4:5], s[4:5], exec
	s_and_b64 s[10:11], s[76:77], exec
	v_lshrrev_b32_e32 v10, 16, v10
	s_or_b64 s[4:5], s[4:5], s[10:11]
	s_mov_b64 s[58:59], s[94:95]
.LBB219_257:                            ;   in Loop: Header=BB219_12 Depth=1
	s_or_b64 exec, exec, s[8:9]
	s_mov_b64 s[76:77], 0
	s_mov_b64 s[10:11], -1
.LBB219_258:                            ;   in Loop: Header=BB219_12 Depth=1
	s_orn2_b64 s[12:13], s[4:5], exec
.LBB219_259:                            ;   in Loop: Header=BB219_12 Depth=1
	s_or_b64 exec, exec, s[58:59]
	s_mov_b64 s[58:59], 0
	s_and_saveexec_b64 s[4:5], s[12:13]
	s_cbranch_execz .LBB219_270
; %bb.260:                              ;   in Loop: Header=BB219_12 Depth=1
	v_readlane_b32 s8, v47, 60
	v_readlane_b32 s9, v47, 61
	v_mov_b32_e32 v6, 1
	s_xor_b64 s[8:9], s[8:9], -1
	v_mov_b32_e32 v7, 0
	v_mov_b32_e32 v2, 1
	s_and_saveexec_b64 s[12:13], s[8:9]
	s_cbranch_execz .LBB219_269
; %bb.261:                              ;   in Loop: Header=BB219_12 Depth=1
	v_cmp_ge_u64_e32 vcc, s[28:29], v[4:5]
	s_and_saveexec_b64 s[8:9], vcc
	s_xor_b64 s[58:59], exec, s[8:9]
	s_cbranch_execz .LBB219_266
; %bb.262:                              ;   in Loop: Header=BB219_12 Depth=1
	ds_read_b64 v[6:7], v3 offset:5120
	v_or_b32_e32 v9, s92, v9
	v_or_b32_e32 v8, s92, v8
	s_waitcnt lgkmcnt(0)
	v_cmp_ne_u64_e32 vcc, 0, v[6:7]
	s_cbranch_vccnz .LBB219_266
; %bb.263:                              ;   in Loop: Header=BB219_12 Depth=1
	s_mov_b64 s[70:71], exec
	v_readlane_b32 s8, v47, 12
	v_readlane_b32 s9, v47, 13
	s_and_b64 s[8:9], s[70:71], s[8:9]
	s_mov_b64 exec, s[8:9]
; %bb.264:                              ;   in Loop: Header=BB219_12 Depth=1
	v_mov_b32_e32 v6, s28
	v_mov_b32_e32 v7, s29
	ds_write_b64 v3, v[6:7] offset:5128
; %bb.265:                              ;   in Loop: Header=BB219_12 Depth=1
	s_or_b64 exec, exec, s[70:71]
	s_waitcnt lgkmcnt(0)
	s_barrier
.LBB219_266:                            ;   in Loop: Header=BB219_12 Depth=1
	s_andn2_saveexec_b64 s[58:59], s[58:59]
; %bb.267:                              ;   in Loop: Header=BB219_12 Depth=1
	v_mov_b32_e32 v2, s29
	v_subrev_co_u32_e32 v4, vcc, s28, v4
	v_subb_co_u32_e32 v5, vcc, v5, v2, vcc
; %bb.268:                              ;   in Loop: Header=BB219_12 Depth=1
	s_or_b64 exec, exec, s[58:59]
	v_mov_b32_e32 v7, v5
	v_mov_b32_e32 v2, 8
	;; [unrolled: 1-line block ×3, first 2 shown]
.LBB219_269:                            ;   in Loop: Header=BB219_12 Depth=1
	s_or_b64 exec, exec, s[12:13]
	v_mov_b32_e32 v4, v6
	s_mov_b64 s[58:59], exec
	v_mov_b32_e32 v5, v7
.LBB219_270:                            ;   in Loop: Header=BB219_12 Depth=1
	s_or_b64 exec, exec, s[4:5]
	s_orn2_b64 s[4:5], s[58:59], exec
.LBB219_271:                            ;   in Loop: Header=BB219_12 Depth=1
	s_or_b64 exec, exec, s[56:57]
	s_andn2_b64 s[8:9], s[52:53], exec
	s_and_b64 s[10:11], s[10:11], exec
	s_or_b64 s[52:53], s[8:9], s[10:11]
	s_andn2_b64 s[8:9], s[50:51], exec
	s_and_b64 s[10:11], s[76:77], exec
	v_mov_b32_e32 v7, v5
	s_or_b64 s[50:51], s[8:9], s[10:11]
	s_and_b64 s[8:9], s[4:5], exec
	v_mov_b32_e32 v6, v4
.LBB219_272:                            ;   in Loop: Header=BB219_12 Depth=1
	s_or_b64 exec, exec, s[54:55]
	s_orn2_b64 s[4:5], s[8:9], exec
.LBB219_273:                            ;   in Loop: Header=BB219_12 Depth=1
	s_or_b64 exec, exec, s[48:49]
	s_andn2_b64 s[8:9], s[34:35], exec
	s_and_b64 s[10:11], s[52:53], exec
	s_or_b64 s[34:35], s[8:9], s[10:11]
	s_andn2_b64 s[8:9], s[30:31], exec
	s_and_b64 s[10:11], s[50:51], exec
	v_mov_b32_e32 v4, v6
	s_or_b64 s[30:31], s[8:9], s[10:11]
	s_and_b64 s[8:9], s[4:5], exec
	v_mov_b32_e32 v5, v7
.LBB219_274:                            ;   in Loop: Header=BB219_12 Depth=1
	s_or_b64 exec, exec, s[46:47]
	s_orn2_b64 s[4:5], s[8:9], exec
.LBB219_275:                            ;   in Loop: Header=BB219_12 Depth=1
	s_or_b64 exec, exec, s[6:7]
	s_mov_b64 s[6:7], 0
	s_mov_b64 s[8:9], 0
	s_and_saveexec_b64 s[10:11], s[4:5]
	s_xor_b64 s[4:5], exec, s[10:11]
; %bb.276:                              ;   in Loop: Header=BB219_12 Depth=1
	v_cmp_eq_u32_e32 vcc, 8, v2
	v_cmp_ne_u32_e64 s[6:7], 8, v2
	s_and_b64 s[8:9], s[6:7], exec
	s_and_b64 s[6:7], vcc, exec
; %bb.277:                              ;   in Loop: Header=BB219_12 Depth=1
	s_or_b64 exec, exec, s[4:5]
	s_andn2_b64 s[4:5], s[38:39], exec
	s_and_b64 s[10:11], s[34:35], exec
	s_or_b64 s[38:39], s[4:5], s[10:11]
	s_andn2_b64 s[4:5], s[36:37], exec
	s_and_b64 s[10:11], s[30:31], exec
	s_or_b64 s[36:37], s[4:5], s[10:11]
	s_and_b64 s[30:31], s[8:9], exec
	s_and_b64 s[34:35], s[6:7], exec
.LBB219_278:                            ;   in Loop: Header=BB219_12 Depth=1
	s_or_b64 exec, exec, s[44:45]
.LBB219_279:                            ;   in Loop: Header=BB219_12 Depth=1
	s_and_b64 vcc, exec, s[40:41]
	s_cbranch_vccz .LBB219_295
; %bb.280:                              ;   in Loop: Header=BB219_12 Depth=1
	s_cmp_eq_u64 s[28:29], 1
	s_cselect_b64 s[4:5], -1, 0
	s_and_b64 s[6:7], s[4:5], s[18:19]
	s_mov_b64 s[4:5], -1
                                        ; implicit-def: $sgpr18_sgpr19
                                        ; implicit-def: $sgpr22_sgpr23
	s_and_saveexec_b64 s[36:37], s[6:7]
	s_cbranch_execz .LBB219_313
; %bb.281:                              ;   in Loop: Header=BB219_12 Depth=1
	ds_read_b64 v[4:5], v3 offset:5120
	s_waitcnt lgkmcnt(0)
	s_barrier
	v_readfirstlane_b32 s8, v4
	v_readfirstlane_b32 s9, v5
	s_mov_b64 s[4:5], exec
	v_readlane_b32 s10, v47, 30
	v_readlane_b32 s11, v47, 31
	s_and_b64 s[10:11], s[4:5], s[10:11]
	s_mov_b64 exec, s[10:11]
; %bb.282:                              ;   in Loop: Header=BB219_12 Depth=1
	ds_write_b16 v28, v3
; %bb.283:                              ;   in Loop: Header=BB219_12 Depth=1
	s_or_b64 exec, exec, s[4:5]
	v_or_b32_e32 v30, s92, v30
	v_or_b32_e32 v38, s92, v38
	s_mov_b64 s[22:23], -1
	s_mov_b64 s[18:19], 0
	s_cmp_eq_u64 s[8:9], 0
	s_mov_b64 s[4:5], 0
	s_mov_b64 s[10:11], -1
	s_waitcnt lgkmcnt(0)
	s_barrier
                                        ; implicit-def: $vgpr39
	s_cbranch_scc1 .LBB219_298
; %bb.284:                              ;   in Loop: Header=BB219_12 Depth=1
	v_readlane_b32 s4, v47, 34
	s_add_u32 s38, s8, s4
	v_readlane_b32 s4, v47, 36
	s_addc_u32 s5, s9, s4
	s_mov_b32 s4, s89
	s_cmp_lg_u64 s[4:5], 0
	s_cbranch_scc0 .LBB219_339
; %bb.285:                              ;   in Loop: Header=BB219_12 Depth=1
	v_cvt_f32_u32_e32 v2, s87
	s_sub_u32 s4, 0, s87
	s_subb_u32 s12, 0, 0
	v_mac_f32_e32 v2, 0, v35
	v_rcp_f32_e32 v2, v2
	v_mul_f32_e32 v2, 0x5f7ffffc, v2
	v_mul_f32_e32 v4, 0x2f800000, v2
	v_trunc_f32_e32 v4, v4
	v_mac_f32_e32 v2, 0xcf800000, v4
	v_cvt_u32_f32_e32 v4, v4
	v_cvt_u32_f32_e32 v2, v2
	v_readfirstlane_b32 s13, v4
	v_readfirstlane_b32 s10, v2
	s_mul_i32 s11, s4, s13
	s_mul_hi_u32 s40, s4, s10
	s_mul_i32 s39, s12, s10
	s_add_i32 s11, s40, s11
	s_mul_i32 s41, s4, s10
	s_add_i32 s11, s11, s39
	s_mul_hi_u32 s40, s10, s41
	s_mul_i32 s44, s10, s11
	s_mul_hi_u32 s39, s10, s11
	s_add_u32 s40, s40, s44
	s_addc_u32 s39, 0, s39
	s_mul_hi_u32 s45, s13, s41
	s_mul_i32 s41, s13, s41
	s_add_u32 s40, s40, s41
	s_mul_hi_u32 s44, s13, s11
	s_addc_u32 s39, s39, s45
	s_addc_u32 s40, s44, 0
	s_mul_i32 s11, s13, s11
	s_add_u32 s11, s39, s11
	s_addc_u32 s39, 0, s40
	s_add_u32 s40, s10, s11
	s_cselect_b64 s[10:11], -1, 0
	s_cmp_lg_u64 s[10:11], 0
	s_addc_u32 s13, s13, s39
	s_mul_i32 s10, s4, s13
	s_mul_hi_u32 s11, s4, s40
	s_add_i32 s10, s11, s10
	s_mul_i32 s12, s12, s40
	s_add_i32 s10, s10, s12
	s_mul_i32 s4, s4, s40
	s_mul_hi_u32 s12, s13, s4
	s_mul_i32 s39, s13, s4
	s_mul_i32 s44, s40, s10
	s_mul_hi_u32 s4, s40, s4
	s_mul_hi_u32 s41, s40, s10
	s_add_u32 s4, s4, s44
	s_addc_u32 s41, 0, s41
	s_add_u32 s4, s4, s39
	s_mul_hi_u32 s11, s13, s10
	s_addc_u32 s4, s41, s12
	s_addc_u32 s11, s11, 0
	s_mul_i32 s10, s13, s10
	s_add_u32 s4, s4, s10
	s_addc_u32 s12, 0, s11
	s_add_u32 s4, s40, s4
	s_cselect_b64 s[10:11], -1, 0
	s_cmp_lg_u64 s[10:11], 0
	s_addc_u32 s10, s13, s12
	s_mul_i32 s12, s38, s10
	s_mul_hi_u32 s13, s38, s4
	s_mul_hi_u32 s11, s38, s10
	s_add_u32 s12, s13, s12
	s_addc_u32 s11, 0, s11
	s_mul_hi_u32 s39, s5, s4
	s_mul_i32 s4, s5, s4
	s_add_u32 s4, s12, s4
	s_mul_hi_u32 s13, s5, s10
	s_addc_u32 s4, s11, s39
	s_addc_u32 s11, s13, 0
	s_mul_i32 s10, s5, s10
	s_add_u32 s4, s4, s10
	s_addc_u32 s10, 0, s11
	s_mul_i32 s10, s87, s10
	s_mul_hi_u32 s11, s87, s4
	s_add_i32 s12, s11, s10
	s_mul_i32 s4, s87, s4
	s_sub_u32 s4, s38, s4
	s_cselect_b64 s[10:11], -1, 0
	s_cmp_lg_u64 s[10:11], 0
	s_subb_u32 s12, s5, s12
	s_sub_u32 s13, s4, s87
	s_cselect_b64 s[10:11], -1, 0
	s_cmp_lg_u64 s[10:11], 0
	s_subb_u32 s39, s12, 0
	;; [unrolled: 4-line block ×3, first 2 shown]
	s_cmp_ge_u32 s13, s87
	s_cselect_b32 s11, -1, 0
	s_cmp_eq_u32 s39, 0
	s_cselect_b32 s11, s11, -1
	s_cmp_lg_u32 s11, 0
	s_cselect_b32 s10, s10, s39
	s_cselect_b32 s13, s40, s13
	s_cmp_ge_u32 s4, s87
	s_cselect_b32 s11, -1, 0
	s_cmp_eq_u32 s12, 0
	s_cselect_b32 s11, s11, -1
	s_cmp_lg_u32 s11, 0
	s_cselect_b32 s11, s10, s12
	s_cselect_b32 s10, s13, s4
	s_cbranch_execnz .LBB219_287
.LBB219_286:                            ;   in Loop: Header=BB219_12 Depth=1
	v_cvt_f32_u32_e32 v2, s87
	s_sub_i32 s4, 0, s87
	v_rcp_iflag_f32_e32 v2, v2
	v_mul_f32_e32 v2, 0x4f7ffffe, v2
	v_cvt_u32_f32_e32 v2, v2
	v_readfirstlane_b32 s10, v2
	s_mul_i32 s4, s4, s10
	s_mul_hi_u32 s4, s10, s4
	s_add_i32 s10, s10, s4
	s_mul_hi_u32 s4, s38, s10
	s_mul_i32 s4, s4, s87
	s_sub_i32 s4, s38, s4
	s_sub_i32 s10, s4, s87
	s_cmp_ge_u32 s4, s87
	s_cselect_b32 s4, s10, s4
	s_sub_i32 s10, s4, s87
	s_cmp_ge_u32 s4, s87
	s_cselect_b32 s88, s10, s4
	s_mov_b64 s[10:11], s[88:89]
.LBB219_287:                            ;   in Loop: Header=BB219_12 Depth=1
	s_sub_u32 s38, s38, s10
	s_subb_u32 s39, s5, s11
	v_cmp_gt_u64_e32 vcc, s[38:39], v[0:1]
	s_mov_b64 s[10:11], 0
	s_mov_b64 s[4:5], 0
                                        ; implicit-def: $vgpr39
	s_and_saveexec_b64 s[12:13], vcc
	s_cbranch_execz .LBB219_297
; %bb.288:                              ;   in Loop: Header=BB219_12 Depth=1
	v_mov_b32_e32 v5, v1
	v_mov_b32_e32 v2, v27
	;; [unrolled: 1-line block ×3, first 2 shown]
                                        ; implicit-def: $sgpr40_sgpr41
	s_branch .LBB219_291
.LBB219_289:                            ;   in Loop: Header=BB219_291 Depth=2
	s_or_b64 exec, exec, s[44:45]
	s_waitcnt lgkmcnt(0)
	s_barrier
	ds_read_b32 v6, v3 offset:3072
	s_mov_b64 s[44:45], -1
	s_mov_b64 s[46:47], -1
	s_waitcnt lgkmcnt(0)
	s_barrier
	v_and_b32_e32 v7, 0x7fff, v6
	v_cmp_ne_u32_e32 vcc, 0, v7
	s_cbranch_vccz .LBB219_294
.LBB219_290:                            ;   in Loop: Header=BB219_291 Depth=2
	s_and_b64 s[44:45], exec, s[44:45]
	s_or_b64 s[4:5], s[44:45], s[4:5]
	s_andn2_b64 s[40:41], s[40:41], exec
	s_and_b64 s[44:45], s[46:47], exec
	s_or_b64 s[40:41], s[40:41], s[44:45]
	s_andn2_b64 exec, exec, s[4:5]
	s_cbranch_execz .LBB219_296
.LBB219_291:                            ;   Parent Loop BB219_12 Depth=1
                                        ; =>  This Inner Loop Header: Depth=2
	v_cmp_gt_u64_e32 vcc, s[8:9], v[4:5]
	s_and_saveexec_b64 s[44:45], vcc
	s_cbranch_execz .LBB219_289
; %bb.292:                              ;   in Loop: Header=BB219_291 Depth=2
	ds_read_u16 v6, v2
	s_waitcnt lgkmcnt(0)
	v_cmp_lt_i16_e32 vcc, -1, v6
	v_cndmask_b32_e32 v7, v33, v34, vcc
	v_lshlrev_b32_e32 v8, 16, v6
	v_cmp_o_f32_e32 vcc, v8, v8
	v_xor_b32_sdwa v7, v7, v6 dst_sel:DWORD dst_unused:UNUSED_PAD src0_sel:DWORD src1_sel:WORD_0
	v_cndmask_b32_e32 v7, v33, v7, vcc
	v_and_b32_e32 v7, v7, v38
	v_cmp_eq_u32_e32 vcc, v7, v30
	s_and_b64 exec, exec, vcc
	s_cbranch_execz .LBB219_289
; %bb.293:                              ;   in Loop: Header=BB219_291 Depth=2
	s_movk_i32 s46, 0x3f80
	v_perm_b32 v6, v6, s46, v37
	ds_write_b32 v3, v6 offset:3072
	s_branch .LBB219_289
.LBB219_294:                            ;   in Loop: Header=BB219_291 Depth=2
	v_add_co_u32_e32 v4, vcc, s87, v4
	v_addc_co_u32_e32 v5, vcc, 0, v5, vcc
	v_cmp_le_u64_e32 vcc, s[38:39], v[4:5]
	v_readlane_b32 s44, v47, 50
	v_add_u32_e32 v2, s44, v2
	s_mov_b64 s[46:47], 0
	s_orn2_b64 s[44:45], vcc, exec
	s_branch .LBB219_290
.LBB219_295:                            ;   in Loop: Header=BB219_12 Depth=1
	s_mov_b64 s[18:19], 0
	v_mov_b32_e32 v30, v9
	v_mov_b32_e32 v38, v8
	;; [unrolled: 1-line block ×3, first 2 shown]
	s_and_saveexec_b64 s[4:5], s[34:35]
	s_cbranch_execnz .LBB219_472
	s_branch .LBB219_473
.LBB219_296:                            ;   in Loop: Header=BB219_12 Depth=1
	s_or_b64 exec, exec, s[4:5]
	v_lshrrev_b32_e32 v39, 16, v6
	s_and_b64 s[4:5], s[40:41], exec
.LBB219_297:                            ;   in Loop: Header=BB219_12 Depth=1
	s_or_b64 exec, exec, s[12:13]
.LBB219_298:                            ;   in Loop: Header=BB219_12 Depth=1
	s_and_b64 vcc, exec, s[10:11]
	s_cbranch_vccz .LBB219_312
; %bb.299:                              ;   in Loop: Header=BB219_12 Depth=1
	v_readlane_b32 s38, v47, 37
	v_readlane_b32 s39, v47, 38
	s_mov_b32 s38, s89
	s_cmp_lg_u64 s[38:39], 0
	v_writelane_b32 v47, s38, 37
	v_writelane_b32 v47, s39, 38
	s_cbranch_scc0 .LBB219_340
; %bb.300:                              ;   in Loop: Header=BB219_12 Depth=1
	v_cvt_f32_u32_e32 v2, s87
	s_sub_u32 s10, 0, s87
	s_subb_u32 s11, 0, 0
	v_mac_f32_e32 v2, 0, v35
	v_rcp_f32_e32 v2, v2
	v_mul_f32_e32 v2, 0x5f7ffffc, v2
	v_mul_f32_e32 v4, 0x2f800000, v2
	v_trunc_f32_e32 v4, v4
	v_mac_f32_e32 v2, 0xcf800000, v4
	v_cvt_u32_f32_e32 v4, v4
	v_cvt_u32_f32_e32 v2, v2
	v_readfirstlane_b32 s12, v4
	v_readfirstlane_b32 s8, v2
	s_mul_i32 s9, s10, s12
	s_mul_hi_u32 s18, s10, s8
	s_mul_i32 s13, s11, s8
	s_add_i32 s9, s18, s9
	s_mul_i32 s19, s10, s8
	s_add_i32 s9, s9, s13
	s_mul_hi_u32 s18, s8, s19
	s_mul_i32 s22, s8, s9
	s_mul_hi_u32 s13, s8, s9
	s_add_u32 s18, s18, s22
	s_addc_u32 s13, 0, s13
	s_mul_hi_u32 s23, s12, s19
	s_mul_i32 s19, s12, s19
	s_add_u32 s18, s18, s19
	s_mul_hi_u32 s22, s12, s9
	s_addc_u32 s13, s13, s23
	s_addc_u32 s18, s22, 0
	s_mul_i32 s9, s12, s9
	s_add_u32 s9, s13, s9
	s_addc_u32 s13, 0, s18
	s_add_u32 s18, s8, s9
	s_cselect_b64 s[8:9], -1, 0
	s_cmp_lg_u64 s[8:9], 0
	s_addc_u32 s12, s12, s13
	s_mul_i32 s8, s10, s12
	s_mul_hi_u32 s9, s10, s18
	s_add_i32 s8, s9, s8
	s_mul_i32 s11, s11, s18
	s_add_i32 s8, s8, s11
	s_mul_i32 s10, s10, s18
	s_mul_hi_u32 s11, s12, s10
	s_mul_i32 s13, s12, s10
	s_mul_i32 s22, s18, s8
	s_mul_hi_u32 s10, s18, s10
	s_mul_hi_u32 s19, s18, s8
	s_add_u32 s10, s10, s22
	s_addc_u32 s19, 0, s19
	s_add_u32 s10, s10, s13
	s_mul_hi_u32 s9, s12, s8
	s_addc_u32 s10, s19, s11
	s_addc_u32 s9, s9, 0
	s_mul_i32 s8, s12, s8
	s_add_u32 s8, s10, s8
	s_addc_u32 s10, 0, s9
	s_add_u32 s11, s18, s8
	s_cselect_b64 s[8:9], -1, 0
	s_cmp_lg_u64 s[8:9], 0
	s_addc_u32 s8, s12, s10
	v_readlane_b32 s18, v47, 35
	s_mul_i32 s10, s18, s8
	s_mul_hi_u32 s12, s18, s11
	s_mul_hi_u32 s9, s18, s8
	s_add_u32 s10, s12, s10
	s_addc_u32 s9, 0, s9
	s_mul_hi_u32 s13, s39, s11
	s_mul_i32 s11, s39, s11
	s_add_u32 s10, s10, s11
	s_mul_hi_u32 s12, s39, s8
	s_addc_u32 s9, s9, s13
	s_addc_u32 s10, s12, 0
	s_mul_i32 s8, s39, s8
	s_add_u32 s8, s9, s8
	s_addc_u32 s9, 0, s10
	s_mul_i32 s9, s87, s9
	s_mul_hi_u32 s10, s87, s8
	s_add_i32 s10, s10, s9
	s_mul_i32 s8, s87, s8
	s_sub_u32 s11, s18, s8
	s_cselect_b64 s[8:9], -1, 0
	s_cmp_lg_u64 s[8:9], 0
	s_subb_u32 s10, s39, s10
	s_sub_u32 s12, s11, s87
	s_cselect_b64 s[8:9], -1, 0
	s_cmp_lg_u64 s[8:9], 0
	s_subb_u32 s13, s10, 0
	;; [unrolled: 4-line block ×3, first 2 shown]
	s_cmp_ge_u32 s12, s87
	s_cselect_b32 s9, -1, 0
	s_cmp_eq_u32 s13, 0
	s_cselect_b32 s9, s9, -1
	s_cmp_lg_u32 s9, 0
	s_cselect_b32 s8, s8, s13
	s_cselect_b32 s12, s18, s12
	s_cmp_ge_u32 s11, s87
	s_cselect_b32 s9, -1, 0
	s_cmp_eq_u32 s10, 0
	s_cselect_b32 s9, s9, -1
	s_cmp_lg_u32 s9, 0
	s_cselect_b32 s9, s8, s10
	s_cselect_b32 s8, s12, s11
	s_cbranch_execnz .LBB219_302
.LBB219_301:                            ;   in Loop: Header=BB219_12 Depth=1
	v_cvt_f32_u32_e32 v2, s87
	s_sub_i32 s8, 0, s87
	v_readlane_b32 s10, v47, 35
	v_rcp_iflag_f32_e32 v2, v2
	v_mul_f32_e32 v2, 0x4f7ffffe, v2
	v_cvt_u32_f32_e32 v2, v2
	v_readfirstlane_b32 s9, v2
	s_mul_i32 s8, s8, s9
	s_mul_hi_u32 s8, s9, s8
	s_add_i32 s9, s9, s8
	s_mul_hi_u32 s8, s10, s9
	s_mul_i32 s8, s8, s87
	s_sub_i32 s8, s10, s8
	s_sub_i32 s9, s8, s87
	s_cmp_ge_u32 s8, s87
	s_cselect_b32 s8, s9, s8
	s_sub_i32 s9, s8, s87
	s_cmp_ge_u32 s8, s87
	s_cselect_b32 s88, s9, s8
	s_mov_b64 s[8:9], s[88:89]
.LBB219_302:                            ;   in Loop: Header=BB219_12 Depth=1
	v_readlane_b32 s10, v47, 35
	v_readlane_b32 s12, v47, 37
	s_sub_u32 s10, s10, s8
	v_readlane_b32 s13, v47, 38
	s_subb_u32 s11, s13, s9
	v_cmp_gt_u64_e32 vcc, s[10:11], v[0:1]
                                        ; implicit-def: $vgpr39
	s_and_saveexec_b64 s[8:9], vcc
	s_cbranch_execz .LBB219_311
; %bb.303:                              ;   in Loop: Header=BB219_12 Depth=1
	v_mov_b32_e32 v5, v1
	s_mov_b64 s[12:13], 0
	v_mov_b32_e32 v4, v0
                                        ; implicit-def: $sgpr18_sgpr19
	s_branch .LBB219_306
.LBB219_304:                            ;   in Loop: Header=BB219_306 Depth=2
	s_or_b64 exec, exec, s[22:23]
	s_waitcnt lgkmcnt(0)
	s_barrier
	ds_read_b32 v2, v3 offset:3072
	s_mov_b64 s[22:23], -1
	s_mov_b64 s[38:39], -1
	s_waitcnt lgkmcnt(0)
	s_barrier
	v_and_b32_e32 v6, 0x7fff, v2
	v_cmp_ne_u32_e32 vcc, 0, v6
	s_cbranch_vccz .LBB219_309
.LBB219_305:                            ;   in Loop: Header=BB219_306 Depth=2
	s_and_b64 s[22:23], exec, s[22:23]
	s_or_b64 s[12:13], s[22:23], s[12:13]
	s_andn2_b64 s[18:19], s[18:19], exec
	s_and_b64 s[22:23], s[38:39], exec
	s_or_b64 s[18:19], s[18:19], s[22:23]
	s_andn2_b64 exec, exec, s[12:13]
	s_cbranch_execz .LBB219_310
.LBB219_306:                            ;   Parent Loop BB219_12 Depth=1
                                        ; =>  This Inner Loop Header: Depth=2
	v_cmp_gt_u64_e32 vcc, s[64:65], v[4:5]
	s_and_saveexec_b64 s[22:23], vcc
	s_cbranch_execz .LBB219_304
; %bb.307:                              ;   in Loop: Header=BB219_306 Depth=2
	v_mul_lo_u32 v2, v5, s62
	v_mul_lo_u32 v8, v4, s63
	v_mad_u64_u32 v[6:7], s[38:39], v4, s62, 0
	v_add3_u32 v7, v7, v8, v2
	v_lshlrev_b64 v[6:7], 1, v[6:7]
	v_mov_b32_e32 v2, s86
	v_add_co_u32_e32 v6, vcc, s33, v6
	v_addc_co_u32_e32 v7, vcc, v2, v7, vcc
	global_load_ushort v2, v[6:7], off
	s_waitcnt vmcnt(0)
	v_cmp_lt_i16_e32 vcc, -1, v2
	v_cndmask_b32_e32 v6, v33, v34, vcc
	v_lshlrev_b32_e32 v7, 16, v2
	v_xor_b32_sdwa v6, v6, v2 dst_sel:DWORD dst_unused:UNUSED_PAD src0_sel:DWORD src1_sel:WORD_0
	v_cmp_o_f32_e32 vcc, v7, v7
	v_cndmask_b32_e32 v6, v33, v6, vcc
	v_and_b32_e32 v6, v6, v38
	v_cmp_eq_u32_e32 vcc, v6, v30
	s_and_b64 exec, exec, vcc
	s_cbranch_execz .LBB219_304
; %bb.308:                              ;   in Loop: Header=BB219_306 Depth=2
	s_movk_i32 s38, 0x3f80
	v_perm_b32 v2, v2, s38, v37
	ds_write_b32 v3, v2 offset:3072
	s_branch .LBB219_304
.LBB219_309:                            ;   in Loop: Header=BB219_306 Depth=2
	v_add_co_u32_e32 v4, vcc, s87, v4
	v_addc_co_u32_e32 v5, vcc, 0, v5, vcc
	v_cmp_le_u64_e32 vcc, s[10:11], v[4:5]
	s_mov_b64 s[38:39], 0
	s_orn2_b64 s[22:23], vcc, exec
	s_branch .LBB219_305
.LBB219_310:                            ;   in Loop: Header=BB219_12 Depth=1
	s_or_b64 exec, exec, s[12:13]
	s_andn2_b64 s[4:5], s[4:5], exec
	s_and_b64 s[10:11], s[18:19], exec
	v_lshrrev_b32_e32 v39, 16, v2
	s_or_b64 s[4:5], s[4:5], s[10:11]
.LBB219_311:                            ;   in Loop: Header=BB219_12 Depth=1
	s_or_b64 exec, exec, s[8:9]
	s_mov_b64 s[22:23], 0
	s_mov_b64 s[18:19], -1
.LBB219_312:                            ;   in Loop: Header=BB219_12 Depth=1
	s_orn2_b64 s[4:5], s[4:5], exec
.LBB219_313:                            ;   in Loop: Header=BB219_12 Depth=1
	s_or_b64 exec, exec, s[36:37]
                                        ; implicit-def: $vgpr4_vgpr5
                                        ; implicit-def: $vgpr2
	s_and_saveexec_b64 s[36:37], s[4:5]
	s_cbranch_execz .LBB219_471
; %bb.314:                              ;   in Loop: Header=BB219_12 Depth=1
	v_mov_b32_e32 v4, 1
	s_xor_b64 s[8:9], s[6:7], -1
	v_mov_b32_e32 v2, 1
	v_mov_b32_e32 v5, 0
	s_mov_b64 s[6:7], 0
	s_and_saveexec_b64 s[4:5], s[8:9]
	s_cbranch_execz .LBB219_323
; %bb.315:                              ;   in Loop: Header=BB219_12 Depth=1
	v_cmp_ge_u64_e32 vcc, s[28:29], v[19:20]
	s_and_saveexec_b64 s[6:7], vcc
	s_xor_b64 s[6:7], exec, s[6:7]
	s_cbranch_execz .LBB219_320
; %bb.316:                              ;   in Loop: Header=BB219_12 Depth=1
	ds_read_b64 v[4:5], v3 offset:5120
	v_or_b32_e32 v30, s92, v30
	v_or_b32_e32 v38, s92, v38
	s_waitcnt lgkmcnt(0)
	v_cmp_ne_u64_e32 vcc, 0, v[4:5]
	s_cbranch_vccnz .LBB219_320
; %bb.317:                              ;   in Loop: Header=BB219_12 Depth=1
	s_mov_b64 s[8:9], exec
	v_readlane_b32 s10, v47, 12
	v_readlane_b32 s11, v47, 13
	s_and_b64 s[10:11], s[8:9], s[10:11]
	s_mov_b64 exec, s[10:11]
; %bb.318:                              ;   in Loop: Header=BB219_12 Depth=1
	v_mov_b32_e32 v4, s28
	v_mov_b32_e32 v5, s29
	ds_write_b64 v3, v[4:5] offset:5128
; %bb.319:                              ;   in Loop: Header=BB219_12 Depth=1
	s_or_b64 exec, exec, s[8:9]
	s_waitcnt lgkmcnt(0)
	s_barrier
.LBB219_320:                            ;   in Loop: Header=BB219_12 Depth=1
	s_or_saveexec_b64 s[6:7], s[6:7]
	s_mov_b64 s[8:9], 0
	v_mov_b32_e32 v2, 5
	s_xor_b64 exec, exec, s[6:7]
; %bb.321:                              ;   in Loop: Header=BB219_12 Depth=1
	v_subrev_co_u32_e32 v19, vcc, s28, v19
	v_mov_b32_e32 v2, s29
	v_subb_co_u32_e32 v20, vcc, v20, v2, vcc
	v_mov_b32_e32 v2, 0
	s_mov_b64 s[8:9], exec
; %bb.322:                              ;   in Loop: Header=BB219_12 Depth=1
	s_or_b64 exec, exec, s[6:7]
	v_mov_b32_e32 v4, v19
	s_and_b64 s[6:7], s[8:9], exec
	v_mov_b32_e32 v5, v20
.LBB219_323:                            ;   in Loop: Header=BB219_12 Depth=1
	s_or_b64 exec, exec, s[4:5]
	s_mov_b64 s[4:5], -1
                                        ; implicit-def: $sgpr28_sgpr29
                                        ; implicit-def: $sgpr38_sgpr39
	s_and_saveexec_b64 s[8:9], s[6:7]
	s_xor_b64 s[6:7], exec, s[8:9]
	s_cbranch_execz .LBB219_468
; %bb.324:                              ;   in Loop: Header=BB219_12 Depth=1
	s_cmp_eq_u64 s[26:27], 1
	v_cmp_eq_u64_e32 vcc, 1, v[4:5]
	s_cselect_b64 s[4:5], -1, 0
	s_and_b64 s[44:45], s[4:5], vcc
	s_mov_b64 s[4:5], -1
                                        ; implicit-def: $sgpr38_sgpr39
                                        ; implicit-def: $sgpr28_sgpr29
	s_and_saveexec_b64 s[40:41], s[44:45]
	s_cbranch_execz .LBB219_358
; %bb.325:                              ;   in Loop: Header=BB219_12 Depth=1
	ds_read_b64 v[6:7], v3 offset:5120
	s_waitcnt lgkmcnt(0)
	s_barrier
	v_readfirstlane_b32 s8, v6
	v_readfirstlane_b32 s9, v7
	s_mov_b64 s[4:5], exec
	v_readlane_b32 s10, v47, 30
	v_readlane_b32 s11, v47, 31
	s_and_b64 s[10:11], s[4:5], s[10:11]
	s_mov_b64 exec, s[10:11]
; %bb.326:                              ;   in Loop: Header=BB219_12 Depth=1
	ds_write_b16 v28, v3
; %bb.327:                              ;   in Loop: Header=BB219_12 Depth=1
	s_or_b64 exec, exec, s[4:5]
	v_and_b32_e32 v6, s93, v30
	v_lshl_or_b32 v30, 2, s85, v6
	v_or_b32_e32 v38, s92, v38
	s_mov_b64 s[28:29], -1
	s_mov_b64 s[38:39], 0
	s_cmp_eq_u64 s[8:9], 0
	s_mov_b64 s[4:5], 0
	s_mov_b64 s[10:11], -1
	s_waitcnt lgkmcnt(0)
	s_barrier
                                        ; implicit-def: $vgpr39
	s_cbranch_scc1 .LBB219_343
; %bb.328:                              ;   in Loop: Header=BB219_12 Depth=1
	v_readlane_b32 s4, v47, 34
	s_add_u32 s46, s8, s4
	v_readlane_b32 s4, v47, 36
	s_addc_u32 s5, s9, s4
	s_mov_b32 s4, s89
	s_cmp_lg_u64 s[4:5], 0
	s_cbranch_scc0 .LBB219_384
; %bb.329:                              ;   in Loop: Header=BB219_12 Depth=1
	v_cvt_f32_u32_e32 v6, s87
	s_sub_u32 s4, 0, s87
	s_subb_u32 s12, 0, 0
	v_mac_f32_e32 v6, 0, v35
	v_rcp_f32_e32 v6, v6
	v_mul_f32_e32 v6, 0x5f7ffffc, v6
	v_mul_f32_e32 v7, 0x2f800000, v6
	v_trunc_f32_e32 v7, v7
	v_mac_f32_e32 v6, 0xcf800000, v7
	v_cvt_u32_f32_e32 v7, v7
	v_cvt_u32_f32_e32 v6, v6
	v_readfirstlane_b32 s13, v7
	v_readfirstlane_b32 s10, v6
	s_mul_i32 s11, s4, s13
	s_mul_hi_u32 s48, s4, s10
	s_mul_i32 s47, s12, s10
	s_add_i32 s11, s48, s11
	s_mul_i32 s49, s4, s10
	s_add_i32 s11, s11, s47
	s_mul_hi_u32 s48, s10, s49
	s_mul_i32 s50, s10, s11
	s_mul_hi_u32 s47, s10, s11
	s_add_u32 s48, s48, s50
	s_addc_u32 s47, 0, s47
	s_mul_hi_u32 s51, s13, s49
	s_mul_i32 s49, s13, s49
	s_add_u32 s48, s48, s49
	s_mul_hi_u32 s50, s13, s11
	s_addc_u32 s47, s47, s51
	s_addc_u32 s48, s50, 0
	s_mul_i32 s11, s13, s11
	s_add_u32 s11, s47, s11
	s_addc_u32 s47, 0, s48
	s_add_u32 s48, s10, s11
	s_cselect_b64 s[10:11], -1, 0
	s_cmp_lg_u64 s[10:11], 0
	s_addc_u32 s13, s13, s47
	s_mul_i32 s10, s4, s13
	s_mul_hi_u32 s11, s4, s48
	s_add_i32 s10, s11, s10
	s_mul_i32 s12, s12, s48
	s_add_i32 s10, s10, s12
	s_mul_i32 s4, s4, s48
	s_mul_hi_u32 s12, s13, s4
	s_mul_i32 s47, s13, s4
	s_mul_i32 s50, s48, s10
	s_mul_hi_u32 s4, s48, s4
	s_mul_hi_u32 s49, s48, s10
	s_add_u32 s4, s4, s50
	s_addc_u32 s49, 0, s49
	s_add_u32 s4, s4, s47
	s_mul_hi_u32 s11, s13, s10
	s_addc_u32 s4, s49, s12
	s_addc_u32 s11, s11, 0
	s_mul_i32 s10, s13, s10
	s_add_u32 s4, s4, s10
	s_addc_u32 s12, 0, s11
	s_add_u32 s4, s48, s4
	s_cselect_b64 s[10:11], -1, 0
	s_cmp_lg_u64 s[10:11], 0
	s_addc_u32 s10, s13, s12
	s_mul_i32 s12, s46, s10
	s_mul_hi_u32 s13, s46, s4
	s_mul_hi_u32 s11, s46, s10
	s_add_u32 s12, s13, s12
	s_addc_u32 s11, 0, s11
	s_mul_hi_u32 s47, s5, s4
	s_mul_i32 s4, s5, s4
	s_add_u32 s4, s12, s4
	s_mul_hi_u32 s13, s5, s10
	s_addc_u32 s4, s11, s47
	s_addc_u32 s11, s13, 0
	s_mul_i32 s10, s5, s10
	s_add_u32 s4, s4, s10
	s_addc_u32 s10, 0, s11
	s_mul_i32 s10, s87, s10
	s_mul_hi_u32 s11, s87, s4
	s_add_i32 s12, s11, s10
	s_mul_i32 s4, s87, s4
	s_sub_u32 s4, s46, s4
	s_cselect_b64 s[10:11], -1, 0
	s_cmp_lg_u64 s[10:11], 0
	s_subb_u32 s12, s5, s12
	s_sub_u32 s13, s4, s87
	s_cselect_b64 s[10:11], -1, 0
	s_cmp_lg_u64 s[10:11], 0
	s_subb_u32 s47, s12, 0
	;; [unrolled: 4-line block ×3, first 2 shown]
	s_cmp_ge_u32 s13, s87
	s_cselect_b32 s11, -1, 0
	s_cmp_eq_u32 s47, 0
	s_cselect_b32 s11, s11, -1
	s_cmp_lg_u32 s11, 0
	s_cselect_b32 s10, s10, s47
	s_cselect_b32 s13, s48, s13
	s_cmp_ge_u32 s4, s87
	s_cselect_b32 s11, -1, 0
	s_cmp_eq_u32 s12, 0
	s_cselect_b32 s11, s11, -1
	s_cmp_lg_u32 s11, 0
	s_cselect_b32 s11, s10, s12
	s_cselect_b32 s10, s13, s4
	s_cbranch_execnz .LBB219_331
.LBB219_330:                            ;   in Loop: Header=BB219_12 Depth=1
	v_cvt_f32_u32_e32 v6, s87
	s_sub_i32 s4, 0, s87
	v_rcp_iflag_f32_e32 v6, v6
	v_mul_f32_e32 v6, 0x4f7ffffe, v6
	v_cvt_u32_f32_e32 v6, v6
	v_readfirstlane_b32 s10, v6
	s_mul_i32 s4, s4, s10
	s_mul_hi_u32 s4, s10, s4
	s_add_i32 s10, s10, s4
	s_mul_hi_u32 s4, s46, s10
	s_mul_i32 s4, s4, s87
	s_sub_i32 s4, s46, s4
	s_sub_i32 s10, s4, s87
	s_cmp_ge_u32 s4, s87
	s_cselect_b32 s4, s10, s4
	s_sub_i32 s10, s4, s87
	s_cmp_ge_u32 s4, s87
	s_cselect_b32 s88, s10, s4
	s_mov_b64 s[10:11], s[88:89]
.LBB219_331:                            ;   in Loop: Header=BB219_12 Depth=1
	s_sub_u32 s46, s46, s10
	s_subb_u32 s47, s5, s11
	v_cmp_gt_u64_e32 vcc, s[46:47], v[0:1]
	s_mov_b64 s[10:11], 0
	s_mov_b64 s[4:5], 0
                                        ; implicit-def: $vgpr39
	s_and_saveexec_b64 s[12:13], vcc
	s_cbranch_execz .LBB219_342
; %bb.332:                              ;   in Loop: Header=BB219_12 Depth=1
	v_mov_b32_e32 v7, v1
	v_mov_b32_e32 v8, v27
	;; [unrolled: 1-line block ×3, first 2 shown]
                                        ; implicit-def: $sgpr48_sgpr49
	s_branch .LBB219_335
.LBB219_333:                            ;   in Loop: Header=BB219_335 Depth=2
	s_or_b64 exec, exec, s[50:51]
	s_waitcnt lgkmcnt(0)
	s_barrier
	ds_read_b32 v9, v3 offset:3072
	s_mov_b64 s[50:51], -1
	s_mov_b64 s[52:53], -1
	s_waitcnt lgkmcnt(0)
	s_barrier
	v_and_b32_e32 v10, 0x7fff, v9
	v_cmp_ne_u32_e32 vcc, 0, v10
	s_cbranch_vccz .LBB219_338
.LBB219_334:                            ;   in Loop: Header=BB219_335 Depth=2
	s_and_b64 s[50:51], exec, s[50:51]
	s_or_b64 s[4:5], s[50:51], s[4:5]
	s_andn2_b64 s[48:49], s[48:49], exec
	s_and_b64 s[50:51], s[52:53], exec
	s_or_b64 s[48:49], s[48:49], s[50:51]
	s_andn2_b64 exec, exec, s[4:5]
	s_cbranch_execz .LBB219_341
.LBB219_335:                            ;   Parent Loop BB219_12 Depth=1
                                        ; =>  This Inner Loop Header: Depth=2
	v_cmp_gt_u64_e32 vcc, s[8:9], v[6:7]
	s_and_saveexec_b64 s[50:51], vcc
	s_cbranch_execz .LBB219_333
; %bb.336:                              ;   in Loop: Header=BB219_335 Depth=2
	ds_read_u16 v9, v8
	s_waitcnt lgkmcnt(0)
	v_cmp_lt_i16_e32 vcc, -1, v9
	v_cndmask_b32_e32 v10, v33, v34, vcc
	v_lshlrev_b32_e32 v11, 16, v9
	v_cmp_o_f32_e32 vcc, v11, v11
	v_xor_b32_sdwa v10, v10, v9 dst_sel:DWORD dst_unused:UNUSED_PAD src0_sel:DWORD src1_sel:WORD_0
	v_cndmask_b32_e32 v10, v33, v10, vcc
	v_and_b32_e32 v10, v10, v38
	v_cmp_eq_u32_e32 vcc, v10, v30
	s_and_b64 exec, exec, vcc
	s_cbranch_execz .LBB219_333
; %bb.337:                              ;   in Loop: Header=BB219_335 Depth=2
	s_movk_i32 s52, 0x3f80
	v_perm_b32 v9, v9, s52, v37
	ds_write_b32 v3, v9 offset:3072
	s_branch .LBB219_333
.LBB219_338:                            ;   in Loop: Header=BB219_335 Depth=2
	v_add_co_u32_e32 v6, vcc, s87, v6
	v_addc_co_u32_e32 v7, vcc, 0, v7, vcc
	v_cmp_le_u64_e32 vcc, s[46:47], v[6:7]
	v_readlane_b32 s50, v47, 50
	v_add_u32_e32 v8, s50, v8
	s_mov_b64 s[52:53], 0
	s_orn2_b64 s[50:51], vcc, exec
	s_branch .LBB219_334
.LBB219_339:                            ;   in Loop: Header=BB219_12 Depth=1
                                        ; implicit-def: $sgpr10_sgpr11
	s_branch .LBB219_286
.LBB219_340:                            ;   in Loop: Header=BB219_12 Depth=1
                                        ; implicit-def: $sgpr8_sgpr9
	s_branch .LBB219_301
.LBB219_341:                            ;   in Loop: Header=BB219_12 Depth=1
	s_or_b64 exec, exec, s[4:5]
	v_lshrrev_b32_e32 v39, 16, v9
	s_and_b64 s[4:5], s[48:49], exec
.LBB219_342:                            ;   in Loop: Header=BB219_12 Depth=1
	s_or_b64 exec, exec, s[12:13]
.LBB219_343:                            ;   in Loop: Header=BB219_12 Depth=1
	s_and_b64 vcc, exec, s[10:11]
	s_cbranch_vccz .LBB219_357
; %bb.344:                              ;   in Loop: Header=BB219_12 Depth=1
	v_readlane_b32 s46, v47, 37
	v_readlane_b32 s47, v47, 38
	s_mov_b32 s46, s89
	s_cmp_lg_u64 s[46:47], 0
	v_writelane_b32 v47, s46, 37
	v_writelane_b32 v47, s47, 38
	s_cbranch_scc0 .LBB219_385
; %bb.345:                              ;   in Loop: Header=BB219_12 Depth=1
	v_cvt_f32_u32_e32 v6, s87
	s_sub_u32 s10, 0, s87
	s_subb_u32 s11, 0, 0
	v_mac_f32_e32 v6, 0, v35
	v_rcp_f32_e32 v6, v6
	v_mul_f32_e32 v6, 0x5f7ffffc, v6
	v_mul_f32_e32 v7, 0x2f800000, v6
	v_trunc_f32_e32 v7, v7
	v_mac_f32_e32 v6, 0xcf800000, v7
	v_cvt_u32_f32_e32 v7, v7
	v_cvt_u32_f32_e32 v6, v6
	v_readfirstlane_b32 s12, v7
	v_readfirstlane_b32 s8, v6
	s_mul_i32 s9, s10, s12
	s_mul_hi_u32 s28, s10, s8
	s_mul_i32 s13, s11, s8
	s_add_i32 s9, s28, s9
	s_mul_i32 s29, s10, s8
	s_add_i32 s9, s9, s13
	s_mul_hi_u32 s28, s8, s29
	s_mul_i32 s38, s8, s9
	s_mul_hi_u32 s13, s8, s9
	s_add_u32 s28, s28, s38
	s_addc_u32 s13, 0, s13
	s_mul_hi_u32 s39, s12, s29
	s_mul_i32 s29, s12, s29
	s_add_u32 s28, s28, s29
	s_mul_hi_u32 s38, s12, s9
	s_addc_u32 s13, s13, s39
	s_addc_u32 s28, s38, 0
	s_mul_i32 s9, s12, s9
	s_add_u32 s9, s13, s9
	s_addc_u32 s13, 0, s28
	s_add_u32 s28, s8, s9
	s_cselect_b64 s[8:9], -1, 0
	s_cmp_lg_u64 s[8:9], 0
	s_addc_u32 s12, s12, s13
	s_mul_i32 s8, s10, s12
	s_mul_hi_u32 s9, s10, s28
	s_add_i32 s8, s9, s8
	s_mul_i32 s11, s11, s28
	s_add_i32 s8, s8, s11
	s_mul_i32 s10, s10, s28
	s_mul_hi_u32 s11, s12, s10
	s_mul_i32 s13, s12, s10
	s_mul_i32 s38, s28, s8
	s_mul_hi_u32 s10, s28, s10
	s_mul_hi_u32 s29, s28, s8
	s_add_u32 s10, s10, s38
	s_addc_u32 s29, 0, s29
	s_add_u32 s10, s10, s13
	s_mul_hi_u32 s9, s12, s8
	s_addc_u32 s10, s29, s11
	s_addc_u32 s9, s9, 0
	s_mul_i32 s8, s12, s8
	s_add_u32 s8, s10, s8
	s_addc_u32 s10, 0, s9
	s_add_u32 s11, s28, s8
	s_cselect_b64 s[8:9], -1, 0
	s_cmp_lg_u64 s[8:9], 0
	s_addc_u32 s8, s12, s10
	v_readlane_b32 s28, v47, 35
	s_mul_i32 s10, s28, s8
	s_mul_hi_u32 s12, s28, s11
	s_mul_hi_u32 s9, s28, s8
	s_add_u32 s10, s12, s10
	s_addc_u32 s9, 0, s9
	s_mul_hi_u32 s13, s47, s11
	s_mul_i32 s11, s47, s11
	s_add_u32 s10, s10, s11
	s_mul_hi_u32 s12, s47, s8
	s_addc_u32 s9, s9, s13
	s_addc_u32 s10, s12, 0
	s_mul_i32 s8, s47, s8
	s_add_u32 s8, s9, s8
	s_addc_u32 s9, 0, s10
	s_mul_i32 s9, s87, s9
	s_mul_hi_u32 s10, s87, s8
	s_add_i32 s10, s10, s9
	s_mul_i32 s8, s87, s8
	s_sub_u32 s11, s28, s8
	s_cselect_b64 s[8:9], -1, 0
	s_cmp_lg_u64 s[8:9], 0
	s_subb_u32 s10, s47, s10
	s_sub_u32 s12, s11, s87
	s_cselect_b64 s[8:9], -1, 0
	s_cmp_lg_u64 s[8:9], 0
	s_subb_u32 s13, s10, 0
	;; [unrolled: 4-line block ×3, first 2 shown]
	s_cmp_ge_u32 s12, s87
	s_cselect_b32 s9, -1, 0
	s_cmp_eq_u32 s13, 0
	s_cselect_b32 s9, s9, -1
	s_cmp_lg_u32 s9, 0
	s_cselect_b32 s8, s8, s13
	s_cselect_b32 s12, s28, s12
	s_cmp_ge_u32 s11, s87
	s_cselect_b32 s9, -1, 0
	s_cmp_eq_u32 s10, 0
	s_cselect_b32 s9, s9, -1
	s_cmp_lg_u32 s9, 0
	s_cselect_b32 s9, s8, s10
	s_cselect_b32 s8, s12, s11
	s_cbranch_execnz .LBB219_347
.LBB219_346:                            ;   in Loop: Header=BB219_12 Depth=1
	v_cvt_f32_u32_e32 v6, s87
	s_sub_i32 s8, 0, s87
	v_readlane_b32 s10, v47, 35
	v_rcp_iflag_f32_e32 v6, v6
	v_mul_f32_e32 v6, 0x4f7ffffe, v6
	v_cvt_u32_f32_e32 v6, v6
	v_readfirstlane_b32 s9, v6
	s_mul_i32 s8, s8, s9
	s_mul_hi_u32 s8, s9, s8
	s_add_i32 s9, s9, s8
	s_mul_hi_u32 s8, s10, s9
	s_mul_i32 s8, s8, s87
	s_sub_i32 s8, s10, s8
	s_sub_i32 s9, s8, s87
	s_cmp_ge_u32 s8, s87
	s_cselect_b32 s8, s9, s8
	s_sub_i32 s9, s8, s87
	s_cmp_ge_u32 s8, s87
	s_cselect_b32 s88, s9, s8
	s_mov_b64 s[8:9], s[88:89]
.LBB219_347:                            ;   in Loop: Header=BB219_12 Depth=1
	v_readlane_b32 s10, v47, 35
	v_readlane_b32 s12, v47, 37
	s_sub_u32 s10, s10, s8
	v_readlane_b32 s13, v47, 38
	s_subb_u32 s11, s13, s9
	v_cmp_gt_u64_e32 vcc, s[10:11], v[0:1]
                                        ; implicit-def: $vgpr39
	s_and_saveexec_b64 s[8:9], vcc
	s_cbranch_execz .LBB219_356
; %bb.348:                              ;   in Loop: Header=BB219_12 Depth=1
	v_mov_b32_e32 v7, v1
	s_mov_b64 s[12:13], 0
	v_mov_b32_e32 v6, v0
                                        ; implicit-def: $sgpr28_sgpr29
	s_branch .LBB219_351
.LBB219_349:                            ;   in Loop: Header=BB219_351 Depth=2
	s_or_b64 exec, exec, s[38:39]
	s_waitcnt lgkmcnt(0)
	s_barrier
	ds_read_b32 v8, v3 offset:3072
	s_mov_b64 s[38:39], -1
	s_mov_b64 s[46:47], -1
	s_waitcnt lgkmcnt(0)
	s_barrier
	v_and_b32_e32 v9, 0x7fff, v8
	v_cmp_eq_u32_e32 vcc, 0, v9
	s_cbranch_vccnz .LBB219_354
.LBB219_350:                            ;   in Loop: Header=BB219_351 Depth=2
	s_and_b64 s[38:39], exec, s[38:39]
	s_or_b64 s[12:13], s[38:39], s[12:13]
	s_andn2_b64 s[28:29], s[28:29], exec
	s_and_b64 s[38:39], s[46:47], exec
	s_or_b64 s[28:29], s[28:29], s[38:39]
	s_andn2_b64 exec, exec, s[12:13]
	s_cbranch_execz .LBB219_355
.LBB219_351:                            ;   Parent Loop BB219_12 Depth=1
                                        ; =>  This Inner Loop Header: Depth=2
	v_cmp_gt_u64_e32 vcc, s[64:65], v[6:7]
	s_and_saveexec_b64 s[38:39], vcc
	s_cbranch_execz .LBB219_349
; %bb.352:                              ;   in Loop: Header=BB219_351 Depth=2
	v_mul_lo_u32 v10, v7, s62
	v_mul_lo_u32 v11, v6, s63
	v_mad_u64_u32 v[8:9], s[46:47], v6, s62, 0
	v_add3_u32 v9, v9, v11, v10
	v_lshlrev_b64 v[8:9], 1, v[8:9]
	v_mov_b32_e32 v10, s86
	v_add_co_u32_e32 v8, vcc, s33, v8
	v_addc_co_u32_e32 v9, vcc, v10, v9, vcc
	global_load_ushort v8, v[8:9], off
	s_waitcnt vmcnt(0)
	v_cmp_lt_i16_e32 vcc, -1, v8
	v_cndmask_b32_e32 v9, v33, v34, vcc
	v_lshlrev_b32_e32 v10, 16, v8
	v_xor_b32_sdwa v9, v9, v8 dst_sel:DWORD dst_unused:UNUSED_PAD src0_sel:DWORD src1_sel:WORD_0
	v_cmp_o_f32_e32 vcc, v10, v10
	v_cndmask_b32_e32 v9, v33, v9, vcc
	v_and_b32_e32 v9, v9, v38
	v_cmp_eq_u32_e32 vcc, v9, v30
	s_and_b64 exec, exec, vcc
	s_cbranch_execz .LBB219_349
; %bb.353:                              ;   in Loop: Header=BB219_351 Depth=2
	s_movk_i32 s46, 0x3f80
	v_perm_b32 v8, v8, s46, v37
	ds_write_b32 v3, v8 offset:3072
	s_branch .LBB219_349
.LBB219_354:                            ;   in Loop: Header=BB219_351 Depth=2
	v_add_co_u32_e32 v6, vcc, s87, v6
	v_addc_co_u32_e32 v7, vcc, 0, v7, vcc
	v_cmp_le_u64_e32 vcc, s[10:11], v[6:7]
	s_mov_b64 s[46:47], 0
	s_orn2_b64 s[38:39], vcc, exec
	s_branch .LBB219_350
.LBB219_355:                            ;   in Loop: Header=BB219_12 Depth=1
	s_or_b64 exec, exec, s[12:13]
	s_andn2_b64 s[4:5], s[4:5], exec
	s_and_b64 s[10:11], s[28:29], exec
	v_lshrrev_b32_e32 v39, 16, v8
	s_or_b64 s[4:5], s[4:5], s[10:11]
.LBB219_356:                            ;   in Loop: Header=BB219_12 Depth=1
	s_or_b64 exec, exec, s[8:9]
	s_mov_b64 s[28:29], 0
	s_mov_b64 s[38:39], -1
.LBB219_357:                            ;   in Loop: Header=BB219_12 Depth=1
	s_orn2_b64 s[4:5], s[4:5], exec
.LBB219_358:                            ;   in Loop: Header=BB219_12 Depth=1
	s_or_b64 exec, exec, s[40:41]
	s_mov_b64 s[8:9], 0
	s_and_saveexec_b64 s[40:41], s[4:5]
	s_cbranch_execz .LBB219_467
; %bb.359:                              ;   in Loop: Header=BB219_12 Depth=1
	v_mov_b32_e32 v6, 1
	s_xor_b64 s[10:11], s[44:45], -1
	v_mov_b32_e32 v2, 1
	v_mov_b32_e32 v7, 0
	s_and_saveexec_b64 s[4:5], s[10:11]
	s_cbranch_execz .LBB219_368
; %bb.360:                              ;   in Loop: Header=BB219_12 Depth=1
	v_cmp_ge_u64_e32 vcc, s[26:27], v[4:5]
	s_and_saveexec_b64 s[8:9], vcc
	s_xor_b64 s[8:9], exec, s[8:9]
	s_cbranch_execz .LBB219_365
; %bb.361:                              ;   in Loop: Header=BB219_12 Depth=1
	ds_read_b64 v[6:7], v3 offset:5120
	v_and_b32_e32 v2, s93, v30
	v_lshl_or_b32 v30, 2, s85, v2
	v_or_b32_e32 v38, s92, v38
	s_waitcnt lgkmcnt(0)
	v_cmp_ne_u64_e32 vcc, 0, v[6:7]
	s_cbranch_vccnz .LBB219_365
; %bb.362:                              ;   in Loop: Header=BB219_12 Depth=1
	s_mov_b64 s[10:11], exec
	v_readlane_b32 s12, v47, 12
	v_readlane_b32 s13, v47, 13
	s_and_b64 s[12:13], s[10:11], s[12:13]
	s_mov_b64 exec, s[12:13]
; %bb.363:                              ;   in Loop: Header=BB219_12 Depth=1
	v_mov_b32_e32 v6, s26
	v_mov_b32_e32 v7, s27
	ds_write_b64 v3, v[6:7] offset:5128
; %bb.364:                              ;   in Loop: Header=BB219_12 Depth=1
	s_or_b64 exec, exec, s[10:11]
	s_waitcnt lgkmcnt(0)
	s_barrier
.LBB219_365:                            ;   in Loop: Header=BB219_12 Depth=1
	s_or_saveexec_b64 s[8:9], s[8:9]
	s_mov_b64 s[10:11], 0
	v_mov_b32_e32 v2, 5
	s_xor_b64 exec, exec, s[8:9]
; %bb.366:                              ;   in Loop: Header=BB219_12 Depth=1
	v_subrev_co_u32_e32 v4, vcc, s26, v4
	v_mov_b32_e32 v2, s27
	v_subb_co_u32_e32 v5, vcc, v5, v2, vcc
	v_mov_b32_e32 v2, 0
	s_mov_b64 s[10:11], exec
; %bb.367:                              ;   in Loop: Header=BB219_12 Depth=1
	s_or_b64 exec, exec, s[8:9]
	v_mov_b32_e32 v7, v5
	s_and_b64 s[8:9], s[10:11], exec
	v_mov_b32_e32 v6, v4
.LBB219_368:                            ;   in Loop: Header=BB219_12 Depth=1
	s_or_b64 exec, exec, s[4:5]
	s_mov_b64 s[4:5], -1
                                        ; implicit-def: $sgpr44_sgpr45
                                        ; implicit-def: $sgpr46_sgpr47
	s_and_saveexec_b64 s[26:27], s[8:9]
	s_cbranch_execz .LBB219_466
; %bb.369:                              ;   in Loop: Header=BB219_12 Depth=1
	s_cmp_eq_u64 s[24:25], 1
	v_cmp_eq_u64_e32 vcc, 1, v[6:7]
	s_cselect_b64 s[4:5], -1, 0
	s_and_b64 s[50:51], s[4:5], vcc
	s_mov_b64 s[4:5], -1
                                        ; implicit-def: $sgpr46_sgpr47
                                        ; implicit-def: $sgpr44_sgpr45
	s_and_saveexec_b64 s[48:49], s[50:51]
	s_cbranch_execz .LBB219_403
; %bb.370:                              ;   in Loop: Header=BB219_12 Depth=1
	ds_read_b64 v[4:5], v3 offset:5120
	s_waitcnt lgkmcnt(0)
	s_barrier
	v_readfirstlane_b32 s8, v4
	v_readfirstlane_b32 s9, v5
	s_mov_b64 s[4:5], exec
	v_readlane_b32 s10, v47, 30
	v_readlane_b32 s11, v47, 31
	s_and_b64 s[10:11], s[4:5], s[10:11]
	s_mov_b64 exec, s[10:11]
; %bb.371:                              ;   in Loop: Header=BB219_12 Depth=1
	ds_write_b16 v28, v3
; %bb.372:                              ;   in Loop: Header=BB219_12 Depth=1
	s_or_b64 exec, exec, s[4:5]
	v_and_b32_e32 v4, s93, v30
	v_lshl_or_b32 v30, 1, s85, v4
	v_or_b32_e32 v38, s92, v38
	s_mov_b64 s[44:45], -1
	s_mov_b64 s[46:47], 0
	s_cmp_eq_u64 s[8:9], 0
	s_mov_b64 s[4:5], 0
	s_mov_b64 s[10:11], -1
	s_waitcnt lgkmcnt(0)
	s_barrier
                                        ; implicit-def: $vgpr39
	s_cbranch_scc1 .LBB219_388
; %bb.373:                              ;   in Loop: Header=BB219_12 Depth=1
	v_readlane_b32 s4, v47, 34
	s_add_u32 s52, s8, s4
	v_readlane_b32 s4, v47, 36
	s_addc_u32 s5, s9, s4
	s_mov_b32 s4, s89
	s_cmp_lg_u64 s[4:5], 0
	s_cbranch_scc0 .LBB219_420
; %bb.374:                              ;   in Loop: Header=BB219_12 Depth=1
	v_cvt_f32_u32_e32 v4, s87
	s_sub_u32 s4, 0, s87
	s_subb_u32 s12, 0, 0
	v_mac_f32_e32 v4, 0, v35
	v_rcp_f32_e32 v4, v4
	v_mul_f32_e32 v4, 0x5f7ffffc, v4
	v_mul_f32_e32 v5, 0x2f800000, v4
	v_trunc_f32_e32 v5, v5
	v_mac_f32_e32 v4, 0xcf800000, v5
	v_cvt_u32_f32_e32 v5, v5
	v_cvt_u32_f32_e32 v4, v4
	v_readfirstlane_b32 s13, v5
	v_readfirstlane_b32 s10, v4
	s_mul_i32 s11, s4, s13
	s_mul_hi_u32 s54, s4, s10
	s_mul_i32 s53, s12, s10
	s_add_i32 s11, s54, s11
	s_mul_i32 s55, s4, s10
	s_add_i32 s11, s11, s53
	s_mul_hi_u32 s54, s10, s55
	s_mul_i32 s56, s10, s11
	s_mul_hi_u32 s53, s10, s11
	s_add_u32 s54, s54, s56
	s_addc_u32 s53, 0, s53
	s_mul_hi_u32 s57, s13, s55
	s_mul_i32 s55, s13, s55
	s_add_u32 s54, s54, s55
	s_mul_hi_u32 s56, s13, s11
	s_addc_u32 s53, s53, s57
	s_addc_u32 s54, s56, 0
	s_mul_i32 s11, s13, s11
	s_add_u32 s11, s53, s11
	s_addc_u32 s53, 0, s54
	s_add_u32 s54, s10, s11
	s_cselect_b64 s[10:11], -1, 0
	s_cmp_lg_u64 s[10:11], 0
	s_addc_u32 s13, s13, s53
	s_mul_i32 s10, s4, s13
	s_mul_hi_u32 s11, s4, s54
	s_add_i32 s10, s11, s10
	s_mul_i32 s12, s12, s54
	s_add_i32 s10, s10, s12
	s_mul_i32 s4, s4, s54
	s_mul_hi_u32 s12, s13, s4
	s_mul_i32 s53, s13, s4
	s_mul_i32 s56, s54, s10
	s_mul_hi_u32 s4, s54, s4
	s_mul_hi_u32 s55, s54, s10
	s_add_u32 s4, s4, s56
	s_addc_u32 s55, 0, s55
	s_add_u32 s4, s4, s53
	s_mul_hi_u32 s11, s13, s10
	s_addc_u32 s4, s55, s12
	s_addc_u32 s11, s11, 0
	s_mul_i32 s10, s13, s10
	s_add_u32 s4, s4, s10
	s_addc_u32 s12, 0, s11
	s_add_u32 s4, s54, s4
	s_cselect_b64 s[10:11], -1, 0
	s_cmp_lg_u64 s[10:11], 0
	s_addc_u32 s10, s13, s12
	s_mul_i32 s12, s52, s10
	s_mul_hi_u32 s13, s52, s4
	s_mul_hi_u32 s11, s52, s10
	s_add_u32 s12, s13, s12
	s_addc_u32 s11, 0, s11
	s_mul_hi_u32 s53, s5, s4
	s_mul_i32 s4, s5, s4
	s_add_u32 s4, s12, s4
	s_mul_hi_u32 s13, s5, s10
	s_addc_u32 s4, s11, s53
	s_addc_u32 s11, s13, 0
	s_mul_i32 s10, s5, s10
	s_add_u32 s4, s4, s10
	s_addc_u32 s10, 0, s11
	s_mul_i32 s10, s87, s10
	s_mul_hi_u32 s11, s87, s4
	s_add_i32 s12, s11, s10
	s_mul_i32 s4, s87, s4
	s_sub_u32 s4, s52, s4
	s_cselect_b64 s[10:11], -1, 0
	s_cmp_lg_u64 s[10:11], 0
	s_subb_u32 s12, s5, s12
	s_sub_u32 s13, s4, s87
	s_cselect_b64 s[10:11], -1, 0
	s_cmp_lg_u64 s[10:11], 0
	s_subb_u32 s53, s12, 0
	;; [unrolled: 4-line block ×3, first 2 shown]
	s_cmp_ge_u32 s13, s87
	s_cselect_b32 s11, -1, 0
	s_cmp_eq_u32 s53, 0
	s_cselect_b32 s11, s11, -1
	s_cmp_lg_u32 s11, 0
	s_cselect_b32 s10, s10, s53
	s_cselect_b32 s13, s54, s13
	s_cmp_ge_u32 s4, s87
	s_cselect_b32 s11, -1, 0
	s_cmp_eq_u32 s12, 0
	s_cselect_b32 s11, s11, -1
	s_cmp_lg_u32 s11, 0
	s_cselect_b32 s11, s10, s12
	s_cselect_b32 s10, s13, s4
	s_cbranch_execnz .LBB219_376
.LBB219_375:                            ;   in Loop: Header=BB219_12 Depth=1
	v_cvt_f32_u32_e32 v4, s87
	s_sub_i32 s4, 0, s87
	v_rcp_iflag_f32_e32 v4, v4
	v_mul_f32_e32 v4, 0x4f7ffffe, v4
	v_cvt_u32_f32_e32 v4, v4
	v_readfirstlane_b32 s10, v4
	s_mul_i32 s4, s4, s10
	s_mul_hi_u32 s4, s10, s4
	s_add_i32 s10, s10, s4
	s_mul_hi_u32 s4, s52, s10
	s_mul_i32 s4, s4, s87
	s_sub_i32 s4, s52, s4
	s_sub_i32 s10, s4, s87
	s_cmp_ge_u32 s4, s87
	s_cselect_b32 s4, s10, s4
	s_sub_i32 s10, s4, s87
	s_cmp_ge_u32 s4, s87
	s_cselect_b32 s88, s10, s4
	s_mov_b64 s[10:11], s[88:89]
.LBB219_376:                            ;   in Loop: Header=BB219_12 Depth=1
	s_sub_u32 s52, s52, s10
	s_subb_u32 s53, s5, s11
	v_cmp_gt_u64_e32 vcc, s[52:53], v[0:1]
	s_mov_b64 s[10:11], 0
	s_mov_b64 s[4:5], 0
                                        ; implicit-def: $vgpr39
	s_and_saveexec_b64 s[12:13], vcc
	s_cbranch_execz .LBB219_387
; %bb.377:                              ;   in Loop: Header=BB219_12 Depth=1
	v_mov_b32_e32 v5, v1
	v_mov_b32_e32 v8, v27
	;; [unrolled: 1-line block ×3, first 2 shown]
                                        ; implicit-def: $sgpr54_sgpr55
	s_branch .LBB219_380
.LBB219_378:                            ;   in Loop: Header=BB219_380 Depth=2
	s_or_b64 exec, exec, s[56:57]
	s_waitcnt lgkmcnt(0)
	s_barrier
	ds_read_b32 v9, v3 offset:3072
	s_mov_b64 s[56:57], -1
	s_mov_b64 s[58:59], -1
	s_waitcnt lgkmcnt(0)
	s_barrier
	v_and_b32_e32 v10, 0x7fff, v9
	v_cmp_ne_u32_e32 vcc, 0, v10
	s_cbranch_vccz .LBB219_383
.LBB219_379:                            ;   in Loop: Header=BB219_380 Depth=2
	s_and_b64 s[56:57], exec, s[56:57]
	s_or_b64 s[4:5], s[56:57], s[4:5]
	s_andn2_b64 s[54:55], s[54:55], exec
	s_and_b64 s[56:57], s[58:59], exec
	s_or_b64 s[54:55], s[54:55], s[56:57]
	s_andn2_b64 exec, exec, s[4:5]
	s_cbranch_execz .LBB219_386
.LBB219_380:                            ;   Parent Loop BB219_12 Depth=1
                                        ; =>  This Inner Loop Header: Depth=2
	v_cmp_gt_u64_e32 vcc, s[8:9], v[4:5]
	s_and_saveexec_b64 s[56:57], vcc
	s_cbranch_execz .LBB219_378
; %bb.381:                              ;   in Loop: Header=BB219_380 Depth=2
	ds_read_u16 v9, v8
	s_waitcnt lgkmcnt(0)
	v_cmp_lt_i16_e32 vcc, -1, v9
	v_cndmask_b32_e32 v10, v33, v34, vcc
	v_lshlrev_b32_e32 v11, 16, v9
	v_cmp_o_f32_e32 vcc, v11, v11
	v_xor_b32_sdwa v10, v10, v9 dst_sel:DWORD dst_unused:UNUSED_PAD src0_sel:DWORD src1_sel:WORD_0
	v_cndmask_b32_e32 v10, v33, v10, vcc
	v_and_b32_e32 v10, v10, v38
	v_cmp_eq_u32_e32 vcc, v10, v30
	s_and_b64 exec, exec, vcc
	s_cbranch_execz .LBB219_378
; %bb.382:                              ;   in Loop: Header=BB219_380 Depth=2
	s_movk_i32 s58, 0x3f80
	v_perm_b32 v9, v9, s58, v37
	ds_write_b32 v3, v9 offset:3072
	s_branch .LBB219_378
.LBB219_383:                            ;   in Loop: Header=BB219_380 Depth=2
	v_add_co_u32_e32 v4, vcc, s87, v4
	v_addc_co_u32_e32 v5, vcc, 0, v5, vcc
	v_cmp_le_u64_e32 vcc, s[52:53], v[4:5]
	v_readlane_b32 s56, v47, 50
	v_add_u32_e32 v8, s56, v8
	s_mov_b64 s[58:59], 0
	s_orn2_b64 s[56:57], vcc, exec
	s_branch .LBB219_379
.LBB219_384:                            ;   in Loop: Header=BB219_12 Depth=1
                                        ; implicit-def: $sgpr10_sgpr11
	s_branch .LBB219_330
.LBB219_385:                            ;   in Loop: Header=BB219_12 Depth=1
                                        ; implicit-def: $sgpr8_sgpr9
	s_branch .LBB219_346
.LBB219_386:                            ;   in Loop: Header=BB219_12 Depth=1
	s_or_b64 exec, exec, s[4:5]
	v_lshrrev_b32_e32 v39, 16, v9
	s_and_b64 s[4:5], s[54:55], exec
.LBB219_387:                            ;   in Loop: Header=BB219_12 Depth=1
	s_or_b64 exec, exec, s[12:13]
.LBB219_388:                            ;   in Loop: Header=BB219_12 Depth=1
	s_and_b64 vcc, exec, s[10:11]
	s_cbranch_vccz .LBB219_402
; %bb.389:                              ;   in Loop: Header=BB219_12 Depth=1
	v_readlane_b32 s52, v47, 37
	v_readlane_b32 s53, v47, 38
	s_mov_b32 s52, s89
	s_cmp_lg_u64 s[52:53], 0
	v_writelane_b32 v47, s52, 37
	v_writelane_b32 v47, s53, 38
	s_cbranch_scc0 .LBB219_421
; %bb.390:                              ;   in Loop: Header=BB219_12 Depth=1
	v_cvt_f32_u32_e32 v4, s87
	s_sub_u32 s10, 0, s87
	s_subb_u32 s11, 0, 0
	v_mac_f32_e32 v4, 0, v35
	v_rcp_f32_e32 v4, v4
	v_mul_f32_e32 v4, 0x5f7ffffc, v4
	v_mul_f32_e32 v5, 0x2f800000, v4
	v_trunc_f32_e32 v5, v5
	v_mac_f32_e32 v4, 0xcf800000, v5
	v_cvt_u32_f32_e32 v5, v5
	v_cvt_u32_f32_e32 v4, v4
	v_readfirstlane_b32 s12, v5
	v_readfirstlane_b32 s8, v4
	s_mul_i32 s9, s10, s12
	s_mul_hi_u32 s44, s10, s8
	s_mul_i32 s13, s11, s8
	s_add_i32 s9, s44, s9
	s_mul_i32 s45, s10, s8
	s_add_i32 s9, s9, s13
	s_mul_hi_u32 s44, s8, s45
	s_mul_i32 s46, s8, s9
	s_mul_hi_u32 s13, s8, s9
	s_add_u32 s44, s44, s46
	s_addc_u32 s13, 0, s13
	s_mul_hi_u32 s47, s12, s45
	s_mul_i32 s45, s12, s45
	s_add_u32 s44, s44, s45
	s_mul_hi_u32 s46, s12, s9
	s_addc_u32 s13, s13, s47
	s_addc_u32 s44, s46, 0
	s_mul_i32 s9, s12, s9
	s_add_u32 s9, s13, s9
	s_addc_u32 s13, 0, s44
	s_add_u32 s44, s8, s9
	s_cselect_b64 s[8:9], -1, 0
	s_cmp_lg_u64 s[8:9], 0
	s_addc_u32 s12, s12, s13
	s_mul_i32 s8, s10, s12
	s_mul_hi_u32 s9, s10, s44
	s_add_i32 s8, s9, s8
	s_mul_i32 s11, s11, s44
	s_add_i32 s8, s8, s11
	s_mul_i32 s10, s10, s44
	s_mul_hi_u32 s11, s12, s10
	s_mul_i32 s13, s12, s10
	s_mul_i32 s46, s44, s8
	s_mul_hi_u32 s10, s44, s10
	s_mul_hi_u32 s45, s44, s8
	s_add_u32 s10, s10, s46
	s_addc_u32 s45, 0, s45
	s_add_u32 s10, s10, s13
	s_mul_hi_u32 s9, s12, s8
	s_addc_u32 s10, s45, s11
	s_addc_u32 s9, s9, 0
	s_mul_i32 s8, s12, s8
	s_add_u32 s8, s10, s8
	s_addc_u32 s10, 0, s9
	s_add_u32 s11, s44, s8
	s_cselect_b64 s[8:9], -1, 0
	s_cmp_lg_u64 s[8:9], 0
	s_addc_u32 s8, s12, s10
	v_readlane_b32 s44, v47, 35
	s_mul_i32 s10, s44, s8
	s_mul_hi_u32 s12, s44, s11
	s_mul_hi_u32 s9, s44, s8
	s_add_u32 s10, s12, s10
	s_addc_u32 s9, 0, s9
	s_mul_hi_u32 s13, s53, s11
	s_mul_i32 s11, s53, s11
	s_add_u32 s10, s10, s11
	s_mul_hi_u32 s12, s53, s8
	s_addc_u32 s9, s9, s13
	s_addc_u32 s10, s12, 0
	s_mul_i32 s8, s53, s8
	s_add_u32 s8, s9, s8
	s_addc_u32 s9, 0, s10
	s_mul_i32 s9, s87, s9
	s_mul_hi_u32 s10, s87, s8
	s_add_i32 s10, s10, s9
	s_mul_i32 s8, s87, s8
	s_sub_u32 s11, s44, s8
	s_cselect_b64 s[8:9], -1, 0
	s_cmp_lg_u64 s[8:9], 0
	s_subb_u32 s10, s53, s10
	s_sub_u32 s12, s11, s87
	s_cselect_b64 s[8:9], -1, 0
	s_cmp_lg_u64 s[8:9], 0
	s_subb_u32 s13, s10, 0
	;; [unrolled: 4-line block ×3, first 2 shown]
	s_cmp_ge_u32 s12, s87
	s_cselect_b32 s9, -1, 0
	s_cmp_eq_u32 s13, 0
	s_cselect_b32 s9, s9, -1
	s_cmp_lg_u32 s9, 0
	s_cselect_b32 s8, s8, s13
	s_cselect_b32 s12, s44, s12
	s_cmp_ge_u32 s11, s87
	s_cselect_b32 s9, -1, 0
	s_cmp_eq_u32 s10, 0
	s_cselect_b32 s9, s9, -1
	s_cmp_lg_u32 s9, 0
	s_cselect_b32 s9, s8, s10
	s_cselect_b32 s8, s12, s11
	s_cbranch_execnz .LBB219_392
.LBB219_391:                            ;   in Loop: Header=BB219_12 Depth=1
	v_cvt_f32_u32_e32 v4, s87
	s_sub_i32 s8, 0, s87
	v_readlane_b32 s10, v47, 35
	v_rcp_iflag_f32_e32 v4, v4
	v_mul_f32_e32 v4, 0x4f7ffffe, v4
	v_cvt_u32_f32_e32 v4, v4
	v_readfirstlane_b32 s9, v4
	s_mul_i32 s8, s8, s9
	s_mul_hi_u32 s8, s9, s8
	s_add_i32 s9, s9, s8
	s_mul_hi_u32 s8, s10, s9
	s_mul_i32 s8, s8, s87
	s_sub_i32 s8, s10, s8
	s_sub_i32 s9, s8, s87
	s_cmp_ge_u32 s8, s87
	s_cselect_b32 s8, s9, s8
	s_sub_i32 s9, s8, s87
	s_cmp_ge_u32 s8, s87
	s_cselect_b32 s88, s9, s8
	s_mov_b64 s[8:9], s[88:89]
.LBB219_392:                            ;   in Loop: Header=BB219_12 Depth=1
	v_readlane_b32 s10, v47, 35
	v_readlane_b32 s12, v47, 37
	s_sub_u32 s10, s10, s8
	v_readlane_b32 s13, v47, 38
	s_subb_u32 s11, s13, s9
	v_cmp_gt_u64_e32 vcc, s[10:11], v[0:1]
                                        ; implicit-def: $vgpr39
	s_and_saveexec_b64 s[8:9], vcc
	s_cbranch_execz .LBB219_401
; %bb.393:                              ;   in Loop: Header=BB219_12 Depth=1
	v_mov_b32_e32 v5, v1
	s_mov_b64 s[12:13], 0
	v_mov_b32_e32 v4, v0
                                        ; implicit-def: $sgpr44_sgpr45
	s_branch .LBB219_396
.LBB219_394:                            ;   in Loop: Header=BB219_396 Depth=2
	s_or_b64 exec, exec, s[46:47]
	s_waitcnt lgkmcnt(0)
	s_barrier
	ds_read_b32 v8, v3 offset:3072
	s_mov_b64 s[46:47], -1
	s_mov_b64 s[52:53], -1
	s_waitcnt lgkmcnt(0)
	s_barrier
	v_and_b32_e32 v9, 0x7fff, v8
	v_cmp_eq_u32_e32 vcc, 0, v9
	s_cbranch_vccnz .LBB219_399
.LBB219_395:                            ;   in Loop: Header=BB219_396 Depth=2
	s_and_b64 s[46:47], exec, s[46:47]
	s_or_b64 s[12:13], s[46:47], s[12:13]
	s_andn2_b64 s[44:45], s[44:45], exec
	s_and_b64 s[46:47], s[52:53], exec
	s_or_b64 s[44:45], s[44:45], s[46:47]
	s_andn2_b64 exec, exec, s[12:13]
	s_cbranch_execz .LBB219_400
.LBB219_396:                            ;   Parent Loop BB219_12 Depth=1
                                        ; =>  This Inner Loop Header: Depth=2
	v_cmp_gt_u64_e32 vcc, s[64:65], v[4:5]
	s_and_saveexec_b64 s[46:47], vcc
	s_cbranch_execz .LBB219_394
; %bb.397:                              ;   in Loop: Header=BB219_396 Depth=2
	v_mul_lo_u32 v10, v5, s62
	v_mul_lo_u32 v11, v4, s63
	v_mad_u64_u32 v[8:9], s[52:53], v4, s62, 0
	v_add3_u32 v9, v9, v11, v10
	v_lshlrev_b64 v[8:9], 1, v[8:9]
	v_mov_b32_e32 v10, s86
	v_add_co_u32_e32 v8, vcc, s33, v8
	v_addc_co_u32_e32 v9, vcc, v10, v9, vcc
	global_load_ushort v8, v[8:9], off
	s_waitcnt vmcnt(0)
	v_cmp_lt_i16_e32 vcc, -1, v8
	v_cndmask_b32_e32 v9, v33, v34, vcc
	v_lshlrev_b32_e32 v10, 16, v8
	v_xor_b32_sdwa v9, v9, v8 dst_sel:DWORD dst_unused:UNUSED_PAD src0_sel:DWORD src1_sel:WORD_0
	v_cmp_o_f32_e32 vcc, v10, v10
	v_cndmask_b32_e32 v9, v33, v9, vcc
	v_and_b32_e32 v9, v9, v38
	v_cmp_eq_u32_e32 vcc, v9, v30
	s_and_b64 exec, exec, vcc
	s_cbranch_execz .LBB219_394
; %bb.398:                              ;   in Loop: Header=BB219_396 Depth=2
	s_movk_i32 s52, 0x3f80
	v_perm_b32 v8, v8, s52, v37
	ds_write_b32 v3, v8 offset:3072
	s_branch .LBB219_394
.LBB219_399:                            ;   in Loop: Header=BB219_396 Depth=2
	v_add_co_u32_e32 v4, vcc, s87, v4
	v_addc_co_u32_e32 v5, vcc, 0, v5, vcc
	v_cmp_le_u64_e32 vcc, s[10:11], v[4:5]
	s_mov_b64 s[52:53], 0
	s_orn2_b64 s[46:47], vcc, exec
	s_branch .LBB219_395
.LBB219_400:                            ;   in Loop: Header=BB219_12 Depth=1
	s_or_b64 exec, exec, s[12:13]
	s_andn2_b64 s[4:5], s[4:5], exec
	s_and_b64 s[10:11], s[44:45], exec
	v_lshrrev_b32_e32 v39, 16, v8
	s_or_b64 s[4:5], s[4:5], s[10:11]
.LBB219_401:                            ;   in Loop: Header=BB219_12 Depth=1
	s_or_b64 exec, exec, s[8:9]
	s_mov_b64 s[44:45], 0
	s_mov_b64 s[46:47], -1
.LBB219_402:                            ;   in Loop: Header=BB219_12 Depth=1
	s_orn2_b64 s[4:5], s[4:5], exec
.LBB219_403:                            ;   in Loop: Header=BB219_12 Depth=1
	s_or_b64 exec, exec, s[48:49]
	s_mov_b64 s[8:9], 0
	s_and_saveexec_b64 s[48:49], s[4:5]
	s_cbranch_execz .LBB219_465
; %bb.404:                              ;   in Loop: Header=BB219_12 Depth=1
	v_mov_b32_e32 v4, 1
	s_xor_b64 s[8:9], s[50:51], -1
	v_mov_b32_e32 v2, 1
	v_mov_b32_e32 v5, 0
	s_mov_b64 s[10:11], 0
	s_and_saveexec_b64 s[4:5], s[8:9]
	s_cbranch_execz .LBB219_413
; %bb.405:                              ;   in Loop: Header=BB219_12 Depth=1
	v_cmp_ge_u64_e32 vcc, s[24:25], v[6:7]
	s_and_saveexec_b64 s[8:9], vcc
	s_xor_b64 s[8:9], exec, s[8:9]
	s_cbranch_execz .LBB219_410
; %bb.406:                              ;   in Loop: Header=BB219_12 Depth=1
	ds_read_b64 v[4:5], v3 offset:5120
	v_and_b32_e32 v2, s93, v30
	v_lshl_or_b32 v30, 1, s85, v2
	v_or_b32_e32 v38, s92, v38
	s_waitcnt lgkmcnt(0)
	v_cmp_ne_u64_e32 vcc, 0, v[4:5]
	s_cbranch_vccnz .LBB219_410
; %bb.407:                              ;   in Loop: Header=BB219_12 Depth=1
	s_mov_b64 s[10:11], exec
	v_readlane_b32 s12, v47, 12
	v_readlane_b32 s13, v47, 13
	s_and_b64 s[12:13], s[10:11], s[12:13]
	s_mov_b64 exec, s[12:13]
; %bb.408:                              ;   in Loop: Header=BB219_12 Depth=1
	v_mov_b32_e32 v4, s24
	v_mov_b32_e32 v5, s25
	ds_write_b64 v3, v[4:5] offset:5128
; %bb.409:                              ;   in Loop: Header=BB219_12 Depth=1
	s_or_b64 exec, exec, s[10:11]
	s_waitcnt lgkmcnt(0)
	s_barrier
.LBB219_410:                            ;   in Loop: Header=BB219_12 Depth=1
	s_or_saveexec_b64 s[8:9], s[8:9]
	s_mov_b64 s[10:11], 0
	v_mov_b32_e32 v2, 5
	s_xor_b64 exec, exec, s[8:9]
; %bb.411:                              ;   in Loop: Header=BB219_12 Depth=1
	v_subrev_co_u32_e32 v6, vcc, s24, v6
	v_mov_b32_e32 v2, s25
	v_subb_co_u32_e32 v7, vcc, v7, v2, vcc
	v_mov_b32_e32 v2, 0
	s_mov_b64 s[10:11], exec
; %bb.412:                              ;   in Loop: Header=BB219_12 Depth=1
	s_or_b64 exec, exec, s[8:9]
	v_mov_b32_e32 v4, v6
	s_and_b64 s[10:11], s[10:11], exec
	v_mov_b32_e32 v5, v7
.LBB219_413:                            ;   in Loop: Header=BB219_12 Depth=1
	s_or_b64 exec, exec, s[4:5]
	s_mov_b64 s[4:5], -1
                                        ; implicit-def: $sgpr54_sgpr55
                                        ; implicit-def: $sgpr8_sgpr9
	s_and_saveexec_b64 s[24:25], s[10:11]
	s_cbranch_execz .LBB219_464
; %bb.414:                              ;   in Loop: Header=BB219_12 Depth=1
	s_cmp_eq_u64 s[20:21], 1
	v_cmp_eq_u64_e32 vcc, 1, v[4:5]
	s_cselect_b64 s[4:5], -1, 0
	s_and_b64 s[50:51], s[4:5], vcc
	s_mov_b64 s[10:11], -1
                                        ; implicit-def: $sgpr54_sgpr55
                                        ; implicit-def: $sgpr8_sgpr9
	s_and_saveexec_b64 s[52:53], s[50:51]
	s_cbranch_execz .LBB219_452
; %bb.415:                              ;   in Loop: Header=BB219_12 Depth=1
	ds_read_b64 v[6:7], v3 offset:5120
	s_waitcnt lgkmcnt(0)
	s_barrier
	v_readfirstlane_b32 s10, v6
	v_readfirstlane_b32 s11, v7
	s_mov_b64 s[4:5], exec
	v_readlane_b32 s8, v47, 30
	v_readlane_b32 s9, v47, 31
	s_and_b64 s[8:9], s[4:5], s[8:9]
	s_mov_b64 exec, s[8:9]
; %bb.416:                              ;   in Loop: Header=BB219_12 Depth=1
	ds_write_b16 v28, v3
; %bb.417:                              ;   in Loop: Header=BB219_12 Depth=1
	s_or_b64 exec, exec, s[4:5]
	v_and_b32_e32 v30, s93, v30
	v_or_b32_e32 v38, s92, v38
	s_mov_b64 s[8:9], -1
	s_mov_b64 s[54:55], 0
	s_cmp_eq_u64 s[10:11], 0
	s_mov_b64 s[4:5], 0
	s_mov_b64 s[12:13], -1
	s_waitcnt lgkmcnt(0)
	s_barrier
                                        ; implicit-def: $vgpr39
	s_cbranch_scc1 .LBB219_435
; %bb.418:                              ;   in Loop: Header=BB219_12 Depth=1
	v_readlane_b32 s4, v47, 34
	s_add_u32 s58, s10, s4
	v_readlane_b32 s4, v47, 36
	s_addc_u32 s5, s11, s4
	s_mov_b32 s4, s89
	s_cmp_lg_u64 s[4:5], 0
	s_cbranch_scc0 .LBB219_422
; %bb.419:                              ;   in Loop: Header=BB219_12 Depth=1
	v_cvt_f32_u32_e32 v6, s87
	s_sub_u32 s4, 0, s87
	s_subb_u32 s56, 0, 0
	v_mac_f32_e32 v6, 0, v35
	v_rcp_f32_e32 v6, v6
	v_mul_f32_e32 v6, 0x5f7ffffc, v6
	v_mul_f32_e32 v7, 0x2f800000, v6
	v_trunc_f32_e32 v7, v7
	v_mac_f32_e32 v6, 0xcf800000, v7
	v_cvt_u32_f32_e32 v7, v7
	v_cvt_u32_f32_e32 v6, v6
	v_readfirstlane_b32 s57, v7
	v_readfirstlane_b32 s12, v6
	s_mul_i32 s13, s4, s57
	s_mul_hi_u32 s70, s4, s12
	s_mul_i32 s59, s56, s12
	s_add_i32 s13, s70, s13
	s_mul_i32 s71, s4, s12
	s_add_i32 s13, s13, s59
	s_mul_hi_u32 s70, s12, s71
	s_mul_i32 s76, s12, s13
	s_mul_hi_u32 s59, s12, s13
	s_add_u32 s70, s70, s76
	s_addc_u32 s59, 0, s59
	s_mul_hi_u32 s77, s57, s71
	s_mul_i32 s71, s57, s71
	s_add_u32 s70, s70, s71
	s_mul_hi_u32 s76, s57, s13
	s_addc_u32 s59, s59, s77
	s_addc_u32 s70, s76, 0
	s_mul_i32 s13, s57, s13
	s_add_u32 s13, s59, s13
	s_addc_u32 s59, 0, s70
	s_add_u32 s70, s12, s13
	s_cselect_b64 s[12:13], -1, 0
	s_cmp_lg_u64 s[12:13], 0
	s_addc_u32 s57, s57, s59
	s_mul_i32 s12, s4, s57
	s_mul_hi_u32 s13, s4, s70
	s_add_i32 s12, s13, s12
	s_mul_i32 s56, s56, s70
	s_add_i32 s12, s12, s56
	s_mul_i32 s4, s4, s70
	s_mul_hi_u32 s56, s57, s4
	s_mul_i32 s59, s57, s4
	s_mul_i32 s76, s70, s12
	s_mul_hi_u32 s4, s70, s4
	s_mul_hi_u32 s71, s70, s12
	s_add_u32 s4, s4, s76
	s_addc_u32 s71, 0, s71
	s_add_u32 s4, s4, s59
	s_mul_hi_u32 s13, s57, s12
	s_addc_u32 s4, s71, s56
	s_addc_u32 s13, s13, 0
	s_mul_i32 s12, s57, s12
	s_add_u32 s4, s4, s12
	s_addc_u32 s56, 0, s13
	s_add_u32 s4, s70, s4
	s_cselect_b64 s[12:13], -1, 0
	s_cmp_lg_u64 s[12:13], 0
	s_addc_u32 s12, s57, s56
	s_mul_i32 s56, s58, s12
	s_mul_hi_u32 s57, s58, s4
	s_mul_hi_u32 s13, s58, s12
	s_add_u32 s56, s57, s56
	s_addc_u32 s13, 0, s13
	s_mul_hi_u32 s59, s5, s4
	s_mul_i32 s4, s5, s4
	s_add_u32 s4, s56, s4
	s_mul_hi_u32 s57, s5, s12
	s_addc_u32 s4, s13, s59
	s_addc_u32 s13, s57, 0
	s_mul_i32 s12, s5, s12
	s_add_u32 s4, s4, s12
	s_addc_u32 s12, 0, s13
	s_mul_i32 s12, s87, s12
	s_mul_hi_u32 s13, s87, s4
	s_add_i32 s56, s13, s12
	s_mul_i32 s4, s87, s4
	s_sub_u32 s4, s58, s4
	s_cselect_b64 s[12:13], -1, 0
	s_cmp_lg_u64 s[12:13], 0
	s_subb_u32 s56, s5, s56
	s_sub_u32 s57, s4, s87
	s_cselect_b64 s[12:13], -1, 0
	s_cmp_lg_u64 s[12:13], 0
	s_subb_u32 s59, s56, 0
	;; [unrolled: 4-line block ×3, first 2 shown]
	s_cmp_ge_u32 s57, s87
	s_cselect_b32 s13, -1, 0
	s_cmp_eq_u32 s59, 0
	s_cselect_b32 s13, s13, -1
	s_cmp_lg_u32 s13, 0
	s_cselect_b32 s12, s12, s59
	s_cselect_b32 s57, s70, s57
	s_cmp_ge_u32 s4, s87
	s_cselect_b32 s13, -1, 0
	s_cmp_eq_u32 s56, 0
	s_cselect_b32 s13, s13, -1
	s_cmp_lg_u32 s13, 0
	s_cselect_b32 s13, s12, s56
	s_cselect_b32 s12, s57, s4
	s_mov_b64 s[56:57], 0
	s_branch .LBB219_423
.LBB219_420:                            ;   in Loop: Header=BB219_12 Depth=1
                                        ; implicit-def: $sgpr10_sgpr11
	s_branch .LBB219_375
.LBB219_421:                            ;   in Loop: Header=BB219_12 Depth=1
                                        ; implicit-def: $sgpr8_sgpr9
	s_branch .LBB219_391
.LBB219_422:                            ;   in Loop: Header=BB219_12 Depth=1
	s_mov_b64 s[56:57], -1
                                        ; implicit-def: $sgpr12_sgpr13
.LBB219_423:                            ;   in Loop: Header=BB219_12 Depth=1
	s_andn2_b64 vcc, exec, s[56:57]
	s_cbranch_vccnz .LBB219_425
; %bb.424:                              ;   in Loop: Header=BB219_12 Depth=1
	v_cvt_f32_u32_e32 v6, s87
	s_sub_i32 s4, 0, s87
	v_rcp_iflag_f32_e32 v6, v6
	v_mul_f32_e32 v6, 0x4f7ffffe, v6
	v_cvt_u32_f32_e32 v6, v6
	v_readfirstlane_b32 s12, v6
	s_mul_i32 s4, s4, s12
	s_mul_hi_u32 s4, s12, s4
	s_add_i32 s12, s12, s4
	s_mul_hi_u32 s4, s58, s12
	s_mul_i32 s4, s4, s87
	s_sub_i32 s4, s58, s4
	s_sub_i32 s12, s4, s87
	s_cmp_ge_u32 s4, s87
	s_cselect_b32 s4, s12, s4
	s_sub_i32 s12, s4, s87
	s_cmp_ge_u32 s4, s87
	s_cselect_b32 s88, s12, s4
	s_mov_b64 s[12:13], s[88:89]
.LBB219_425:                            ;   in Loop: Header=BB219_12 Depth=1
	s_sub_u32 s58, s58, s12
	s_subb_u32 s59, s5, s13
	v_cmp_gt_u64_e32 vcc, s[58:59], v[0:1]
	s_mov_b64 s[12:13], 0
	s_mov_b64 s[4:5], 0
                                        ; implicit-def: $vgpr39
	s_and_saveexec_b64 s[56:57], vcc
	s_cbranch_execz .LBB219_434
; %bb.426:                              ;   in Loop: Header=BB219_12 Depth=1
	v_mov_b32_e32 v7, v1
	v_mov_b32_e32 v8, v27
	;; [unrolled: 1-line block ×3, first 2 shown]
                                        ; implicit-def: $sgpr70_sgpr71
	s_branch .LBB219_429
.LBB219_427:                            ;   in Loop: Header=BB219_429 Depth=2
	s_or_b64 exec, exec, s[76:77]
	s_waitcnt lgkmcnt(0)
	s_barrier
	ds_read_b32 v9, v3 offset:3072
	s_mov_b64 s[76:77], -1
	s_mov_b64 s[90:91], -1
	s_waitcnt lgkmcnt(0)
	s_barrier
	v_and_b32_e32 v10, 0x7fff, v9
	v_cmp_ne_u32_e32 vcc, 0, v10
	s_cbranch_vccz .LBB219_432
.LBB219_428:                            ;   in Loop: Header=BB219_429 Depth=2
	s_and_b64 s[76:77], exec, s[76:77]
	s_or_b64 s[4:5], s[76:77], s[4:5]
	s_andn2_b64 s[70:71], s[70:71], exec
	s_and_b64 s[76:77], s[90:91], exec
	s_or_b64 s[70:71], s[70:71], s[76:77]
	s_andn2_b64 exec, exec, s[4:5]
	s_cbranch_execz .LBB219_433
.LBB219_429:                            ;   Parent Loop BB219_12 Depth=1
                                        ; =>  This Inner Loop Header: Depth=2
	v_cmp_gt_u64_e32 vcc, s[10:11], v[6:7]
	s_and_saveexec_b64 s[76:77], vcc
	s_cbranch_execz .LBB219_427
; %bb.430:                              ;   in Loop: Header=BB219_429 Depth=2
	ds_read_u16 v9, v8
	s_waitcnt lgkmcnt(0)
	v_cmp_lt_i16_e32 vcc, -1, v9
	v_cndmask_b32_e32 v10, v33, v34, vcc
	v_lshlrev_b32_e32 v11, 16, v9
	v_cmp_o_f32_e32 vcc, v11, v11
	v_xor_b32_sdwa v10, v10, v9 dst_sel:DWORD dst_unused:UNUSED_PAD src0_sel:DWORD src1_sel:WORD_0
	v_cndmask_b32_e32 v10, v33, v10, vcc
	v_and_b32_e32 v10, v10, v38
	v_cmp_eq_u32_e32 vcc, v10, v30
	s_and_b64 exec, exec, vcc
	s_cbranch_execz .LBB219_427
; %bb.431:                              ;   in Loop: Header=BB219_429 Depth=2
	s_movk_i32 s88, 0x3f80
	v_perm_b32 v9, v9, s88, v37
	ds_write_b32 v3, v9 offset:3072
	s_branch .LBB219_427
.LBB219_432:                            ;   in Loop: Header=BB219_429 Depth=2
	v_add_co_u32_e32 v6, vcc, s87, v6
	v_addc_co_u32_e32 v7, vcc, 0, v7, vcc
	v_cmp_le_u64_e32 vcc, s[58:59], v[6:7]
	v_readlane_b32 s76, v47, 50
	v_add_u32_e32 v8, s76, v8
	s_mov_b64 s[90:91], 0
	s_orn2_b64 s[76:77], vcc, exec
	s_branch .LBB219_428
.LBB219_433:                            ;   in Loop: Header=BB219_12 Depth=1
	s_or_b64 exec, exec, s[4:5]
	v_lshrrev_b32_e32 v39, 16, v9
	s_and_b64 s[4:5], s[70:71], exec
.LBB219_434:                            ;   in Loop: Header=BB219_12 Depth=1
	s_or_b64 exec, exec, s[56:57]
.LBB219_435:                            ;   in Loop: Header=BB219_12 Depth=1
	s_and_b64 vcc, exec, s[12:13]
	s_cbranch_vccz .LBB219_451
; %bb.436:                              ;   in Loop: Header=BB219_12 Depth=1
	v_readlane_b32 s58, v47, 37
	v_readlane_b32 s59, v47, 38
	s_mov_b32 s58, s89
	s_cmp_lg_u64 s[58:59], 0
	v_writelane_b32 v47, s58, 37
	v_writelane_b32 v47, s59, 38
	s_cbranch_scc0 .LBB219_438
; %bb.437:                              ;   in Loop: Header=BB219_12 Depth=1
	v_cvt_f32_u32_e32 v6, s87
	s_sub_u32 s10, 0, s87
	s_subb_u32 s11, 0, 0
	v_mac_f32_e32 v6, 0, v35
	v_rcp_f32_e32 v6, v6
	v_mul_f32_e32 v6, 0x5f7ffffc, v6
	v_mul_f32_e32 v7, 0x2f800000, v6
	v_trunc_f32_e32 v7, v7
	v_mac_f32_e32 v6, 0xcf800000, v7
	v_cvt_u32_f32_e32 v7, v7
	v_cvt_u32_f32_e32 v6, v6
	v_readfirstlane_b32 s12, v7
	v_readfirstlane_b32 s8, v6
	s_mul_i32 s9, s10, s12
	s_mul_hi_u32 s54, s10, s8
	s_mul_i32 s13, s11, s8
	s_add_i32 s9, s54, s9
	s_mul_i32 s55, s10, s8
	s_add_i32 s9, s9, s13
	s_mul_hi_u32 s54, s8, s55
	s_mul_i32 s56, s8, s9
	s_mul_hi_u32 s13, s8, s9
	s_add_u32 s54, s54, s56
	s_addc_u32 s13, 0, s13
	s_mul_hi_u32 s57, s12, s55
	s_mul_i32 s55, s12, s55
	s_add_u32 s54, s54, s55
	s_mul_hi_u32 s56, s12, s9
	s_addc_u32 s13, s13, s57
	s_addc_u32 s54, s56, 0
	s_mul_i32 s9, s12, s9
	s_add_u32 s9, s13, s9
	s_addc_u32 s13, 0, s54
	s_add_u32 s54, s8, s9
	s_cselect_b64 s[8:9], -1, 0
	s_cmp_lg_u64 s[8:9], 0
	s_addc_u32 s12, s12, s13
	s_mul_i32 s8, s10, s12
	s_mul_hi_u32 s9, s10, s54
	s_add_i32 s8, s9, s8
	s_mul_i32 s11, s11, s54
	s_add_i32 s8, s8, s11
	s_mul_i32 s10, s10, s54
	s_mul_hi_u32 s11, s12, s10
	s_mul_i32 s13, s12, s10
	s_mul_i32 s56, s54, s8
	s_mul_hi_u32 s10, s54, s10
	s_mul_hi_u32 s55, s54, s8
	s_add_u32 s10, s10, s56
	s_addc_u32 s55, 0, s55
	s_add_u32 s10, s10, s13
	s_mul_hi_u32 s9, s12, s8
	s_addc_u32 s10, s55, s11
	s_addc_u32 s9, s9, 0
	s_mul_i32 s8, s12, s8
	s_add_u32 s8, s10, s8
	s_addc_u32 s10, 0, s9
	s_add_u32 s11, s54, s8
	s_cselect_b64 s[8:9], -1, 0
	s_cmp_lg_u64 s[8:9], 0
	s_addc_u32 s8, s12, s10
	v_readlane_b32 s54, v47, 35
	s_mul_i32 s10, s54, s8
	s_mul_hi_u32 s12, s54, s11
	s_mul_hi_u32 s9, s54, s8
	s_add_u32 s10, s12, s10
	s_addc_u32 s9, 0, s9
	s_mul_hi_u32 s13, s59, s11
	s_mul_i32 s11, s59, s11
	s_add_u32 s10, s10, s11
	s_mul_hi_u32 s12, s59, s8
	s_addc_u32 s9, s9, s13
	s_addc_u32 s10, s12, 0
	s_mul_i32 s8, s59, s8
	s_add_u32 s8, s9, s8
	s_addc_u32 s9, 0, s10
	s_mul_i32 s9, s87, s9
	s_mul_hi_u32 s10, s87, s8
	s_add_i32 s10, s10, s9
	s_mul_i32 s8, s87, s8
	s_sub_u32 s11, s54, s8
	s_cselect_b64 s[8:9], -1, 0
	s_cmp_lg_u64 s[8:9], 0
	s_subb_u32 s10, s59, s10
	s_sub_u32 s12, s11, s87
	s_cselect_b64 s[8:9], -1, 0
	s_cmp_lg_u64 s[8:9], 0
	s_subb_u32 s13, s10, 0
	;; [unrolled: 4-line block ×3, first 2 shown]
	s_cmp_ge_u32 s12, s87
	s_cselect_b32 s9, -1, 0
	s_cmp_eq_u32 s13, 0
	s_cselect_b32 s9, s9, -1
	s_cmp_lg_u32 s9, 0
	s_cselect_b32 s8, s8, s13
	s_cselect_b32 s12, s54, s12
	s_cmp_ge_u32 s11, s87
	s_cselect_b32 s9, -1, 0
	s_cmp_eq_u32 s10, 0
	s_cselect_b32 s9, s9, -1
	s_cmp_lg_u32 s9, 0
	s_cselect_b32 s9, s8, s10
	s_cselect_b32 s8, s12, s11
	s_mov_b64 s[10:11], 0
	s_branch .LBB219_439
.LBB219_438:                            ;   in Loop: Header=BB219_12 Depth=1
	s_mov_b64 s[10:11], -1
                                        ; implicit-def: $sgpr8_sgpr9
.LBB219_439:                            ;   in Loop: Header=BB219_12 Depth=1
	s_andn2_b64 vcc, exec, s[10:11]
	s_cbranch_vccnz .LBB219_441
; %bb.440:                              ;   in Loop: Header=BB219_12 Depth=1
	v_cvt_f32_u32_e32 v6, s87
	s_sub_i32 s8, 0, s87
	v_readlane_b32 s10, v47, 35
	v_rcp_iflag_f32_e32 v6, v6
	v_mul_f32_e32 v6, 0x4f7ffffe, v6
	v_cvt_u32_f32_e32 v6, v6
	v_readfirstlane_b32 s9, v6
	s_mul_i32 s8, s8, s9
	s_mul_hi_u32 s8, s9, s8
	s_add_i32 s9, s9, s8
	s_mul_hi_u32 s8, s10, s9
	s_mul_i32 s8, s8, s87
	s_sub_i32 s8, s10, s8
	s_sub_i32 s9, s8, s87
	s_cmp_ge_u32 s8, s87
	s_cselect_b32 s8, s9, s8
	s_sub_i32 s9, s8, s87
	s_cmp_ge_u32 s8, s87
	s_cselect_b32 s88, s9, s8
	s_mov_b64 s[8:9], s[88:89]
.LBB219_441:                            ;   in Loop: Header=BB219_12 Depth=1
	v_readlane_b32 s10, v47, 35
	v_readlane_b32 s12, v47, 37
	s_sub_u32 s10, s10, s8
	v_readlane_b32 s13, v47, 38
	s_subb_u32 s11, s13, s9
	v_cmp_gt_u64_e32 vcc, s[10:11], v[0:1]
                                        ; implicit-def: $vgpr39
	s_and_saveexec_b64 s[8:9], vcc
	s_cbranch_execz .LBB219_450
; %bb.442:                              ;   in Loop: Header=BB219_12 Depth=1
	v_mov_b32_e32 v7, v1
	s_mov_b64 s[12:13], 0
	v_mov_b32_e32 v6, v0
                                        ; implicit-def: $sgpr54_sgpr55
	s_branch .LBB219_445
.LBB219_443:                            ;   in Loop: Header=BB219_445 Depth=2
	s_or_b64 exec, exec, s[56:57]
	s_waitcnt lgkmcnt(0)
	s_barrier
	ds_read_b32 v8, v3 offset:3072
	s_mov_b64 s[56:57], -1
	s_mov_b64 s[58:59], -1
	s_waitcnt lgkmcnt(0)
	s_barrier
	v_and_b32_e32 v9, 0x7fff, v8
	v_cmp_eq_u32_e32 vcc, 0, v9
	s_cbranch_vccnz .LBB219_448
.LBB219_444:                            ;   in Loop: Header=BB219_445 Depth=2
	s_and_b64 s[56:57], exec, s[56:57]
	s_or_b64 s[12:13], s[56:57], s[12:13]
	s_andn2_b64 s[54:55], s[54:55], exec
	s_and_b64 s[56:57], s[58:59], exec
	s_or_b64 s[54:55], s[54:55], s[56:57]
	s_andn2_b64 exec, exec, s[12:13]
	s_cbranch_execz .LBB219_449
.LBB219_445:                            ;   Parent Loop BB219_12 Depth=1
                                        ; =>  This Inner Loop Header: Depth=2
	v_cmp_gt_u64_e32 vcc, s[64:65], v[6:7]
	s_and_saveexec_b64 s[56:57], vcc
	s_cbranch_execz .LBB219_443
; %bb.446:                              ;   in Loop: Header=BB219_445 Depth=2
	v_mul_lo_u32 v10, v7, s62
	v_mul_lo_u32 v11, v6, s63
	v_mad_u64_u32 v[8:9], s[58:59], v6, s62, 0
	v_add3_u32 v9, v9, v11, v10
	v_lshlrev_b64 v[8:9], 1, v[8:9]
	v_mov_b32_e32 v10, s86
	v_add_co_u32_e32 v8, vcc, s33, v8
	v_addc_co_u32_e32 v9, vcc, v10, v9, vcc
	global_load_ushort v8, v[8:9], off
	s_waitcnt vmcnt(0)
	v_cmp_lt_i16_e32 vcc, -1, v8
	v_cndmask_b32_e32 v9, v33, v34, vcc
	v_lshlrev_b32_e32 v10, 16, v8
	v_xor_b32_sdwa v9, v9, v8 dst_sel:DWORD dst_unused:UNUSED_PAD src0_sel:DWORD src1_sel:WORD_0
	v_cmp_o_f32_e32 vcc, v10, v10
	v_cndmask_b32_e32 v9, v33, v9, vcc
	v_and_b32_e32 v9, v9, v38
	v_cmp_eq_u32_e32 vcc, v9, v30
	s_and_b64 exec, exec, vcc
	s_cbranch_execz .LBB219_443
; %bb.447:                              ;   in Loop: Header=BB219_445 Depth=2
	s_movk_i32 s58, 0x3f80
	v_perm_b32 v8, v8, s58, v37
	ds_write_b32 v3, v8 offset:3072
	s_branch .LBB219_443
.LBB219_448:                            ;   in Loop: Header=BB219_445 Depth=2
	v_add_co_u32_e32 v6, vcc, s87, v6
	v_addc_co_u32_e32 v7, vcc, 0, v7, vcc
	v_cmp_le_u64_e32 vcc, s[10:11], v[6:7]
	s_mov_b64 s[58:59], 0
	s_orn2_b64 s[56:57], vcc, exec
	s_branch .LBB219_444
.LBB219_449:                            ;   in Loop: Header=BB219_12 Depth=1
	s_or_b64 exec, exec, s[12:13]
	s_andn2_b64 s[4:5], s[4:5], exec
	s_and_b64 s[10:11], s[54:55], exec
	v_lshrrev_b32_e32 v39, 16, v8
	s_or_b64 s[4:5], s[4:5], s[10:11]
.LBB219_450:                            ;   in Loop: Header=BB219_12 Depth=1
	s_or_b64 exec, exec, s[8:9]
	s_mov_b64 s[8:9], 0
	s_mov_b64 s[54:55], -1
.LBB219_451:                            ;   in Loop: Header=BB219_12 Depth=1
	s_orn2_b64 s[10:11], s[4:5], exec
.LBB219_452:                            ;   in Loop: Header=BB219_12 Depth=1
	s_or_b64 exec, exec, s[52:53]
	s_mov_b64 s[12:13], 0
	s_and_saveexec_b64 s[4:5], s[10:11]
	s_cbranch_execz .LBB219_463
; %bb.453:                              ;   in Loop: Header=BB219_12 Depth=1
	v_mov_b32_e32 v6, 1
	s_xor_b64 s[12:13], s[50:51], -1
	v_mov_b32_e32 v7, 0
	v_mov_b32_e32 v2, 1
	s_and_saveexec_b64 s[10:11], s[12:13]
	s_cbranch_execz .LBB219_462
; %bb.454:                              ;   in Loop: Header=BB219_12 Depth=1
	v_cmp_ge_u64_e32 vcc, s[20:21], v[4:5]
	s_and_saveexec_b64 s[12:13], vcc
	s_xor_b64 s[12:13], exec, s[12:13]
	s_cbranch_execz .LBB219_459
; %bb.455:                              ;   in Loop: Header=BB219_12 Depth=1
	ds_read_b64 v[6:7], v3 offset:5120
	v_and_b32_e32 v30, s93, v30
	v_or_b32_e32 v38, s92, v38
	s_waitcnt lgkmcnt(0)
	v_cmp_ne_u64_e32 vcc, 0, v[6:7]
	s_cbranch_vccnz .LBB219_459
; %bb.456:                              ;   in Loop: Header=BB219_12 Depth=1
	s_mov_b64 s[50:51], exec
	v_readlane_b32 s52, v47, 12
	v_readlane_b32 s53, v47, 13
	s_and_b64 s[52:53], s[50:51], s[52:53]
	s_mov_b64 exec, s[52:53]
; %bb.457:                              ;   in Loop: Header=BB219_12 Depth=1
	v_mov_b32_e32 v6, s20
	v_mov_b32_e32 v7, s21
	ds_write_b64 v3, v[6:7] offset:5128
; %bb.458:                              ;   in Loop: Header=BB219_12 Depth=1
	s_or_b64 exec, exec, s[50:51]
	s_waitcnt lgkmcnt(0)
	s_barrier
.LBB219_459:                            ;   in Loop: Header=BB219_12 Depth=1
	s_andn2_saveexec_b64 s[12:13], s[12:13]
; %bb.460:                              ;   in Loop: Header=BB219_12 Depth=1
	v_mov_b32_e32 v2, s21
	v_subrev_co_u32_e32 v4, vcc, s20, v4
	v_subb_co_u32_e32 v5, vcc, v5, v2, vcc
; %bb.461:                              ;   in Loop: Header=BB219_12 Depth=1
	s_or_b64 exec, exec, s[12:13]
	v_mov_b32_e32 v7, v5
	v_mov_b32_e32 v2, 5
	;; [unrolled: 1-line block ×3, first 2 shown]
.LBB219_462:                            ;   in Loop: Header=BB219_12 Depth=1
	s_or_b64 exec, exec, s[10:11]
	v_mov_b32_e32 v4, v6
	s_mov_b64 s[12:13], exec
	v_mov_b32_e32 v5, v7
.LBB219_463:                            ;   in Loop: Header=BB219_12 Depth=1
	s_or_b64 exec, exec, s[4:5]
	s_orn2_b64 s[4:5], s[12:13], exec
.LBB219_464:                            ;   in Loop: Header=BB219_12 Depth=1
	s_or_b64 exec, exec, s[24:25]
	s_andn2_b64 s[10:11], s[46:47], exec
	s_and_b64 s[12:13], s[54:55], exec
	s_or_b64 s[46:47], s[10:11], s[12:13]
	s_andn2_b64 s[10:11], s[44:45], exec
	s_and_b64 s[8:9], s[8:9], exec
	v_mov_b32_e32 v7, v5
	s_or_b64 s[44:45], s[10:11], s[8:9]
	s_and_b64 s[8:9], s[4:5], exec
	v_mov_b32_e32 v6, v4
.LBB219_465:                            ;   in Loop: Header=BB219_12 Depth=1
	s_or_b64 exec, exec, s[48:49]
	s_orn2_b64 s[4:5], s[8:9], exec
.LBB219_466:                            ;   in Loop: Header=BB219_12 Depth=1
	s_or_b64 exec, exec, s[26:27]
	s_andn2_b64 s[8:9], s[38:39], exec
	s_and_b64 s[10:11], s[46:47], exec
	s_or_b64 s[38:39], s[8:9], s[10:11]
	s_andn2_b64 s[8:9], s[28:29], exec
	s_and_b64 s[10:11], s[44:45], exec
	v_mov_b32_e32 v4, v6
	s_or_b64 s[28:29], s[8:9], s[10:11]
	s_and_b64 s[8:9], s[4:5], exec
	v_mov_b32_e32 v5, v7
.LBB219_467:                            ;   in Loop: Header=BB219_12 Depth=1
	s_or_b64 exec, exec, s[40:41]
	s_orn2_b64 s[4:5], s[8:9], exec
.LBB219_468:                            ;   in Loop: Header=BB219_12 Depth=1
	s_or_b64 exec, exec, s[6:7]
	s_mov_b64 s[6:7], s[34:35]
	s_mov_b64 s[8:9], s[30:31]
	s_and_saveexec_b64 s[10:11], s[4:5]
; %bb.469:                              ;   in Loop: Header=BB219_12 Depth=1
	v_cmp_ne_u32_e64 s[6:7], 5, v2
	v_cmp_eq_u32_e32 vcc, 5, v2
	s_andn2_b64 s[4:5], s[30:31], exec
	s_and_b64 s[6:7], s[6:7], exec
	s_or_b64 s[8:9], s[4:5], s[6:7]
	s_andn2_b64 s[4:5], s[34:35], exec
	s_and_b64 s[6:7], vcc, exec
	s_or_b64 s[6:7], s[4:5], s[6:7]
; %bb.470:                              ;   in Loop: Header=BB219_12 Depth=1
	s_or_b64 exec, exec, s[10:11]
	s_andn2_b64 s[4:5], s[18:19], exec
	s_and_b64 s[10:11], s[38:39], exec
	s_or_b64 s[18:19], s[4:5], s[10:11]
	s_andn2_b64 s[4:5], s[22:23], exec
	s_and_b64 s[10:11], s[28:29], exec
	s_or_b64 s[22:23], s[4:5], s[10:11]
	;; [unrolled: 3-line block ×4, first 2 shown]
.LBB219_471:                            ;   in Loop: Header=BB219_12 Depth=1
	s_or_b64 exec, exec, s[36:37]
	s_mov_b64 s[36:37], 0
	s_mov_b64 s[38:39], 0
	s_and_saveexec_b64 s[4:5], s[34:35]
.LBB219_472:                            ;   in Loop: Header=BB219_12 Depth=1
	v_mov_b32_e32 v2, 0
	s_or_b64 s[30:31], s[30:31], exec
.LBB219_473:                            ;   in Loop: Header=BB219_12 Depth=1
	s_or_b64 exec, exec, s[4:5]
	s_andn2_b64 s[4:5], s[42:43], exec
	s_and_b64 s[8:9], s[18:19], exec
	s_or_b64 s[42:43], s[4:5], s[8:9]
	s_andn2_b64 s[4:5], s[78:79], exec
	s_and_b64 s[8:9], s[22:23], exec
	s_or_b64 s[78:79], s[4:5], s[8:9]
	;; [unrolled: 3-line block ×3, first 2 shown]
	s_andn2_b64 s[4:5], s[14:15], exec
	s_and_b64 s[8:9], s[36:37], exec
	v_mov_b32_e32 v20, v5
	s_mov_b64 s[6:7], -1
	s_andn2_b64 s[68:69], s[68:69], exec
	s_or_b64 s[14:15], s[4:5], s[8:9]
	v_mov_b32_e32 v19, v4
	s_and_saveexec_b64 s[4:5], s[30:31]
	s_xor_b64 s[4:5], exec, s[4:5]
	v_readlane_b32 s23, v47, 58
	v_readlane_b32 s24, v47, 59
	s_cbranch_execz .LBB219_11
; %bb.474:                              ;   in Loop: Header=BB219_12 Depth=1
	v_cmp_eq_u32_e32 vcc, 0, v2
	s_mov_b64 s[8:9], -1
	s_and_saveexec_b64 s[10:11], vcc
	s_cbranch_execz .LBB219_10
; %bb.475:                              ;   in Loop: Header=BB219_12 Depth=1
	v_readlane_b32 s6, v47, 57
	s_xor_b32 s6, s6, 1
	s_add_i32 s12, s85, -2
	s_cmp_eq_u32 s85, 0
	v_writelane_b32 v47, s6, 57
	s_cselect_b64 s[6:7], -1, 0
	s_xor_b64 s[8:9], exec, -1
	s_orn2_b64 s[6:7], s[6:7], exec
	s_mov_b32 s85, s12
	s_branch .LBB219_10
.LBB219_476:
	s_or_b64 exec, exec, s[72:73]
	s_xor_b64 s[4:5], s[2:3], -1
	s_xor_b64 s[8:9], s[82:83], -1
	;; [unrolled: 1-line block ×5, first 2 shown]
	s_mov_b64 s[6:7], 0
	s_and_saveexec_b64 s[14:15], s[10:11]
	s_xor_b64 s[10:11], exec, s[14:15]
	s_cbranch_execnz .LBB219_481
; %bb.477:
	s_andn2_saveexec_b64 s[0:1], s[10:11]
	s_cbranch_execnz .LBB219_500
.LBB219_478:
	s_or_b64 exec, exec, s[0:1]
	s_and_saveexec_b64 s[0:1], s[6:7]
.LBB219_479:
	; divergent unreachable
.LBB219_480:
	s_endpgm
.LBB219_481:
	s_and_saveexec_b64 s[14:15], s[12:13]
	s_xor_b64 s[12:13], exec, s[14:15]
	s_cbranch_execz .LBB219_498
; %bb.482:
	s_and_saveexec_b64 s[14:15], s[8:9]
	s_xor_b64 s[14:15], exec, s[14:15]
	s_cbranch_execz .LBB219_496
; %bb.483:
	;; [unrolled: 4-line block ×3, first 2 shown]
	s_and_saveexec_b64 s[4:5], s[2:3]
	s_xor_b64 s[2:3], exec, s[4:5]
; %bb.485:
	v_and_b32_e32 v2, 0x8000, v30
	v_mov_b32_e32 v3, 0x8000
	v_mov_b32_e32 v4, 0xffff
	v_cmp_eq_u32_e32 vcc, 0, v2
	v_cndmask_b32_e32 v2, v3, v4, vcc
	v_xor_b32_e32 v39, v2, v30
; %bb.486:
	s_or_b64 exec, exec, s[2:3]
	s_mov_b64 s[2:3], exec
	v_readlane_b32 s4, v47, 12
	v_readlane_b32 s5, v47, 13
	;; [unrolled: 1-line block ×4, first 2 shown]
	s_and_b64 s[4:5], s[2:3], s[4:5]
	v_readlane_b32 s45, v47, 21
	v_readlane_b32 s23, v47, 52
	;; [unrolled: 1-line block ×4, first 2 shown]
	s_mov_b64 exec, s[4:5]
; %bb.487:
	v_mov_b32_e32 v2, 0
	v_mov_b32_e32 v3, v2
	ds_write_b64 v2, v[2:3] offset:5136
; %bb.488:
	s_or_b64 exec, exec, s[2:3]
	v_mov_b32_e32 v17, 0
	s_waitcnt lgkmcnt(0)
	s_barrier
	s_mov_b64 s[2:3], exec
	v_readlane_b32 s4, v47, 28
	v_readlane_b32 s5, v47, 29
	s_and_b64 s[4:5], s[2:3], s[4:5]
	s_mov_b64 exec, s[4:5]
	s_cbranch_execz .LBB219_490
; %bb.489:
	global_load_ushort v17, v[12:13], off
.LBB219_490:
	s_or_b64 exec, exec, s[2:3]
	s_add_u32 s2, s64, 63
	s_addc_u32 s9, s65, 0
	s_and_b32 s8, s2, 0xffffffc0
	v_readlane_b32 s4, v47, 2
	v_readlane_b32 s2, v47, 0
	;; [unrolled: 1-line block ×4, first 2 shown]
	s_mov_b32 s6, s2
	s_mul_i32 s2, s2, s5
	s_mul_hi_u32 s3, s6, s4
	s_add_i32 s3, s3, s2
	s_mul_i32 s2, s6, s4
	v_readlane_b32 s24, v47, 16
	s_sub_u32 s2, s18, s2
	v_readlane_b32 s26, v47, 18
	v_readlane_b32 s27, v47, 19
	s_subb_u32 s3, 0, s3
	s_mul_i32 s4, s2, s27
	s_mul_hi_u32 s5, s2, s26
	v_readlane_b32 s25, v47, 17
	s_add_i32 s4, s5, s4
	s_mul_i32 s3, s3, s26
	s_add_i32 s3, s4, s3
	s_mul_i32 s4, s6, s25
	s_mul_hi_u32 s5, s6, s24
	s_add_i32 s5, s5, s4
	s_mul_i32 s4, s6, s24
	v_readlane_b32 s20, v47, 6
	v_readlane_b32 s6, v47, 4
	;; [unrolled: 1-line block ×4, first 2 shown]
	s_mov_b32 s24, s6
	s_mul_i32 s6, s6, s21
	s_mul_hi_u32 s7, s24, s20
	s_add_i32 s7, s7, s6
	s_mul_i32 s6, s24, s20
	v_readlane_b32 s28, v47, 53
	s_sub_u32 s6, s18, s6
	v_readlane_b32 s30, v47, 55
	v_readlane_b32 s31, v47, 56
	s_subb_u32 s7, 0, s7
	s_mul_i32 s18, s6, s31
	s_mul_hi_u32 s19, s6, s30
	v_readlane_b32 s29, v47, 54
	s_add_i32 s18, s19, s18
	s_mul_i32 s7, s7, s30
	s_add_i32 s7, s18, s7
	s_mul_i32 s18, s24, s29
	s_mul_hi_u32 s19, s24, s28
	s_add_i32 s19, s19, s18
	s_lshl_b64 s[4:5], s[4:5], 1
	v_readlane_b32 s20, v47, 10
	s_mul_i32 s2, s2, s26
	v_readlane_b32 s21, v47, 11
	s_add_u32 s4, s20, s4
	s_addc_u32 s5, s21, s5
	s_lshl_b64 s[2:3], s[2:3], 1
	s_mul_i32 s18, s24, s28
	s_add_u32 s38, s4, s2
	v_mov_b32_e32 v15, 0xffff
	v_mov_b32_e32 v16, 0x8000
	v_cmp_lt_i16_e32 vcc, -1, v39
	s_addc_u32 s39, s5, s3
	s_lshl_b64 s[2:3], s[18:19], 3
	v_readlane_b32 s4, v47, 8
	s_load_dwordx2 s[18:19], s[22:23], 0x368
	s_load_dwordx2 s[20:21], s[22:23], 0x510
	v_cndmask_b32_e32 v2, v15, v16, vcc
	v_lshlrev_b32_e32 v3, 16, v39
	s_mul_i32 s6, s6, s30
	v_readlane_b32 s5, v47, 9
	s_add_u32 s4, s4, s2
	v_xor_b32_sdwa v2, v2, v39 dst_sel:DWORD dst_unused:UNUSED_PAD src0_sel:DWORD src1_sel:WORD_0
	v_cmp_o_f32_e32 vcc, v3, v3
	s_addc_u32 s5, s5, s3
	s_lshl_b64 s[2:3], s[6:7], 3
	v_cndmask_b32_e32 v14, v15, v2, vcc
	s_add_u32 s40, s4, s2
	v_cmp_gt_u64_e32 vcc, s[8:9], v[0:1]
	s_addc_u32 s41, s5, s3
	s_mov_b64 s[24:25], -1
	s_mov_b64 s[2:3], 0
	s_mov_b64 s[4:5], 0
	s_and_saveexec_b64 s[22:23], vcc
	s_cbranch_execnz .LBB219_501
; %bb.491:
	s_or_b64 exec, exec, s[22:23]
	s_and_saveexec_b64 s[6:7], s[24:25]
	s_cbranch_execnz .LBB219_518
.LBB219_492:
	s_or_b64 exec, exec, s[6:7]
	s_and_saveexec_b64 s[0:1], s[4:5]
	s_xor_b64 s[0:1], exec, s[0:1]
	s_cbranch_execnz .LBB219_543
.LBB219_493:
	s_or_b64 exec, exec, s[0:1]
	s_and_b64 s[6:7], s[2:3], exec
.LBB219_494:
	s_andn2_saveexec_b64 s[0:1], s[16:17]
	s_cbranch_execnz .LBB219_545
.LBB219_495:
	s_or_b64 exec, exec, s[0:1]
	s_and_b64 s[6:7], s[6:7], exec
.LBB219_496:
	s_andn2_saveexec_b64 s[0:1], s[14:15]
	s_cbranch_execnz .LBB219_544
.LBB219_497:
	s_or_b64 exec, exec, s[0:1]
	s_and_b64 s[6:7], s[6:7], exec
.LBB219_498:
	s_andn2_saveexec_b64 s[0:1], s[12:13]
	s_cbranch_execnz .LBB219_539
.LBB219_499:
	s_or_b64 exec, exec, s[0:1]
	s_and_b64 s[6:7], s[6:7], exec
	s_andn2_saveexec_b64 s[0:1], s[10:11]
	s_cbranch_execz .LBB219_478
.LBB219_500:
	s_or_b64 s[6:7], s[6:7], exec
	s_trap 2
	s_or_b64 exec, exec, s[0:1]
	s_and_saveexec_b64 s[0:1], s[6:7]
	s_cbranch_execnz .LBB219_479
	s_branch .LBB219_480
.LBB219_501:
	v_mov_b32_e32 v9, v1
	s_mov_b64 s[24:25], 0
	v_mov_b32_e32 v3, 0
	v_mov_b32_e32 v8, v0
                                        ; implicit-def: $sgpr26_sgpr27
                                        ; implicit-def: $vgpr6_vgpr7
	s_branch .LBB219_503
.LBB219_502:                            ;   in Loop: Header=BB219_503 Depth=1
	s_or_b64 exec, exec, s[30:31]
	s_xor_b64 s[4:5], s[28:29], -1
	s_and_b64 s[6:7], exec, s[6:7]
	s_or_b64 s[24:25], s[6:7], s[24:25]
	s_andn2_b64 s[6:7], s[26:27], exec
	s_and_b64 s[4:5], s[4:5], exec
	v_mov_b32_e32 v9, v5
	s_or_b64 s[26:27], s[6:7], s[4:5]
	v_mov_b32_e32 v8, v4
	s_waitcnt vmcnt(0)
	v_mov_b32_e32 v17, v18
	s_andn2_b64 exec, exec, s[24:25]
	s_cbranch_execz .LBB219_517
.LBB219_503:                            ; =>This Inner Loop Header: Depth=1
	v_add_co_u32_e64 v4, s[4:5], s87, v8
	v_addc_co_u32_e64 v5, s[4:5], 0, v9, s[4:5]
	v_cmp_gt_u64_e64 s[4:5], s[64:65], v[4:5]
	v_mov_b32_e32 v18, 0
	s_and_saveexec_b64 s[6:7], s[4:5]
	s_cbranch_execz .LBB219_505
; %bb.504:                              ;   in Loop: Header=BB219_503 Depth=1
	v_mul_lo_u32 v2, v5, s62
	v_mul_lo_u32 v18, v4, s63
	v_mad_u64_u32 v[10:11], s[4:5], v4, s62, 0
	v_add3_u32 v11, v11, v18, v2
	v_lshlrev_b64 v[10:11], 1, v[10:11]
	v_mov_b32_e32 v2, s86
	v_add_co_u32_e64 v10, s[4:5], s33, v10
	v_addc_co_u32_e64 v11, s[4:5], v2, v11, s[4:5]
	global_load_ushort v18, v[10:11], off
.LBB219_505:                            ;   in Loop: Header=BB219_503 Depth=1
	s_or_b64 exec, exec, s[6:7]
	v_cmp_gt_u64_e64 s[4:5], s[64:65], v[8:9]
	s_mov_b64 s[28:29], 0
	s_and_saveexec_b64 s[6:7], s[4:5]
	s_cbranch_execz .LBB219_507
; %bb.506:                              ;   in Loop: Header=BB219_503 Depth=1
	s_waitcnt vmcnt(0)
	v_cmp_lt_i16_e64 s[4:5], -1, v17
	v_cndmask_b32_e64 v2, v15, v16, s[4:5]
	v_lshlrev_b32_e32 v10, 16, v17
	v_xor_b32_sdwa v2, v2, v17 dst_sel:DWORD dst_unused:UNUSED_PAD src0_sel:DWORD src1_sel:WORD_0
	v_cmp_o_f32_e64 s[4:5], v10, v10
	v_cndmask_b32_e64 v2, v15, v2, s[4:5]
	v_cmp_gt_u32_e64 s[4:5], v2, v14
	v_cndmask_b32_e64 v10, 0, 1, s[4:5]
	v_cmp_lt_u32_e64 s[4:5], v2, v14
	v_cndmask_b32_e64 v2, 0, 1, s[4:5]
	v_cndmask_b32_e64 v2, v2, v10, s[44:45]
	v_and_b32_e32 v2, 1, v2
	v_cmp_eq_u32_e64 s[4:5], 1, v2
	s_and_b64 s[28:29], s[4:5], exec
.LBB219_507:                            ;   in Loop: Header=BB219_503 Depth=1
	s_or_b64 exec, exec, s[6:7]
	v_cndmask_b32_e64 v2, 0, 1, s[28:29]
	v_cmp_ne_u32_e64 s[4:5], 0, v2
	s_cmp_lg_u64 s[4:5], 0
	s_cselect_b64 s[6:7], -1, 0
	s_and_b64 s[6:7], s[0:1], s[6:7]
	s_and_saveexec_b64 s[30:31], s[6:7]
	s_cbranch_execz .LBB219_511
; %bb.508:                              ;   in Loop: Header=BB219_503 Depth=1
	s_mov_b64 s[36:37], exec
	v_mbcnt_lo_u32_b32 v2, s36, 0
	v_mbcnt_hi_u32_b32 v10, s37, v2
	s_bcnt1_i32_b64 s42, s[4:5]
	v_cmp_eq_u32_e64 s[6:7], 0, v10
                                        ; implicit-def: $vgpr6_vgpr7
	s_and_saveexec_b64 s[34:35], s[6:7]
	s_cbranch_execz .LBB219_510
; %bb.509:                              ;   in Loop: Header=BB219_503 Depth=1
	s_bcnt1_i32_b64 s6, s[36:37]
	s_mul_i32 s6, s42, s6
	v_mov_b32_e32 v2, s6
	s_waitcnt lgkmcnt(0)
	ds_add_rtn_u64 v[6:7], v3, v[2:3] offset:5136
.LBB219_510:                            ;   in Loop: Header=BB219_503 Depth=1
	s_or_b64 exec, exec, s[34:35]
	s_waitcnt lgkmcnt(0)
	v_readfirstlane_b32 s6, v7
	v_readfirstlane_b32 s7, v6
	v_mov_b32_e32 v6, s7
	v_mov_b32_e32 v7, s6
	v_mad_u64_u32 v[6:7], s[6:7], s42, v10, v[6:7]
.LBB219_511:                            ;   in Loop: Header=BB219_503 Depth=1
	s_or_b64 exec, exec, s[30:31]
	s_waitcnt lgkmcnt(0)
	ds_bpermute_b32 v6, v23, v6
	ds_bpermute_b32 v7, v23, v7
	s_mov_b64 s[6:7], -1
	s_mov_b64 s[34:35], -1
	s_and_saveexec_b64 s[30:31], s[28:29]
	s_cbranch_execz .LBB219_515
; %bb.512:                              ;   in Loop: Header=BB219_503 Depth=1
	v_and_b32_e32 v10, s4, v25
	v_and_b32_e32 v2, s5, v24
	v_bcnt_u32_b32 v10, v10, 0
	v_bcnt_u32_b32 v2, v2, v10
	s_waitcnt lgkmcnt(0)
	v_add_co_u32_e64 v10, s[4:5], v6, v2
	v_addc_co_u32_e64 v11, s[4:5], 0, v7, s[4:5]
	v_cmp_gt_u64_e64 s[4:5], s[66:67], v[10:11]
	s_mov_b64 s[28:29], 0
	s_and_saveexec_b64 s[34:35], s[4:5]
	s_cbranch_execz .LBB219_514
; %bb.513:                              ;   in Loop: Header=BB219_503 Depth=1
	v_mul_lo_u32 v2, v11, s18
	v_mul_lo_u32 v21, v10, s19
	v_mad_u64_u32 v[19:20], s[4:5], v10, s18, 0
	v_mul_lo_u32 v22, v11, s20
	v_mul_lo_u32 v26, v10, s21
	v_mad_u64_u32 v[10:11], s[4:5], v10, s20, 0
	v_add3_u32 v20, v20, v21, v2
	v_lshlrev_b64 v[19:20], 1, v[19:20]
	v_add3_u32 v11, v11, v26, v22
	v_mov_b32_e32 v2, s39
	v_add_co_u32_e64 v19, s[4:5], s38, v19
	v_lshlrev_b64 v[10:11], 3, v[10:11]
	v_addc_co_u32_e64 v20, s[4:5], v2, v20, s[4:5]
	v_mov_b32_e32 v2, s41
	v_add_co_u32_e64 v10, s[4:5], s40, v10
	s_mov_b64 s[28:29], exec
	v_addc_co_u32_e64 v11, s[4:5], v2, v11, s[4:5]
	s_waitcnt vmcnt(0)
	global_store_short v[19:20], v17, off
	global_store_dwordx2 v[10:11], v[8:9], off
.LBB219_514:                            ;   in Loop: Header=BB219_503 Depth=1
	s_or_b64 exec, exec, s[34:35]
	s_orn2_b64 s[34:35], s[28:29], exec
.LBB219_515:                            ;   in Loop: Header=BB219_503 Depth=1
	s_or_b64 exec, exec, s[30:31]
	s_mov_b64 s[28:29], -1
	s_and_saveexec_b64 s[30:31], s[34:35]
	s_cbranch_execz .LBB219_502
; %bb.516:                              ;   in Loop: Header=BB219_503 Depth=1
	v_cmp_le_u64_e64 s[4:5], s[8:9], v[4:5]
	s_xor_b64 s[28:29], exec, -1
	s_orn2_b64 s[6:7], s[4:5], exec
	s_branch .LBB219_502
.LBB219_517:
	s_or_b64 exec, exec, s[24:25]
	s_mov_b64 s[4:5], exec
	s_orn2_b64 s[24:25], s[26:27], exec
	s_or_b64 exec, exec, s[22:23]
	s_and_saveexec_b64 s[6:7], s[24:25]
	s_cbranch_execz .LBB219_492
.LBB219_518:
	v_mov_b32_e32 v15, 0
	s_waitcnt vmcnt(0) lgkmcnt(0)
	s_barrier
	s_mov_b64 s[2:3], exec
	v_readlane_b32 s22, v47, 28
	v_readlane_b32 s23, v47, 29
	s_and_b64 s[22:23], s[2:3], s[22:23]
	s_mov_b64 exec, s[22:23]
	s_cbranch_execz .LBB219_520
; %bb.519:
	global_load_ushort v15, v[12:13], off
.LBB219_520:
	s_or_b64 exec, exec, s[2:3]
	s_mov_b64 s[2:3], 0
	s_and_saveexec_b64 s[22:23], vcc
	s_cbranch_execz .LBB219_542
; %bb.521:
	s_mov_b64 s[24:25], 0
	v_mov_b32_e32 v3, 0
	v_mov_b32_e32 v10, 0xffff
	;; [unrolled: 1-line block ×3, first 2 shown]
                                        ; implicit-def: $sgpr26_sgpr27
                                        ; implicit-def: $vgpr6_vgpr7
	s_branch .LBB219_524
.LBB219_522:                            ;   in Loop: Header=BB219_524 Depth=1
	s_or_b64 exec, exec, s[30:31]
	s_orn2_b64 s[34:35], s[36:37], exec
	s_orn2_b64 s[30:31], s[28:29], exec
.LBB219_523:                            ;   in Loop: Header=BB219_524 Depth=1
	s_or_b64 exec, exec, s[2:3]
	s_xor_b64 s[2:3], s[34:35], -1
	s_and_b64 s[28:29], exec, s[30:31]
	s_or_b64 s[24:25], s[28:29], s[24:25]
	s_andn2_b64 s[26:27], s[26:27], exec
	s_and_b64 s[2:3], s[2:3], exec
	v_mov_b32_e32 v0, v4
	s_or_b64 s[26:27], s[26:27], s[2:3]
	v_mov_b32_e32 v1, v5
	s_waitcnt vmcnt(0)
	v_mov_b32_e32 v15, v12
	s_andn2_b64 exec, exec, s[24:25]
	s_cbranch_execz .LBB219_540
.LBB219_524:                            ; =>This Inner Loop Header: Depth=1
	v_add_co_u32_e32 v4, vcc, s87, v0
	v_addc_co_u32_e32 v5, vcc, 0, v1, vcc
	v_cmp_gt_u64_e32 vcc, s[64:65], v[4:5]
	v_mov_b32_e32 v12, 0
	s_and_saveexec_b64 s[2:3], vcc
	s_cbranch_execz .LBB219_526
; %bb.525:                              ;   in Loop: Header=BB219_524 Depth=1
	v_mul_lo_u32 v2, v5, s62
	v_mul_lo_u32 v12, v4, s63
	v_mad_u64_u32 v[8:9], s[28:29], v4, s62, 0
	v_add3_u32 v9, v9, v12, v2
	v_lshlrev_b64 v[8:9], 1, v[8:9]
	v_mov_b32_e32 v2, s86
	v_add_co_u32_e32 v8, vcc, s33, v8
	v_addc_co_u32_e32 v9, vcc, v2, v9, vcc
	global_load_ushort v12, v[8:9], off
.LBB219_526:                            ;   in Loop: Header=BB219_524 Depth=1
	s_or_b64 exec, exec, s[2:3]
	v_cmp_gt_u64_e32 vcc, s[64:65], v[0:1]
	s_mov_b64 s[28:29], 0
	s_and_saveexec_b64 s[2:3], vcc
	s_cbranch_execz .LBB219_528
; %bb.527:                              ;   in Loop: Header=BB219_524 Depth=1
	s_waitcnt vmcnt(0)
	v_cmp_lt_i16_e32 vcc, -1, v15
	v_cndmask_b32_e32 v2, v10, v11, vcc
	v_lshlrev_b32_e32 v8, 16, v15
	v_xor_b32_sdwa v2, v2, v15 dst_sel:DWORD dst_unused:UNUSED_PAD src0_sel:DWORD src1_sel:WORD_0
	v_cmp_o_f32_e32 vcc, v8, v8
	v_cndmask_b32_e32 v2, v10, v2, vcc
	v_cmp_eq_u32_e32 vcc, v2, v14
	s_and_b64 s[28:29], vcc, exec
.LBB219_528:                            ;   in Loop: Header=BB219_524 Depth=1
	s_or_b64 exec, exec, s[2:3]
	v_cndmask_b32_e64 v2, 0, 1, s[28:29]
	v_cmp_ne_u32_e32 vcc, 0, v2
	s_cmp_lg_u64 vcc, 0
	s_cselect_b64 s[2:3], -1, 0
	s_and_b64 s[2:3], s[0:1], s[2:3]
	s_and_saveexec_b64 s[30:31], s[2:3]
	s_cbranch_execz .LBB219_532
; %bb.529:                              ;   in Loop: Header=BB219_524 Depth=1
	s_mov_b64 s[36:37], exec
	v_mbcnt_lo_u32_b32 v2, s36, 0
	v_mbcnt_hi_u32_b32 v8, s37, v2
	s_bcnt1_i32_b64 s42, vcc
	v_cmp_eq_u32_e64 s[2:3], 0, v8
                                        ; implicit-def: $vgpr6_vgpr7
	s_and_saveexec_b64 s[34:35], s[2:3]
; %bb.530:                              ;   in Loop: Header=BB219_524 Depth=1
	s_bcnt1_i32_b64 s2, s[36:37]
	s_mul_i32 s2, s42, s2
	v_mov_b32_e32 v2, s2
	ds_add_rtn_u64 v[6:7], v3, v[2:3] offset:5136
; %bb.531:                              ;   in Loop: Header=BB219_524 Depth=1
	s_or_b64 exec, exec, s[34:35]
	s_waitcnt lgkmcnt(0)
	v_readfirstlane_b32 s2, v7
	v_readfirstlane_b32 s3, v6
	v_mov_b32_e32 v6, s3
	v_mov_b32_e32 v7, s2
	v_mad_u64_u32 v[6:7], s[2:3], s42, v8, v[6:7]
.LBB219_532:                            ;   in Loop: Header=BB219_524 Depth=1
	s_or_b64 exec, exec, s[30:31]
	ds_bpermute_b32 v6, v23, v6
	ds_bpermute_b32 v7, v23, v7
	s_cmp_eq_u64 vcc, 0
	s_cselect_b64 s[34:35], -1, 0
	s_mov_b64 s[30:31], -1
	s_waitcnt lgkmcnt(0)
	v_cmp_gt_u64_e64 s[2:3], s[66:67], v[6:7]
	s_or_b64 s[36:37], s[34:35], s[2:3]
	s_mov_b64 s[34:35], -1
	s_and_saveexec_b64 s[2:3], s[36:37]
	s_cbranch_execz .LBB219_523
; %bb.533:                              ;   in Loop: Header=BB219_524 Depth=1
	v_and_b32_e32 v8, vcc_lo, v25
	v_and_b32_e32 v2, vcc_hi, v24
	v_bcnt_u32_b32 v8, v8, 0
	v_bcnt_u32_b32 v2, v2, v8
	v_mov_b32_e32 v9, s67
	v_sub_co_u32_e32 v8, vcc, s66, v6
	v_subb_co_u32_e32 v9, vcc, v9, v7, vcc
	v_cmp_gt_u64_e32 vcc, v[8:9], v[2:3]
	s_mov_b64 s[36:37], -1
	s_and_b64 s[42:43], s[28:29], vcc
	s_mov_b64 s[28:29], -1
	s_and_saveexec_b64 s[30:31], s[42:43]
	s_cbranch_execz .LBB219_537
; %bb.534:                              ;   in Loop: Header=BB219_524 Depth=1
	v_add_co_u32_e32 v8, vcc, v6, v2
	v_addc_co_u32_e32 v9, vcc, 0, v7, vcc
	v_cmp_gt_u64_e32 vcc, s[66:67], v[8:9]
	s_mov_b64 s[34:35], 0
	s_and_saveexec_b64 s[36:37], vcc
	s_cbranch_execz .LBB219_536
; %bb.535:                              ;   in Loop: Header=BB219_524 Depth=1
	v_mul_lo_u32 v2, v9, s18
	v_mul_lo_u32 v13, v8, s19
	v_mad_u64_u32 v[16:17], s[42:43], v8, s18, 0
	v_mul_lo_u32 v18, v9, s20
	v_mul_lo_u32 v19, v8, s21
	v_mad_u64_u32 v[8:9], s[42:43], v8, s20, 0
	v_add3_u32 v17, v17, v13, v2
	v_lshlrev_b64 v[16:17], 1, v[16:17]
	v_add3_u32 v9, v9, v19, v18
	v_mov_b32_e32 v2, s39
	v_add_co_u32_e32 v16, vcc, s38, v16
	v_lshlrev_b64 v[8:9], 3, v[8:9]
	v_addc_co_u32_e32 v17, vcc, v2, v17, vcc
	v_mov_b32_e32 v2, s41
	v_add_co_u32_e32 v8, vcc, s40, v8
	s_mov_b64 s[34:35], exec
	v_addc_co_u32_e32 v9, vcc, v2, v9, vcc
	s_waitcnt vmcnt(0)
	global_store_short v[16:17], v15, off
	global_store_dwordx2 v[8:9], v[0:1], off
.LBB219_536:                            ;   in Loop: Header=BB219_524 Depth=1
	s_or_b64 exec, exec, s[36:37]
	s_xor_b64 s[36:37], exec, -1
	s_orn2_b64 s[34:35], s[34:35], exec
.LBB219_537:                            ;   in Loop: Header=BB219_524 Depth=1
	s_or_b64 exec, exec, s[30:31]
	s_and_saveexec_b64 s[30:31], s[34:35]
	s_cbranch_execz .LBB219_522
; %bb.538:                              ;   in Loop: Header=BB219_524 Depth=1
	v_cmp_le_u64_e32 vcc, s[8:9], v[4:5]
	s_or_b64 s[36:37], s[36:37], exec
	s_orn2_b64 s[28:29], vcc, exec
	s_branch .LBB219_522
.LBB219_539:
	s_or_b64 s[6:7], s[6:7], exec
	s_trap 2
	s_branch .LBB219_499
.LBB219_540:
	s_or_b64 exec, exec, s[24:25]
	s_mov_b64 s[0:1], 0
	s_and_saveexec_b64 s[2:3], s[26:27]
	s_xor_b64 s[2:3], exec, s[2:3]
	s_cbranch_execnz .LBB219_546
.LBB219_541:
	s_or_b64 exec, exec, s[2:3]
	s_and_b64 s[2:3], s[0:1], exec
.LBB219_542:
	s_or_b64 exec, exec, s[22:23]
	s_and_b64 s[2:3], s[2:3], exec
	s_andn2_b64 s[4:5], s[4:5], exec
	s_or_b64 exec, exec, s[6:7]
	s_and_saveexec_b64 s[0:1], s[4:5]
	s_xor_b64 s[0:1], exec, s[0:1]
	s_cbranch_execz .LBB219_493
.LBB219_543:
	s_trap 2
	s_or_b64 s[2:3], s[2:3], exec
	s_branch .LBB219_493
.LBB219_544:
	s_or_b64 s[6:7], s[6:7], exec
	s_trap 2
	s_branch .LBB219_497
.LBB219_545:
	s_trap 2
	s_or_b64 s[6:7], s[6:7], exec
	s_branch .LBB219_495
.LBB219_546:
	s_mov_b64 s[0:1], exec
	s_trap 2
	s_branch .LBB219_541
	.section	.rodata,"a",@progbits
	.p2align	6, 0x0
	.amdhsa_kernel _ZN2at6native6sbtopk10gatherTopKIN3c108BFloat16EmLi2ELb0EEEvNS_4cuda6detail10TensorInfoIKT_T0_EESA_SA_bSA_SA_NS7_IS8_SA_EESA_NS7_IlSA_EESA_PS8_
		.amdhsa_group_segment_fixed_size 5152
		.amdhsa_private_segment_fixed_size 0
		.amdhsa_kernarg_size 1568
		.amdhsa_user_sgpr_count 6
		.amdhsa_user_sgpr_private_segment_buffer 1
		.amdhsa_user_sgpr_dispatch_ptr 0
		.amdhsa_user_sgpr_queue_ptr 0
		.amdhsa_user_sgpr_kernarg_segment_ptr 1
		.amdhsa_user_sgpr_dispatch_id 0
		.amdhsa_user_sgpr_flat_scratch_init 0
		.amdhsa_user_sgpr_private_segment_size 0
		.amdhsa_uses_dynamic_stack 0
		.amdhsa_system_sgpr_private_segment_wavefront_offset 0
		.amdhsa_system_sgpr_workgroup_id_x 1
		.amdhsa_system_sgpr_workgroup_id_y 1
		.amdhsa_system_sgpr_workgroup_id_z 1
		.amdhsa_system_sgpr_workgroup_info 0
		.amdhsa_system_vgpr_workitem_id 0
		.amdhsa_next_free_vgpr 48
		.amdhsa_next_free_sgpr 96
		.amdhsa_reserve_vcc 1
		.amdhsa_reserve_flat_scratch 0
		.amdhsa_float_round_mode_32 0
		.amdhsa_float_round_mode_16_64 0
		.amdhsa_float_denorm_mode_32 3
		.amdhsa_float_denorm_mode_16_64 3
		.amdhsa_dx10_clamp 1
		.amdhsa_ieee_mode 1
		.amdhsa_fp16_overflow 0
		.amdhsa_exception_fp_ieee_invalid_op 0
		.amdhsa_exception_fp_denorm_src 0
		.amdhsa_exception_fp_ieee_div_zero 0
		.amdhsa_exception_fp_ieee_overflow 0
		.amdhsa_exception_fp_ieee_underflow 0
		.amdhsa_exception_fp_ieee_inexact 0
		.amdhsa_exception_int_div_zero 0
	.end_amdhsa_kernel
	.section	.text._ZN2at6native6sbtopk10gatherTopKIN3c108BFloat16EmLi2ELb0EEEvNS_4cuda6detail10TensorInfoIKT_T0_EESA_SA_bSA_SA_NS7_IS8_SA_EESA_NS7_IlSA_EESA_PS8_,"axG",@progbits,_ZN2at6native6sbtopk10gatherTopKIN3c108BFloat16EmLi2ELb0EEEvNS_4cuda6detail10TensorInfoIKT_T0_EESA_SA_bSA_SA_NS7_IS8_SA_EESA_NS7_IlSA_EESA_PS8_,comdat
.Lfunc_end219:
	.size	_ZN2at6native6sbtopk10gatherTopKIN3c108BFloat16EmLi2ELb0EEEvNS_4cuda6detail10TensorInfoIKT_T0_EESA_SA_bSA_SA_NS7_IS8_SA_EESA_NS7_IlSA_EESA_PS8_, .Lfunc_end219-_ZN2at6native6sbtopk10gatherTopKIN3c108BFloat16EmLi2ELb0EEEvNS_4cuda6detail10TensorInfoIKT_T0_EESA_SA_bSA_SA_NS7_IS8_SA_EESA_NS7_IlSA_EESA_PS8_
                                        ; -- End function
	.set _ZN2at6native6sbtopk10gatherTopKIN3c108BFloat16EmLi2ELb0EEEvNS_4cuda6detail10TensorInfoIKT_T0_EESA_SA_bSA_SA_NS7_IS8_SA_EESA_NS7_IlSA_EESA_PS8_.num_vgpr, 48
	.set _ZN2at6native6sbtopk10gatherTopKIN3c108BFloat16EmLi2ELb0EEEvNS_4cuda6detail10TensorInfoIKT_T0_EESA_SA_bSA_SA_NS7_IS8_SA_EESA_NS7_IlSA_EESA_PS8_.num_agpr, 0
	.set _ZN2at6native6sbtopk10gatherTopKIN3c108BFloat16EmLi2ELb0EEEvNS_4cuda6detail10TensorInfoIKT_T0_EESA_SA_bSA_SA_NS7_IS8_SA_EESA_NS7_IlSA_EESA_PS8_.numbered_sgpr, 96
	.set _ZN2at6native6sbtopk10gatherTopKIN3c108BFloat16EmLi2ELb0EEEvNS_4cuda6detail10TensorInfoIKT_T0_EESA_SA_bSA_SA_NS7_IS8_SA_EESA_NS7_IlSA_EESA_PS8_.num_named_barrier, 0
	.set _ZN2at6native6sbtopk10gatherTopKIN3c108BFloat16EmLi2ELb0EEEvNS_4cuda6detail10TensorInfoIKT_T0_EESA_SA_bSA_SA_NS7_IS8_SA_EESA_NS7_IlSA_EESA_PS8_.private_seg_size, 0
	.set _ZN2at6native6sbtopk10gatherTopKIN3c108BFloat16EmLi2ELb0EEEvNS_4cuda6detail10TensorInfoIKT_T0_EESA_SA_bSA_SA_NS7_IS8_SA_EESA_NS7_IlSA_EESA_PS8_.uses_vcc, 1
	.set _ZN2at6native6sbtopk10gatherTopKIN3c108BFloat16EmLi2ELb0EEEvNS_4cuda6detail10TensorInfoIKT_T0_EESA_SA_bSA_SA_NS7_IS8_SA_EESA_NS7_IlSA_EESA_PS8_.uses_flat_scratch, 0
	.set _ZN2at6native6sbtopk10gatherTopKIN3c108BFloat16EmLi2ELb0EEEvNS_4cuda6detail10TensorInfoIKT_T0_EESA_SA_bSA_SA_NS7_IS8_SA_EESA_NS7_IlSA_EESA_PS8_.has_dyn_sized_stack, 0
	.set _ZN2at6native6sbtopk10gatherTopKIN3c108BFloat16EmLi2ELb0EEEvNS_4cuda6detail10TensorInfoIKT_T0_EESA_SA_bSA_SA_NS7_IS8_SA_EESA_NS7_IlSA_EESA_PS8_.has_recursion, 0
	.set _ZN2at6native6sbtopk10gatherTopKIN3c108BFloat16EmLi2ELb0EEEvNS_4cuda6detail10TensorInfoIKT_T0_EESA_SA_bSA_SA_NS7_IS8_SA_EESA_NS7_IlSA_EESA_PS8_.has_indirect_call, 0
	.section	.AMDGPU.csdata,"",@progbits
; Kernel info:
; codeLenInByte = 27536
; TotalNumSgprs: 100
; NumVgprs: 48
; ScratchSize: 0
; MemoryBound: 0
; FloatMode: 240
; IeeeMode: 1
; LDSByteSize: 5152 bytes/workgroup (compile time only)
; SGPRBlocks: 12
; VGPRBlocks: 11
; NumSGPRsForWavesPerEU: 100
; NumVGPRsForWavesPerEU: 48
; Occupancy: 5
; WaveLimiterHint : 1
; COMPUTE_PGM_RSRC2:SCRATCH_EN: 0
; COMPUTE_PGM_RSRC2:USER_SGPR: 6
; COMPUTE_PGM_RSRC2:TRAP_HANDLER: 0
; COMPUTE_PGM_RSRC2:TGID_X_EN: 1
; COMPUTE_PGM_RSRC2:TGID_Y_EN: 1
; COMPUTE_PGM_RSRC2:TGID_Z_EN: 1
; COMPUTE_PGM_RSRC2:TIDIG_COMP_CNT: 0
	.section	.text._ZN2at6native6mbtopk23computeBlockDigitCountsIN3c108BFloat16EmjLi3EEEvNS_4cuda6detail10TensorInfoIKT_T0_EEjPjjSA_iijT1_PSD_Ps,"axG",@progbits,_ZN2at6native6mbtopk23computeBlockDigitCountsIN3c108BFloat16EmjLi3EEEvNS_4cuda6detail10TensorInfoIKT_T0_EEjPjjSA_iijT1_PSD_Ps,comdat
	.protected	_ZN2at6native6mbtopk23computeBlockDigitCountsIN3c108BFloat16EmjLi3EEEvNS_4cuda6detail10TensorInfoIKT_T0_EEjPjjSA_iijT1_PSD_Ps ; -- Begin function _ZN2at6native6mbtopk23computeBlockDigitCountsIN3c108BFloat16EmjLi3EEEvNS_4cuda6detail10TensorInfoIKT_T0_EEjPjjSA_iijT1_PSD_Ps
	.globl	_ZN2at6native6mbtopk23computeBlockDigitCountsIN3c108BFloat16EmjLi3EEEvNS_4cuda6detail10TensorInfoIKT_T0_EEjPjjSA_iijT1_PSD_Ps
	.p2align	8
	.type	_ZN2at6native6mbtopk23computeBlockDigitCountsIN3c108BFloat16EmjLi3EEEvNS_4cuda6detail10TensorInfoIKT_T0_EEjPjjSA_iijT1_PSD_Ps,@function
_ZN2at6native6mbtopk23computeBlockDigitCountsIN3c108BFloat16EmjLi3EEEvNS_4cuda6detail10TensorInfoIKT_T0_EEjPjjSA_iijT1_PSD_Ps: ; @_ZN2at6native6mbtopk23computeBlockDigitCountsIN3c108BFloat16EmjLi3EEEvNS_4cuda6detail10TensorInfoIKT_T0_EEjPjjSA_iijT1_PSD_Ps
; %bb.0:
	s_load_dwordx4 s[0:3], s[4:5], 0x1c0
	s_load_dword s9, s[4:5], 0x1b0
	s_load_dwordx2 s[10:11], s[4:5], 0x1e0
	s_mov_b32 s21, 0
	s_waitcnt lgkmcnt(0)
	v_cvt_f32_u32_e32 v1, s2
	s_mul_i32 s8, s11, s8
	s_add_i32 s7, s8, s7
	v_rcp_iflag_f32_e32 v1, v1
	s_mul_i32 s24, s7, s10
	s_sub_i32 s11, 0, s2
	s_add_i32 s24, s24, s6
	v_mul_f32_e32 v1, 0x4f7ffffe, v1
	v_cvt_u32_f32_e32 v1, v1
	v_readfirstlane_b32 s6, v1
	s_mul_i32 s11, s11, s6
	s_mul_hi_u32 s7, s6, s11
	s_add_i32 s6, s6, s7
	s_mul_hi_u32 s6, s24, s6
	s_mul_i32 s7, s6, s2
	s_sub_i32 s7, s24, s7
	s_add_i32 s8, s6, 1
	s_sub_i32 s10, s7, s2
	s_cmp_ge_u32 s7, s2
	s_cselect_b32 s6, s8, s6
	s_cselect_b32 s7, s10, s7
	s_add_i32 s8, s6, 1
	s_cmp_ge_u32 s7, s2
	s_cselect_b32 s20, s8, s6
	s_cmp_ge_u32 s20, s9
	s_cbranch_scc1 .LBB220_25
; %bb.1:
	s_load_dwordx4 s[8:11], s[4:5], 0x1d0
	s_load_dwordx4 s[12:15], s[4:5], 0x10
	s_lshl_b64 s[16:17], s[20:21], 2
	s_mov_b64 s[6:7], 0
	s_waitcnt lgkmcnt(0)
	s_add_u32 s22, s8, s16
	v_mov_b32_e32 v1, s14
	v_mov_b32_e32 v2, s15
	v_cmp_lt_u64_e32 vcc, s[20:21], v[1:2]
	s_addc_u32 s23, s9, s17
	s_mov_b64 s[8:9], 0
	s_cbranch_vccnz .LBB220_3
; %bb.2:
	v_cvt_f32_u32_e32 v1, s14
	s_sub_i32 s7, 0, s14
	s_mov_b32 s9, 0
	v_rcp_iflag_f32_e32 v1, v1
	v_mul_f32_e32 v1, 0x4f7ffffe, v1
	v_cvt_u32_f32_e32 v1, v1
	v_readfirstlane_b32 s8, v1
	s_mul_i32 s7, s7, s8
	s_mul_hi_u32 s7, s8, s7
	s_add_i32 s8, s8, s7
	s_mul_hi_u32 s7, s20, s8
	s_mul_i32 s16, s7, s14
	s_sub_i32 s16, s20, s16
	s_add_i32 s8, s7, 1
	s_sub_i32 s17, s16, s14
	s_cmp_ge_u32 s16, s14
	s_cselect_b32 s7, s8, s7
	s_cselect_b32 s16, s17, s16
	s_add_i32 s8, s7, 1
	s_cmp_ge_u32 s16, s14
	s_cselect_b32 s8, s8, s7
.LBB220_3:
	v_mov_b32_e32 v1, s12
	v_mov_b32_e32 v2, s13
	v_cmp_lt_u64_e32 vcc, s[8:9], v[1:2]
	s_cbranch_vccnz .LBB220_5
; %bb.4:
	v_cvt_f32_u32_e32 v1, s12
	s_sub_i32 s6, 0, s12
	v_rcp_iflag_f32_e32 v1, v1
	v_mul_f32_e32 v1, 0x4f7ffffe, v1
	v_cvt_u32_f32_e32 v1, v1
	v_readfirstlane_b32 s7, v1
	s_mul_i32 s6, s6, s7
	s_mul_hi_u32 s6, s7, s6
	s_add_i32 s7, s7, s6
	s_mul_hi_u32 s6, s8, s7
	s_mul_i32 s16, s6, s12
	s_sub_i32 s16, s8, s16
	s_add_i32 s7, s6, 1
	s_sub_i32 s17, s16, s12
	s_cmp_ge_u32 s16, s12
	s_cselect_b32 s6, s7, s6
	s_cselect_b32 s16, s17, s16
	s_add_i32 s7, s6, 1
	s_cmp_ge_u32 s16, s12
	s_cselect_b32 s6, s7, s6
.LBB220_5:
	s_movk_i32 s7, 0x100
	v_cmp_gt_u32_e32 vcc, s7, v0
	v_lshlrev_b32_e32 v1, 2, v0
	s_and_saveexec_b64 s[16:17], vcc
; %bb.6:
	v_mov_b32_e32 v2, 0
	ds_write_b32 v1, v2
; %bb.7:
	s_or_b64 exec, exec, s[16:17]
	s_load_dword s21, s[4:5], 0x1a0
	s_mul_i32 s7, s20, s2
	s_sub_i32 s7, s24, s7
	s_add_i32 s18, s7, 1
	s_mul_i32 s7, s1, s7
	s_lshl_b32 s7, s7, 8
	s_waitcnt lgkmcnt(0)
	s_sub_i32 s16, s21, s7
	s_add_u32 s16, s16, 0xff
	s_addc_u32 s17, 0, 0
	s_lshr_b64 s[16:17], s[16:17], 8
	s_cmp_lt_u32 s18, s2
	s_cselect_b32 s25, s1, s16
	s_cmp_lt_i32 s25, 1
	s_mov_b32 s1, 0
	s_barrier
	s_cbranch_scc1 .LBB220_23
; %bb.8:
	s_load_dwordx2 s[26:27], s[4:5], 0xe0
	s_load_dwordx4 s[16:19], s[4:5], 0xd0
	s_load_dwordx2 s[28:29], s[4:5], 0x0
	s_load_dword s2, s[22:23], 0x0
	s_mul_i32 s15, s8, s15
	s_mul_hi_u32 s22, s8, s14
	s_add_i32 s22, s22, s15
	s_mul_i32 s14, s8, s14
	s_sub_u32 s14, s20, s14
	s_subb_u32 s15, 0, s22
	s_waitcnt lgkmcnt(0)
	s_mul_i32 s20, s14, s27
	s_mul_hi_u32 s22, s14, s26
	s_add_i32 s20, s22, s20
	s_mul_i32 s15, s15, s26
	s_add_i32 s15, s20, s15
	s_mul_i32 s13, s6, s13
	s_mul_hi_u32 s20, s6, s12
	s_add_i32 s20, s20, s13
	s_mul_i32 s12, s6, s12
	s_sub_u32 s8, s8, s12
	s_subb_u32 s9, s9, s20
	s_mul_i32 s12, s8, s19
	s_mul_hi_u32 s13, s8, s18
	s_add_i32 s12, s13, s12
	s_mul_i32 s9, s9, s18
	s_add_i32 s9, s12, s9
	s_mul_i32 s12, s6, s17
	s_mul_hi_u32 s13, s6, s16
	s_add_i32 s13, s13, s12
	s_mul_i32 s12, s6, s16
	s_lshl_b64 s[12:13], s[12:13], 1
	s_mul_i32 s8, s8, s18
	s_add_u32 s6, s28, s12
	s_addc_u32 s12, s29, s13
	s_lshl_b64 s[8:9], s[8:9], 1
	s_load_dwordx2 s[4:5], s[4:5], 0x1b8
	s_mul_i32 s14, s14, s26
	s_add_u32 s6, s6, s8
	s_addc_u32 s8, s12, s9
	s_lshl_b64 s[12:13], s[14:15], 1
	s_add_u32 s9, s6, s12
	s_addc_u32 s12, s8, s13
	s_and_b32 s8, s0, 0xff
	s_cmp_eq_u32 s25, 1
	v_add_u32_e32 v2, s7, v0
	s_cbranch_scc1 .LBB220_18
; %bb.9:
	s_and_b32 s13, s25, 0x7ffffffe
	s_mov_b32 s14, 0
	v_mov_b32_e32 v3, 1
	v_mov_b32_e32 v4, 0xffff
	;; [unrolled: 1-line block ×4, first 2 shown]
	s_branch .LBB220_11
.LBB220_10:                             ;   in Loop: Header=BB220_11 Depth=1
	s_or_b64 exec, exec, s[6:7]
	s_add_i32 s14, s14, 2
	s_cmp_eq_u32 s13, s14
	v_add_u32_e32 v6, 0x200, v6
	s_cbranch_scc1 .LBB220_17
.LBB220_11:                             ; =>This Inner Loop Header: Depth=1
	v_cmp_gt_u32_e64 s[0:1], s21, v6
	s_and_saveexec_b64 s[6:7], s[0:1]
	s_cbranch_execz .LBB220_14
; %bb.12:                               ;   in Loop: Header=BB220_11 Depth=1
	s_waitcnt lgkmcnt(0)
	v_mad_u64_u32 v[7:8], s[0:1], s4, v6, 0
	v_mad_u64_u32 v[8:9], s[0:1], s5, v6, v[8:9]
	v_mov_b32_e32 v9, s12
	v_lshlrev_b64 v[7:8], 1, v[7:8]
	v_add_co_u32_e64 v7, s[0:1], s9, v7
	v_addc_co_u32_e64 v8, s[0:1], v9, v8, s[0:1]
	global_load_ushort v7, v[7:8], off
	s_waitcnt vmcnt(0)
	v_cmp_lt_i16_e64 s[0:1], -1, v7
	v_cndmask_b32_e64 v8, v4, v5, s[0:1]
	v_lshlrev_b32_e32 v9, 16, v7
	v_xor_b32_sdwa v7, v8, v7 dst_sel:DWORD dst_unused:UNUSED_PAD src0_sel:DWORD src1_sel:WORD_0
	v_cmp_o_f32_e64 s[0:1], v9, v9
	v_cndmask_b32_e64 v7, v4, v7, s[0:1]
	v_xor_b32_e32 v8, s2, v7
	v_and_b32_e32 v8, s3, v8
	v_cmp_eq_u32_e64 s[0:1], 0, v8
	s_and_b64 exec, exec, s[0:1]
; %bb.13:                               ;   in Loop: Header=BB220_11 Depth=1
	v_bfe_u32 v7, v7, s8, 8
	v_lshlrev_b32_e32 v7, 2, v7
	ds_add_u32 v7, v3
.LBB220_14:                             ;   in Loop: Header=BB220_11 Depth=1
	s_or_b64 exec, exec, s[6:7]
	v_add_u32_e32 v7, 0x100, v6
	v_cmp_gt_u32_e64 s[0:1], s21, v7
	s_and_saveexec_b64 s[6:7], s[0:1]
	s_cbranch_execz .LBB220_10
; %bb.15:                               ;   in Loop: Header=BB220_11 Depth=1
	s_waitcnt lgkmcnt(0)
	v_mad_u64_u32 v[8:9], s[0:1], s4, v7, 0
	v_mad_u64_u32 v[9:10], s[0:1], s5, v7, v[9:10]
	v_mov_b32_e32 v10, s12
	v_lshlrev_b64 v[7:8], 1, v[8:9]
	v_add_co_u32_e64 v7, s[0:1], s9, v7
	v_addc_co_u32_e64 v8, s[0:1], v10, v8, s[0:1]
	global_load_ushort v7, v[7:8], off
	s_waitcnt vmcnt(0)
	v_cmp_lt_i16_e64 s[0:1], -1, v7
	v_cndmask_b32_e64 v8, v4, v5, s[0:1]
	v_lshlrev_b32_e32 v9, 16, v7
	v_xor_b32_sdwa v7, v8, v7 dst_sel:DWORD dst_unused:UNUSED_PAD src0_sel:DWORD src1_sel:WORD_0
	v_cmp_o_f32_e64 s[0:1], v9, v9
	v_cndmask_b32_e64 v7, v4, v7, s[0:1]
	v_xor_b32_e32 v8, s2, v7
	v_and_b32_e32 v8, s3, v8
	v_cmp_eq_u32_e64 s[0:1], 0, v8
	s_and_b64 exec, exec, s[0:1]
	s_cbranch_execz .LBB220_10
; %bb.16:                               ;   in Loop: Header=BB220_11 Depth=1
	v_bfe_u32 v7, v7, s8, 8
	v_lshlrev_b32_e32 v7, 2, v7
	ds_add_u32 v7, v3
	s_branch .LBB220_10
.LBB220_17:
	s_lshl_b32 s1, s13, 8
.LBB220_18:
	s_bitcmp0_b32 s25, 0
	s_cbranch_scc1 .LBB220_23
; %bb.19:
	v_add_u32_e32 v2, s1, v2
	v_cmp_gt_u32_e64 s[0:1], s21, v2
	s_and_saveexec_b64 s[6:7], s[0:1]
	s_cbranch_execz .LBB220_22
; %bb.20:
	s_waitcnt lgkmcnt(0)
	v_mad_u64_u32 v[3:4], s[0:1], s4, v2, 0
	v_mad_u64_u32 v[4:5], s[0:1], s5, v2, v[4:5]
	v_mov_b32_e32 v5, s12
	v_lshlrev_b64 v[2:3], 1, v[3:4]
	v_mov_b32_e32 v4, 0x8000
	v_add_co_u32_e64 v2, s[0:1], s9, v2
	v_addc_co_u32_e64 v3, s[0:1], v5, v3, s[0:1]
	global_load_ushort v2, v[2:3], off
	v_mov_b32_e32 v3, 0xffff
	s_waitcnt vmcnt(0)
	v_cmp_lt_i16_e64 s[0:1], -1, v2
	v_cndmask_b32_e64 v4, v3, v4, s[0:1]
	v_lshlrev_b32_e32 v5, 16, v2
	v_xor_b32_sdwa v2, v4, v2 dst_sel:DWORD dst_unused:UNUSED_PAD src0_sel:DWORD src1_sel:WORD_0
	v_cmp_o_f32_e64 s[0:1], v5, v5
	v_cndmask_b32_e64 v2, v3, v2, s[0:1]
	v_xor_b32_e32 v3, s2, v2
	v_and_b32_e32 v3, s3, v3
	v_cmp_eq_u32_e64 s[0:1], 0, v3
	s_and_b64 exec, exec, s[0:1]
; %bb.21:
	v_bfe_u32 v2, v2, s8, 8
	v_lshlrev_b32_e32 v2, 2, v2
	v_mov_b32_e32 v3, 1
	ds_add_u32 v2, v3
.LBB220_22:
	s_or_b64 exec, exec, s[6:7]
.LBB220_23:
	s_waitcnt lgkmcnt(0)
	s_barrier
	s_and_saveexec_b64 s[0:1], vcc
	s_cbranch_execz .LBB220_25
; %bb.24:
	v_lshl_or_b32 v2, s24, 8, v0
	v_mov_b32_e32 v3, 0
	ds_read_b32 v5, v1
	v_lshlrev_b64 v[2:3], 1, v[2:3]
	v_mov_b32_e32 v4, s11
	v_add_co_u32_e32 v0, vcc, s10, v2
	v_addc_co_u32_e32 v1, vcc, v4, v3, vcc
	s_waitcnt lgkmcnt(0)
	global_store_short v[0:1], v5, off
.LBB220_25:
	s_endpgm
	.section	.rodata,"a",@progbits
	.p2align	6, 0x0
	.amdhsa_kernel _ZN2at6native6mbtopk23computeBlockDigitCountsIN3c108BFloat16EmjLi3EEEvNS_4cuda6detail10TensorInfoIKT_T0_EEjPjjSA_iijT1_PSD_Ps
		.amdhsa_group_segment_fixed_size 1024
		.amdhsa_private_segment_fixed_size 0
		.amdhsa_kernarg_size 736
		.amdhsa_user_sgpr_count 6
		.amdhsa_user_sgpr_private_segment_buffer 1
		.amdhsa_user_sgpr_dispatch_ptr 0
		.amdhsa_user_sgpr_queue_ptr 0
		.amdhsa_user_sgpr_kernarg_segment_ptr 1
		.amdhsa_user_sgpr_dispatch_id 0
		.amdhsa_user_sgpr_flat_scratch_init 0
		.amdhsa_user_sgpr_private_segment_size 0
		.amdhsa_uses_dynamic_stack 0
		.amdhsa_system_sgpr_private_segment_wavefront_offset 0
		.amdhsa_system_sgpr_workgroup_id_x 1
		.amdhsa_system_sgpr_workgroup_id_y 1
		.amdhsa_system_sgpr_workgroup_id_z 1
		.amdhsa_system_sgpr_workgroup_info 0
		.amdhsa_system_vgpr_workitem_id 0
		.amdhsa_next_free_vgpr 11
		.amdhsa_next_free_sgpr 30
		.amdhsa_reserve_vcc 1
		.amdhsa_reserve_flat_scratch 0
		.amdhsa_float_round_mode_32 0
		.amdhsa_float_round_mode_16_64 0
		.amdhsa_float_denorm_mode_32 3
		.amdhsa_float_denorm_mode_16_64 3
		.amdhsa_dx10_clamp 1
		.amdhsa_ieee_mode 1
		.amdhsa_fp16_overflow 0
		.amdhsa_exception_fp_ieee_invalid_op 0
		.amdhsa_exception_fp_denorm_src 0
		.amdhsa_exception_fp_ieee_div_zero 0
		.amdhsa_exception_fp_ieee_overflow 0
		.amdhsa_exception_fp_ieee_underflow 0
		.amdhsa_exception_fp_ieee_inexact 0
		.amdhsa_exception_int_div_zero 0
	.end_amdhsa_kernel
	.section	.text._ZN2at6native6mbtopk23computeBlockDigitCountsIN3c108BFloat16EmjLi3EEEvNS_4cuda6detail10TensorInfoIKT_T0_EEjPjjSA_iijT1_PSD_Ps,"axG",@progbits,_ZN2at6native6mbtopk23computeBlockDigitCountsIN3c108BFloat16EmjLi3EEEvNS_4cuda6detail10TensorInfoIKT_T0_EEjPjjSA_iijT1_PSD_Ps,comdat
.Lfunc_end220:
	.size	_ZN2at6native6mbtopk23computeBlockDigitCountsIN3c108BFloat16EmjLi3EEEvNS_4cuda6detail10TensorInfoIKT_T0_EEjPjjSA_iijT1_PSD_Ps, .Lfunc_end220-_ZN2at6native6mbtopk23computeBlockDigitCountsIN3c108BFloat16EmjLi3EEEvNS_4cuda6detail10TensorInfoIKT_T0_EEjPjjSA_iijT1_PSD_Ps
                                        ; -- End function
	.set _ZN2at6native6mbtopk23computeBlockDigitCountsIN3c108BFloat16EmjLi3EEEvNS_4cuda6detail10TensorInfoIKT_T0_EEjPjjSA_iijT1_PSD_Ps.num_vgpr, 11
	.set _ZN2at6native6mbtopk23computeBlockDigitCountsIN3c108BFloat16EmjLi3EEEvNS_4cuda6detail10TensorInfoIKT_T0_EEjPjjSA_iijT1_PSD_Ps.num_agpr, 0
	.set _ZN2at6native6mbtopk23computeBlockDigitCountsIN3c108BFloat16EmjLi3EEEvNS_4cuda6detail10TensorInfoIKT_T0_EEjPjjSA_iijT1_PSD_Ps.numbered_sgpr, 30
	.set _ZN2at6native6mbtopk23computeBlockDigitCountsIN3c108BFloat16EmjLi3EEEvNS_4cuda6detail10TensorInfoIKT_T0_EEjPjjSA_iijT1_PSD_Ps.num_named_barrier, 0
	.set _ZN2at6native6mbtopk23computeBlockDigitCountsIN3c108BFloat16EmjLi3EEEvNS_4cuda6detail10TensorInfoIKT_T0_EEjPjjSA_iijT1_PSD_Ps.private_seg_size, 0
	.set _ZN2at6native6mbtopk23computeBlockDigitCountsIN3c108BFloat16EmjLi3EEEvNS_4cuda6detail10TensorInfoIKT_T0_EEjPjjSA_iijT1_PSD_Ps.uses_vcc, 1
	.set _ZN2at6native6mbtopk23computeBlockDigitCountsIN3c108BFloat16EmjLi3EEEvNS_4cuda6detail10TensorInfoIKT_T0_EEjPjjSA_iijT1_PSD_Ps.uses_flat_scratch, 0
	.set _ZN2at6native6mbtopk23computeBlockDigitCountsIN3c108BFloat16EmjLi3EEEvNS_4cuda6detail10TensorInfoIKT_T0_EEjPjjSA_iijT1_PSD_Ps.has_dyn_sized_stack, 0
	.set _ZN2at6native6mbtopk23computeBlockDigitCountsIN3c108BFloat16EmjLi3EEEvNS_4cuda6detail10TensorInfoIKT_T0_EEjPjjSA_iijT1_PSD_Ps.has_recursion, 0
	.set _ZN2at6native6mbtopk23computeBlockDigitCountsIN3c108BFloat16EmjLi3EEEvNS_4cuda6detail10TensorInfoIKT_T0_EEjPjjSA_iijT1_PSD_Ps.has_indirect_call, 0
	.section	.AMDGPU.csdata,"",@progbits
; Kernel info:
; codeLenInByte = 1380
; TotalNumSgprs: 34
; NumVgprs: 11
; ScratchSize: 0
; MemoryBound: 0
; FloatMode: 240
; IeeeMode: 1
; LDSByteSize: 1024 bytes/workgroup (compile time only)
; SGPRBlocks: 4
; VGPRBlocks: 2
; NumSGPRsForWavesPerEU: 34
; NumVGPRsForWavesPerEU: 11
; Occupancy: 10
; WaveLimiterHint : 1
; COMPUTE_PGM_RSRC2:SCRATCH_EN: 0
; COMPUTE_PGM_RSRC2:USER_SGPR: 6
; COMPUTE_PGM_RSRC2:TRAP_HANDLER: 0
; COMPUTE_PGM_RSRC2:TGID_X_EN: 1
; COMPUTE_PGM_RSRC2:TGID_Y_EN: 1
; COMPUTE_PGM_RSRC2:TGID_Z_EN: 1
; COMPUTE_PGM_RSRC2:TIDIG_COMP_CNT: 0
	.section	.text._ZN2at6native6mbtopk10gatherTopKIN3c108BFloat16EmLi3EEEvNS_4cuda6detail10TensorInfoIKT_T0_EESA_SA_bjSA_NS7_IS8_SA_EESA_NS7_IlSA_EESA_jjPS8_PjSF_j,"axG",@progbits,_ZN2at6native6mbtopk10gatherTopKIN3c108BFloat16EmLi3EEEvNS_4cuda6detail10TensorInfoIKT_T0_EESA_SA_bjSA_NS7_IS8_SA_EESA_NS7_IlSA_EESA_jjPS8_PjSF_j,comdat
	.protected	_ZN2at6native6mbtopk10gatherTopKIN3c108BFloat16EmLi3EEEvNS_4cuda6detail10TensorInfoIKT_T0_EESA_SA_bjSA_NS7_IS8_SA_EESA_NS7_IlSA_EESA_jjPS8_PjSF_j ; -- Begin function _ZN2at6native6mbtopk10gatherTopKIN3c108BFloat16EmLi3EEEvNS_4cuda6detail10TensorInfoIKT_T0_EESA_SA_bjSA_NS7_IS8_SA_EESA_NS7_IlSA_EESA_jjPS8_PjSF_j
	.globl	_ZN2at6native6mbtopk10gatherTopKIN3c108BFloat16EmLi3EEEvNS_4cuda6detail10TensorInfoIKT_T0_EESA_SA_bjSA_NS7_IS8_SA_EESA_NS7_IlSA_EESA_jjPS8_PjSF_j
	.p2align	8
	.type	_ZN2at6native6mbtopk10gatherTopKIN3c108BFloat16EmLi3EEEvNS_4cuda6detail10TensorInfoIKT_T0_EESA_SA_bjSA_NS7_IS8_SA_EESA_NS7_IlSA_EESA_jjPS8_PjSF_j,@function
_ZN2at6native6mbtopk10gatherTopKIN3c108BFloat16EmLi3EEEvNS_4cuda6detail10TensorInfoIKT_T0_EESA_SA_bjSA_NS7_IS8_SA_EESA_NS7_IlSA_EESA_jjPS8_PjSF_j: ; @_ZN2at6native6mbtopk10gatherTopKIN3c108BFloat16EmLi3EEEvNS_4cuda6detail10TensorInfoIKT_T0_EESA_SA_bjSA_NS7_IS8_SA_EESA_NS7_IlSA_EESA_jjPS8_PjSF_j
; %bb.0:
	s_load_dwordx2 s[0:1], s[4:5], 0x538
	s_load_dword s2, s[4:5], 0x530
	s_waitcnt lgkmcnt(0)
	s_mul_i32 s1, s1, s8
	s_add_i32 s1, s1, s7
	s_mul_i32 s0, s1, s0
	s_add_i32 s0, s0, s6
	s_cmp_ge_u32 s0, s2
	s_cbranch_scc1 .LBB221_54
; %bb.1:
	s_load_dwordx2 s[34:35], s[4:5], 0x510
	s_load_dwordx4 s[8:11], s[4:5], 0x1a0
	s_load_dwordx4 s[12:15], s[4:5], 0x10
	s_mov_b32 s7, 0
	s_waitcnt lgkmcnt(0)
	v_cvt_f32_u32_e32 v1, s35
	s_sub_i32 s2, 0, s35
	s_lshl_b32 s1, s34, 8
	v_rcp_iflag_f32_e32 v1, v1
	v_mul_f32_e32 v1, 0x4f7ffffe, v1
	v_cvt_u32_f32_e32 v1, v1
	v_readfirstlane_b32 s3, v1
	s_mul_i32 s2, s2, s3
	s_mul_hi_u32 s2, s3, s2
	s_add_i32 s3, s3, s2
	s_mul_hi_u32 s2, s0, s3
	s_mul_i32 s3, s2, s35
	s_sub_i32 s3, s0, s3
	s_add_i32 s6, s2, 1
	s_sub_i32 s16, s3, s35
	s_cmp_ge_u32 s3, s35
	s_cselect_b32 s2, s6, s2
	s_cselect_b32 s3, s16, s3
	s_add_i32 s6, s2, 1
	s_cmp_ge_u32 s3, s35
	s_cselect_b32 s6, s6, s2
	s_mul_i32 s52, s6, s35
	s_sub_i32 s76, s0, s52
	s_add_i32 s0, s76, 1
	s_cmp_lt_u32 s0, s35
	s_mul_i32 s33, s76, s1
	s_cbranch_scc1 .LBB221_3
; %bb.2:
	s_sub_u32 s0, s8, s33
	s_subb_u32 s1, s9, 0
	s_add_u32 s0, s0, 0xff
	s_addc_u32 s1, s1, 0
	s_ashr_i32 s2, s1, 31
	s_lshr_b32 s2, s2, 24
	s_add_u32 s0, s0, s2
	s_addc_u32 s1, s1, 0
	s_lshr_b64 s[0:1], s[0:1], 8
	s_mov_b32 s34, s0
.LBB221_3:
	v_mov_b32_e32 v1, s14
	v_mov_b32_e32 v2, s15
	v_cmp_lt_u64_e32 vcc, s[6:7], v[1:2]
	s_mov_b64 s[50:51], 0
	s_mov_b64 s[48:49], 0
	s_cbranch_vccnz .LBB221_5
; %bb.4:
	v_cvt_f32_u32_e32 v1, s14
	s_sub_i32 s0, 0, s14
	s_mov_b32 s49, 0
	v_rcp_iflag_f32_e32 v1, v1
	v_mul_f32_e32 v1, 0x4f7ffffe, v1
	v_cvt_u32_f32_e32 v1, v1
	v_readfirstlane_b32 s1, v1
	s_mul_i32 s0, s0, s1
	s_mul_hi_u32 s0, s1, s0
	s_add_i32 s1, s1, s0
	s_mul_hi_u32 s0, s6, s1
	s_mul_i32 s2, s0, s14
	s_sub_i32 s2, s6, s2
	s_add_i32 s1, s0, 1
	s_sub_i32 s3, s2, s14
	s_cmp_ge_u32 s2, s14
	s_cselect_b32 s0, s1, s0
	s_cselect_b32 s2, s3, s2
	s_add_i32 s1, s0, 1
	s_cmp_ge_u32 s2, s14
	s_cselect_b32 s48, s1, s0
.LBB221_5:
	s_load_dwordx4 s[24:27], s[4:5], 0x1d0
	v_mov_b32_e32 v1, s12
	v_mov_b32_e32 v2, s13
	v_cmp_lt_u64_e32 vcc, s[48:49], v[1:2]
	s_cbranch_vccnz .LBB221_7
; %bb.6:
	v_cvt_f32_u32_e32 v1, s12
	s_sub_i32 s0, 0, s12
	v_rcp_iflag_f32_e32 v1, v1
	v_mul_f32_e32 v1, 0x4f7ffffe, v1
	v_cvt_u32_f32_e32 v1, v1
	v_readfirstlane_b32 s1, v1
	s_mul_i32 s0, s0, s1
	s_mul_hi_u32 s0, s1, s0
	s_add_i32 s1, s1, s0
	s_mul_hi_u32 s0, s48, s1
	s_mul_i32 s2, s0, s12
	s_sub_i32 s2, s48, s2
	s_add_i32 s1, s0, 1
	s_sub_i32 s3, s2, s12
	s_cmp_ge_u32 s2, s12
	s_cselect_b32 s0, s1, s0
	s_cselect_b32 s2, s3, s2
	s_add_i32 s1, s0, 1
	s_cmp_ge_u32 s2, s12
	s_cselect_b32 s50, s1, s0
.LBB221_7:
	s_waitcnt lgkmcnt(0)
	v_mov_b32_e32 v1, s26
	v_mov_b32_e32 v2, s27
	v_cmp_lt_u64_e32 vcc, s[6:7], v[1:2]
	s_mov_b64 s[56:57], 0
	s_mov_b64 s[54:55], 0
	s_cbranch_vccnz .LBB221_9
; %bb.8:
	v_cvt_f32_u32_e32 v1, s26
	s_sub_i32 s0, 0, s26
	s_mov_b32 s55, 0
	v_rcp_iflag_f32_e32 v1, v1
	v_mul_f32_e32 v1, 0x4f7ffffe, v1
	v_cvt_u32_f32_e32 v1, v1
	v_readfirstlane_b32 s1, v1
	s_mul_i32 s0, s0, s1
	s_mul_hi_u32 s0, s1, s0
	s_add_i32 s1, s1, s0
	s_mul_hi_u32 s0, s6, s1
	s_mul_i32 s2, s0, s26
	s_sub_i32 s2, s6, s2
	s_add_i32 s1, s0, 1
	s_sub_i32 s3, s2, s26
	s_cmp_ge_u32 s2, s26
	s_cselect_b32 s0, s1, s0
	s_cselect_b32 s2, s3, s2
	s_add_i32 s1, s0, 1
	s_cmp_ge_u32 s2, s26
	s_cselect_b32 s54, s1, s0
.LBB221_9:
	s_load_dwordx4 s[28:31], s[4:5], 0x378
	v_mov_b32_e32 v1, s24
	v_mov_b32_e32 v2, s25
	v_cmp_lt_u64_e32 vcc, s[54:55], v[1:2]
	s_cbranch_vccnz .LBB221_11
; %bb.10:
	v_cvt_f32_u32_e32 v1, s24
	s_sub_i32 s0, 0, s24
	v_rcp_iflag_f32_e32 v1, v1
	v_mul_f32_e32 v1, 0x4f7ffffe, v1
	v_cvt_u32_f32_e32 v1, v1
	v_readfirstlane_b32 s1, v1
	s_mul_i32 s0, s0, s1
	s_mul_hi_u32 s0, s1, s0
	s_add_i32 s1, s1, s0
	s_mul_hi_u32 s0, s54, s1
	s_mul_i32 s2, s0, s24
	s_sub_i32 s2, s54, s2
	s_add_i32 s1, s0, 1
	s_sub_i32 s3, s2, s24
	s_cmp_ge_u32 s2, s24
	s_cselect_b32 s0, s1, s0
	s_cselect_b32 s2, s3, s2
	s_add_i32 s1, s0, 1
	s_cmp_ge_u32 s2, s24
	s_cselect_b32 s56, s1, s0
.LBB221_11:
	s_waitcnt lgkmcnt(0)
	v_mov_b32_e32 v1, s30
	v_mov_b32_e32 v2, s31
	v_cmp_lt_u64_e32 vcc, s[6:7], v[1:2]
	s_mov_b64 s[58:59], 0
	s_mov_b64 s[60:61], 0
	s_cbranch_vccnz .LBB221_13
; %bb.12:
	v_cvt_f32_u32_e32 v1, s30
	s_sub_i32 s0, 0, s30
	s_mov_b32 s61, 0
	v_rcp_iflag_f32_e32 v1, v1
	v_mul_f32_e32 v1, 0x4f7ffffe, v1
	v_cvt_u32_f32_e32 v1, v1
	v_readfirstlane_b32 s1, v1
	s_mul_i32 s0, s0, s1
	s_mul_hi_u32 s0, s1, s0
	s_add_i32 s1, s1, s0
	s_mul_hi_u32 s0, s6, s1
	s_mul_i32 s2, s0, s30
	s_sub_i32 s2, s6, s2
	s_add_i32 s1, s0, 1
	s_sub_i32 s3, s2, s30
	s_cmp_ge_u32 s2, s30
	s_cselect_b32 s0, s1, s0
	s_cselect_b32 s2, s3, s2
	s_add_i32 s1, s0, 1
	s_cmp_ge_u32 s2, s30
	s_cselect_b32 s60, s1, s0
.LBB221_13:
	s_load_dwordx2 s[62:63], s[4:5], 0xe0
	s_load_dwordx4 s[40:43], s[4:5], 0xd0
	s_load_dwordx2 s[66:67], s[4:5], 0x2a0
	s_load_dwordx4 s[44:47], s[4:5], 0x290
	;; [unrolled: 2-line block ×3, first 2 shown]
	v_mov_b32_e32 v1, s28
	v_mov_b32_e32 v2, s29
	v_cmp_lt_u64_e32 vcc, s[60:61], v[1:2]
	s_cbranch_vccnz .LBB221_15
; %bb.14:
	v_cvt_f32_u32_e32 v1, s28
	s_sub_i32 s0, 0, s28
	v_rcp_iflag_f32_e32 v1, v1
	v_mul_f32_e32 v1, 0x4f7ffffe, v1
	v_cvt_u32_f32_e32 v1, v1
	v_readfirstlane_b32 s1, v1
	s_mul_i32 s0, s0, s1
	s_mul_hi_u32 s0, s1, s0
	s_add_i32 s1, s1, s0
	s_mul_hi_u32 s0, s60, s1
	s_mul_i32 s2, s0, s28
	s_sub_i32 s2, s60, s2
	s_add_i32 s1, s0, 1
	s_sub_i32 s3, s2, s28
	s_cmp_ge_u32 s2, s28
	s_cselect_b32 s0, s1, s0
	s_cselect_b32 s2, s3, s2
	s_add_i32 s1, s0, 1
	s_cmp_ge_u32 s2, s28
	s_cselect_b32 s58, s1, s0
.LBB221_15:
	s_load_dwordx4 s[16:19], s[4:5], 0x518
	s_load_dwordx2 s[64:65], s[4:5], 0x0
	s_lshl_b64 s[0:1], s[6:7], 1
	v_mov_b32_e32 v1, 0
	s_mov_b32 s53, 0
	s_waitcnt lgkmcnt(0)
	s_add_u32 s0, s16, s0
	s_addc_u32 s1, s17, s1
	global_load_ushort v1, v1, s[0:1]
	v_cmp_ne_u32_e64 s[0:1], 0, v0
	v_cmp_eq_u32_e64 s[2:3], 0, v0
	s_waitcnt vmcnt(0)
	v_readfirstlane_b32 s7, v1
	s_and_saveexec_b64 s[16:17], s[2:3]
	s_cbranch_execz .LBB221_31
; %bb.16:
	s_load_dwordx2 s[70:71], s[4:5], 0x528
	s_lshl_b64 s[72:73], s[52:53], 2
	s_add_u32 s20, s18, s72
	s_addc_u32 s21, s19, s73
	s_mov_b32 s51, 0
	s_waitcnt lgkmcnt(0)
	s_add_u32 s22, s70, s72
	s_addc_u32 s23, s71, s73
	s_mov_b32 s52, 0
	s_cmp_lt_u32 s35, 4
	s_cbranch_scc1 .LBB221_28
; %bb.17:
	s_mov_b32 s57, 0
.LBB221_18:                             ; =>This Inner Loop Header: Depth=1
	s_add_u32 s74, s18, s72
	s_addc_u32 s75, s19, s73
	s_load_dwordx4 s[20:23], s[74:75], 0x0
	s_add_u32 s74, s70, s72
	s_addc_u32 s75, s71, s73
	s_cmp_ge_u32 s57, s76
	s_cbranch_scc0 .LBB221_25
; %bb.19:                               ;   in Loop: Header=BB221_18 Depth=1
	s_add_i32 s59, s57, 1
	s_cmp_ge_u32 s59, s76
	s_cbranch_scc0 .LBB221_26
.LBB221_20:                             ;   in Loop: Header=BB221_18 Depth=1
	s_add_i32 s59, s59, 1
	s_cmp_ge_u32 s59, s76
	s_cbranch_scc0 .LBB221_27
.LBB221_21:                             ;   in Loop: Header=BB221_18 Depth=1
	s_add_i32 s59, s59, 1
	s_cmp_ge_u32 s59, s76
	s_cbranch_scc1 .LBB221_23
.LBB221_22:                             ;   in Loop: Header=BB221_18 Depth=1
	s_load_dword s74, s[74:75], 0xc
	s_waitcnt lgkmcnt(0)
	s_add_i32 s53, s53, s23
	s_add_i32 s51, s74, s51
.LBB221_23:                             ;   in Loop: Header=BB221_18 Depth=1
	s_waitcnt lgkmcnt(0)
	s_add_i32 s20, s20, s52
	s_add_i32 s20, s20, s21
	;; [unrolled: 1-line block ×4, first 2 shown]
	s_add_u32 s18, s18, 16
	s_addc_u32 s19, s19, 0
	s_add_u32 s70, s70, 16
	s_addc_u32 s71, s71, 0
	s_add_i32 s74, s59, 4
	s_add_u32 s22, s70, s72
	s_addc_u32 s23, s71, s73
	s_add_u32 s20, s18, s72
	s_addc_u32 s21, s19, s73
	s_add_i32 s59, s59, 1
	s_cmp_ge_u32 s74, s35
	s_cbranch_scc1 .LBB221_29
; %bb.24:                               ;   in Loop: Header=BB221_18 Depth=1
	s_mov_b32 s57, s59
	s_branch .LBB221_18
.LBB221_25:                             ;   in Loop: Header=BB221_18 Depth=1
	s_load_dword s59, s[74:75], 0x0
	s_waitcnt lgkmcnt(0)
	s_add_i32 s53, s20, s53
	s_add_i32 s51, s59, s51
	;; [unrolled: 1-line block ×3, first 2 shown]
	s_cmp_ge_u32 s59, s76
	s_cbranch_scc1 .LBB221_20
.LBB221_26:                             ;   in Loop: Header=BB221_18 Depth=1
	s_load_dword s77, s[74:75], 0x4
	s_waitcnt lgkmcnt(0)
	s_add_i32 s53, s53, s21
	s_add_i32 s51, s77, s51
	;; [unrolled: 1-line block ×3, first 2 shown]
	s_cmp_ge_u32 s59, s76
	s_cbranch_scc1 .LBB221_21
.LBB221_27:                             ;   in Loop: Header=BB221_18 Depth=1
	s_load_dword s77, s[74:75], 0x8
	s_waitcnt lgkmcnt(0)
	s_add_i32 s53, s53, s22
	s_add_i32 s51, s77, s51
	;; [unrolled: 1-line block ×3, first 2 shown]
	s_cmp_ge_u32 s59, s76
	s_cbranch_scc0 .LBB221_22
	s_branch .LBB221_23
.LBB221_28:
	s_mov_b32 s18, 0
	s_cmp_ge_u32 s18, s35
	s_cbranch_scc0 .LBB221_52
	s_branch .LBB221_30
.LBB221_29:
	s_add_i32 s18, s57, 4
	s_cmp_ge_u32 s18, s35
	s_cbranch_scc0 .LBB221_52
.LBB221_30:
	v_mov_b32_e32 v1, s51
	v_mov_b32_e32 v2, s52
	;; [unrolled: 1-line block ×4, first 2 shown]
	ds_write_b96 v4, v[1:3] offset:1056
.LBB221_31:
	s_or_b64 exec, exec, s[16:17]
	s_load_dwordx4 s[16:19], s[4:5], 0x1b8
	s_load_dwordx4 s[20:23], s[4:5], 0x360
	s_cmp_eq_u32 s34, 0
	s_waitcnt lgkmcnt(0)
	s_barrier
	s_cbranch_scc1 .LBB221_54
; %bb.32:
	s_mul_i32 s31, s60, s31
	s_mul_hi_u32 s35, s60, s30
	s_add_i32 s35, s35, s31
	s_mul_i32 s30, s60, s30
	s_sub_u32 s30, s6, s30
	s_subb_u32 s31, 0, s35
	s_mul_i32 s35, s30, s69
	s_mul_hi_u32 s51, s30, s68
	s_add_i32 s35, s51, s35
	s_mul_i32 s31, s31, s68
	s_add_i32 s31, s35, s31
	s_mul_i32 s25, s56, s25
	s_mul_hi_u32 s35, s56, s24
	s_add_i32 s35, s35, s25
	s_mul_i32 s24, s56, s24
	s_sub_u32 s24, s54, s24
	s_subb_u32 s25, s55, s35
	s_mul_i32 s47, s24, s47
	s_mul_hi_u32 s51, s24, s46
	s_mul_i32 s25, s25, s46
	s_mul_i32 s46, s24, s46
	s_add_i32 s24, s51, s47
	s_mul_i32 s35, s56, s45
	s_mul_hi_u32 s45, s56, s44
	s_add_i32 s47, s24, s25
	s_mul_i32 s24, s54, s27
	s_mul_hi_u32 s25, s54, s26
	s_add_i32 s45, s45, s35
	s_add_i32 s25, s25, s24
	s_mul_i32 s24, s54, s26
	s_sub_u32 s24, s6, s24
	s_subb_u32 s25, 0, s25
	s_mul_i32 s26, s24, s67
	s_mul_hi_u32 s27, s24, s66
	s_add_i32 s26, s27, s26
	s_mul_i32 s25, s25, s66
	s_add_i32 s27, s26, s25
	s_mul_i32 s26, s24, s66
	s_mul_i32 s13, s50, s13
	s_mul_hi_u32 s24, s50, s12
	s_add_i32 s24, s24, s13
	s_mul_i32 s12, s50, s12
	s_sub_u32 s12, s48, s12
	s_subb_u32 s13, s49, s24
	s_mul_i32 s24, s12, s43
	s_mul_hi_u32 s25, s12, s42
	s_add_i32 s24, s25, s24
	s_mul_i32 s13, s13, s42
	s_add_i32 s13, s24, s13
	s_mul_i32 s24, s50, s41
	s_mul_hi_u32 s25, s50, s40
	s_mul_i32 s15, s48, s15
	s_mul_hi_u32 s35, s48, s14
	s_add_i32 s25, s25, s24
	s_add_i32 s35, s35, s15
	s_mul_i32 s14, s48, s14
	s_sub_u32 s6, s6, s14
	s_subb_u32 s14, 0, s35
	s_mul_i32 s15, s6, s63
	s_mul_hi_u32 s35, s6, s62
	s_add_i32 s15, s35, s15
	s_mul_i32 s14, s14, s62
	s_add_i32 s15, s15, s14
	s_mul_i32 s14, s6, s62
	s_mul_i32 s6, s58, s29
	s_mul_hi_u32 s29, s58, s28
	s_add_i32 s29, s29, s6
	s_mul_i32 s6, s58, s28
	s_sub_u32 s6, s60, s6
	s_subb_u32 s28, s61, s29
	s_mul_i32 s29, s6, s39
	s_mul_hi_u32 s35, s6, s38
	s_add_i32 s29, s35, s29
	s_mul_i32 s28, s28, s38
	s_mul_i32 s24, s50, s40
	s_add_i32 s29, s29, s28
	s_mul_i32 s28, s6, s38
	s_mul_i32 s6, s58, s37
	s_mul_hi_u32 s35, s58, s36
	s_add_i32 s37, s35, s6
	s_lshl_b64 s[24:25], s[24:25], 1
	s_mul_i32 s12, s12, s42
	s_add_u32 s6, s64, s24
	s_addc_u32 s24, s65, s25
	s_lshl_b64 s[12:13], s[12:13], 1
	s_add_u32 s6, s6, s12
	s_addc_u32 s25, s24, s13
	s_lshl_b64 s[12:13], s[14:15], 1
	s_mul_i32 s44, s56, s44
	s_add_u32 s24, s6, s12
	s_addc_u32 s25, s25, s13
	s_lshl_b64 s[12:13], s[44:45], 1
	s_add_u32 s6, s18, s12
	s_addc_u32 s14, s19, s13
	s_lshl_b64 s[12:13], s[46:47], 1
	;; [unrolled: 3-line block ×3, first 2 shown]
	s_mul_i32 s36, s58, s36
	s_add_u32 s18, s6, s12
	s_addc_u32 s19, s14, s13
	s_lshl_b64 s[12:13], s[36:37], 3
	s_add_u32 s6, s22, s12
	s_addc_u32 s14, s23, s13
	s_lshl_b64 s[12:13], s[28:29], 3
	s_mul_i32 s30, s30, s68
	s_add_u32 s6, s6, s12
	s_addc_u32 s14, s14, s13
	s_lshl_b64 s[12:13], s[30:31], 3
	v_mov_b32_e32 v5, 0
	s_add_u32 s22, s6, s12
	ds_read_b96 v[1:3], v5 offset:1056
	s_addc_u32 s23, s14, s13
	s_and_b32 s12, 0xffff, s7
	s_sext_i32_i16 s6, s7
	s_cmp_gt_i32 s6, -1
	s_mov_b32 s6, 0x8000
	s_cselect_b32 s13, s6, 0xffff
	s_lshl_b32 s6, s7, 16
	v_cmp_o_f32_e64 s[6:7], s6, s6
	s_xor_b32 s12, s13, s12
	s_and_b64 s[6:7], s[6:7], exec
	s_waitcnt lgkmcnt(0)
	v_add_u32_e32 v1, v1, v2
	v_lshrrev_b32_e32 v2, 3, v0
	s_load_dword s6, s[4:5], 0x1b0
	v_and_b32_e32 v2, 28, v2
	v_lshl_add_u32 v8, v0, 2, v2
	v_lshrrev_b32_e32 v2, 1, v0
	s_cselect_b32 s26, s12, 0xffff
	s_load_dwordx2 s[12:13], s[4:5], 0x508
	v_and_b32_e32 v9, 0x7c, v2
	v_add_u32_e32 v2, -1, v0
	v_lshrrev_b32_e32 v4, 3, v2
	v_and_b32_e32 v4, 0x1ffffffc, v4
	s_waitcnt lgkmcnt(0)
	s_bitcmp1_b32 s6, 0
	v_lshl_add_u32 v11, v2, 2, v4
	v_mbcnt_lo_u32_b32 v2, -1, 0
	s_cselect_b64 s[4:5], -1, 0
	v_cmp_gt_u32_e64 s[6:7], 64, v0
	v_lshlrev_b32_e32 v10, 4, v0
	v_add_u32_e32 v4, s33, v0
	v_mov_b32_e32 v0, 0xffff
	v_mov_b32_e32 v12, 0x8000
	v_mbcnt_hi_u32_b32 v13, -1, v2
                                        ; implicit-def: $vgpr14
	s_branch .LBB221_35
.LBB221_33:                             ;   in Loop: Header=BB221_35 Depth=1
	s_or_b64 exec, exec, s[14:15]
	v_add_u32_e32 v1, v2, v1
.LBB221_34:                             ;   in Loop: Header=BB221_35 Depth=1
	s_add_i32 s34, s34, -1
	v_add_u32_e32 v3, v15, v3
	s_cmp_lg_u32 s34, 0
	v_add_u32_e32 v4, 0x100, v4
	s_cbranch_scc0 .LBB221_54
.LBB221_35:                             ; =>This Inner Loop Header: Depth=1
	v_cmp_gt_u64_e32 vcc, s[8:9], v[4:5]
	v_mov_b32_e32 v2, v5
	v_mov_b32_e32 v6, v5
	s_and_saveexec_b64 s[14:15], vcc
	s_cbranch_execz .LBB221_37
; %bb.36:                               ;   in Loop: Header=BB221_35 Depth=1
	v_mad_u64_u32 v[6:7], s[28:29], s16, v4, 0
	v_mov_b32_e32 v2, v7
	v_mad_u64_u32 v[14:15], s[28:29], s17, v4, v[2:3]
	v_mov_b32_e32 v2, s25
	v_mov_b32_e32 v7, v14
	v_lshlrev_b64 v[6:7], 1, v[6:7]
	v_add_co_u32_e32 v6, vcc, s24, v6
	v_addc_co_u32_e32 v7, vcc, v2, v7, vcc
	global_load_ushort v14, v[6:7], off
	s_waitcnt vmcnt(0)
	v_cmp_lt_i16_e32 vcc, -1, v14
	v_cndmask_b32_e32 v2, v0, v12, vcc
	v_lshlrev_b32_e32 v6, 16, v14
	v_xor_b32_sdwa v2, v2, v14 dst_sel:DWORD dst_unused:UNUSED_PAD src0_sel:DWORD src1_sel:WORD_0
	v_cmp_o_f32_e32 vcc, v6, v6
	v_cndmask_b32_e32 v6, v0, v2, vcc
	v_cmp_lt_u32_e32 vcc, s26, v6
	v_cndmask_b32_e64 v2, 0, 1, vcc
	v_cmp_gt_u32_e32 vcc, s26, v6
	v_cndmask_b32_e64 v7, 0, 1, vcc
	v_cndmask_b32_e64 v2, v7, v2, s[4:5]
	v_cmp_eq_u32_e32 vcc, s26, v6
	v_and_b32_e32 v2, 1, v2
	v_cndmask_b32_e64 v6, 0, 1, vcc
.LBB221_37:                             ;   in Loop: Header=BB221_35 Depth=1
	s_or_b64 exec, exec, s[14:15]
	ds_write_b32 v8, v2
	s_waitcnt vmcnt(0) lgkmcnt(0)
	s_barrier
	s_and_saveexec_b64 s[14:15], s[6:7]
	s_cbranch_execz .LBB221_39
; %bb.38:                               ;   in Loop: Header=BB221_35 Depth=1
	v_add_u32_e32 v7, v9, v10
	ds_read2_b32 v[15:16], v7 offset1:1
	ds_read2_b32 v[17:18], v7 offset0:2 offset1:3
	v_and_b32_e32 v19, 15, v13
	v_cmp_ne_u32_e32 vcc, 0, v19
	s_waitcnt lgkmcnt(1)
	v_add_u32_e32 v16, v16, v15
	s_waitcnt lgkmcnt(0)
	v_add3_u32 v16, v16, v17, v18
	v_bfe_i32 v18, v13, 4, 1
	; wave barrier
	s_nop 0
	v_mov_b32_dpp v17, v16 row_shr:1 row_mask:0xf bank_mask:0xf
	v_cndmask_b32_e32 v17, 0, v17, vcc
	v_add_u32_e32 v16, v17, v16
	v_cmp_lt_u32_e32 vcc, 1, v19
	s_nop 0
	v_mov_b32_dpp v17, v16 row_shr:2 row_mask:0xf bank_mask:0xf
	v_cndmask_b32_e32 v17, 0, v17, vcc
	v_add_u32_e32 v16, v16, v17
	v_cmp_lt_u32_e32 vcc, 3, v19
	s_nop 0
	v_mov_b32_dpp v17, v16 row_shr:4 row_mask:0xf bank_mask:0xf
	v_cndmask_b32_e32 v17, 0, v17, vcc
	v_add_u32_e32 v16, v16, v17
	v_cmp_lt_u32_e32 vcc, 7, v19
	s_nop 0
	v_mov_b32_dpp v17, v16 row_shr:8 row_mask:0xf bank_mask:0xf
	v_cndmask_b32_e32 v17, 0, v17, vcc
	v_add_u32_e32 v16, v16, v17
	v_cmp_lt_u32_e32 vcc, 31, v13
	s_nop 0
	v_mov_b32_dpp v17, v16 row_bcast:15 row_mask:0xf bank_mask:0xf
	v_and_b32_e32 v17, v18, v17
	v_add_u32_e32 v16, v16, v17
	v_and_b32_e32 v18, 64, v13
	s_nop 0
	v_mov_b32_dpp v17, v16 row_bcast:31 row_mask:0xf bank_mask:0xf
	v_cndmask_b32_e32 v17, 0, v17, vcc
	v_add_u32_e32 v16, v16, v17
	v_add_u32_e32 v17, -1, v13
	v_cmp_lt_i32_e32 vcc, v17, v18
	v_cndmask_b32_e32 v17, v17, v13, vcc
	v_lshlrev_b32_e32 v17, 2, v17
	ds_bpermute_b32 v16, v17, v16
	s_waitcnt lgkmcnt(0)
	v_add_u32_e32 v15, v16, v15
	v_cndmask_b32_e64 v17, v15, v2, s[2:3]
	ds_write_b32 v7, v17
	; wave barrier
	ds_read2_b32 v[15:16], v7 offset0:1 offset1:2
	ds_read_b32 v18, v7 offset:12
	s_waitcnt lgkmcnt(1)
	v_add_u32_e32 v15, v15, v17
	v_add_u32_e32 v16, v16, v15
	ds_write2_b32 v7, v15, v16 offset0:1 offset1:2
	s_waitcnt lgkmcnt(1)
	v_add_u32_e32 v15, v18, v16
	ds_write_b32 v7, v15 offset:12
.LBB221_39:                             ;   in Loop: Header=BB221_35 Depth=1
	s_or_b64 exec, exec, s[14:15]
	v_mov_b32_e32 v7, 0
	s_waitcnt lgkmcnt(0)
	s_barrier
	s_and_saveexec_b64 s[14:15], s[0:1]
; %bb.40:                               ;   in Loop: Header=BB221_35 Depth=1
	ds_read_b32 v7, v11
; %bb.41:                               ;   in Loop: Header=BB221_35 Depth=1
	s_or_b64 exec, exec, s[14:15]
	ds_read_b32 v15, v5 offset:1048
	v_cmp_ne_u32_e32 vcc, 0, v2
	s_waitcnt lgkmcnt(0)
	s_barrier
	s_and_saveexec_b64 s[14:15], vcc
	s_cbranch_execz .LBB221_43
; %bb.42:                               ;   in Loop: Header=BB221_35 Depth=1
	v_add_u32_e32 v7, v7, v3
	v_mad_u64_u32 v[16:17], s[28:29], s20, v7, 0
	v_mad_u64_u32 v[18:19], s[28:29], s12, v7, 0
	v_mov_b32_e32 v2, v17
	v_mad_u64_u32 v[20:21], s[28:29], s21, v7, v[2:3]
	v_mov_b32_e32 v2, v19
	v_mov_b32_e32 v21, s19
	;; [unrolled: 1-line block ×3, first 2 shown]
	v_lshlrev_b64 v[16:17], 1, v[16:17]
	v_mad_u64_u32 v[19:20], s[28:29], s13, v7, v[2:3]
	v_add_co_u32_e32 v16, vcc, s18, v16
	v_addc_co_u32_e32 v17, vcc, v21, v17, vcc
	global_store_short v[16:17], v14, off
	v_lshlrev_b64 v[16:17], 3, v[18:19]
	v_mov_b32_e32 v2, s23
	v_add_co_u32_e32 v16, vcc, s22, v16
	v_addc_co_u32_e32 v17, vcc, v2, v17, vcc
	global_store_dwordx2 v[16:17], v[4:5], off
.LBB221_43:                             ;   in Loop: Header=BB221_35 Depth=1
	s_or_b64 exec, exec, s[14:15]
	v_mov_b32_e32 v2, v5
	v_cmp_le_u64_e32 vcc, s[10:11], v[1:2]
	s_cbranch_vccnz .LBB221_34
; %bb.44:                               ;   in Loop: Header=BB221_35 Depth=1
	ds_write_b32 v8, v6
	s_waitcnt vmcnt(0) lgkmcnt(0)
	s_barrier
	s_and_saveexec_b64 s[14:15], s[6:7]
	s_cbranch_execz .LBB221_46
; %bb.45:                               ;   in Loop: Header=BB221_35 Depth=1
	v_add_u32_e32 v2, v9, v10
	ds_read2_b32 v[16:17], v2 offset1:1
	ds_read2_b32 v[18:19], v2 offset0:2 offset1:3
	v_and_b32_e32 v7, 15, v13
	v_cmp_ne_u32_e32 vcc, 0, v7
	s_waitcnt lgkmcnt(1)
	v_add_u32_e32 v17, v17, v16
	s_waitcnt lgkmcnt(0)
	v_add3_u32 v17, v17, v18, v19
	; wave barrier
	s_nop 1
	v_mov_b32_dpp v18, v17 row_shr:1 row_mask:0xf bank_mask:0xf
	v_cndmask_b32_e32 v18, 0, v18, vcc
	v_add_u32_e32 v17, v18, v17
	v_cmp_lt_u32_e32 vcc, 1, v7
	s_nop 0
	v_mov_b32_dpp v18, v17 row_shr:2 row_mask:0xf bank_mask:0xf
	v_cndmask_b32_e32 v18, 0, v18, vcc
	v_add_u32_e32 v17, v17, v18
	v_cmp_lt_u32_e32 vcc, 3, v7
	;; [unrolled: 5-line block ×3, first 2 shown]
	s_nop 0
	v_mov_b32_dpp v18, v17 row_shr:8 row_mask:0xf bank_mask:0xf
	v_cndmask_b32_e32 v7, 0, v18, vcc
	v_add_u32_e32 v7, v17, v7
	v_bfe_i32 v18, v13, 4, 1
	v_cmp_lt_u32_e32 vcc, 31, v13
	v_mov_b32_dpp v17, v7 row_bcast:15 row_mask:0xf bank_mask:0xf
	v_and_b32_e32 v17, v18, v17
	v_add_u32_e32 v7, v7, v17
	v_and_b32_e32 v18, 64, v13
	s_nop 0
	v_mov_b32_dpp v17, v7 row_bcast:31 row_mask:0xf bank_mask:0xf
	v_cndmask_b32_e32 v17, 0, v17, vcc
	v_add_u32_e32 v7, v7, v17
	v_add_u32_e32 v17, -1, v13
	v_cmp_lt_i32_e32 vcc, v17, v18
	v_cndmask_b32_e32 v17, v17, v13, vcc
	v_lshlrev_b32_e32 v17, 2, v17
	ds_bpermute_b32 v7, v17, v7
	s_waitcnt lgkmcnt(0)
	v_add_u32_e32 v7, v7, v16
	v_cndmask_b32_e64 v7, v7, v6, s[2:3]
	ds_write_b32 v2, v7
	; wave barrier
	ds_read2_b32 v[16:17], v2 offset0:1 offset1:2
	ds_read_b32 v18, v2 offset:12
	s_waitcnt lgkmcnt(1)
	v_add_u32_e32 v7, v16, v7
	v_add_u32_e32 v16, v17, v7
	ds_write2_b32 v2, v7, v16 offset0:1 offset1:2
	s_waitcnt lgkmcnt(1)
	v_add_u32_e32 v7, v18, v16
	ds_write_b32 v2, v7 offset:12
.LBB221_46:                             ;   in Loop: Header=BB221_35 Depth=1
	s_or_b64 exec, exec, s[14:15]
	v_mov_b32_e32 v7, 0
	s_waitcnt lgkmcnt(0)
	s_barrier
	s_and_saveexec_b64 s[14:15], s[0:1]
; %bb.47:                               ;   in Loop: Header=BB221_35 Depth=1
	ds_read_b32 v7, v11
; %bb.48:                               ;   in Loop: Header=BB221_35 Depth=1
	s_or_b64 exec, exec, s[14:15]
	ds_read_b32 v2, v5 offset:1048
	v_cmp_ne_u32_e32 vcc, 0, v6
	s_waitcnt lgkmcnt(0)
	s_barrier
	s_and_saveexec_b64 s[14:15], vcc
	s_cbranch_execz .LBB221_33
; %bb.49:                               ;   in Loop: Header=BB221_35 Depth=1
	v_add_u32_e32 v6, v7, v1
	v_mov_b32_e32 v7, v5
	v_cmp_gt_u64_e32 vcc, s[10:11], v[6:7]
	s_and_b64 exec, exec, vcc
	s_cbranch_execz .LBB221_33
; %bb.50:                               ;   in Loop: Header=BB221_35 Depth=1
	v_mad_u64_u32 v[16:17], s[28:29], s20, v6, 0
	v_mad_u64_u32 v[18:19], s[28:29], s12, v6, 0
	v_mov_b32_e32 v7, v17
	v_mad_u64_u32 v[20:21], s[28:29], s21, v6, v[7:8]
	v_mov_b32_e32 v7, v19
	;; [unrolled: 2-line block ×3, first 2 shown]
	v_lshlrev_b64 v[16:17], 1, v[16:17]
	v_mov_b32_e32 v19, v6
	v_mov_b32_e32 v21, s19
	v_add_co_u32_e32 v16, vcc, s18, v16
	v_lshlrev_b64 v[6:7], 3, v[18:19]
	v_addc_co_u32_e32 v17, vcc, v21, v17, vcc
	global_store_short v[16:17], v14, off
	v_mov_b32_e32 v16, s23
	v_add_co_u32_e32 v6, vcc, s22, v6
	v_addc_co_u32_e32 v7, vcc, v16, v7, vcc
	global_store_dwordx2 v[6:7], v[4:5], off
	s_branch .LBB221_33
.LBB221_51:                             ;   in Loop: Header=BB221_52 Depth=1
	s_add_u32 s20, s20, 4
	s_addc_u32 s21, s21, 0
	s_waitcnt lgkmcnt(0)
	s_add_i32 s52, s19, s52
	s_add_u32 s22, s22, 4
	s_addc_u32 s23, s23, 0
	s_add_i32 s18, s18, 1
	s_cmp_lt_u32 s18, s35
	s_cbranch_scc0 .LBB221_30
.LBB221_52:                             ; =>This Inner Loop Header: Depth=1
	s_load_dword s19, s[20:21], 0x0
	s_cmp_ge_u32 s18, s76
	s_cbranch_scc1 .LBB221_51
; %bb.53:                               ;   in Loop: Header=BB221_52 Depth=1
	s_load_dword s57, s[22:23], 0x0
	s_waitcnt lgkmcnt(0)
	s_add_i32 s53, s19, s53
	s_add_i32 s51, s57, s51
	s_branch .LBB221_51
.LBB221_54:
	s_endpgm
	.section	.rodata,"a",@progbits
	.p2align	6, 0x0
	.amdhsa_kernel _ZN2at6native6mbtopk10gatherTopKIN3c108BFloat16EmLi3EEEvNS_4cuda6detail10TensorInfoIKT_T0_EESA_SA_bjSA_NS7_IS8_SA_EESA_NS7_IlSA_EESA_jjPS8_PjSF_j
		.amdhsa_group_segment_fixed_size 1068
		.amdhsa_private_segment_fixed_size 0
		.amdhsa_kernarg_size 1592
		.amdhsa_user_sgpr_count 6
		.amdhsa_user_sgpr_private_segment_buffer 1
		.amdhsa_user_sgpr_dispatch_ptr 0
		.amdhsa_user_sgpr_queue_ptr 0
		.amdhsa_user_sgpr_kernarg_segment_ptr 1
		.amdhsa_user_sgpr_dispatch_id 0
		.amdhsa_user_sgpr_flat_scratch_init 0
		.amdhsa_user_sgpr_private_segment_size 0
		.amdhsa_uses_dynamic_stack 0
		.amdhsa_system_sgpr_private_segment_wavefront_offset 0
		.amdhsa_system_sgpr_workgroup_id_x 1
		.amdhsa_system_sgpr_workgroup_id_y 1
		.amdhsa_system_sgpr_workgroup_id_z 1
		.amdhsa_system_sgpr_workgroup_info 0
		.amdhsa_system_vgpr_workitem_id 0
		.amdhsa_next_free_vgpr 22
		.amdhsa_next_free_sgpr 78
		.amdhsa_reserve_vcc 1
		.amdhsa_reserve_flat_scratch 0
		.amdhsa_float_round_mode_32 0
		.amdhsa_float_round_mode_16_64 0
		.amdhsa_float_denorm_mode_32 3
		.amdhsa_float_denorm_mode_16_64 3
		.amdhsa_dx10_clamp 1
		.amdhsa_ieee_mode 1
		.amdhsa_fp16_overflow 0
		.amdhsa_exception_fp_ieee_invalid_op 0
		.amdhsa_exception_fp_denorm_src 0
		.amdhsa_exception_fp_ieee_div_zero 0
		.amdhsa_exception_fp_ieee_overflow 0
		.amdhsa_exception_fp_ieee_underflow 0
		.amdhsa_exception_fp_ieee_inexact 0
		.amdhsa_exception_int_div_zero 0
	.end_amdhsa_kernel
	.section	.text._ZN2at6native6mbtopk10gatherTopKIN3c108BFloat16EmLi3EEEvNS_4cuda6detail10TensorInfoIKT_T0_EESA_SA_bjSA_NS7_IS8_SA_EESA_NS7_IlSA_EESA_jjPS8_PjSF_j,"axG",@progbits,_ZN2at6native6mbtopk10gatherTopKIN3c108BFloat16EmLi3EEEvNS_4cuda6detail10TensorInfoIKT_T0_EESA_SA_bjSA_NS7_IS8_SA_EESA_NS7_IlSA_EESA_jjPS8_PjSF_j,comdat
.Lfunc_end221:
	.size	_ZN2at6native6mbtopk10gatherTopKIN3c108BFloat16EmLi3EEEvNS_4cuda6detail10TensorInfoIKT_T0_EESA_SA_bjSA_NS7_IS8_SA_EESA_NS7_IlSA_EESA_jjPS8_PjSF_j, .Lfunc_end221-_ZN2at6native6mbtopk10gatherTopKIN3c108BFloat16EmLi3EEEvNS_4cuda6detail10TensorInfoIKT_T0_EESA_SA_bjSA_NS7_IS8_SA_EESA_NS7_IlSA_EESA_jjPS8_PjSF_j
                                        ; -- End function
	.set _ZN2at6native6mbtopk10gatherTopKIN3c108BFloat16EmLi3EEEvNS_4cuda6detail10TensorInfoIKT_T0_EESA_SA_bjSA_NS7_IS8_SA_EESA_NS7_IlSA_EESA_jjPS8_PjSF_j.num_vgpr, 22
	.set _ZN2at6native6mbtopk10gatherTopKIN3c108BFloat16EmLi3EEEvNS_4cuda6detail10TensorInfoIKT_T0_EESA_SA_bjSA_NS7_IS8_SA_EESA_NS7_IlSA_EESA_jjPS8_PjSF_j.num_agpr, 0
	.set _ZN2at6native6mbtopk10gatherTopKIN3c108BFloat16EmLi3EEEvNS_4cuda6detail10TensorInfoIKT_T0_EESA_SA_bjSA_NS7_IS8_SA_EESA_NS7_IlSA_EESA_jjPS8_PjSF_j.numbered_sgpr, 78
	.set _ZN2at6native6mbtopk10gatherTopKIN3c108BFloat16EmLi3EEEvNS_4cuda6detail10TensorInfoIKT_T0_EESA_SA_bjSA_NS7_IS8_SA_EESA_NS7_IlSA_EESA_jjPS8_PjSF_j.num_named_barrier, 0
	.set _ZN2at6native6mbtopk10gatherTopKIN3c108BFloat16EmLi3EEEvNS_4cuda6detail10TensorInfoIKT_T0_EESA_SA_bjSA_NS7_IS8_SA_EESA_NS7_IlSA_EESA_jjPS8_PjSF_j.private_seg_size, 0
	.set _ZN2at6native6mbtopk10gatherTopKIN3c108BFloat16EmLi3EEEvNS_4cuda6detail10TensorInfoIKT_T0_EESA_SA_bjSA_NS7_IS8_SA_EESA_NS7_IlSA_EESA_jjPS8_PjSF_j.uses_vcc, 1
	.set _ZN2at6native6mbtopk10gatherTopKIN3c108BFloat16EmLi3EEEvNS_4cuda6detail10TensorInfoIKT_T0_EESA_SA_bjSA_NS7_IS8_SA_EESA_NS7_IlSA_EESA_jjPS8_PjSF_j.uses_flat_scratch, 0
	.set _ZN2at6native6mbtopk10gatherTopKIN3c108BFloat16EmLi3EEEvNS_4cuda6detail10TensorInfoIKT_T0_EESA_SA_bjSA_NS7_IS8_SA_EESA_NS7_IlSA_EESA_jjPS8_PjSF_j.has_dyn_sized_stack, 0
	.set _ZN2at6native6mbtopk10gatherTopKIN3c108BFloat16EmLi3EEEvNS_4cuda6detail10TensorInfoIKT_T0_EESA_SA_bjSA_NS7_IS8_SA_EESA_NS7_IlSA_EESA_jjPS8_PjSF_j.has_recursion, 0
	.set _ZN2at6native6mbtopk10gatherTopKIN3c108BFloat16EmLi3EEEvNS_4cuda6detail10TensorInfoIKT_T0_EESA_SA_bjSA_NS7_IS8_SA_EESA_NS7_IlSA_EESA_jjPS8_PjSF_j.has_indirect_call, 0
	.section	.AMDGPU.csdata,"",@progbits
; Kernel info:
; codeLenInByte = 3352
; TotalNumSgprs: 82
; NumVgprs: 22
; ScratchSize: 0
; MemoryBound: 0
; FloatMode: 240
; IeeeMode: 1
; LDSByteSize: 1068 bytes/workgroup (compile time only)
; SGPRBlocks: 10
; VGPRBlocks: 5
; NumSGPRsForWavesPerEU: 82
; NumVGPRsForWavesPerEU: 22
; Occupancy: 9
; WaveLimiterHint : 1
; COMPUTE_PGM_RSRC2:SCRATCH_EN: 0
; COMPUTE_PGM_RSRC2:USER_SGPR: 6
; COMPUTE_PGM_RSRC2:TRAP_HANDLER: 0
; COMPUTE_PGM_RSRC2:TGID_X_EN: 1
; COMPUTE_PGM_RSRC2:TGID_Y_EN: 1
; COMPUTE_PGM_RSRC2:TGID_Z_EN: 1
; COMPUTE_PGM_RSRC2:TIDIG_COMP_CNT: 0
	.section	.text._ZN2at6native6sbtopk10gatherTopKIN3c108BFloat16EmLi3ELb0EEEvNS_4cuda6detail10TensorInfoIKT_T0_EESA_SA_bSA_SA_NS7_IS8_SA_EESA_NS7_IlSA_EESA_PS8_,"axG",@progbits,_ZN2at6native6sbtopk10gatherTopKIN3c108BFloat16EmLi3ELb0EEEvNS_4cuda6detail10TensorInfoIKT_T0_EESA_SA_bSA_SA_NS7_IS8_SA_EESA_NS7_IlSA_EESA_PS8_,comdat
	.protected	_ZN2at6native6sbtopk10gatherTopKIN3c108BFloat16EmLi3ELb0EEEvNS_4cuda6detail10TensorInfoIKT_T0_EESA_SA_bSA_SA_NS7_IS8_SA_EESA_NS7_IlSA_EESA_PS8_ ; -- Begin function _ZN2at6native6sbtopk10gatherTopKIN3c108BFloat16EmLi3ELb0EEEvNS_4cuda6detail10TensorInfoIKT_T0_EESA_SA_bSA_SA_NS7_IS8_SA_EESA_NS7_IlSA_EESA_PS8_
	.globl	_ZN2at6native6sbtopk10gatherTopKIN3c108BFloat16EmLi3ELb0EEEvNS_4cuda6detail10TensorInfoIKT_T0_EESA_SA_bSA_SA_NS7_IS8_SA_EESA_NS7_IlSA_EESA_PS8_
	.p2align	8
	.type	_ZN2at6native6sbtopk10gatherTopKIN3c108BFloat16EmLi3ELb0EEEvNS_4cuda6detail10TensorInfoIKT_T0_EESA_SA_bSA_SA_NS7_IS8_SA_EESA_NS7_IlSA_EESA_PS8_,@function
_ZN2at6native6sbtopk10gatherTopKIN3c108BFloat16EmLi3ELb0EEEvNS_4cuda6detail10TensorInfoIKT_T0_EESA_SA_bSA_SA_NS7_IS8_SA_EESA_NS7_IlSA_EESA_PS8_: ; @_ZN2at6native6sbtopk10gatherTopKIN3c108BFloat16EmLi3ELb0EEEvNS_4cuda6detail10TensorInfoIKT_T0_EESA_SA_bSA_SA_NS7_IS8_SA_EESA_NS7_IlSA_EESA_PS8_
; %bb.0:
	s_load_dwordx2 s[16:17], s[4:5], 0x520
	s_load_dwordx4 s[60:63], s[4:5], 0x1b8
	s_add_u32 s26, s4, 0x520
	s_addc_u32 s27, s5, 0
	s_mov_b32 s29, 0
	s_waitcnt lgkmcnt(0)
	s_mul_i32 s0, s17, s8
	s_add_i32 s0, s0, s7
	s_mul_i32 s0, s0, s16
	s_add_i32 s28, s0, s6
	v_mov_b32_e32 v1, s28
	v_mov_b32_e32 v2, s29
	v_cmp_le_u64_e32 vcc, s[60:61], v[1:2]
	s_cbranch_vccnz .LBB222_485
; %bb.1:
	s_load_dwordx4 s[0:3], s[4:5], 0x10
	s_mov_b64 s[10:11], 0
	s_mov_b64 s[8:9], 0
	s_waitcnt lgkmcnt(0)
	v_mov_b32_e32 v1, s2
	v_mov_b32_e32 v2, s3
	v_cmp_lt_u64_e32 vcc, s[28:29], v[1:2]
	s_cbranch_vccnz .LBB222_3
; %bb.2:
	v_cvt_f32_u32_e32 v1, s2
	s_sub_i32 s7, 0, s2
	s_mov_b32 s9, 0
	v_rcp_iflag_f32_e32 v1, v1
	v_mul_f32_e32 v1, 0x4f7ffffe, v1
	v_cvt_u32_f32_e32 v1, v1
	v_readfirstlane_b32 s8, v1
	s_mul_i32 s7, s7, s8
	s_mul_hi_u32 s7, s8, s7
	s_add_i32 s8, s8, s7
	s_mul_hi_u32 s7, s28, s8
	s_mul_i32 s11, s7, s2
	s_sub_i32 s11, s28, s11
	s_add_i32 s8, s7, 1
	s_sub_i32 s12, s11, s2
	s_cmp_ge_u32 s11, s2
	s_cselect_b32 s7, s8, s7
	s_cselect_b32 s11, s12, s11
	s_add_i32 s8, s7, 1
	s_cmp_ge_u32 s11, s2
	s_cselect_b32 s8, s8, s7
.LBB222_3:
	s_load_dwordx4 s[20:23], s[4:5], 0x1d8
	v_mov_b32_e32 v2, s1
	v_mov_b32_e32 v1, s0
	v_cmp_lt_u64_e32 vcc, s[8:9], v[1:2]
	s_cbranch_vccnz .LBB222_5
; %bb.4:
	v_cvt_f32_u32_e32 v1, s0
	s_sub_i32 s7, 0, s0
	v_rcp_iflag_f32_e32 v1, v1
	v_mul_f32_e32 v1, 0x4f7ffffe, v1
	v_cvt_u32_f32_e32 v1, v1
	v_readfirstlane_b32 s10, v1
	s_mul_i32 s7, s7, s10
	s_mul_hi_u32 s7, s10, s7
	s_add_i32 s10, s10, s7
	s_mul_hi_u32 s7, s8, s10
	s_mul_i32 s11, s7, s0
	s_sub_i32 s11, s8, s11
	s_add_i32 s10, s7, 1
	s_sub_i32 s12, s11, s0
	s_cmp_ge_u32 s11, s0
	s_cselect_b32 s7, s10, s7
	s_cselect_b32 s11, s12, s11
	s_add_i32 s10, s7, 1
	s_cmp_ge_u32 s11, s0
	s_cselect_b32 s10, s10, s7
.LBB222_5:
	s_waitcnt lgkmcnt(0)
	v_mov_b32_e32 v1, s22
	v_mov_b32_e32 v2, s23
	v_cmp_lt_u64_e32 vcc, s[28:29], v[1:2]
	s_mov_b64 s[12:13], 0
                                        ; implicit-def: $vgpr48 : SGPR spill to VGPR lane
	v_writelane_b32 v48, s12, 0
	s_mov_b64 s[24:25], 0
	v_writelane_b32 v48, s13, 1
	s_cbranch_vccnz .LBB222_7
; %bb.6:
	v_cvt_f32_u32_e32 v1, s22
	s_sub_i32 s7, 0, s22
	s_mov_b32 s25, 0
	v_rcp_iflag_f32_e32 v1, v1
	v_mul_f32_e32 v1, 0x4f7ffffe, v1
	v_cvt_u32_f32_e32 v1, v1
	v_readfirstlane_b32 s11, v1
	s_mul_i32 s7, s7, s11
	s_mul_hi_u32 s7, s11, s7
	s_add_i32 s11, s11, s7
	s_mul_hi_u32 s7, s28, s11
	s_mul_i32 s12, s7, s22
	s_sub_i32 s12, s28, s12
	s_add_i32 s11, s7, 1
	s_sub_i32 s13, s12, s22
	s_cmp_ge_u32 s12, s22
	s_cselect_b32 s7, s11, s7
	s_cselect_b32 s12, s13, s12
	s_add_i32 s11, s7, 1
	s_cmp_ge_u32 s12, s22
	s_cselect_b32 s24, s11, s7
.LBB222_7:
	s_load_dwordx4 s[36:39], s[4:5], 0x380
	v_mov_b32_e32 v1, s20
	v_mov_b32_e32 v2, s21
	v_cmp_lt_u64_e32 vcc, s[24:25], v[1:2]
	s_cbranch_vccnz .LBB222_9
; %bb.8:
	v_cvt_f32_u32_e32 v1, s20
	s_sub_i32 s7, 0, s20
	v_rcp_iflag_f32_e32 v1, v1
	v_mul_f32_e32 v1, 0x4f7ffffe, v1
	v_cvt_u32_f32_e32 v1, v1
	v_readfirstlane_b32 s11, v1
	s_mul_i32 s7, s7, s11
	s_mul_hi_u32 s7, s11, s7
	s_add_i32 s11, s11, s7
	s_mul_hi_u32 s7, s24, s11
	s_mul_i32 s12, s7, s20
	s_sub_i32 s12, s24, s12
	s_add_i32 s11, s7, 1
	s_sub_i32 s13, s12, s20
	s_cmp_ge_u32 s12, s20
	s_cselect_b32 s7, s11, s7
	s_cselect_b32 s12, s13, s12
	s_add_i32 s11, s7, 1
	s_cmp_ge_u32 s12, s20
	s_cselect_b32 s12, s11, s7
	v_writelane_b32 v48, s12, 0
	v_writelane_b32 v48, s13, 1
.LBB222_9:
	v_writelane_b32 v48, s20, 2
	s_load_dwordx2 s[18:19], s[4:5], 0xe0
	s_load_dwordx4 s[12:15], s[4:5], 0xd0
	s_waitcnt lgkmcnt(0)
	v_mov_b32_e32 v1, s38
	v_writelane_b32 v48, s21, 3
	v_mov_b32_e32 v2, s39
	v_writelane_b32 v48, s22, 4
	v_cmp_lt_u64_e32 vcc, s[28:29], v[1:2]
	v_writelane_b32 v48, s23, 5
	s_mov_b64 s[20:21], 0
	v_writelane_b32 v48, s20, 6
	s_mov_b64 s[22:23], 0
	v_writelane_b32 v48, s21, 7
	s_cbranch_vccnz .LBB222_11
; %bb.10:
	v_cvt_f32_u32_e32 v1, s38
	s_sub_i32 s7, 0, s38
	s_mov_b32 s23, 0
	v_rcp_iflag_f32_e32 v1, v1
	v_mul_f32_e32 v1, 0x4f7ffffe, v1
	v_cvt_u32_f32_e32 v1, v1
	v_readfirstlane_b32 s11, v1
	s_mul_i32 s7, s7, s11
	s_mul_hi_u32 s7, s11, s7
	s_add_i32 s11, s11, s7
	s_mul_hi_u32 s7, s28, s11
	s_mul_i32 s17, s7, s38
	s_sub_i32 s17, s28, s17
	s_add_i32 s11, s7, 1
	s_sub_i32 s20, s17, s38
	s_cmp_ge_u32 s17, s38
	s_cselect_b32 s7, s11, s7
	s_cselect_b32 s17, s20, s17
	s_add_i32 s11, s7, 1
	s_cmp_ge_u32 s17, s38
	s_cselect_b32 s22, s11, s7
.LBB222_11:
	s_load_dwordx2 s[20:21], s[4:5], 0x450
	s_load_dwordx4 s[40:43], s[4:5], 0x440
	v_writelane_b32 v48, s24, 8
	v_writelane_b32 v48, s25, 9
	v_mov_b32_e32 v1, s36
	s_waitcnt lgkmcnt(0)
	v_writelane_b32 v48, s20, 10
	v_writelane_b32 v48, s21, 11
	s_load_dwordx2 s[20:21], s[4:5], 0x2a8
	v_writelane_b32 v48, s40, 12
	v_writelane_b32 v48, s41, 13
	;; [unrolled: 1-line block ×4, first 2 shown]
	s_load_dwordx4 s[40:43], s[4:5], 0x298
	s_waitcnt lgkmcnt(0)
	v_writelane_b32 v48, s20, 16
	v_writelane_b32 v48, s21, 17
	s_load_dwordx2 s[20:21], s[4:5], 0x0
	v_mov_b32_e32 v2, s37
	v_writelane_b32 v48, s40, 18
	v_writelane_b32 v48, s41, 19
	;; [unrolled: 1-line block ×5, first 2 shown]
	v_cmp_lt_u64_e32 vcc, s[22:23], v[1:2]
	v_writelane_b32 v48, s23, 23
	s_cbranch_vccnz .LBB222_13
; %bb.12:
	v_cvt_f32_u32_e32 v1, s36
	s_sub_i32 s7, 0, s36
	v_readlane_b32 s22, v48, 22
	v_readlane_b32 s23, v48, 23
	v_rcp_iflag_f32_e32 v1, v1
	v_mul_f32_e32 v1, 0x4f7ffffe, v1
	v_cvt_u32_f32_e32 v1, v1
	v_readfirstlane_b32 s11, v1
	s_mul_i32 s7, s7, s11
	s_mul_hi_u32 s7, s11, s7
	s_add_i32 s11, s11, s7
	s_mul_hi_u32 s7, s22, s11
	s_mul_i32 s17, s7, s36
	s_sub_i32 s17, s22, s17
	s_add_i32 s11, s7, 1
	s_sub_i32 s22, s17, s36
	s_cmp_ge_u32 s17, s36
	s_cselect_b32 s7, s11, s7
	s_cselect_b32 s17, s22, s17
	s_add_i32 s11, s7, 1
	s_cmp_ge_u32 s17, s36
	s_cselect_b32 s22, s11, s7
	v_writelane_b32 v48, s22, 6
	v_writelane_b32 v48, s23, 7
.LBB222_13:
	s_load_dwordx2 s[22:23], s[4:5], 0x370
	v_writelane_b32 v48, s36, 24
	v_writelane_b32 v48, s37, 25
	;; [unrolled: 1-line block ×4, first 2 shown]
	s_waitcnt lgkmcnt(0)
	v_writelane_b32 v48, s22, 28
	v_writelane_b32 v48, s23, 29
	s_load_dwordx2 s[22:23], s[4:5], 0x1c8
	s_load_dwordx4 s[64:67], s[4:5], 0x1a0
	s_mov_b32 s93, 0
	v_cmp_eq_u32_e64 s[24:25], 0, v0
	s_waitcnt lgkmcnt(0)
	v_writelane_b32 v48, s22, 30
	v_writelane_b32 v48, s23, 31
	s_mov_b64 s[22:23], exec
	v_writelane_b32 v48, s24, 32
	v_writelane_b32 v48, s25, 33
	s_and_b64 s[24:25], s[22:23], s[24:25]
	s_mov_b64 exec, s[24:25]
	s_cbranch_execz .LBB222_15
; %bb.14:
	v_mov_b32_e32 v1, 0
	v_mov_b32_e32 v3, s64
	;; [unrolled: 1-line block ×4, first 2 shown]
	ds_write_b32 v1, v1 offset:5144
	ds_write_b128 v1, v[1:4] offset:5120
.LBB222_15:
	s_or_b64 exec, exec, s[22:23]
	s_mul_i32 s1, s10, s1
	s_mul_hi_u32 s7, s10, s0
	s_add_i32 s7, s7, s1
	s_mul_i32 s0, s10, s0
	s_sub_u32 s0, s8, s0
	s_subb_u32 s1, s9, s7
	s_mul_i32 s7, s0, s15
	s_mul_hi_u32 s9, s0, s14
	s_add_i32 s7, s9, s7
	s_mul_i32 s1, s1, s14
	s_add_i32 s1, s7, s1
	s_mul_i32 s7, s10, s13
	s_mul_hi_u32 s9, s10, s12
	s_add_i32 s11, s9, s7
	s_mul_i32 s3, s8, s3
	s_mul_hi_u32 s7, s8, s2
	s_add_i32 s7, s7, s3
	s_mul_i32 s2, s8, s2
	s_mov_b32 s8, s28
	v_writelane_b32 v48, s8, 34
	s_sub_u32 s2, s28, s2
	v_writelane_b32 v48, s9, 35
	s_subb_u32 s3, 0, s7
	s_mul_i32 s7, s2, s19
	s_mul_hi_u32 s8, s2, s18
	s_mul_i32 s10, s10, s12
	s_add_i32 s7, s8, s7
	s_mul_i32 s3, s3, s18
	s_add_i32 s3, s7, s3
	s_lshl_b64 s[8:9], s[10:11], 1
	s_mul_i32 s0, s0, s14
	s_add_u32 s7, s20, s8
	s_addc_u32 s8, s21, s9
	s_lshl_b64 s[0:1], s[0:1], 1
	v_writelane_b32 v48, s4, 36
	s_load_dword s9, s[4:5], 0x1b0
	s_mul_i32 s2, s2, s18
	s_add_u32 s7, s7, s0
	s_addc_u32 s8, s8, s1
	s_lshl_b64 s[0:1], s[2:3], 1
	s_add_u32 s33, s7, s0
	s_addc_u32 s82, s8, s1
	s_waitcnt lgkmcnt(0)
	s_bitcmp1_b32 s9, 0
	v_writelane_b32 v48, s5, 37
	s_cselect_b64 s[0:1], -1, 0
	v_writelane_b32 v48, s0, 38
	v_writelane_b32 v48, s1, 39
	s_xor_b64 s[0:1], s[0:1], -1
	v_writelane_b32 v48, s0, 40
	v_writelane_b32 v48, s1, 41
	v_mbcnt_lo_u32_b32 v1, -1, 0
	v_mad_u64_u32 v[4:5], s[0:1], s62, v0, 0
	v_mbcnt_hi_u32_b32 v26, -1, v1
	v_cmp_gt_u32_e32 vcc, 64, v0
	v_cmp_gt_i32_e64 s[10:11], 4, v26
	s_and_b64 s[0:1], vcc, s[10:11]
	v_writelane_b32 v48, s0, 42
	v_mov_b32_e32 v1, 0x600
	v_mov_b32_e32 v3, v5
	v_writelane_b32 v48, s1, 43
	v_mov_b32_e32 v2, 0
	v_mad_u64_u32 v[5:6], s[0:1], s63, v0, v[3:4]
	v_cmp_gt_u64_e64 s[0:1], s[64:65], v[1:2]
	v_mov_b32_e32 v3, 0
	v_writelane_b32 v48, s0, 44
	v_mov_b32_e32 v1, v3
	v_writelane_b32 v48, s1, 45
	v_cmp_gt_u64_e64 s[0:1], s[64:65], v[0:1]
	v_writelane_b32 v48, s0, 46
	v_writelane_b32 v48, s1, 47
	v_cmp_gt_u32_e64 s[0:1], 2, v0
	v_writelane_b32 v48, s0, 48
	s_barrier
	v_writelane_b32 v48, s1, 49
	s_load_dword s0, s[26:27], 0xc
	v_lshlrev_b64 v[4:5], 1, v[4:5]
	v_mov_b32_e32 v2, s82
	v_add_co_u32_e32 v12, vcc, s33, v4
	s_waitcnt lgkmcnt(0)
	s_and_b32 s83, s0, 0xffff
	s_bfe_u32 s0, s0, 0xa0006
	s_cmp_gt_u32 s83, 63
	s_cselect_b64 s[2:3], -1, 0
	v_addc_co_u32_e32 v13, vcc, v2, v5, vcc
	v_lshlrev_b32_e32 v2, 2, v26
	v_writelane_b32 v48, s2, 50
	s_add_u32 s1, s83, -1
	v_and_b32_e32 v23, 0x100, v2
	v_writelane_b32 v48, s3, 51
	s_addc_u32 s2, 0, -1
	v_lshrrev_b32_e32 v2, 1, v0
	v_writelane_b32 v48, s1, 52
	s_add_u32 s1, s1, s64
	v_and_b32_e32 v2, 0x1e0, v2
	v_lshlrev_b64 v[4:5], v26, -1
	v_writelane_b32 v48, s1, 53
	v_or_b32_e32 v29, 0xc00, v2
	v_add_u32_e32 v2, 2, v0
	v_writelane_b32 v48, s2, 54
	s_addc_u32 s1, s2, s65
	v_cmp_gt_u64_e32 vcc, s[64:65], v[2:3]
	v_not_b32_e32 v25, v4
	v_writelane_b32 v48, s0, 55
	s_cmp_lt_u32 s6, s16
	v_mov_b32_e32 v4, s65
	v_not_b32_e32 v24, v5
	v_writelane_b32 v48, s1, 56
	s_cselect_b32 s1, 12, 18
	v_cndmask_b32_e32 v5, 0, v4, vcc
	v_mov_b32_e32 v4, s64
	s_add_u32 s2, s26, s1
	v_cndmask_b32_e32 v2, v2, v4, vcc
	v_not_b32_e32 v4, v0
	s_addc_u32 s3, s27, 0
	v_add_co_u32_e32 v4, vcc, v2, v4
	v_writelane_b32 v48, s2, 57
	v_addc_co_u32_e32 v5, vcc, -1, v5, vcc
	v_writelane_b32 v48, s3, 58
	v_cmp_lt_u64_e64 s[2:3], 1, v[4:5]
	v_and_b32_e32 v16, -2, v4
	v_writelane_b32 v48, s2, 59
	v_mov_b32_e32 v17, v5
	v_writelane_b32 v48, s3, 60
	v_cmp_ne_u64_e64 s[2:3], v[4:5], v[16:17]
	s_add_i32 s1, s0, -1
	s_bfe_u32 s75, s83, 0x30006
	s_and_b32 s1, s1, 0xffff
	v_writelane_b32 v48, s2, 61
	s_cmp_gt_u32 s1, 6
	v_writelane_b32 v48, s3, 62
	s_cselect_b64 s[2:3], -1, 0
	s_and_b32 s80, s0, 0x3f8
                                        ; implicit-def: $vgpr47 : SGPR spill to VGPR lane
	s_cmp_lg_u32 s75, 0
	v_writelane_b32 v48, s2, 63
	v_writelane_b32 v47, s3, 0
	s_cselect_b64 s[0:1], -1, 0
	v_writelane_b32 v47, s0, 1
	v_writelane_b32 v47, s1, 2
	s_lshl_b32 s0, s83, 1
	v_writelane_b32 v47, s0, 3
	s_mov_b32 s0, 0
	v_cmp_eq_u32_e64 s[84:85], 0, v26
	v_writelane_b32 v47, s0, 4
	v_lshlrev_b32_e32 v27, 1, v0
	v_mov_b32_e32 v2, 0xc00
	v_mov_b32_e32 v19, s66
	v_writelane_b32 v47, s84, 5
	v_lshlrev_b32_e32 v14, 2, v0
	v_mov_b32_e32 v15, v3
	v_add_u32_e32 v28, 0xc00, v27
	s_mov_b32 s92, s62
	s_mov_b32 s87, s63
	v_lshlrev_b32_e32 v31, 3, v0
	v_lshl_or_b32 v32, v26, 3, v2
	s_mov_b32 s81, 14
	s_mov_b64 s[88:89], 0
	v_mov_b32_e32 v33, 0xffff
	v_mov_b32_e32 v34, 0x8000
	;; [unrolled: 1-line block ×3, first 2 shown]
	v_mov_b32_e32 v36, -1
	v_mov_b32_e32 v37, 0x5040100
	v_mov_b32_e32 v39, 0
	;; [unrolled: 1-line block ×3, first 2 shown]
	v_add_co_u32_e32 v18, vcc, v16, v0
	v_mov_b32_e32 v38, 0
	v_mov_b32_e32 v20, s67
	v_writelane_b32 v47, s85, 6
                                        ; implicit-def: $sgpr2_sgpr3
                                        ; implicit-def: $sgpr14_sgpr15
                                        ; implicit-def: $sgpr70_sgpr71
                                        ; implicit-def: $sgpr72_sgpr73
                                        ; implicit-def: $sgpr68_sgpr69
                                        ; implicit-def: $sgpr24_sgpr25
                                        ; implicit-def: $sgpr60_sgpr61
                                        ; implicit-def: $sgpr90_sgpr91
                                        ; implicit-def: $sgpr42_sgpr43
                                        ; implicit-def: $sgpr16_sgpr17
	v_writelane_b32 v47, s92, 7
	s_branch .LBB222_18
.LBB222_16:                             ;   in Loop: Header=BB222_18 Depth=1
	s_or_b64 exec, exec, s[10:11]
	s_andn2_b64 s[0:1], s[16:17], exec
	s_and_b64 s[8:9], s[8:9], exec
	v_mov_b32_e32 v20, v5
	s_or_b64 s[16:17], s[0:1], s[8:9]
	s_andn2_b64 s[42:43], s[42:43], exec
	s_andn2_b64 s[90:91], s[90:91], exec
	;; [unrolled: 1-line block ×4, first 2 shown]
	s_orn2_b64 s[6:7], s[6:7], exec
	v_mov_b32_e32 v19, v4
.LBB222_17:                             ;   in Loop: Header=BB222_18 Depth=1
	s_or_b64 exec, exec, s[4:5]
	s_and_b64 s[0:1], exec, s[6:7]
	s_or_b64 s[88:89], s[0:1], s[88:89]
	s_andn2_b64 s[0:1], s[68:69], exec
	s_and_b64 s[4:5], s[16:17], exec
	s_or_b64 s[68:69], s[0:1], s[4:5]
	s_andn2_b64 s[0:1], s[72:73], exec
	s_and_b64 s[4:5], s[42:43], exec
	;; [unrolled: 3-line block ×5, first 2 shown]
	s_or_b64 s[2:3], s[0:1], s[2:3]
	s_andn2_b64 exec, exec, s[88:89]
	s_cbranch_execz .LBB222_481
.LBB222_18:                             ; =>This Loop Header: Depth=1
                                        ;     Child Loop BB222_23 Depth 2
                                        ;     Child Loop BB222_37 Depth 2
	;; [unrolled: 1-line block ×25, first 2 shown]
	ds_read_b128 v[4:7], v3 offset:5120
	s_mov_b32 s74, s87
	s_waitcnt lgkmcnt(0)
	v_readfirstlane_b32 s87, v5
	v_readfirstlane_b32 s86, v4
	s_cmp_lg_u64 s[86:87], 0
	s_cbranch_scc1 .LBB222_50
; %bb.19:                               ;   in Loop: Header=BB222_18 Depth=1
	v_readlane_b32 s0, v48, 44
	v_readlane_b32 s1, v48, 45
	s_and_b64 vcc, exec, s[0:1]
	s_cbranch_vccz .LBB222_31
; %bb.20:                               ;   in Loop: Header=BB222_18 Depth=1
	s_mov_b64 s[0:1], 0x601
	v_cmp_gt_u64_e32 vcc, s[0:1], v[6:7]
	s_mov_b64 s[4:5], 0
	s_mov_b64 s[6:7], 0
	s_mov_b32 s22, s74
	s_cbranch_vccz .LBB222_32
; %bb.21:                               ;   in Loop: Header=BB222_18 Depth=1
	v_readlane_b32 s0, v48, 57
	v_readlane_b32 s1, v48, 58
	global_load_ushort v6, v[12:13], off
	v_mov_b32_e32 v5, v1
	s_mov_b64 s[8:9], 0
	v_mov_b32_e32 v4, v0
	s_nop 0
	global_load_ushort v2, v3, s[0:1]
	s_branch .LBB222_23
.LBB222_22:                             ;   in Loop: Header=BB222_23 Depth=2
	s_or_b64 exec, exec, s[6:7]
	s_waitcnt vmcnt(0)
	v_mov_b32_e32 v6, v7
	s_andn2_b64 exec, exec, s[8:9]
	s_cbranch_execz .LBB222_105
.LBB222_23:                             ;   Parent Loop BB222_18 Depth=1
                                        ; =>  This Inner Loop Header: Depth=2
	s_waitcnt vmcnt(0)
	v_add_co_u32_sdwa v4, vcc, v4, v2 dst_sel:DWORD dst_unused:UNUSED_PAD src0_sel:DWORD src1_sel:WORD_0
	v_addc_co_u32_e32 v5, vcc, 0, v5, vcc
	v_cmp_gt_u64_e64 s[6:7], s[64:65], v[4:5]
	v_cmp_le_u64_e32 vcc, s[64:65], v[4:5]
	s_waitcnt lgkmcnt(0)
	v_mov_b32_e32 v8, 0
	v_mov_b32_e32 v7, 0
	s_and_saveexec_b64 s[10:11], s[6:7]
	s_cbranch_execz .LBB222_25
; %bb.24:                               ;   in Loop: Header=BB222_23 Depth=2
	v_mul_lo_u32 v7, v5, s62
	v_mul_lo_u32 v11, v4, s63
	v_mad_u64_u32 v[9:10], s[0:1], v4, s62, 0
	v_add3_u32 v10, v10, v11, v7
	v_lshlrev_b64 v[9:10], 1, v[9:10]
	v_mov_b32_e32 v7, s82
	v_add_co_u32_e64 v9, s[6:7], s33, v9
	v_addc_co_u32_e64 v10, s[6:7], v7, v10, s[6:7]
	global_load_ushort v7, v[9:10], off
.LBB222_25:                             ;   in Loop: Header=BB222_23 Depth=2
	s_or_b64 exec, exec, s[10:11]
	v_cmp_lt_i16_e64 s[6:7], -1, v6
	v_cndmask_b32_e64 v9, v33, v34, s[6:7]
	v_lshlrev_b32_e32 v10, 16, v6
	v_xor_b32_sdwa v9, v9, v6 dst_sel:DWORD dst_unused:UNUSED_PAD src0_sel:DWORD src1_sel:WORD_0
	v_cmp_o_f32_e64 s[6:7], v10, v10
	v_cndmask_b32_e64 v9, v33, v9, s[6:7]
	v_and_b32_e32 v9, v9, v38
	v_cmp_eq_u32_e64 s[18:19], v9, v30
	s_cmp_lg_u64 s[18:19], 0
	s_cselect_b64 s[0:1], -1, 0
	s_and_b64 s[0:1], s[84:85], s[0:1]
	s_and_saveexec_b64 s[10:11], s[0:1]
	s_cbranch_execz .LBB222_29
; %bb.26:                               ;   in Loop: Header=BB222_23 Depth=2
	s_mov_b64 s[20:21], exec
	v_mbcnt_lo_u32_b32 v8, s20, 0
	v_mbcnt_hi_u32_b32 v8, s21, v8
	s_bcnt1_i32_b64 s0, s[18:19]
	v_cmp_eq_u32_e64 s[6:7], 0, v8
                                        ; implicit-def: $vgpr9
	s_and_saveexec_b64 s[12:13], s[6:7]
; %bb.27:                               ;   in Loop: Header=BB222_23 Depth=2
	s_bcnt1_i32_b64 s1, s[20:21]
	s_mul_i32 s1, s0, s1
	v_mov_b32_e32 v9, s1
	ds_add_rtn_u32 v9, v3, v9 offset:5144
; %bb.28:                               ;   in Loop: Header=BB222_23 Depth=2
	s_or_b64 exec, exec, s[12:13]
	s_waitcnt lgkmcnt(0)
	v_readfirstlane_b32 s1, v9
	v_mov_b32_e32 v9, s1
	v_mad_u32_u24 v8, s0, v8, v9
.LBB222_29:                             ;   in Loop: Header=BB222_23 Depth=2
	s_or_b64 exec, exec, s[10:11]
	ds_bpermute_b32 v8, v23, v8
	s_and_b64 s[0:1], exec, vcc
	s_or_b64 s[8:9], s[0:1], s[8:9]
	s_and_saveexec_b64 s[6:7], s[18:19]
	s_cbranch_execz .LBB222_22
; %bb.30:                               ;   in Loop: Header=BB222_23 Depth=2
	v_and_b32_e32 v10, s18, v25
	v_and_b32_e32 v9, s19, v24
	v_bcnt_u32_b32 v10, v10, 0
	v_bcnt_u32_b32 v9, v9, v10
	v_lshlrev_b32_e32 v9, 1, v9
	s_waitcnt lgkmcnt(0)
	v_lshl_add_u32 v8, v8, 1, v9
	ds_write_b16 v8, v6
	s_branch .LBB222_22
.LBB222_31:                             ;   in Loop: Header=BB222_18 Depth=1
	s_mov_b64 s[4:5], -1
	s_mov_b64 s[6:7], 0
	s_mov_b32 s22, s74
.LBB222_32:                             ;   in Loop: Header=BB222_18 Depth=1
	s_and_b64 vcc, exec, s[4:5]
	s_cbranch_vccz .LBB222_48
.LBB222_33:                             ;   in Loop: Header=BB222_18 Depth=1
	s_mov_b64 s[4:5], exec
	v_readlane_b32 s0, v48, 46
	v_readlane_b32 s1, v48, 47
	s_and_b64 s[0:1], s[4:5], s[0:1]
	s_mov_b64 exec, s[0:1]
	s_cbranch_execz .LBB222_45
; %bb.34:                               ;   in Loop: Header=BB222_18 Depth=1
	v_readlane_b32 s0, v48, 57
	v_readlane_b32 s1, v48, 58
	s_nop 4
	global_load_ushort v2, v3, s[0:1]
	global_load_ushort v10, v[12:13], off
	v_mov_b32_e32 v6, v0
	s_waitcnt vmcnt(1)
	v_readfirstlane_b32 s0, v2
	v_add_u32_sdwa v2, v2, v0 dst_sel:DWORD dst_unused:UNUSED_PAD src0_sel:WORD_0 src1_sel:DWORD
	v_cmp_gt_u64_e32 vcc, s[64:65], v[2:3]
	s_and_saveexec_b64 s[6:7], vcc
	s_cbranch_execz .LBB222_44
; %bb.35:                               ;   in Loop: Header=BB222_18 Depth=1
	s_and_b32 s0, s0, 0xffff
	s_cmp_eq_u32 s0, 1
	v_readlane_b32 s10, v48, 59
                                        ; implicit-def: $vgpr6_vgpr7
	s_cselect_b64 s[8:9], -1, 0
	v_readlane_b32 s11, v48, 60
	v_mov_b32_e32 v5, v1
	v_mov_b32_e32 v8, v3
	s_and_b64 s[12:13], s[10:11], s[8:9]
	s_mov_b64 s[10:11], -1
	v_mov_b32_e32 v4, v0
	v_mov_b32_e32 v7, v2
	s_and_saveexec_b64 s[8:9], s[12:13]
	s_cbranch_execz .LBB222_39
; %bb.36:                               ;   in Loop: Header=BB222_18 Depth=1
	v_add_co_u32_e32 v4, vcc, 1, v2
	v_addc_co_u32_e64 v5, s[10:11], 0, 0, vcc
	v_mov_b32_e32 v8, v16
	v_mov_b32_e32 v7, v5
	s_waitcnt vmcnt(0)
	v_lshlrev_b32_e32 v21, 16, v10
	s_mov_b64 s[10:11], 0
	v_mov_b32_e32 v9, v17
	v_mov_b32_e32 v11, v27
	;; [unrolled: 1-line block ×5, first 2 shown]
.LBB222_37:                             ;   Parent Loop BB222_18 Depth=1
                                        ; =>  This Inner Loop Header: Depth=2
	v_mul_lo_u32 v44, v5, s92
	v_mul_lo_u32 v45, v4, s22
	v_mad_u64_u32 v[42:43], s[12:13], v4, s92, 0
	v_mul_lo_u32 v10, v7, s62
	v_mul_lo_u32 v22, v6, s63
	v_mad_u64_u32 v[40:41], s[12:13], v6, s62, 0
	v_add3_u32 v43, v43, v45, v44
	v_lshlrev_b64 v[42:43], 1, v[42:43]
	v_add3_u32 v41, v41, v22, v10
	v_mov_b32_e32 v46, s82
	v_lshlrev_b64 v[40:41], 1, v[40:41]
	v_add_co_u32_e32 v42, vcc, s33, v42
	v_addc_co_u32_e32 v43, vcc, v46, v43, vcc
	v_add_co_u32_e32 v40, vcc, s33, v40
	v_addc_co_u32_e32 v41, vcc, v46, v41, vcc
	global_load_ushort v22, v[42:43], off
	global_load_ushort v10, v[40:41], off
	v_add_co_u32_e32 v6, vcc, 2, v6
	v_addc_co_u32_e32 v7, vcc, 0, v7, vcc
	v_add_co_u32_e32 v4, vcc, 2, v4
	v_addc_co_u32_e32 v5, vcc, 0, v5, vcc
	v_add_co_u32_e32 v8, vcc, -2, v8
	v_addc_co_u32_e32 v9, vcc, -1, v9, vcc
	s_mov_b32 s1, 0x5040100
	v_cmp_eq_u64_e32 vcc, 0, v[8:9]
	s_or_b64 s[10:11], vcc, s[10:11]
	s_waitcnt vmcnt(1)
	v_alignbit_b32 v21, v22, v21, 16
	s_waitcnt vmcnt(0)
	v_perm_b32 v40, v10, v22, s1
	ds_write_b32 v11, v21
	v_add_u32_e32 v11, 4, v11
	v_mov_b32_e32 v21, v40
	s_andn2_b64 exec, exec, s[10:11]
	s_cbranch_execnz .LBB222_37
; %bb.38:                               ;   in Loop: Header=BB222_18 Depth=1
	s_or_b64 exec, exec, s[10:11]
	v_readlane_b32 s10, v48, 61
	v_add_co_u32_e32 v7, vcc, v2, v16
	v_readlane_b32 s11, v48, 62
	v_addc_co_u32_e32 v8, vcc, 0, v17, vcc
	v_add_co_u32_e32 v6, vcc, -1, v7
	s_orn2_b64 s[10:11], s[10:11], exec
	v_mov_b32_e32 v4, v18
	v_mov_b32_e32 v5, v19
.LBB222_39:                             ;   in Loop: Header=BB222_18 Depth=1
	s_or_b64 exec, exec, s[8:9]
	s_and_saveexec_b64 s[8:9], s[10:11]
	s_cbranch_execz .LBB222_43
; %bb.40:                               ;   in Loop: Header=BB222_18 Depth=1
	s_mov_b64 s[10:11], 0
	s_sub_u32 s1, 0, s0
.LBB222_41:                             ;   Parent Loop BB222_18 Depth=1
                                        ; =>  This Inner Loop Header: Depth=2
	s_waitcnt vmcnt(0)
	v_mov_b32_e32 v2, v10
	v_mul_lo_u32 v9, v8, s62
	v_mul_lo_u32 v10, v7, s63
	v_mad_u64_u32 v[5:6], s[12:13], v7, s62, 0
	v_mov_b32_e32 v11, s82
	v_lshlrev_b32_e32 v4, 1, v4
	v_add3_u32 v6, v6, v10, v9
	v_lshlrev_b64 v[5:6], 1, v[5:6]
	ds_write_b16 v4, v2
	v_add_co_u32_e32 v5, vcc, s33, v5
	v_addc_co_u32_e32 v6, vcc, v11, v6, vcc
	global_load_ushort v10, v[5:6], off
	v_mov_b32_e32 v4, v7
	v_mov_b32_e32 v5, v8
	v_add_co_u32_e32 v7, vcc, s0, v7
	v_addc_co_u32_e32 v8, vcc, 0, v8, vcc
	v_cmp_le_u64_e32 vcc, s[64:65], v[7:8]
	s_or_b64 s[10:11], vcc, s[10:11]
	v_add_co_u32_e32 v6, vcc, s1, v7
	s_andn2_b64 exec, exec, s[10:11]
	s_cbranch_execnz .LBB222_41
; %bb.42:                               ;   in Loop: Header=BB222_18 Depth=1
	s_or_b64 exec, exec, s[10:11]
.LBB222_43:                             ;   in Loop: Header=BB222_18 Depth=1
	s_or_b64 exec, exec, s[8:9]
.LBB222_44:                             ;   in Loop: Header=BB222_18 Depth=1
	s_or_b64 exec, exec, s[6:7]
	v_lshlrev_b32_e32 v2, 1, v6
	s_waitcnt vmcnt(0)
	ds_write_b16 v2, v10
.LBB222_45:                             ;   in Loop: Header=BB222_18 Depth=1
	s_or_b64 exec, exec, s[4:5]
	s_waitcnt lgkmcnt(0)
	s_barrier
	s_mov_b64 s[4:5], exec
	v_readlane_b32 s0, v48, 32
	v_readlane_b32 s1, v48, 33
	s_and_b64 s[0:1], s[4:5], s[0:1]
	s_mov_b64 exec, s[0:1]
; %bb.46:                               ;   in Loop: Header=BB222_18 Depth=1
	v_mov_b32_e32 v4, s64
	v_mov_b32_e32 v5, s65
	ds_write_b64 v3, v[4:5] offset:5120
; %bb.47:                               ;   in Loop: Header=BB222_18 Depth=1
	s_or_b64 exec, exec, s[4:5]
	s_mov_b64 s[6:7], -1
	s_waitcnt lgkmcnt(0)
	s_barrier
.LBB222_48:                             ;   in Loop: Header=BB222_18 Depth=1
	s_mov_b64 s[86:87], 0
	s_and_b64 vcc, exec, s[6:7]
	s_cbranch_vccz .LBB222_50
; %bb.49:                               ;   in Loop: Header=BB222_18 Depth=1
	ds_read_b64 v[4:5], v3 offset:5120
	s_waitcnt lgkmcnt(0)
	v_readfirstlane_b32 s86, v4
.LBB222_50:                             ;   in Loop: Header=BB222_18 Depth=1
	s_cmp_lt_i32 s86, 1
	s_mov_b64 s[4:5], -1
	s_mov_b32 s87, s74
	v_writelane_b32 v47, s24, 8
                                        ; implicit-def: $vgpr4_vgpr5
                                        ; implicit-def: $vgpr8_vgpr9
	v_writelane_b32 v47, s25, 9
	s_cbranch_scc0 .LBB222_65
; %bb.51:                               ;   in Loop: Header=BB222_18 Depth=1
	v_readlane_b32 s0, v48, 57
	v_readlane_b32 s1, v48, 58
	s_mov_b32 s4, s93
	s_mov_b32 s5, s65
	s_nop 2
	global_load_ushort v2, v3, s[0:1]
	s_waitcnt vmcnt(0)
	v_readfirstlane_b32 s0, v2
	s_and_b32 s0, 0xffff, s0
	s_lshl_b32 s0, s0, 2
	s_cmp_lg_u64 s[4:5], 0
	s_cbranch_scc0 .LBB222_83
; %bb.52:                               ;   in Loop: Header=BB222_18 Depth=1
	v_cvt_f32_u32_e32 v4, s0
	s_sub_u32 s1, 0, s0
	s_subb_u32 s6, 0, 0
	v_mac_f32_e32 v4, 0, v35
	v_rcp_f32_e32 v4, v4
	v_mul_f32_e32 v4, 0x5f7ffffc, v4
	v_mul_f32_e32 v5, 0x2f800000, v4
	v_trunc_f32_e32 v5, v5
	v_mac_f32_e32 v4, 0xcf800000, v5
	v_cvt_u32_f32_e32 v5, v5
	v_cvt_u32_f32_e32 v4, v4
	v_readfirstlane_b32 s7, v5
	v_readfirstlane_b32 s4, v4
	s_mul_i32 s5, s1, s7
	s_mul_hi_u32 s9, s1, s4
	s_mul_i32 s8, s6, s4
	s_add_i32 s5, s9, s5
	s_mul_i32 s10, s1, s4
	s_add_i32 s5, s5, s8
	s_mul_hi_u32 s9, s4, s10
	s_mul_i32 s11, s4, s5
	s_mul_hi_u32 s8, s4, s5
	s_add_u32 s9, s9, s11
	s_addc_u32 s8, 0, s8
	s_mul_hi_u32 s12, s7, s10
	s_mul_i32 s10, s7, s10
	s_add_u32 s9, s9, s10
	s_mul_hi_u32 s11, s7, s5
	s_addc_u32 s8, s8, s12
	s_addc_u32 s9, s11, 0
	s_mul_i32 s5, s7, s5
	s_add_u32 s5, s8, s5
	s_addc_u32 s8, 0, s9
	s_add_u32 s9, s4, s5
	s_cselect_b64 s[4:5], -1, 0
	s_cmp_lg_u64 s[4:5], 0
	s_addc_u32 s7, s7, s8
	s_mul_i32 s4, s1, s7
	s_mul_hi_u32 s5, s1, s9
	s_add_i32 s4, s5, s4
	s_mul_i32 s6, s6, s9
	s_add_i32 s4, s4, s6
	s_mul_i32 s1, s1, s9
	s_mul_hi_u32 s6, s7, s1
	s_mul_i32 s8, s7, s1
	s_mul_i32 s11, s9, s4
	s_mul_hi_u32 s1, s9, s1
	s_mul_hi_u32 s10, s9, s4
	s_add_u32 s1, s1, s11
	s_addc_u32 s10, 0, s10
	s_add_u32 s1, s1, s8
	s_mul_hi_u32 s5, s7, s4
	s_addc_u32 s1, s10, s6
	s_addc_u32 s5, s5, 0
	s_mul_i32 s4, s7, s4
	s_add_u32 s1, s1, s4
	s_addc_u32 s6, 0, s5
	s_add_u32 s1, s9, s1
	s_cselect_b64 s[4:5], -1, 0
	s_cmp_lg_u64 s[4:5], 0
	s_addc_u32 s4, s7, s6
	s_mul_i32 s6, s64, s4
	s_mul_hi_u32 s7, s64, s1
	s_mul_hi_u32 s5, s64, s4
	s_add_u32 s6, s7, s6
	s_addc_u32 s5, 0, s5
	s_mul_hi_u32 s8, s65, s1
	s_mul_i32 s1, s65, s1
	s_add_u32 s1, s6, s1
	s_mul_hi_u32 s7, s65, s4
	s_addc_u32 s1, s5, s8
	s_addc_u32 s5, s7, 0
	s_mul_i32 s4, s65, s4
	s_add_u32 s1, s1, s4
	s_addc_u32 s4, 0, s5
	s_mul_i32 s4, s0, s4
	s_mul_hi_u32 s5, s0, s1
	s_add_i32 s6, s5, s4
	s_mul_i32 s1, s0, s1
	s_sub_u32 s1, s64, s1
	s_cselect_b64 s[4:5], -1, 0
	s_cmp_lg_u64 s[4:5], 0
	s_subb_u32 s6, s65, s6
	s_sub_u32 s7, s1, s0
	s_cselect_b64 s[4:5], -1, 0
	s_cmp_lg_u64 s[4:5], 0
	s_subb_u32 s8, s6, 0
	;; [unrolled: 4-line block ×3, first 2 shown]
	s_cmp_ge_u32 s7, s0
	s_cselect_b32 s5, -1, 0
	s_cmp_eq_u32 s8, 0
	s_cselect_b32 s5, s5, -1
	s_cmp_lg_u32 s5, 0
	s_cselect_b32 s4, s4, s8
	s_cselect_b32 s7, s9, s7
	s_cmp_ge_u32 s1, s0
	s_cselect_b32 s5, -1, 0
	s_cmp_eq_u32 s6, 0
	s_cselect_b32 s5, s5, -1
	s_cmp_lg_u32 s5, 0
	s_cselect_b32 s5, s4, s6
	s_cselect_b32 s4, s7, s1
	s_cbranch_execnz .LBB222_54
.LBB222_53:                             ;   in Loop: Header=BB222_18 Depth=1
	v_cvt_f32_u32_e32 v4, s0
	s_sub_i32 s1, 0, s0
	v_rcp_iflag_f32_e32 v4, v4
	v_mul_f32_e32 v4, 0x4f7ffffe, v4
	v_cvt_u32_f32_e32 v4, v4
	v_readfirstlane_b32 s4, v4
	s_mul_i32 s1, s1, s4
	s_mul_hi_u32 s1, s4, s1
	s_add_i32 s4, s4, s1
	s_mul_hi_u32 s1, s64, s4
	s_mul_i32 s1, s1, s0
	s_sub_i32 s1, s64, s1
	s_sub_i32 s4, s1, s0
	s_cmp_ge_u32 s1, s0
	s_cselect_b32 s1, s4, s1
	s_sub_i32 s4, s1, s0
	s_cmp_ge_u32 s1, s0
	s_cselect_b32 s92, s4, s1
	s_mov_b64 s[4:5], s[92:93]
	v_readlane_b32 s92, v47, 7
.LBB222_54:                             ;   in Loop: Header=BB222_18 Depth=1
	s_sub_u32 s58, s64, s4
	s_subb_u32 s59, s65, s5
	v_cmp_gt_u64_e32 vcc, s[58:59], v[14:15]
	v_mov_b32_e32 v4, 0
	v_mov_b32_e32 v6, 0
	;; [unrolled: 1-line block ×8, first 2 shown]
	s_and_saveexec_b64 s[8:9], vcc
	s_cbranch_execz .LBB222_58
; %bb.55:                               ;   in Loop: Header=BB222_18 Depth=1
	v_mov_b32_e32 v22, v15
	s_mov_b64 s[10:11], 0
	s_mov_b64 s[84:85], 0
	;; [unrolled: 1-line block ×5, first 2 shown]
	v_mov_b32_e32 v21, v14
.LBB222_56:                             ;   Parent Loop BB222_18 Depth=1
                                        ; =>  This Inner Loop Header: Depth=2
	v_mul_lo_u32 v6, v22, s62
	v_mul_lo_u32 v7, v21, s63
	v_mad_u64_u32 v[4:5], s[4:5], v21, s62, 0
	v_mov_b32_e32 v8, s82
	s_lshl_b64 s[4:5], s[62:63], 1
	v_add3_u32 v5, v5, v7, v6
	v_lshlrev_b64 v[4:5], 1, v[4:5]
	v_mov_b32_e32 v9, s5
	v_add_co_u32_e64 v4, s[6:7], s33, v4
	v_addc_co_u32_e64 v5, s[6:7], v8, v5, s[6:7]
	global_load_ushort v6, v[4:5], off
	v_add_co_u32_e64 v4, s[6:7], s4, v4
	v_addc_co_u32_e64 v5, s[6:7], v5, v9, s[6:7]
	global_load_ushort v7, v[4:5], off
	;; [unrolled: 3-line block ×4, first 2 shown]
	v_add_co_u32_e32 v21, vcc, s0, v21
	v_addc_co_u32_e32 v22, vcc, 0, v22, vcc
	v_cmp_le_u64_e32 vcc, s[58:59], v[21:22]
	s_waitcnt vmcnt(3)
	v_cmp_lt_i16_e64 s[6:7], -1, v6
	v_lshlrev_b32_e32 v5, 16, v6
	v_cndmask_b32_e64 v9, v33, v34, s[6:7]
	v_xor_b32_sdwa v6, v9, v6 dst_sel:DWORD dst_unused:UNUSED_PAD src0_sel:DWORD src1_sel:WORD_0
	v_cmp_o_f32_e64 s[6:7], v5, v5
	s_waitcnt vmcnt(2)
	v_cmp_lt_i16_e64 s[18:19], -1, v7
	v_lshlrev_b32_e32 v10, 16, v7
	v_cndmask_b32_e64 v5, v33, v34, s[18:19]
	v_cndmask_b32_e64 v6, v33, v6, s[6:7]
	v_xor_b32_sdwa v5, v5, v7 dst_sel:DWORD dst_unused:UNUSED_PAD src0_sel:DWORD src1_sel:WORD_0
	s_waitcnt vmcnt(1)
	v_cmp_lt_i16_e64 s[6:7], -1, v8
	v_lshlrev_b32_e32 v9, 16, v8
	v_cmp_o_f32_e64 s[18:19], v10, v10
	v_cndmask_b32_e64 v7, v33, v34, s[6:7]
	v_cndmask_b32_e64 v5, v33, v5, s[18:19]
	s_waitcnt vmcnt(0)
	v_cmp_lt_i16_e64 s[6:7], -1, v4
	v_lshlrev_b32_e32 v10, 16, v4
	v_xor_b32_sdwa v7, v7, v8 dst_sel:DWORD dst_unused:UNUSED_PAD src0_sel:DWORD src1_sel:WORD_0
	v_cndmask_b32_e64 v8, v33, v34, s[6:7]
	v_and_b32_e32 v11, v6, v38
	v_bfe_u32 v6, v6, s81, 2
	v_cmp_o_f32_e64 s[6:7], v9, v9
	v_cndmask_b32_e64 v7, v33, v7, s[6:7]
	v_xor_b32_sdwa v4, v8, v4 dst_sel:DWORD dst_unused:UNUSED_PAD src0_sel:DWORD src1_sel:WORD_0
	v_cmp_eq_u32_e64 s[20:21], v11, v30
	v_and_b32_e32 v8, v5, v38
	v_bfe_u32 v5, v5, s81, 2
	v_cmp_eq_u32_e64 s[6:7], 0, v6
	v_cmp_o_f32_e64 s[18:19], v10, v10
	v_cmp_eq_u32_e64 s[44:45], 1, v6
	v_cmp_eq_u32_e64 s[36:37], 2, v6
	;; [unrolled: 1-line block ×3, first 2 shown]
	v_cndmask_b32_e64 v4, v33, v4, s[18:19]
	v_cmp_eq_u32_e64 s[18:19], v8, v30
	v_and_b32_e32 v6, v7, v38
	v_bfe_u32 v7, v7, s81, 2
	v_cmp_eq_u32_e64 s[30:31], 0, v5
	s_and_b64 s[4:5], s[20:21], s[6:7]
	v_cmp_eq_u32_e64 s[46:47], 1, v5
	v_cmp_eq_u32_e64 s[38:39], 2, v5
	;; [unrolled: 1-line block ×3, first 2 shown]
	v_cndmask_b32_e64 v5, 0, 1, s[4:5]
	v_cmp_eq_u32_e64 s[26:27], v6, v30
	v_and_b32_e32 v6, v4, v38
	v_bfe_u32 v4, v4, s81, 2
	v_cmp_eq_u32_e64 s[6:7], 0, v7
	s_and_b64 s[4:5], s[18:19], s[30:31]
	v_cmp_ne_u32_e64 s[50:51], 0, v5
	v_cndmask_b32_e64 v5, 0, 1, s[4:5]
	v_cmp_eq_u32_e64 s[30:31], v6, v30
	v_cmp_eq_u32_e64 s[52:53], 0, v4
	s_and_b64 s[4:5], s[26:27], s[6:7]
	v_cmp_eq_u32_e64 s[54:55], 1, v4
	v_cmp_eq_u32_e64 s[56:57], 2, v4
	;; [unrolled: 1-line block ×3, first 2 shown]
	v_cndmask_b32_e64 v4, 0, 1, s[4:5]
	s_and_b64 s[4:5], s[30:31], s[52:53]
	v_cmp_ne_u32_e64 s[6:7], 0, v4
	v_cndmask_b32_e64 v4, 0, 1, s[4:5]
	s_bcnt1_i32_b64 s1, s[50:51]
	v_cmp_ne_u32_e64 s[50:51], 0, v5
	s_bcnt1_i32_b64 s4, s[6:7]
	v_cmp_ne_u32_e64 s[6:7], 0, v4
	s_bcnt1_i32_b64 s50, s[50:51]
	s_bcnt1_i32_b64 s5, s[6:7]
	s_add_u32 s1, s1, s94
	s_addc_u32 s6, 0, s95
	s_add_u32 s1, s1, s50
	s_addc_u32 s6, s6, 0
	;; [unrolled: 2-line block ×4, first 2 shown]
	s_and_b64 s[4:5], s[20:21], s[44:45]
	v_cmp_eq_u32_e64 s[48:49], 1, v7
	v_cndmask_b32_e64 v6, 0, 1, s[4:5]
	s_and_b64 s[4:5], s[18:19], s[46:47]
	v_cmp_eq_u32_e64 s[40:41], 2, v7
	v_cmp_eq_u32_e64 s[28:29], 3, v7
	v_cndmask_b32_e64 v7, 0, 1, s[4:5]
	s_and_b64 s[4:5], s[26:27], s[48:49]
	v_cndmask_b32_e64 v8, 0, 1, s[4:5]
	s_and_b64 s[4:5], s[30:31], s[54:55]
	v_cndmask_b32_e64 v9, 0, 1, s[4:5]
	v_cmp_ne_u32_e64 s[6:7], 0, v6
	v_cmp_ne_u32_e64 s[44:45], 0, v7
	;; [unrolled: 1-line block ×4, first 2 shown]
	s_bcnt1_i32_b64 s1, s[6:7]
	s_bcnt1_i32_b64 s4, s[44:45]
	;; [unrolled: 1-line block ×4, first 2 shown]
	s_add_u32 s1, s1, s12
	s_addc_u32 s7, 0, s13
	s_add_u32 s1, s1, s4
	s_addc_u32 s4, s7, 0
	;; [unrolled: 2-line block ×4, first 2 shown]
	s_and_b64 s[4:5], s[20:21], s[36:37]
	v_cndmask_b32_e64 v8, 0, 1, s[4:5]
	s_and_b64 s[4:5], s[18:19], s[38:39]
	v_cndmask_b32_e64 v9, 0, 1, s[4:5]
	;; [unrolled: 2-line block ×4, first 2 shown]
	v_cmp_ne_u32_e64 s[6:7], 0, v8
	v_cmp_ne_u32_e64 s[36:37], 0, v9
	;; [unrolled: 1-line block ×4, first 2 shown]
	s_bcnt1_i32_b64 s1, s[6:7]
	s_bcnt1_i32_b64 s4, s[36:37]
	;; [unrolled: 1-line block ×4, first 2 shown]
	s_add_u32 s1, s1, s78
	s_addc_u32 s7, 0, s79
	s_add_u32 s1, s1, s4
	s_addc_u32 s4, s7, 0
	;; [unrolled: 2-line block ×4, first 2 shown]
	s_and_b64 s[4:5], s[20:21], s[22:23]
	v_cndmask_b32_e64 v10, 0, 1, s[4:5]
	s_and_b64 s[4:5], s[18:19], s[24:25]
	v_cndmask_b32_e64 v11, 0, 1, s[4:5]
	;; [unrolled: 2-line block ×4, first 2 shown]
	v_cmp_ne_u32_e64 s[6:7], 0, v10
	v_cmp_ne_u32_e64 s[18:19], 0, v11
	;; [unrolled: 1-line block ×4, first 2 shown]
	s_bcnt1_i32_b64 s1, s[6:7]
	s_bcnt1_i32_b64 s4, s[18:19]
	;; [unrolled: 1-line block ×4, first 2 shown]
	s_add_u32 s1, s1, s84
	s_addc_u32 s7, 0, s85
	s_add_u32 s1, s1, s4
	s_addc_u32 s4, s7, 0
	;; [unrolled: 2-line block ×3, first 2 shown]
	s_add_u32 s84, s1, s6
	v_mov_b32_e32 v4, s94
	v_mov_b32_e32 v6, s12
	;; [unrolled: 1-line block ×3, first 2 shown]
	s_addc_u32 s85, s4, 0
	v_mov_b32_e32 v10, s84
	v_mov_b32_e32 v5, s95
	;; [unrolled: 1-line block ×4, first 2 shown]
	s_or_b64 s[10:11], vcc, s[10:11]
	v_mov_b32_e32 v11, s85
	s_andn2_b64 exec, exec, s[10:11]
	s_cbranch_execnz .LBB222_56
; %bb.57:                               ;   in Loop: Header=BB222_18 Depth=1
	s_or_b64 exec, exec, s[10:11]
	v_readlane_b32 s84, v47, 5
	v_readlane_b32 s85, v47, 6
.LBB222_58:                             ;   in Loop: Header=BB222_18 Depth=1
	s_or_b64 exec, exec, s[8:9]
	v_mov_b32_e32 v22, s59
	v_add_co_u32_e32 v21, vcc, s58, v0
	v_addc_co_u32_e32 v22, vcc, 0, v22, vcc
	v_cmp_gt_u64_e32 vcc, s[64:65], v[21:22]
	s_and_saveexec_b64 s[4:5], vcc
	s_cbranch_execz .LBB222_64
; %bb.59:                               ;   in Loop: Header=BB222_18 Depth=1
	v_mul_lo_u32 v42, v22, s62
	v_mul_lo_u32 v43, v21, s63
	v_mad_u64_u32 v[40:41], s[0:1], v21, s62, 0
	s_mov_b64 s[8:9], 0
	v_add3_u32 v41, v41, v43, v42
	v_lshlrev_b64 v[40:41], 1, v[40:41]
	v_mov_b32_e32 v42, s82
	v_add_co_u32_e32 v40, vcc, s33, v40
	v_addc_co_u32_e32 v41, vcc, v42, v41, vcc
	global_load_ushort v41, v[40:41], off
	s_branch .LBB222_61
.LBB222_60:                             ;   in Loop: Header=BB222_61 Depth=2
	s_or_b64 exec, exec, s[10:11]
	s_and_b64 s[0:1], exec, vcc
	s_waitcnt vmcnt(0)
	v_cmp_lt_i16_e32 vcc, -1, v41
	v_cndmask_b32_e32 v42, v33, v34, vcc
	v_lshlrev_b32_e32 v43, 16, v41
	v_xor_b32_sdwa v41, v42, v41 dst_sel:DWORD dst_unused:UNUSED_PAD src0_sel:DWORD src1_sel:WORD_0
	v_cmp_o_f32_e32 vcc, v43, v43
	v_cndmask_b32_e32 v41, v33, v41, vcc
	v_and_b32_e32 v42, v41, v38
	v_bfe_u32 v41, v41, s81, 2
	s_or_b64 s[8:9], s[0:1], s[8:9]
	v_cmp_eq_u32_e32 vcc, v42, v30
	v_cmp_eq_u32_e64 s[6:7], 0, v41
	s_and_b64 s[0:1], vcc, s[6:7]
	v_cndmask_b32_e64 v42, 0, 1, s[0:1]
	v_cmp_ne_u32_e64 s[6:7], 0, v42
	s_bcnt1_i32_b64 s0, s[6:7]
	v_add_co_u32_e64 v4, s[6:7], s0, v4
	v_addc_co_u32_e64 v5, s[6:7], 0, v5, s[6:7]
	v_cmp_eq_u32_e64 s[6:7], 1, v41
	s_and_b64 s[0:1], vcc, s[6:7]
	v_cndmask_b32_e64 v42, 0, 1, s[0:1]
	v_cmp_ne_u32_e64 s[6:7], 0, v42
	s_bcnt1_i32_b64 s0, s[6:7]
	v_add_co_u32_e64 v6, s[6:7], s0, v6
	v_addc_co_u32_e64 v7, s[6:7], 0, v7, s[6:7]
	;; [unrolled: 7-line block ×3, first 2 shown]
	v_cmp_eq_u32_e64 s[6:7], 3, v41
	s_and_b64 s[0:1], vcc, s[6:7]
	v_cndmask_b32_e64 v41, 0, 1, s[0:1]
	v_cmp_ne_u32_e32 vcc, 0, v41
	s_bcnt1_i32_b64 s0, vcc
	v_add_co_u32_e32 v10, vcc, s0, v10
	v_addc_co_u32_e32 v11, vcc, 0, v11, vcc
	v_mov_b32_e32 v41, v40
	s_andn2_b64 exec, exec, s[8:9]
	s_cbranch_execz .LBB222_63
.LBB222_61:                             ;   Parent Loop BB222_18 Depth=1
                                        ; =>  This Inner Loop Header: Depth=2
	v_add_co_u32_sdwa v21, vcc, v21, v2 dst_sel:DWORD dst_unused:UNUSED_PAD src0_sel:DWORD src1_sel:WORD_0
	v_addc_co_u32_e32 v22, vcc, 0, v22, vcc
	v_cmp_gt_u64_e64 s[6:7], s[64:65], v[21:22]
	v_cmp_le_u64_e32 vcc, s[64:65], v[21:22]
	v_mov_b32_e32 v40, 0
	s_and_saveexec_b64 s[10:11], s[6:7]
	s_cbranch_execz .LBB222_60
; %bb.62:                               ;   in Loop: Header=BB222_61 Depth=2
	v_mul_lo_u32 v40, v22, s62
	v_mul_lo_u32 v44, v21, s63
	v_mad_u64_u32 v[42:43], s[0:1], v21, s62, 0
	v_add3_u32 v43, v43, v44, v40
	v_lshlrev_b64 v[42:43], 1, v[42:43]
	v_mov_b32_e32 v40, s82
	v_add_co_u32_e64 v42, s[6:7], s33, v42
	v_addc_co_u32_e64 v43, s[6:7], v40, v43, s[6:7]
	global_load_ushort v40, v[42:43], off
	s_branch .LBB222_60
.LBB222_63:                             ;   in Loop: Header=BB222_18 Depth=1
	s_or_b64 exec, exec, s[8:9]
.LBB222_64:                             ;   in Loop: Header=BB222_18 Depth=1
	s_or_b64 exec, exec, s[4:5]
	s_mov_b64 s[4:5], 0
.LBB222_65:                             ;   in Loop: Header=BB222_18 Depth=1
	s_and_b64 vcc, exec, s[4:5]
	s_cbranch_vccz .LBB222_75
; %bb.66:                               ;   in Loop: Header=BB222_18 Depth=1
	v_readlane_b32 s0, v48, 57
	v_readlane_b32 s1, v48, 58
	v_mov_b32_e32 v8, 0
	v_mov_b32_e32 v9, 0
	s_nop 2
	global_load_ushort v2, v3, s[0:1]
	s_waitcnt vmcnt(0)
	v_readfirstlane_b32 s0, v2
	s_and_b32 s0, 0xffff, s0
	s_lshl_b32 s1, s0, 2
	v_cvt_f32_u32_e32 v4, s1
	s_sub_i32 s4, 0, s1
	v_rcp_iflag_f32_e32 v6, v4
	v_mov_b32_e32 v4, 0
	v_mov_b32_e32 v5, 0
	v_mul_f32_e32 v6, 0x4f7ffffe, v6
	v_cvt_u32_f32_e32 v10, v6
	v_mov_b32_e32 v6, 0
	v_mov_b32_e32 v7, 0
	v_readfirstlane_b32 s5, v10
	s_mul_i32 s4, s4, s5
	s_mul_hi_u32 s4, s5, s4
	s_add_i32 s5, s5, s4
	s_mul_hi_u32 s4, s86, s5
	s_mul_i32 s5, s4, s1
	s_sub_i32 s5, s86, s5
	s_add_i32 s6, s4, 1
	s_sub_i32 s7, s5, s1
	s_cmp_ge_u32 s5, s1
	s_cselect_b32 s4, s6, s4
	s_cselect_b32 s5, s7, s5
	s_add_i32 s6, s4, 1
	s_cmp_ge_u32 s5, s1
	s_cselect_b32 s4, s6, s4
	s_mul_hi_u32 s9, s0, s4
	s_mul_i32 s8, s0, s4
	s_lshl_b64 s[10:11], s[8:9], 2
	v_cmp_gt_u64_e32 vcc, s[10:11], v[14:15]
	v_mov_b32_e32 v10, 0
	v_mov_b32_e32 v11, 0
	s_and_saveexec_b64 s[12:13], vcc
	s_cbranch_execz .LBB222_70
; %bb.67:                               ;   in Loop: Header=BB222_18 Depth=1
	v_mov_b32_e32 v22, v15
	s_lshl_b32 s9, s0, 3
	s_mov_b64 s[78:79], 0
	v_mov_b32_e32 v40, v31
	s_mov_b64 s[84:85], 0
	s_mov_b64 s[94:95], 0
	;; [unrolled: 1-line block ×4, first 2 shown]
	v_mov_b32_e32 v21, v14
.LBB222_68:                             ;   Parent Loop BB222_18 Depth=1
                                        ; =>  This Inner Loop Header: Depth=2
	ds_read_b64 v[4:5], v40
	v_add_co_u32_e32 v21, vcc, s1, v21
	v_addc_co_u32_e32 v22, vcc, 0, v22, vcc
	s_waitcnt lgkmcnt(0)
	v_cmp_lt_i16_e64 s[6:7], -1, v4
	v_cndmask_b32_e64 v10, v33, v34, s[6:7]
	v_cmp_gt_i16_sdwa s[6:7], v4, v36 src0_sel:WORD_1 src1_sel:DWORD
	v_lshlrev_b32_e32 v6, 16, v4
	v_cndmask_b32_e64 v11, v33, v34, s[6:7]
	v_cmp_lt_i16_e64 s[6:7], -1, v5
	v_and_b32_e32 v7, 0xffff0000, v4
	v_cndmask_b32_e64 v41, v33, v34, s[6:7]
	v_cmp_gt_i16_sdwa s[6:7], v5, v36 src0_sel:WORD_1 src1_sel:DWORD
	v_xor_b32_sdwa v11, v11, v4 dst_sel:DWORD dst_unused:UNUSED_PAD src0_sel:DWORD src1_sel:WORD_1
	v_xor_b32_sdwa v4, v10, v4 dst_sel:DWORD dst_unused:UNUSED_PAD src0_sel:DWORD src1_sel:WORD_0
	v_cmp_o_f32_e64 s[22:23], v6, v6
	v_lshlrev_b32_e32 v8, 16, v5
	v_cndmask_b32_e64 v42, v33, v34, s[6:7]
	v_cmp_o_f32_e64 s[6:7], v7, v7
	v_cndmask_b32_e64 v4, v33, v4, s[22:23]
	v_and_b32_e32 v9, 0xffff0000, v5
	v_xor_b32_sdwa v7, v41, v5 dst_sel:DWORD dst_unused:UNUSED_PAD src0_sel:DWORD src1_sel:WORD_0
	v_cmp_o_f32_e64 s[18:19], v8, v8
	v_cndmask_b32_e64 v6, v33, v11, s[6:7]
	v_and_b32_e32 v8, v4, v38
	v_bfe_u32 v4, v4, s81, 2
	v_xor_b32_sdwa v5, v42, v5 dst_sel:DWORD dst_unused:UNUSED_PAD src0_sel:DWORD src1_sel:WORD_1
	v_cmp_o_f32_e64 s[20:21], v9, v9
	v_cndmask_b32_e64 v7, v33, v7, s[18:19]
	v_and_b32_e32 v9, v6, v38
	v_bfe_u32 v6, v6, s81, 2
	v_cmp_eq_u32_e64 s[24:25], v8, v30
	v_cmp_eq_u32_e64 s[6:7], 0, v4
	v_cndmask_b32_e64 v5, v33, v5, s[20:21]
	v_and_b32_e32 v10, v7, v38
	v_bfe_u32 v7, v7, s81, 2
	v_cmp_eq_u32_e64 s[22:23], v9, v30
	v_cmp_eq_u32_e64 s[40:41], 0, v6
	s_and_b64 s[6:7], s[24:25], s[6:7]
	v_and_b32_e32 v11, v5, v38
	v_bfe_u32 v5, v5, s81, 2
	v_cmp_eq_u32_e64 s[20:21], v10, v30
	v_cmp_eq_u32_e64 s[44:45], 0, v7
	;; [unrolled: 1-line block ×5, first 2 shown]
	v_cndmask_b32_e64 v4, 0, 1, s[6:7]
	s_and_b64 s[6:7], s[22:23], s[40:41]
	v_cmp_eq_u32_e64 s[18:19], v11, v30
	v_cmp_eq_u32_e64 s[46:47], 0, v5
	v_cmp_eq_u32_e64 s[54:55], 1, v5
	v_cmp_eq_u32_e64 s[36:37], 2, v5
	v_cmp_eq_u32_e64 s[26:27], 3, v5
	v_cndmask_b32_e64 v5, 0, 1, s[6:7]
	s_and_b64 s[6:7], s[20:21], s[44:45]
	v_cmp_eq_u32_e64 s[50:51], 1, v6
	v_cmp_eq_u32_e64 s[58:59], 2, v6
	;; [unrolled: 1-line block ×3, first 2 shown]
	v_cndmask_b32_e64 v6, 0, 1, s[6:7]
	s_and_b64 s[6:7], s[18:19], s[46:47]
	v_cmp_eq_u32_e64 s[52:53], 1, v7
	v_cmp_eq_u32_e64 s[38:39], 2, v7
	v_cmp_eq_u32_e64 s[28:29], 3, v7
	v_cndmask_b32_e64 v7, 0, 1, s[6:7]
	v_cmp_ne_u32_e64 s[6:7], 0, v4
	v_cmp_ne_u32_e64 s[40:41], 0, v5
	v_cmp_ne_u32_e64 s[44:45], 0, v6
	v_cmp_ne_u32_e64 s[46:47], 0, v7
	s_bcnt1_i32_b64 s6, s[6:7]
	s_bcnt1_i32_b64 s7, s[40:41]
	s_bcnt1_i32_b64 s40, s[44:45]
	s_bcnt1_i32_b64 s41, s[46:47]
	s_add_u32 s6, s6, s76
	s_addc_u32 s44, 0, s77
	s_add_u32 s6, s6, s7
	s_addc_u32 s7, s44, 0
	s_add_u32 s6, s6, s40
	s_addc_u32 s7, s7, 0
	s_add_u32 s76, s6, s41
	s_addc_u32 s77, s7, 0
	s_and_b64 s[6:7], s[24:25], s[48:49]
	v_cndmask_b32_e64 v6, 0, 1, s[6:7]
	s_and_b64 s[6:7], s[22:23], s[50:51]
	v_cndmask_b32_e64 v7, 0, 1, s[6:7]
	s_and_b64 s[6:7], s[20:21], s[52:53]
	v_cndmask_b32_e64 v8, 0, 1, s[6:7]
	s_and_b64 s[6:7], s[18:19], s[54:55]
	v_cndmask_b32_e64 v9, 0, 1, s[6:7]
	v_cmp_ne_u32_e64 s[6:7], 0, v6
	v_cmp_ne_u32_e64 s[40:41], 0, v7
	v_cmp_ne_u32_e64 s[44:45], 0, v8
	v_cmp_ne_u32_e64 s[46:47], 0, v9
	s_bcnt1_i32_b64 s6, s[6:7]
	s_bcnt1_i32_b64 s7, s[40:41]
	s_bcnt1_i32_b64 s40, s[44:45]
	s_bcnt1_i32_b64 s41, s[46:47]
	s_add_u32 s4, s6, s4
	s_addc_u32 s5, 0, s5
	s_add_u32 s4, s4, s7
	s_addc_u32 s5, s5, 0
	s_add_u32 s4, s4, s40
	s_addc_u32 s5, s5, 0
	s_add_u32 s4, s4, s41
	s_addc_u32 s5, s5, 0
	s_and_b64 s[6:7], s[24:25], s[56:57]
	v_cndmask_b32_e64 v8, 0, 1, s[6:7]
	s_and_b64 s[6:7], s[22:23], s[58:59]
	v_cndmask_b32_e64 v9, 0, 1, s[6:7]
	s_and_b64 s[6:7], s[20:21], s[38:39]
	v_cndmask_b32_e64 v10, 0, 1, s[6:7]
	s_and_b64 s[6:7], s[18:19], s[36:37]
	;; [unrolled: 24-line block ×3, first 2 shown]
	v_cndmask_b32_e64 v42, 0, 1, s[6:7]
	v_cmp_ne_u32_e64 s[6:7], 0, v10
	v_cmp_ne_u32_e64 s[18:19], 0, v11
	;; [unrolled: 1-line block ×4, first 2 shown]
	s_bcnt1_i32_b64 s6, s[6:7]
	s_bcnt1_i32_b64 s7, s[18:19]
	s_bcnt1_i32_b64 s18, s[20:21]
	s_bcnt1_i32_b64 s19, s[22:23]
	s_add_u32 s6, s6, s84
	s_addc_u32 s20, 0, s85
	s_add_u32 s6, s6, s7
	s_addc_u32 s7, s20, 0
	;; [unrolled: 2-line block ×3, first 2 shown]
	v_cmp_le_u64_e32 vcc, s[10:11], v[21:22]
	s_add_u32 s84, s6, s19
	v_mov_b32_e32 v4, s76
	v_mov_b32_e32 v7, s5
	;; [unrolled: 1-line block ×3, first 2 shown]
	s_addc_u32 s85, s7, 0
	v_mov_b32_e32 v10, s84
	v_add_u32_e32 v40, s9, v40
	v_mov_b32_e32 v5, s77
	v_mov_b32_e32 v6, s4
	;; [unrolled: 1-line block ×3, first 2 shown]
	s_or_b64 s[78:79], vcc, s[78:79]
	v_mov_b32_e32 v11, s85
	s_andn2_b64 exec, exec, s[78:79]
	s_cbranch_execnz .LBB222_68
; %bb.69:                               ;   in Loop: Header=BB222_18 Depth=1
	s_or_b64 exec, exec, s[78:79]
	v_readlane_b32 s84, v47, 5
	v_readlane_b32 s85, v47, 6
.LBB222_70:                             ;   in Loop: Header=BB222_18 Depth=1
	s_or_b64 exec, exec, s[12:13]
	v_mov_b32_e32 v22, s11
	v_add_co_u32_e32 v21, vcc, s10, v0
	s_and_b32 s92, s86, 0x7fffffff
	v_addc_co_u32_e32 v22, vcc, 0, v22, vcc
	v_cmp_gt_u64_e32 vcc, s[92:93], v[21:22]
	s_and_saveexec_b64 s[4:5], vcc
	s_cbranch_execz .LBB222_74
; %bb.71:                               ;   in Loop: Header=BB222_18 Depth=1
	v_lshl_add_u32 v40, s8, 3, v27
	s_lshl_b32 s0, s0, 1
	s_mov_b64 s[8:9], 0
.LBB222_72:                             ;   Parent Loop BB222_18 Depth=1
                                        ; =>  This Inner Loop Header: Depth=2
	ds_read_u16 v41, v40
	v_add_co_u32_sdwa v21, vcc, v21, v2 dst_sel:DWORD dst_unused:UNUSED_PAD src0_sel:DWORD src1_sel:WORD_0
	v_addc_co_u32_e32 v22, vcc, 0, v22, vcc
	s_waitcnt lgkmcnt(0)
	v_cmp_lt_i16_e64 s[6:7], -1, v41
	v_lshlrev_b32_e32 v42, 16, v41
	v_cndmask_b32_e64 v43, v33, v34, s[6:7]
	v_xor_b32_sdwa v41, v43, v41 dst_sel:DWORD dst_unused:UNUSED_PAD src0_sel:DWORD src1_sel:WORD_0
	v_cmp_o_f32_e64 s[6:7], v42, v42
	v_cndmask_b32_e64 v41, v33, v41, s[6:7]
	v_and_b32_e32 v42, v41, v38
	v_bfe_u32 v41, v41, s81, 2
	v_cmp_eq_u32_e64 s[6:7], v42, v30
	v_cmp_eq_u32_e64 s[18:19], 0, v41
	;; [unrolled: 1-line block ×3, first 2 shown]
	s_and_b64 s[10:11], s[6:7], s[18:19]
	v_cmp_eq_u32_e64 s[22:23], 2, v41
	v_cmp_eq_u32_e64 s[24:25], 3, v41
	v_cndmask_b32_e64 v41, 0, 1, s[10:11]
	s_and_b64 s[10:11], s[6:7], s[20:21]
	v_cndmask_b32_e64 v42, 0, 1, s[10:11]
	s_and_b64 s[10:11], s[6:7], s[22:23]
	s_and_b64 s[6:7], s[6:7], s[24:25]
	v_cndmask_b32_e64 v43, 0, 1, s[10:11]
	v_cndmask_b32_e64 v44, 0, 1, s[6:7]
	v_cmp_le_u64_e32 vcc, s[92:93], v[21:22]
	v_cmp_ne_u32_e64 s[6:7], 0, v41
	v_cmp_ne_u32_e64 s[18:19], 0, v42
	;; [unrolled: 1-line block ×4, first 2 shown]
	s_bcnt1_i32_b64 s1, s[6:7]
	s_bcnt1_i32_b64 s6, s[18:19]
	;; [unrolled: 1-line block ×4, first 2 shown]
	s_or_b64 s[8:9], vcc, s[8:9]
	v_add_co_u32_e32 v4, vcc, s1, v4
	v_addc_co_u32_e32 v5, vcc, 0, v5, vcc
	v_add_co_u32_e32 v6, vcc, s6, v6
	v_addc_co_u32_e32 v7, vcc, 0, v7, vcc
	;; [unrolled: 2-line block ×3, first 2 shown]
	v_add_co_u32_e32 v10, vcc, s10, v10
	v_add_u32_e32 v40, s0, v40
	v_addc_co_u32_e32 v11, vcc, 0, v11, vcc
	s_andn2_b64 exec, exec, s[8:9]
	s_cbranch_execnz .LBB222_72
; %bb.73:                               ;   in Loop: Header=BB222_18 Depth=1
	s_or_b64 exec, exec, s[8:9]
.LBB222_74:                             ;   in Loop: Header=BB222_18 Depth=1
	s_or_b64 exec, exec, s[4:5]
	v_readlane_b32 s92, v47, 7
.LBB222_75:                             ;   in Loop: Header=BB222_18 Depth=1
	v_readlane_b32 s0, v47, 4
	s_lshl_b32 s0, s0, 6
	s_and_saveexec_b64 s[4:5], s[84:85]
	s_cbranch_execz .LBB222_77
; %bb.76:                               ;   in Loop: Header=BB222_18 Depth=1
	v_lshl_add_u32 v2, s0, 3, v29
	ds_write_b128 v2, v[4:7]
	ds_write_b128 v2, v[8:11] offset:16
.LBB222_77:                             ;   in Loop: Header=BB222_18 Depth=1
	s_or_b64 exec, exec, s[4:5]
	s_waitcnt lgkmcnt(0)
	s_barrier
	s_mov_b64 s[4:5], exec
	v_readlane_b32 s6, v48, 42
	v_readlane_b32 s7, v48, 43
	s_and_b64 s[6:7], s[4:5], s[6:7]
	s_mov_b64 exec, s[6:7]
	s_cbranch_execz .LBB222_89
; %bb.78:                               ;   in Loop: Header=BB222_18 Depth=1
	v_readlane_b32 s6, v48, 50
	v_mov_b32_e32 v4, 0
	v_readlane_b32 s7, v48, 51
	v_mov_b32_e32 v5, 0
	s_andn2_b64 vcc, exec, s[6:7]
	s_cbranch_vccnz .LBB222_88
; %bb.79:                               ;   in Loop: Header=BB222_18 Depth=1
	v_readlane_b32 s6, v48, 63
	v_readlane_b32 s7, v47, 0
	s_andn2_b64 vcc, exec, s[6:7]
	s_cbranch_vccnz .LBB222_84
; %bb.80:                               ;   in Loop: Header=BB222_18 Depth=1
	v_readlane_b32 s1, v47, 4
	v_mov_b32_e32 v4, 0
	v_lshl_add_u32 v2, s1, 9, v32
	v_mov_b32_e32 v5, 0
	s_mov_b32 s1, 0
.LBB222_81:                             ;   Parent Loop BB222_18 Depth=1
                                        ; =>  This Inner Loop Header: Depth=2
	ds_read2_b64 v[6:9], v2 offset1:4
	s_add_i32 s1, s1, 8
	s_cmp_eq_u32 s80, s1
	s_waitcnt lgkmcnt(0)
	v_add_co_u32_e32 v4, vcc, v6, v4
	v_addc_co_u32_e32 v5, vcc, v7, v5, vcc
	v_add_co_u32_e32 v8, vcc, v8, v4
	v_addc_co_u32_e32 v9, vcc, v9, v5, vcc
	ds_read2_b64 v[4:7], v2 offset0:8 offset1:12
	s_waitcnt lgkmcnt(0)
	v_add_co_u32_e32 v4, vcc, v4, v8
	v_addc_co_u32_e32 v5, vcc, v5, v9, vcc
	v_add_co_u32_e32 v8, vcc, v6, v4
	v_addc_co_u32_e32 v9, vcc, v7, v5, vcc
	ds_read2_b64 v[4:7], v2 offset0:16 offset1:20
	;; [unrolled: 6-line block ×3, first 2 shown]
	v_add_u32_e32 v2, 0x100, v2
	s_waitcnt lgkmcnt(0)
	v_add_co_u32_e32 v4, vcc, v4, v8
	v_addc_co_u32_e32 v5, vcc, v5, v9, vcc
	v_add_co_u32_e32 v4, vcc, v6, v4
	v_addc_co_u32_e32 v5, vcc, v7, v5, vcc
	s_cbranch_scc0 .LBB222_81
; %bb.82:                               ;   in Loop: Header=BB222_18 Depth=1
	s_mov_b32 s1, s80
	s_branch .LBB222_85
.LBB222_83:                             ;   in Loop: Header=BB222_18 Depth=1
                                        ; implicit-def: $sgpr4_sgpr5
	s_branch .LBB222_53
.LBB222_84:                             ;   in Loop: Header=BB222_18 Depth=1
	v_mov_b32_e32 v4, 0
	v_mov_b32_e32 v5, 0
	s_mov_b32 s1, 0
.LBB222_85:                             ;   in Loop: Header=BB222_18 Depth=1
	v_readlane_b32 s6, v47, 1
	v_readlane_b32 s7, v47, 2
	s_andn2_b64 vcc, exec, s[6:7]
	s_cbranch_vccnz .LBB222_88
; %bb.86:                               ;   in Loop: Header=BB222_18 Depth=1
	v_readlane_b32 s6, v47, 4
	s_lshl_b32 s6, s6, 9
	s_lshl_b32 s1, s1, 5
	s_add_i32 s6, s6, s1
	v_add_u32_e32 v2, s6, v32
	s_mov_b32 s1, s75
.LBB222_87:                             ;   Parent Loop BB222_18 Depth=1
                                        ; =>  This Inner Loop Header: Depth=2
	ds_read_b64 v[6:7], v2
	s_add_i32 s1, s1, -1
	v_add_u32_e32 v2, 32, v2
	s_cmp_lg_u32 s1, 0
	s_waitcnt lgkmcnt(0)
	v_add_co_u32_e32 v4, vcc, v6, v4
	v_addc_co_u32_e32 v5, vcc, v7, v5, vcc
	s_cbranch_scc1 .LBB222_87
.LBB222_88:                             ;   in Loop: Header=BB222_18 Depth=1
	v_add_lshl_u32 v2, s0, v26, 3
	ds_write_b64 v2, v[4:5] offset:3072
.LBB222_89:                             ;   in Loop: Header=BB222_18 Depth=1
	s_or_b64 exec, exec, s[4:5]
	s_lshl_b32 s0, s0, 3
	v_mov_b32_e32 v2, s0
	s_waitcnt lgkmcnt(0)
	s_barrier
	ds_read_b128 v[4:7], v2 offset:3072
	ds_read_b128 v[8:11], v2 offset:3088
	v_readlane_b32 s4, v48, 40
	s_lshl_b32 s0, 3, s81
	v_cmp_eq_u64_e64 s[18:19], 1, v[19:20]
	v_readlane_b32 s5, v48, 41
	s_waitcnt lgkmcnt(1)
	v_readfirstlane_b32 s21, v5
	v_readfirstlane_b32 s20, v4
	;; [unrolled: 1-line block ×4, first 2 shown]
	s_waitcnt lgkmcnt(0)
	v_readfirstlane_b32 s27, v9
	v_readfirstlane_b32 s26, v8
	;; [unrolled: 1-line block ×4, first 2 shown]
	s_not_b32 s1, s0
	s_mov_b64 s[40:41], -1
	s_mov_b64 s[22:23], 0
	s_andn2_b64 vcc, exec, s[4:5]
	s_mov_b64 s[34:35], 0
	s_mov_b64 s[30:31], 0
                                        ; implicit-def: $sgpr36_sgpr37
                                        ; implicit-def: $sgpr38_sgpr39
                                        ; implicit-def: $vgpr4_vgpr5
                                        ; implicit-def: $vgpr2
                                        ; implicit-def: $vgpr9
                                        ; implicit-def: $vgpr8
                                        ; implicit-def: $vgpr10
	s_cbranch_vccnz .LBB222_284
; %bb.90:                               ;   in Loop: Header=BB222_18 Depth=1
	s_cmp_eq_u64 s[20:21], 1
	s_cselect_b64 s[4:5], -1, 0
	s_and_b64 s[6:7], s[4:5], s[18:19]
	s_mov_b64 s[4:5], -1
	v_mov_b32_e32 v9, v30
	v_mov_b32_e32 v8, v38
	;; [unrolled: 1-line block ×3, first 2 shown]
                                        ; implicit-def: $sgpr38_sgpr39
                                        ; implicit-def: $sgpr36_sgpr37
	s_and_saveexec_b64 s[30:31], s[6:7]
	s_cbranch_execz .LBB222_125
; %bb.91:                               ;   in Loop: Header=BB222_18 Depth=1
	ds_read_b64 v[4:5], v3 offset:5120
	s_waitcnt lgkmcnt(0)
	s_barrier
	v_readfirstlane_b32 s8, v4
	v_readfirstlane_b32 s9, v5
	s_mov_b64 s[4:5], exec
	v_readlane_b32 s10, v48, 48
	v_readlane_b32 s11, v48, 49
	s_and_b64 s[10:11], s[4:5], s[10:11]
	s_mov_b64 exec, s[10:11]
; %bb.92:                               ;   in Loop: Header=BB222_18 Depth=1
	ds_write_b16 v28, v3
; %bb.93:                               ;   in Loop: Header=BB222_18 Depth=1
	s_or_b64 exec, exec, s[4:5]
	v_and_b32_e32 v9, s1, v30
	v_or_b32_e32 v8, s0, v38
	s_mov_b64 s[36:37], -1
	s_mov_b64 s[38:39], 0
	s_cmp_eq_u64 s[8:9], 0
	s_mov_b64 s[4:5], 0
	s_mov_b64 s[10:11], -1
	s_waitcnt lgkmcnt(0)
	s_barrier
                                        ; implicit-def: $vgpr10
	s_cbranch_scc1 .LBB222_110
; %bb.94:                               ;   in Loop: Header=BB222_18 Depth=1
	v_readlane_b32 s4, v48, 52
	s_add_u32 s34, s8, s4
	v_readlane_b32 s4, v48, 54
	s_addc_u32 s5, s9, s4
	s_mov_b32 s4, s93
	s_cmp_lg_u64 s[4:5], 0
	s_cbranch_scc0 .LBB222_151
; %bb.95:                               ;   in Loop: Header=BB222_18 Depth=1
	v_cvt_f32_u32_e32 v2, s83
	s_sub_u32 s4, 0, s83
	s_subb_u32 s12, 0, 0
	v_mac_f32_e32 v2, 0, v35
	v_rcp_f32_e32 v2, v2
	v_mul_f32_e32 v2, 0x5f7ffffc, v2
	v_mul_f32_e32 v4, 0x2f800000, v2
	v_trunc_f32_e32 v4, v4
	v_mac_f32_e32 v2, 0xcf800000, v4
	v_cvt_u32_f32_e32 v4, v4
	v_cvt_u32_f32_e32 v2, v2
	v_readfirstlane_b32 s13, v4
	v_readfirstlane_b32 s10, v2
	s_mul_i32 s11, s4, s13
	s_mul_hi_u32 s40, s4, s10
	s_mul_i32 s35, s12, s10
	s_add_i32 s11, s40, s11
	s_mul_i32 s41, s4, s10
	s_add_i32 s11, s11, s35
	s_mul_hi_u32 s40, s10, s41
	s_mul_i32 s44, s10, s11
	s_mul_hi_u32 s35, s10, s11
	s_add_u32 s40, s40, s44
	s_addc_u32 s35, 0, s35
	s_mul_hi_u32 s45, s13, s41
	s_mul_i32 s41, s13, s41
	s_add_u32 s40, s40, s41
	s_mul_hi_u32 s44, s13, s11
	s_addc_u32 s35, s35, s45
	s_addc_u32 s40, s44, 0
	s_mul_i32 s11, s13, s11
	s_add_u32 s11, s35, s11
	s_addc_u32 s35, 0, s40
	s_add_u32 s40, s10, s11
	s_cselect_b64 s[10:11], -1, 0
	s_cmp_lg_u64 s[10:11], 0
	s_addc_u32 s13, s13, s35
	s_mul_i32 s10, s4, s13
	s_mul_hi_u32 s11, s4, s40
	s_add_i32 s10, s11, s10
	s_mul_i32 s12, s12, s40
	s_add_i32 s10, s10, s12
	s_mul_i32 s4, s4, s40
	s_mul_hi_u32 s12, s13, s4
	s_mul_i32 s35, s13, s4
	s_mul_i32 s44, s40, s10
	s_mul_hi_u32 s4, s40, s4
	s_mul_hi_u32 s41, s40, s10
	s_add_u32 s4, s4, s44
	s_addc_u32 s41, 0, s41
	s_add_u32 s4, s4, s35
	s_mul_hi_u32 s11, s13, s10
	s_addc_u32 s4, s41, s12
	s_addc_u32 s11, s11, 0
	s_mul_i32 s10, s13, s10
	s_add_u32 s4, s4, s10
	s_addc_u32 s12, 0, s11
	s_add_u32 s4, s40, s4
	s_cselect_b64 s[10:11], -1, 0
	s_cmp_lg_u64 s[10:11], 0
	s_addc_u32 s10, s13, s12
	s_mul_i32 s12, s34, s10
	s_mul_hi_u32 s13, s34, s4
	s_mul_hi_u32 s11, s34, s10
	s_add_u32 s12, s13, s12
	s_addc_u32 s11, 0, s11
	s_mul_hi_u32 s35, s5, s4
	s_mul_i32 s4, s5, s4
	s_add_u32 s4, s12, s4
	s_mul_hi_u32 s13, s5, s10
	s_addc_u32 s4, s11, s35
	s_addc_u32 s11, s13, 0
	s_mul_i32 s10, s5, s10
	s_add_u32 s4, s4, s10
	s_addc_u32 s10, 0, s11
	s_mul_i32 s10, s83, s10
	s_mul_hi_u32 s11, s83, s4
	s_add_i32 s12, s11, s10
	s_mul_i32 s4, s83, s4
	s_sub_u32 s4, s34, s4
	s_cselect_b64 s[10:11], -1, 0
	s_cmp_lg_u64 s[10:11], 0
	s_subb_u32 s12, s5, s12
	s_sub_u32 s13, s4, s83
	s_cselect_b64 s[10:11], -1, 0
	s_cmp_lg_u64 s[10:11], 0
	s_subb_u32 s35, s12, 0
	;; [unrolled: 4-line block ×3, first 2 shown]
	s_cmp_ge_u32 s13, s83
	s_cselect_b32 s11, -1, 0
	s_cmp_eq_u32 s35, 0
	s_cselect_b32 s11, s11, -1
	s_cmp_lg_u32 s11, 0
	s_cselect_b32 s10, s10, s35
	s_cselect_b32 s13, s40, s13
	s_cmp_ge_u32 s4, s83
	s_cselect_b32 s11, -1, 0
	s_cmp_eq_u32 s12, 0
	s_cselect_b32 s11, s11, -1
	s_cmp_lg_u32 s11, 0
	s_cselect_b32 s11, s10, s12
	s_cselect_b32 s10, s13, s4
	s_cbranch_execnz .LBB222_97
.LBB222_96:                             ;   in Loop: Header=BB222_18 Depth=1
	v_cvt_f32_u32_e32 v2, s83
	s_sub_i32 s4, 0, s83
	v_rcp_iflag_f32_e32 v2, v2
	v_mul_f32_e32 v2, 0x4f7ffffe, v2
	v_cvt_u32_f32_e32 v2, v2
	v_readfirstlane_b32 s10, v2
	s_mul_i32 s4, s4, s10
	s_mul_hi_u32 s4, s10, s4
	s_add_i32 s10, s10, s4
	s_mul_hi_u32 s4, s34, s10
	s_mul_i32 s4, s4, s83
	s_sub_i32 s4, s34, s4
	s_sub_i32 s10, s4, s83
	s_cmp_ge_u32 s4, s83
	s_cselect_b32 s4, s10, s4
	s_sub_i32 s10, s4, s83
	s_cmp_ge_u32 s4, s83
	s_cselect_b32 s92, s10, s4
	s_mov_b64 s[10:11], s[92:93]
	v_readlane_b32 s92, v47, 7
.LBB222_97:                             ;   in Loop: Header=BB222_18 Depth=1
	s_sub_u32 s34, s34, s10
	s_subb_u32 s35, s5, s11
	v_cmp_gt_u64_e32 vcc, s[34:35], v[0:1]
	s_mov_b64 s[10:11], 0
	s_mov_b64 s[4:5], 0
                                        ; implicit-def: $vgpr10
	s_and_saveexec_b64 s[12:13], vcc
	s_cbranch_execz .LBB222_109
; %bb.98:                               ;   in Loop: Header=BB222_18 Depth=1
	v_mov_b32_e32 v5, v1
	v_mov_b32_e32 v2, v27
	;; [unrolled: 1-line block ×3, first 2 shown]
                                        ; implicit-def: $sgpr40_sgpr41
	s_branch .LBB222_101
.LBB222_99:                             ;   in Loop: Header=BB222_101 Depth=2
	s_or_b64 exec, exec, s[44:45]
	s_waitcnt lgkmcnt(0)
	s_barrier
	ds_read_b32 v6, v3 offset:3072
	s_mov_b64 s[44:45], -1
	s_mov_b64 s[46:47], -1
	s_waitcnt lgkmcnt(0)
	s_barrier
	v_and_b32_e32 v7, 0x7fff, v6
	v_cmp_ne_u32_e32 vcc, 0, v7
	s_cbranch_vccz .LBB222_104
.LBB222_100:                            ;   in Loop: Header=BB222_101 Depth=2
	s_and_b64 s[44:45], exec, s[44:45]
	s_or_b64 s[4:5], s[44:45], s[4:5]
	s_andn2_b64 s[40:41], s[40:41], exec
	s_and_b64 s[44:45], s[46:47], exec
	s_or_b64 s[40:41], s[40:41], s[44:45]
	s_andn2_b64 exec, exec, s[4:5]
	s_cbranch_execz .LBB222_108
.LBB222_101:                            ;   Parent Loop BB222_18 Depth=1
                                        ; =>  This Inner Loop Header: Depth=2
	v_cmp_gt_u64_e32 vcc, s[8:9], v[4:5]
	s_and_saveexec_b64 s[44:45], vcc
	s_cbranch_execz .LBB222_99
; %bb.102:                              ;   in Loop: Header=BB222_101 Depth=2
	ds_read_u16 v6, v2
	s_waitcnt lgkmcnt(0)
	v_cmp_lt_i16_e32 vcc, -1, v6
	v_cndmask_b32_e32 v7, v33, v34, vcc
	v_lshlrev_b32_e32 v10, 16, v6
	v_cmp_o_f32_e32 vcc, v10, v10
	v_xor_b32_sdwa v7, v7, v6 dst_sel:DWORD dst_unused:UNUSED_PAD src0_sel:DWORD src1_sel:WORD_0
	v_cndmask_b32_e32 v7, v33, v7, vcc
	v_and_b32_e32 v7, v7, v8
	v_cmp_eq_u32_e32 vcc, v7, v9
	s_and_b64 exec, exec, vcc
	s_cbranch_execz .LBB222_99
; %bb.103:                              ;   in Loop: Header=BB222_101 Depth=2
	s_movk_i32 s46, 0x3f80
	v_perm_b32 v6, v6, s46, v37
	ds_write_b32 v3, v6 offset:3072
	s_branch .LBB222_99
.LBB222_104:                            ;   in Loop: Header=BB222_101 Depth=2
	v_add_co_u32_e32 v4, vcc, s83, v4
	v_addc_co_u32_e32 v5, vcc, 0, v5, vcc
	v_cmp_le_u64_e32 vcc, s[34:35], v[4:5]
	v_readlane_b32 s44, v47, 3
	v_add_u32_e32 v2, s44, v2
	s_mov_b64 s[46:47], 0
	s_orn2_b64 s[44:45], vcc, exec
	s_branch .LBB222_100
.LBB222_105:                            ;   in Loop: Header=BB222_18 Depth=1
	s_or_b64 exec, exec, s[8:9]
	s_waitcnt lgkmcnt(0)
	s_barrier
	s_mov_b64 s[6:7], exec
	v_readlane_b32 s0, v48, 32
	v_readlane_b32 s1, v48, 33
	s_and_b64 s[0:1], s[6:7], s[0:1]
	s_mov_b64 exec, s[0:1]
	s_cbranch_execz .LBB222_107
; %bb.106:                              ;   in Loop: Header=BB222_18 Depth=1
	ds_read_b32 v4, v3 offset:5144
	s_waitcnt lgkmcnt(0)
	v_ashrrev_i32_e32 v5, 31, v4
	ds_write_b64 v3, v[4:5] offset:5120
.LBB222_107:                            ;   in Loop: Header=BB222_18 Depth=1
	s_or_b64 exec, exec, s[6:7]
	s_waitcnt lgkmcnt(0)
	s_barrier
	s_mov_b64 s[6:7], -1
	s_and_b64 vcc, exec, s[4:5]
	s_cbranch_vccnz .LBB222_33
	s_branch .LBB222_48
.LBB222_108:                            ;   in Loop: Header=BB222_18 Depth=1
	s_or_b64 exec, exec, s[4:5]
	v_lshrrev_b32_e32 v10, 16, v6
	s_and_b64 s[4:5], s[40:41], exec
.LBB222_109:                            ;   in Loop: Header=BB222_18 Depth=1
	s_or_b64 exec, exec, s[12:13]
.LBB222_110:                            ;   in Loop: Header=BB222_18 Depth=1
	s_and_b64 vcc, exec, s[10:11]
	s_cbranch_vccz .LBB222_124
; %bb.111:                              ;   in Loop: Header=BB222_18 Depth=1
	v_readlane_b32 s38, v48, 55
	v_readlane_b32 s39, v48, 56
	s_mov_b32 s38, s93
	s_cmp_lg_u64 s[38:39], 0
	v_writelane_b32 v48, s38, 55
	v_writelane_b32 v48, s39, 56
	s_cbranch_scc0 .LBB222_152
; %bb.112:                              ;   in Loop: Header=BB222_18 Depth=1
	v_cvt_f32_u32_e32 v2, s83
	s_sub_u32 s10, 0, s83
	s_subb_u32 s11, 0, 0
	v_mac_f32_e32 v2, 0, v35
	v_rcp_f32_e32 v2, v2
	v_mul_f32_e32 v2, 0x5f7ffffc, v2
	v_mul_f32_e32 v4, 0x2f800000, v2
	v_trunc_f32_e32 v4, v4
	v_mac_f32_e32 v2, 0xcf800000, v4
	v_cvt_u32_f32_e32 v4, v4
	v_cvt_u32_f32_e32 v2, v2
	v_readfirstlane_b32 s12, v4
	v_readfirstlane_b32 s8, v2
	s_mul_i32 s9, s10, s12
	s_mul_hi_u32 s34, s10, s8
	s_mul_i32 s13, s11, s8
	s_add_i32 s9, s34, s9
	s_mul_i32 s35, s10, s8
	s_add_i32 s9, s9, s13
	s_mul_hi_u32 s34, s8, s35
	s_mul_i32 s36, s8, s9
	s_mul_hi_u32 s13, s8, s9
	s_add_u32 s34, s34, s36
	s_addc_u32 s13, 0, s13
	s_mul_hi_u32 s37, s12, s35
	s_mul_i32 s35, s12, s35
	s_add_u32 s34, s34, s35
	s_mul_hi_u32 s36, s12, s9
	s_addc_u32 s13, s13, s37
	s_addc_u32 s34, s36, 0
	s_mul_i32 s9, s12, s9
	s_add_u32 s9, s13, s9
	s_addc_u32 s13, 0, s34
	s_add_u32 s34, s8, s9
	s_cselect_b64 s[8:9], -1, 0
	s_cmp_lg_u64 s[8:9], 0
	s_addc_u32 s12, s12, s13
	s_mul_i32 s8, s10, s12
	s_mul_hi_u32 s9, s10, s34
	s_add_i32 s8, s9, s8
	s_mul_i32 s11, s11, s34
	s_add_i32 s8, s8, s11
	s_mul_i32 s10, s10, s34
	s_mul_hi_u32 s11, s12, s10
	s_mul_i32 s13, s12, s10
	s_mul_i32 s36, s34, s8
	s_mul_hi_u32 s10, s34, s10
	s_mul_hi_u32 s35, s34, s8
	s_add_u32 s10, s10, s36
	s_addc_u32 s35, 0, s35
	s_add_u32 s10, s10, s13
	s_mul_hi_u32 s9, s12, s8
	s_addc_u32 s10, s35, s11
	s_addc_u32 s9, s9, 0
	s_mul_i32 s8, s12, s8
	s_add_u32 s8, s10, s8
	s_addc_u32 s10, 0, s9
	s_add_u32 s11, s34, s8
	s_cselect_b64 s[8:9], -1, 0
	s_cmp_lg_u64 s[8:9], 0
	s_addc_u32 s8, s12, s10
	v_readlane_b32 s34, v48, 53
	s_mul_i32 s10, s34, s8
	s_mul_hi_u32 s12, s34, s11
	s_mul_hi_u32 s9, s34, s8
	s_add_u32 s10, s12, s10
	s_addc_u32 s9, 0, s9
	s_mul_hi_u32 s13, s39, s11
	s_mul_i32 s11, s39, s11
	s_add_u32 s10, s10, s11
	s_mul_hi_u32 s12, s39, s8
	s_addc_u32 s9, s9, s13
	s_addc_u32 s10, s12, 0
	s_mul_i32 s8, s39, s8
	s_add_u32 s8, s9, s8
	s_addc_u32 s9, 0, s10
	s_mul_i32 s9, s83, s9
	s_mul_hi_u32 s10, s83, s8
	s_add_i32 s10, s10, s9
	s_mul_i32 s8, s83, s8
	s_sub_u32 s11, s34, s8
	s_cselect_b64 s[8:9], -1, 0
	s_cmp_lg_u64 s[8:9], 0
	s_subb_u32 s10, s39, s10
	s_sub_u32 s12, s11, s83
	s_cselect_b64 s[8:9], -1, 0
	s_cmp_lg_u64 s[8:9], 0
	s_subb_u32 s13, s10, 0
	;; [unrolled: 4-line block ×3, first 2 shown]
	s_cmp_ge_u32 s12, s83
	s_cselect_b32 s9, -1, 0
	s_cmp_eq_u32 s13, 0
	s_cselect_b32 s9, s9, -1
	s_cmp_lg_u32 s9, 0
	s_cselect_b32 s8, s8, s13
	s_cselect_b32 s12, s34, s12
	s_cmp_ge_u32 s11, s83
	s_cselect_b32 s9, -1, 0
	s_cmp_eq_u32 s10, 0
	s_cselect_b32 s9, s9, -1
	s_cmp_lg_u32 s9, 0
	s_cselect_b32 s9, s8, s10
	s_cselect_b32 s8, s12, s11
	s_cbranch_execnz .LBB222_114
.LBB222_113:                            ;   in Loop: Header=BB222_18 Depth=1
	v_cvt_f32_u32_e32 v2, s83
	s_sub_i32 s8, 0, s83
	v_readlane_b32 s10, v48, 53
	v_rcp_iflag_f32_e32 v2, v2
	v_mul_f32_e32 v2, 0x4f7ffffe, v2
	v_cvt_u32_f32_e32 v2, v2
	v_readfirstlane_b32 s9, v2
	s_mul_i32 s8, s8, s9
	s_mul_hi_u32 s8, s9, s8
	s_add_i32 s9, s9, s8
	s_mul_hi_u32 s8, s10, s9
	s_mul_i32 s8, s8, s83
	s_sub_i32 s8, s10, s8
	s_sub_i32 s9, s8, s83
	s_cmp_ge_u32 s8, s83
	s_cselect_b32 s8, s9, s8
	s_sub_i32 s9, s8, s83
	s_cmp_ge_u32 s8, s83
	s_cselect_b32 s92, s9, s8
	s_mov_b64 s[8:9], s[92:93]
	v_readlane_b32 s92, v47, 7
.LBB222_114:                            ;   in Loop: Header=BB222_18 Depth=1
	v_readlane_b32 s10, v48, 53
	v_readlane_b32 s12, v48, 55
	s_sub_u32 s10, s10, s8
	v_readlane_b32 s13, v48, 56
	s_subb_u32 s11, s13, s9
	v_cmp_gt_u64_e32 vcc, s[10:11], v[0:1]
                                        ; implicit-def: $vgpr10
	s_and_saveexec_b64 s[8:9], vcc
	s_cbranch_execz .LBB222_123
; %bb.115:                              ;   in Loop: Header=BB222_18 Depth=1
	v_mov_b32_e32 v5, v1
	s_mov_b64 s[12:13], 0
	v_mov_b32_e32 v4, v0
                                        ; implicit-def: $sgpr34_sgpr35
	s_branch .LBB222_118
.LBB222_116:                            ;   in Loop: Header=BB222_118 Depth=2
	s_or_b64 exec, exec, s[36:37]
	s_waitcnt lgkmcnt(0)
	s_barrier
	ds_read_b32 v2, v3 offset:3072
	s_mov_b64 s[36:37], -1
	s_mov_b64 s[38:39], -1
	s_waitcnt lgkmcnt(0)
	s_barrier
	v_and_b32_e32 v6, 0x7fff, v2
	v_cmp_ne_u32_e32 vcc, 0, v6
	s_cbranch_vccz .LBB222_121
.LBB222_117:                            ;   in Loop: Header=BB222_118 Depth=2
	s_and_b64 s[36:37], exec, s[36:37]
	s_or_b64 s[12:13], s[36:37], s[12:13]
	s_andn2_b64 s[34:35], s[34:35], exec
	s_and_b64 s[36:37], s[38:39], exec
	s_or_b64 s[34:35], s[34:35], s[36:37]
	s_andn2_b64 exec, exec, s[12:13]
	s_cbranch_execz .LBB222_122
.LBB222_118:                            ;   Parent Loop BB222_18 Depth=1
                                        ; =>  This Inner Loop Header: Depth=2
	v_cmp_gt_u64_e32 vcc, s[64:65], v[4:5]
	s_and_saveexec_b64 s[36:37], vcc
	s_cbranch_execz .LBB222_116
; %bb.119:                              ;   in Loop: Header=BB222_118 Depth=2
	v_mul_lo_u32 v2, v5, s62
	v_mul_lo_u32 v10, v4, s63
	v_mad_u64_u32 v[6:7], s[38:39], v4, s62, 0
	v_add3_u32 v7, v7, v10, v2
	v_lshlrev_b64 v[6:7], 1, v[6:7]
	v_mov_b32_e32 v2, s82
	v_add_co_u32_e32 v6, vcc, s33, v6
	v_addc_co_u32_e32 v7, vcc, v2, v7, vcc
	global_load_ushort v2, v[6:7], off
	s_waitcnt vmcnt(0)
	v_cmp_lt_i16_e32 vcc, -1, v2
	v_cndmask_b32_e32 v6, v33, v34, vcc
	v_lshlrev_b32_e32 v7, 16, v2
	v_xor_b32_sdwa v6, v6, v2 dst_sel:DWORD dst_unused:UNUSED_PAD src0_sel:DWORD src1_sel:WORD_0
	v_cmp_o_f32_e32 vcc, v7, v7
	v_cndmask_b32_e32 v6, v33, v6, vcc
	v_and_b32_e32 v6, v6, v8
	v_cmp_eq_u32_e32 vcc, v6, v9
	s_and_b64 exec, exec, vcc
	s_cbranch_execz .LBB222_116
; %bb.120:                              ;   in Loop: Header=BB222_118 Depth=2
	s_movk_i32 s38, 0x3f80
	v_perm_b32 v2, v2, s38, v37
	ds_write_b32 v3, v2 offset:3072
	s_branch .LBB222_116
.LBB222_121:                            ;   in Loop: Header=BB222_118 Depth=2
	v_add_co_u32_e32 v4, vcc, s83, v4
	v_addc_co_u32_e32 v5, vcc, 0, v5, vcc
	v_cmp_le_u64_e32 vcc, s[10:11], v[4:5]
	s_mov_b64 s[38:39], 0
	s_orn2_b64 s[36:37], vcc, exec
	s_branch .LBB222_117
.LBB222_122:                            ;   in Loop: Header=BB222_18 Depth=1
	s_or_b64 exec, exec, s[12:13]
	s_andn2_b64 s[4:5], s[4:5], exec
	s_and_b64 s[10:11], s[34:35], exec
	v_lshrrev_b32_e32 v10, 16, v2
	s_or_b64 s[4:5], s[4:5], s[10:11]
.LBB222_123:                            ;   in Loop: Header=BB222_18 Depth=1
	s_or_b64 exec, exec, s[8:9]
	s_mov_b64 s[36:37], 0
	s_mov_b64 s[38:39], -1
.LBB222_124:                            ;   in Loop: Header=BB222_18 Depth=1
	s_orn2_b64 s[4:5], s[4:5], exec
.LBB222_125:                            ;   in Loop: Header=BB222_18 Depth=1
	s_or_b64 exec, exec, s[30:31]
	s_mov_b64 s[40:41], 0
	s_mov_b64 s[34:35], 0
	;; [unrolled: 1-line block ×3, first 2 shown]
                                        ; implicit-def: $vgpr4_vgpr5
                                        ; implicit-def: $vgpr2
	s_and_saveexec_b64 s[44:45], s[4:5]
	s_cbranch_execz .LBB222_283
; %bb.126:                              ;   in Loop: Header=BB222_18 Depth=1
	v_mov_b32_e32 v4, 1
	s_xor_b64 s[8:9], s[6:7], -1
	v_mov_b32_e32 v2, 1
	v_mov_b32_e32 v5, 0
	s_mov_b64 s[6:7], 0
	s_and_saveexec_b64 s[4:5], s[8:9]
	s_cbranch_execz .LBB222_135
; %bb.127:                              ;   in Loop: Header=BB222_18 Depth=1
	v_cmp_ge_u64_e32 vcc, s[20:21], v[19:20]
	s_and_saveexec_b64 s[6:7], vcc
	s_xor_b64 s[6:7], exec, s[6:7]
	s_cbranch_execz .LBB222_132
; %bb.128:                              ;   in Loop: Header=BB222_18 Depth=1
	ds_read_b64 v[4:5], v3 offset:5120
	v_and_b32_e32 v9, s1, v9
	v_or_b32_e32 v8, s0, v8
	s_waitcnt lgkmcnt(0)
	v_cmp_ne_u64_e32 vcc, 0, v[4:5]
	s_cbranch_vccnz .LBB222_132
; %bb.129:                              ;   in Loop: Header=BB222_18 Depth=1
	s_mov_b64 s[8:9], exec
	v_readlane_b32 s10, v48, 32
	v_readlane_b32 s11, v48, 33
	s_and_b64 s[10:11], s[8:9], s[10:11]
	s_mov_b64 exec, s[10:11]
; %bb.130:                              ;   in Loop: Header=BB222_18 Depth=1
	v_mov_b32_e32 v4, s20
	v_mov_b32_e32 v5, s21
	ds_write_b64 v3, v[4:5] offset:5128
; %bb.131:                              ;   in Loop: Header=BB222_18 Depth=1
	s_or_b64 exec, exec, s[8:9]
	s_waitcnt lgkmcnt(0)
	s_barrier
.LBB222_132:                            ;   in Loop: Header=BB222_18 Depth=1
	s_or_saveexec_b64 s[6:7], s[6:7]
	v_mov_b32_e32 v4, v19
	s_mov_b64 s[8:9], 0
	v_mov_b32_e32 v2, 8
	v_mov_b32_e32 v5, v20
	s_xor_b64 exec, exec, s[6:7]
; %bb.133:                              ;   in Loop: Header=BB222_18 Depth=1
	v_subrev_co_u32_e32 v4, vcc, s20, v19
	v_mov_b32_e32 v2, s21
	v_subb_co_u32_e32 v5, vcc, v20, v2, vcc
	v_mov_b32_e32 v2, 0
	s_mov_b64 s[8:9], exec
; %bb.134:                              ;   in Loop: Header=BB222_18 Depth=1
	s_or_b64 exec, exec, s[6:7]
	s_and_b64 s[6:7], s[8:9], exec
.LBB222_135:                            ;   in Loop: Header=BB222_18 Depth=1
	s_or_b64 exec, exec, s[4:5]
	s_mov_b64 s[4:5], -1
                                        ; implicit-def: $sgpr30_sgpr31
                                        ; implicit-def: $sgpr34_sgpr35
	s_and_saveexec_b64 s[8:9], s[6:7]
	s_xor_b64 s[6:7], exec, s[8:9]
	s_cbranch_execz .LBB222_280
; %bb.136:                              ;   in Loop: Header=BB222_18 Depth=1
	s_cmp_eq_u64 s[24:25], 1
	v_cmp_eq_u64_e32 vcc, 1, v[4:5]
	s_cselect_b64 s[4:5], -1, 0
	s_and_b64 s[48:49], s[4:5], vcc
	s_mov_b64 s[4:5], -1
                                        ; implicit-def: $sgpr34_sgpr35
                                        ; implicit-def: $sgpr30_sgpr31
	s_and_saveexec_b64 s[46:47], s[48:49]
	s_cbranch_execz .LBB222_170
; %bb.137:                              ;   in Loop: Header=BB222_18 Depth=1
	ds_read_b64 v[6:7], v3 offset:5120
	s_waitcnt lgkmcnt(0)
	s_barrier
	v_readfirstlane_b32 s8, v6
	v_readfirstlane_b32 s9, v7
	s_mov_b64 s[4:5], exec
	v_readlane_b32 s10, v48, 48
	v_readlane_b32 s11, v48, 49
	s_and_b64 s[10:11], s[4:5], s[10:11]
	s_mov_b64 exec, s[10:11]
; %bb.138:                              ;   in Loop: Header=BB222_18 Depth=1
	ds_write_b16 v28, v3
; %bb.139:                              ;   in Loop: Header=BB222_18 Depth=1
	s_or_b64 exec, exec, s[4:5]
	v_and_b32_e32 v6, s1, v9
	v_lshl_or_b32 v9, 1, s81, v6
	v_or_b32_e32 v8, s0, v8
	s_mov_b64 s[30:31], -1
	s_mov_b64 s[34:35], 0
	s_cmp_eq_u64 s[8:9], 0
	s_mov_b64 s[4:5], 0
	s_mov_b64 s[10:11], -1
	s_waitcnt lgkmcnt(0)
	s_barrier
                                        ; implicit-def: $vgpr10
	s_cbranch_scc1 .LBB222_155
; %bb.140:                              ;   in Loop: Header=BB222_18 Depth=1
	v_readlane_b32 s4, v48, 52
	s_add_u32 s50, s8, s4
	v_readlane_b32 s4, v48, 54
	s_addc_u32 s5, s9, s4
	s_mov_b32 s4, s93
	s_cmp_lg_u64 s[4:5], 0
	s_cbranch_scc0 .LBB222_196
; %bb.141:                              ;   in Loop: Header=BB222_18 Depth=1
	v_cvt_f32_u32_e32 v6, s83
	s_sub_u32 s4, 0, s83
	s_subb_u32 s12, 0, 0
	v_mac_f32_e32 v6, 0, v35
	v_rcp_f32_e32 v6, v6
	v_mul_f32_e32 v6, 0x5f7ffffc, v6
	v_mul_f32_e32 v7, 0x2f800000, v6
	v_trunc_f32_e32 v7, v7
	v_mac_f32_e32 v6, 0xcf800000, v7
	v_cvt_u32_f32_e32 v7, v7
	v_cvt_u32_f32_e32 v6, v6
	v_readfirstlane_b32 s13, v7
	v_readfirstlane_b32 s10, v6
	s_mul_i32 s11, s4, s13
	s_mul_hi_u32 s52, s4, s10
	s_mul_i32 s51, s12, s10
	s_add_i32 s11, s52, s11
	s_mul_i32 s53, s4, s10
	s_add_i32 s11, s11, s51
	s_mul_hi_u32 s52, s10, s53
	s_mul_i32 s54, s10, s11
	s_mul_hi_u32 s51, s10, s11
	s_add_u32 s52, s52, s54
	s_addc_u32 s51, 0, s51
	s_mul_hi_u32 s55, s13, s53
	s_mul_i32 s53, s13, s53
	s_add_u32 s52, s52, s53
	s_mul_hi_u32 s54, s13, s11
	s_addc_u32 s51, s51, s55
	s_addc_u32 s52, s54, 0
	s_mul_i32 s11, s13, s11
	s_add_u32 s11, s51, s11
	s_addc_u32 s51, 0, s52
	s_add_u32 s52, s10, s11
	s_cselect_b64 s[10:11], -1, 0
	s_cmp_lg_u64 s[10:11], 0
	s_addc_u32 s13, s13, s51
	s_mul_i32 s10, s4, s13
	s_mul_hi_u32 s11, s4, s52
	s_add_i32 s10, s11, s10
	s_mul_i32 s12, s12, s52
	s_add_i32 s10, s10, s12
	s_mul_i32 s4, s4, s52
	s_mul_hi_u32 s12, s13, s4
	s_mul_i32 s51, s13, s4
	s_mul_i32 s54, s52, s10
	s_mul_hi_u32 s4, s52, s4
	s_mul_hi_u32 s53, s52, s10
	s_add_u32 s4, s4, s54
	s_addc_u32 s53, 0, s53
	s_add_u32 s4, s4, s51
	s_mul_hi_u32 s11, s13, s10
	s_addc_u32 s4, s53, s12
	s_addc_u32 s11, s11, 0
	s_mul_i32 s10, s13, s10
	s_add_u32 s4, s4, s10
	s_addc_u32 s12, 0, s11
	s_add_u32 s4, s52, s4
	s_cselect_b64 s[10:11], -1, 0
	s_cmp_lg_u64 s[10:11], 0
	s_addc_u32 s10, s13, s12
	s_mul_i32 s12, s50, s10
	s_mul_hi_u32 s13, s50, s4
	s_mul_hi_u32 s11, s50, s10
	s_add_u32 s12, s13, s12
	s_addc_u32 s11, 0, s11
	s_mul_hi_u32 s51, s5, s4
	s_mul_i32 s4, s5, s4
	s_add_u32 s4, s12, s4
	s_mul_hi_u32 s13, s5, s10
	s_addc_u32 s4, s11, s51
	s_addc_u32 s11, s13, 0
	s_mul_i32 s10, s5, s10
	s_add_u32 s4, s4, s10
	s_addc_u32 s10, 0, s11
	s_mul_i32 s10, s83, s10
	s_mul_hi_u32 s11, s83, s4
	s_add_i32 s12, s11, s10
	s_mul_i32 s4, s83, s4
	s_sub_u32 s4, s50, s4
	s_cselect_b64 s[10:11], -1, 0
	s_cmp_lg_u64 s[10:11], 0
	s_subb_u32 s12, s5, s12
	s_sub_u32 s13, s4, s83
	s_cselect_b64 s[10:11], -1, 0
	s_cmp_lg_u64 s[10:11], 0
	s_subb_u32 s51, s12, 0
	;; [unrolled: 4-line block ×3, first 2 shown]
	s_cmp_ge_u32 s13, s83
	s_cselect_b32 s11, -1, 0
	s_cmp_eq_u32 s51, 0
	s_cselect_b32 s11, s11, -1
	s_cmp_lg_u32 s11, 0
	s_cselect_b32 s10, s10, s51
	s_cselect_b32 s13, s52, s13
	s_cmp_ge_u32 s4, s83
	s_cselect_b32 s11, -1, 0
	s_cmp_eq_u32 s12, 0
	s_cselect_b32 s11, s11, -1
	s_cmp_lg_u32 s11, 0
	s_cselect_b32 s11, s10, s12
	s_cselect_b32 s10, s13, s4
	s_cbranch_execnz .LBB222_143
.LBB222_142:                            ;   in Loop: Header=BB222_18 Depth=1
	v_cvt_f32_u32_e32 v6, s83
	s_sub_i32 s4, 0, s83
	v_rcp_iflag_f32_e32 v6, v6
	v_mul_f32_e32 v6, 0x4f7ffffe, v6
	v_cvt_u32_f32_e32 v6, v6
	v_readfirstlane_b32 s10, v6
	s_mul_i32 s4, s4, s10
	s_mul_hi_u32 s4, s10, s4
	s_add_i32 s10, s10, s4
	s_mul_hi_u32 s4, s50, s10
	s_mul_i32 s4, s4, s83
	s_sub_i32 s4, s50, s4
	s_sub_i32 s10, s4, s83
	s_cmp_ge_u32 s4, s83
	s_cselect_b32 s4, s10, s4
	s_sub_i32 s10, s4, s83
	s_cmp_ge_u32 s4, s83
	s_cselect_b32 s92, s10, s4
	s_mov_b64 s[10:11], s[92:93]
	v_readlane_b32 s92, v47, 7
.LBB222_143:                            ;   in Loop: Header=BB222_18 Depth=1
	s_sub_u32 s50, s50, s10
	s_subb_u32 s51, s5, s11
	v_cmp_gt_u64_e32 vcc, s[50:51], v[0:1]
	s_mov_b64 s[10:11], 0
	s_mov_b64 s[4:5], 0
                                        ; implicit-def: $vgpr10
	s_and_saveexec_b64 s[12:13], vcc
	s_cbranch_execz .LBB222_154
; %bb.144:                              ;   in Loop: Header=BB222_18 Depth=1
	v_mov_b32_e32 v7, v1
	v_mov_b32_e32 v10, v27
	;; [unrolled: 1-line block ×3, first 2 shown]
                                        ; implicit-def: $sgpr52_sgpr53
	s_branch .LBB222_147
.LBB222_145:                            ;   in Loop: Header=BB222_147 Depth=2
	s_or_b64 exec, exec, s[54:55]
	s_waitcnt lgkmcnt(0)
	s_barrier
	ds_read_b32 v11, v3 offset:3072
	s_mov_b64 s[54:55], -1
	s_mov_b64 s[56:57], -1
	s_waitcnt lgkmcnt(0)
	s_barrier
	v_and_b32_e32 v21, 0x7fff, v11
	v_cmp_ne_u32_e32 vcc, 0, v21
	s_cbranch_vccz .LBB222_150
.LBB222_146:                            ;   in Loop: Header=BB222_147 Depth=2
	s_and_b64 s[54:55], exec, s[54:55]
	s_or_b64 s[4:5], s[54:55], s[4:5]
	s_andn2_b64 s[52:53], s[52:53], exec
	s_and_b64 s[54:55], s[56:57], exec
	s_or_b64 s[52:53], s[52:53], s[54:55]
	s_andn2_b64 exec, exec, s[4:5]
	s_cbranch_execz .LBB222_153
.LBB222_147:                            ;   Parent Loop BB222_18 Depth=1
                                        ; =>  This Inner Loop Header: Depth=2
	v_cmp_gt_u64_e32 vcc, s[8:9], v[6:7]
	s_and_saveexec_b64 s[54:55], vcc
	s_cbranch_execz .LBB222_145
; %bb.148:                              ;   in Loop: Header=BB222_147 Depth=2
	ds_read_u16 v11, v10
	s_waitcnt lgkmcnt(0)
	v_cmp_lt_i16_e32 vcc, -1, v11
	v_cndmask_b32_e32 v21, v33, v34, vcc
	v_lshlrev_b32_e32 v22, 16, v11
	v_cmp_o_f32_e32 vcc, v22, v22
	v_xor_b32_sdwa v21, v21, v11 dst_sel:DWORD dst_unused:UNUSED_PAD src0_sel:DWORD src1_sel:WORD_0
	v_cndmask_b32_e32 v21, v33, v21, vcc
	v_and_b32_e32 v21, v21, v8
	v_cmp_eq_u32_e32 vcc, v21, v9
	s_and_b64 exec, exec, vcc
	s_cbranch_execz .LBB222_145
; %bb.149:                              ;   in Loop: Header=BB222_147 Depth=2
	s_movk_i32 s56, 0x3f80
	v_perm_b32 v11, v11, s56, v37
	ds_write_b32 v3, v11 offset:3072
	s_branch .LBB222_145
.LBB222_150:                            ;   in Loop: Header=BB222_147 Depth=2
	v_add_co_u32_e32 v6, vcc, s83, v6
	v_addc_co_u32_e32 v7, vcc, 0, v7, vcc
	v_cmp_le_u64_e32 vcc, s[50:51], v[6:7]
	v_readlane_b32 s54, v47, 3
	v_add_u32_e32 v10, s54, v10
	s_mov_b64 s[56:57], 0
	s_orn2_b64 s[54:55], vcc, exec
	s_branch .LBB222_146
.LBB222_151:                            ;   in Loop: Header=BB222_18 Depth=1
                                        ; implicit-def: $sgpr10_sgpr11
	s_branch .LBB222_96
.LBB222_152:                            ;   in Loop: Header=BB222_18 Depth=1
                                        ; implicit-def: $sgpr8_sgpr9
	s_branch .LBB222_113
.LBB222_153:                            ;   in Loop: Header=BB222_18 Depth=1
	s_or_b64 exec, exec, s[4:5]
	v_lshrrev_b32_e32 v10, 16, v11
	s_and_b64 s[4:5], s[52:53], exec
.LBB222_154:                            ;   in Loop: Header=BB222_18 Depth=1
	s_or_b64 exec, exec, s[12:13]
.LBB222_155:                            ;   in Loop: Header=BB222_18 Depth=1
	s_and_b64 vcc, exec, s[10:11]
	s_cbranch_vccz .LBB222_169
; %bb.156:                              ;   in Loop: Header=BB222_18 Depth=1
	v_readlane_b32 s50, v48, 55
	v_readlane_b32 s51, v48, 56
	s_mov_b32 s50, s93
	s_cmp_lg_u64 s[50:51], 0
	v_writelane_b32 v48, s50, 55
	v_writelane_b32 v48, s51, 56
	s_cbranch_scc0 .LBB222_197
; %bb.157:                              ;   in Loop: Header=BB222_18 Depth=1
	v_cvt_f32_u32_e32 v6, s83
	s_sub_u32 s10, 0, s83
	s_subb_u32 s11, 0, 0
	v_mac_f32_e32 v6, 0, v35
	v_rcp_f32_e32 v6, v6
	v_mul_f32_e32 v6, 0x5f7ffffc, v6
	v_mul_f32_e32 v7, 0x2f800000, v6
	v_trunc_f32_e32 v7, v7
	v_mac_f32_e32 v6, 0xcf800000, v7
	v_cvt_u32_f32_e32 v7, v7
	v_cvt_u32_f32_e32 v6, v6
	v_readfirstlane_b32 s12, v7
	v_readfirstlane_b32 s8, v6
	s_mul_i32 s9, s10, s12
	s_mul_hi_u32 s30, s10, s8
	s_mul_i32 s13, s11, s8
	s_add_i32 s9, s30, s9
	s_mul_i32 s31, s10, s8
	s_add_i32 s9, s9, s13
	s_mul_hi_u32 s30, s8, s31
	s_mul_i32 s34, s8, s9
	s_mul_hi_u32 s13, s8, s9
	s_add_u32 s30, s30, s34
	s_addc_u32 s13, 0, s13
	s_mul_hi_u32 s35, s12, s31
	s_mul_i32 s31, s12, s31
	s_add_u32 s30, s30, s31
	s_mul_hi_u32 s34, s12, s9
	s_addc_u32 s13, s13, s35
	s_addc_u32 s30, s34, 0
	s_mul_i32 s9, s12, s9
	s_add_u32 s9, s13, s9
	s_addc_u32 s13, 0, s30
	s_add_u32 s30, s8, s9
	s_cselect_b64 s[8:9], -1, 0
	s_cmp_lg_u64 s[8:9], 0
	s_addc_u32 s12, s12, s13
	s_mul_i32 s8, s10, s12
	s_mul_hi_u32 s9, s10, s30
	s_add_i32 s8, s9, s8
	s_mul_i32 s11, s11, s30
	s_add_i32 s8, s8, s11
	s_mul_i32 s10, s10, s30
	s_mul_hi_u32 s11, s12, s10
	s_mul_i32 s13, s12, s10
	s_mul_i32 s34, s30, s8
	s_mul_hi_u32 s10, s30, s10
	s_mul_hi_u32 s31, s30, s8
	s_add_u32 s10, s10, s34
	s_addc_u32 s31, 0, s31
	s_add_u32 s10, s10, s13
	s_mul_hi_u32 s9, s12, s8
	s_addc_u32 s10, s31, s11
	s_addc_u32 s9, s9, 0
	s_mul_i32 s8, s12, s8
	s_add_u32 s8, s10, s8
	s_addc_u32 s10, 0, s9
	s_add_u32 s11, s30, s8
	s_cselect_b64 s[8:9], -1, 0
	s_cmp_lg_u64 s[8:9], 0
	s_addc_u32 s8, s12, s10
	v_readlane_b32 s30, v48, 53
	s_mul_i32 s10, s30, s8
	s_mul_hi_u32 s12, s30, s11
	s_mul_hi_u32 s9, s30, s8
	s_add_u32 s10, s12, s10
	s_addc_u32 s9, 0, s9
	s_mul_hi_u32 s13, s51, s11
	s_mul_i32 s11, s51, s11
	s_add_u32 s10, s10, s11
	s_mul_hi_u32 s12, s51, s8
	s_addc_u32 s9, s9, s13
	s_addc_u32 s10, s12, 0
	s_mul_i32 s8, s51, s8
	s_add_u32 s8, s9, s8
	s_addc_u32 s9, 0, s10
	s_mul_i32 s9, s83, s9
	s_mul_hi_u32 s10, s83, s8
	s_add_i32 s10, s10, s9
	s_mul_i32 s8, s83, s8
	s_sub_u32 s11, s30, s8
	s_cselect_b64 s[8:9], -1, 0
	s_cmp_lg_u64 s[8:9], 0
	s_subb_u32 s10, s51, s10
	s_sub_u32 s12, s11, s83
	s_cselect_b64 s[8:9], -1, 0
	s_cmp_lg_u64 s[8:9], 0
	s_subb_u32 s13, s10, 0
	;; [unrolled: 4-line block ×3, first 2 shown]
	s_cmp_ge_u32 s12, s83
	s_cselect_b32 s9, -1, 0
	s_cmp_eq_u32 s13, 0
	s_cselect_b32 s9, s9, -1
	s_cmp_lg_u32 s9, 0
	s_cselect_b32 s8, s8, s13
	s_cselect_b32 s12, s30, s12
	s_cmp_ge_u32 s11, s83
	s_cselect_b32 s9, -1, 0
	s_cmp_eq_u32 s10, 0
	s_cselect_b32 s9, s9, -1
	s_cmp_lg_u32 s9, 0
	s_cselect_b32 s9, s8, s10
	s_cselect_b32 s8, s12, s11
	s_cbranch_execnz .LBB222_159
.LBB222_158:                            ;   in Loop: Header=BB222_18 Depth=1
	v_cvt_f32_u32_e32 v6, s83
	s_sub_i32 s8, 0, s83
	v_readlane_b32 s10, v48, 53
	v_rcp_iflag_f32_e32 v6, v6
	v_mul_f32_e32 v6, 0x4f7ffffe, v6
	v_cvt_u32_f32_e32 v6, v6
	v_readfirstlane_b32 s9, v6
	s_mul_i32 s8, s8, s9
	s_mul_hi_u32 s8, s9, s8
	s_add_i32 s9, s9, s8
	s_mul_hi_u32 s8, s10, s9
	s_mul_i32 s8, s8, s83
	s_sub_i32 s8, s10, s8
	s_sub_i32 s9, s8, s83
	s_cmp_ge_u32 s8, s83
	s_cselect_b32 s8, s9, s8
	s_sub_i32 s9, s8, s83
	s_cmp_ge_u32 s8, s83
	s_cselect_b32 s92, s9, s8
	s_mov_b64 s[8:9], s[92:93]
	v_readlane_b32 s92, v47, 7
.LBB222_159:                            ;   in Loop: Header=BB222_18 Depth=1
	v_readlane_b32 s10, v48, 53
	v_readlane_b32 s12, v48, 55
	s_sub_u32 s10, s10, s8
	v_readlane_b32 s13, v48, 56
	s_subb_u32 s11, s13, s9
	v_cmp_gt_u64_e32 vcc, s[10:11], v[0:1]
                                        ; implicit-def: $vgpr10
	s_and_saveexec_b64 s[8:9], vcc
	s_cbranch_execz .LBB222_168
; %bb.160:                              ;   in Loop: Header=BB222_18 Depth=1
	v_mov_b32_e32 v7, v1
	s_mov_b64 s[12:13], 0
	v_mov_b32_e32 v6, v0
                                        ; implicit-def: $sgpr30_sgpr31
	s_branch .LBB222_163
.LBB222_161:                            ;   in Loop: Header=BB222_163 Depth=2
	s_or_b64 exec, exec, s[34:35]
	s_waitcnt lgkmcnt(0)
	s_barrier
	ds_read_b32 v10, v3 offset:3072
	s_mov_b64 s[34:35], -1
	s_mov_b64 s[50:51], -1
	s_waitcnt lgkmcnt(0)
	s_barrier
	v_and_b32_e32 v11, 0x7fff, v10
	v_cmp_eq_u32_e32 vcc, 0, v11
	s_cbranch_vccnz .LBB222_166
.LBB222_162:                            ;   in Loop: Header=BB222_163 Depth=2
	s_and_b64 s[34:35], exec, s[34:35]
	s_or_b64 s[12:13], s[34:35], s[12:13]
	s_andn2_b64 s[30:31], s[30:31], exec
	s_and_b64 s[34:35], s[50:51], exec
	s_or_b64 s[30:31], s[30:31], s[34:35]
	s_andn2_b64 exec, exec, s[12:13]
	s_cbranch_execz .LBB222_167
.LBB222_163:                            ;   Parent Loop BB222_18 Depth=1
                                        ; =>  This Inner Loop Header: Depth=2
	v_cmp_gt_u64_e32 vcc, s[64:65], v[6:7]
	s_and_saveexec_b64 s[34:35], vcc
	s_cbranch_execz .LBB222_161
; %bb.164:                              ;   in Loop: Header=BB222_163 Depth=2
	v_mul_lo_u32 v21, v7, s62
	v_mul_lo_u32 v22, v6, s63
	v_mad_u64_u32 v[10:11], s[50:51], v6, s62, 0
	v_add3_u32 v11, v11, v22, v21
	v_lshlrev_b64 v[10:11], 1, v[10:11]
	v_mov_b32_e32 v21, s82
	v_add_co_u32_e32 v10, vcc, s33, v10
	v_addc_co_u32_e32 v11, vcc, v21, v11, vcc
	global_load_ushort v10, v[10:11], off
	s_waitcnt vmcnt(0)
	v_cmp_lt_i16_e32 vcc, -1, v10
	v_cndmask_b32_e32 v11, v33, v34, vcc
	v_lshlrev_b32_e32 v21, 16, v10
	v_xor_b32_sdwa v11, v11, v10 dst_sel:DWORD dst_unused:UNUSED_PAD src0_sel:DWORD src1_sel:WORD_0
	v_cmp_o_f32_e32 vcc, v21, v21
	v_cndmask_b32_e32 v11, v33, v11, vcc
	v_and_b32_e32 v11, v11, v8
	v_cmp_eq_u32_e32 vcc, v11, v9
	s_and_b64 exec, exec, vcc
	s_cbranch_execz .LBB222_161
; %bb.165:                              ;   in Loop: Header=BB222_163 Depth=2
	s_movk_i32 s50, 0x3f80
	v_perm_b32 v10, v10, s50, v37
	ds_write_b32 v3, v10 offset:3072
	s_branch .LBB222_161
.LBB222_166:                            ;   in Loop: Header=BB222_163 Depth=2
	v_add_co_u32_e32 v6, vcc, s83, v6
	v_addc_co_u32_e32 v7, vcc, 0, v7, vcc
	v_cmp_le_u64_e32 vcc, s[10:11], v[6:7]
	s_mov_b64 s[50:51], 0
	s_orn2_b64 s[34:35], vcc, exec
	s_branch .LBB222_162
.LBB222_167:                            ;   in Loop: Header=BB222_18 Depth=1
	s_or_b64 exec, exec, s[12:13]
	s_andn2_b64 s[4:5], s[4:5], exec
	s_and_b64 s[10:11], s[30:31], exec
	v_lshrrev_b32_e32 v10, 16, v10
	s_or_b64 s[4:5], s[4:5], s[10:11]
.LBB222_168:                            ;   in Loop: Header=BB222_18 Depth=1
	s_or_b64 exec, exec, s[8:9]
	s_mov_b64 s[30:31], 0
	s_mov_b64 s[34:35], -1
.LBB222_169:                            ;   in Loop: Header=BB222_18 Depth=1
	s_orn2_b64 s[4:5], s[4:5], exec
.LBB222_170:                            ;   in Loop: Header=BB222_18 Depth=1
	s_or_b64 exec, exec, s[46:47]
	s_mov_b64 s[8:9], 0
	s_and_saveexec_b64 s[46:47], s[4:5]
	s_cbranch_execz .LBB222_279
; %bb.171:                              ;   in Loop: Header=BB222_18 Depth=1
	v_mov_b32_e32 v6, 1
	s_xor_b64 s[10:11], s[48:49], -1
	v_mov_b32_e32 v2, 1
	v_mov_b32_e32 v7, 0
	s_and_saveexec_b64 s[4:5], s[10:11]
	s_cbranch_execz .LBB222_180
; %bb.172:                              ;   in Loop: Header=BB222_18 Depth=1
	v_cmp_ge_u64_e32 vcc, s[24:25], v[4:5]
	s_and_saveexec_b64 s[8:9], vcc
	s_xor_b64 s[8:9], exec, s[8:9]
	s_cbranch_execz .LBB222_177
; %bb.173:                              ;   in Loop: Header=BB222_18 Depth=1
	ds_read_b64 v[6:7], v3 offset:5120
	v_and_b32_e32 v2, s1, v9
	v_lshl_or_b32 v9, 1, s81, v2
	v_or_b32_e32 v8, s0, v8
	s_waitcnt lgkmcnt(0)
	v_cmp_ne_u64_e32 vcc, 0, v[6:7]
	s_cbranch_vccnz .LBB222_177
; %bb.174:                              ;   in Loop: Header=BB222_18 Depth=1
	s_mov_b64 s[10:11], exec
	v_readlane_b32 s12, v48, 32
	v_readlane_b32 s13, v48, 33
	s_and_b64 s[12:13], s[10:11], s[12:13]
	s_mov_b64 exec, s[12:13]
; %bb.175:                              ;   in Loop: Header=BB222_18 Depth=1
	v_mov_b32_e32 v6, s24
	v_mov_b32_e32 v7, s25
	ds_write_b64 v3, v[6:7] offset:5128
; %bb.176:                              ;   in Loop: Header=BB222_18 Depth=1
	s_or_b64 exec, exec, s[10:11]
	s_waitcnt lgkmcnt(0)
	s_barrier
.LBB222_177:                            ;   in Loop: Header=BB222_18 Depth=1
	s_or_saveexec_b64 s[8:9], s[8:9]
	s_mov_b64 s[10:11], 0
	v_mov_b32_e32 v2, 8
	s_xor_b64 exec, exec, s[8:9]
; %bb.178:                              ;   in Loop: Header=BB222_18 Depth=1
	v_subrev_co_u32_e32 v4, vcc, s24, v4
	v_mov_b32_e32 v2, s25
	v_subb_co_u32_e32 v5, vcc, v5, v2, vcc
	v_mov_b32_e32 v2, 0
	s_mov_b64 s[10:11], exec
; %bb.179:                              ;   in Loop: Header=BB222_18 Depth=1
	s_or_b64 exec, exec, s[8:9]
	v_mov_b32_e32 v7, v5
	s_and_b64 s[8:9], s[10:11], exec
	v_mov_b32_e32 v6, v4
.LBB222_180:                            ;   in Loop: Header=BB222_18 Depth=1
	s_or_b64 exec, exec, s[4:5]
	s_mov_b64 s[4:5], -1
                                        ; implicit-def: $sgpr50_sgpr51
                                        ; implicit-def: $sgpr52_sgpr53
	s_and_saveexec_b64 s[48:49], s[8:9]
	s_cbranch_execz .LBB222_278
; %bb.181:                              ;   in Loop: Header=BB222_18 Depth=1
	s_cmp_eq_u64 s[26:27], 1
	v_cmp_eq_u64_e32 vcc, 1, v[6:7]
	s_cselect_b64 s[4:5], -1, 0
	s_and_b64 s[56:57], s[4:5], vcc
	s_mov_b64 s[4:5], -1
                                        ; implicit-def: $sgpr52_sgpr53
                                        ; implicit-def: $sgpr50_sgpr51
	s_and_saveexec_b64 s[54:55], s[56:57]
	s_cbranch_execz .LBB222_215
; %bb.182:                              ;   in Loop: Header=BB222_18 Depth=1
	ds_read_b64 v[4:5], v3 offset:5120
	s_waitcnt lgkmcnt(0)
	s_barrier
	v_readfirstlane_b32 s8, v4
	v_readfirstlane_b32 s9, v5
	s_mov_b64 s[4:5], exec
	v_readlane_b32 s10, v48, 48
	v_readlane_b32 s11, v48, 49
	s_and_b64 s[10:11], s[4:5], s[10:11]
	s_mov_b64 exec, s[10:11]
; %bb.183:                              ;   in Loop: Header=BB222_18 Depth=1
	ds_write_b16 v28, v3
; %bb.184:                              ;   in Loop: Header=BB222_18 Depth=1
	s_or_b64 exec, exec, s[4:5]
	v_and_b32_e32 v4, s1, v9
	v_lshl_or_b32 v9, 2, s81, v4
	v_or_b32_e32 v8, s0, v8
	s_mov_b64 s[50:51], -1
	s_mov_b64 s[52:53], 0
	s_cmp_eq_u64 s[8:9], 0
	s_mov_b64 s[4:5], 0
	s_mov_b64 s[10:11], -1
	s_waitcnt lgkmcnt(0)
	s_barrier
                                        ; implicit-def: $vgpr10
	s_cbranch_scc1 .LBB222_200
; %bb.185:                              ;   in Loop: Header=BB222_18 Depth=1
	v_readlane_b32 s4, v48, 52
	s_add_u32 s58, s8, s4
	v_readlane_b32 s4, v48, 54
	s_addc_u32 s5, s9, s4
	s_mov_b32 s4, s93
	s_cmp_lg_u64 s[4:5], 0
	s_cbranch_scc0 .LBB222_232
; %bb.186:                              ;   in Loop: Header=BB222_18 Depth=1
	v_cvt_f32_u32_e32 v4, s83
	s_sub_u32 s4, 0, s83
	s_subb_u32 s12, 0, 0
	v_mac_f32_e32 v4, 0, v35
	v_rcp_f32_e32 v4, v4
	v_mul_f32_e32 v4, 0x5f7ffffc, v4
	v_mul_f32_e32 v5, 0x2f800000, v4
	v_trunc_f32_e32 v5, v5
	v_mac_f32_e32 v4, 0xcf800000, v5
	v_cvt_u32_f32_e32 v5, v5
	v_cvt_u32_f32_e32 v4, v4
	v_readfirstlane_b32 s13, v5
	v_readfirstlane_b32 s10, v4
	s_mul_i32 s11, s4, s13
	s_mul_hi_u32 s76, s4, s10
	s_mul_i32 s59, s12, s10
	s_add_i32 s11, s76, s11
	s_mul_i32 s77, s4, s10
	s_add_i32 s11, s11, s59
	s_mul_hi_u32 s76, s10, s77
	s_mul_i32 s78, s10, s11
	s_mul_hi_u32 s59, s10, s11
	s_add_u32 s76, s76, s78
	s_addc_u32 s59, 0, s59
	s_mul_hi_u32 s79, s13, s77
	s_mul_i32 s77, s13, s77
	s_add_u32 s76, s76, s77
	s_mul_hi_u32 s78, s13, s11
	s_addc_u32 s59, s59, s79
	s_addc_u32 s76, s78, 0
	s_mul_i32 s11, s13, s11
	s_add_u32 s11, s59, s11
	s_addc_u32 s59, 0, s76
	s_add_u32 s76, s10, s11
	s_cselect_b64 s[10:11], -1, 0
	s_cmp_lg_u64 s[10:11], 0
	s_addc_u32 s13, s13, s59
	s_mul_i32 s10, s4, s13
	s_mul_hi_u32 s11, s4, s76
	s_add_i32 s10, s11, s10
	s_mul_i32 s12, s12, s76
	s_add_i32 s10, s10, s12
	s_mul_i32 s4, s4, s76
	s_mul_hi_u32 s12, s13, s4
	s_mul_i32 s59, s13, s4
	s_mul_i32 s78, s76, s10
	s_mul_hi_u32 s4, s76, s4
	s_mul_hi_u32 s77, s76, s10
	s_add_u32 s4, s4, s78
	s_addc_u32 s77, 0, s77
	s_add_u32 s4, s4, s59
	s_mul_hi_u32 s11, s13, s10
	s_addc_u32 s4, s77, s12
	s_addc_u32 s11, s11, 0
	s_mul_i32 s10, s13, s10
	s_add_u32 s4, s4, s10
	s_addc_u32 s12, 0, s11
	s_add_u32 s4, s76, s4
	s_cselect_b64 s[10:11], -1, 0
	s_cmp_lg_u64 s[10:11], 0
	s_addc_u32 s10, s13, s12
	s_mul_i32 s12, s58, s10
	s_mul_hi_u32 s13, s58, s4
	s_mul_hi_u32 s11, s58, s10
	s_add_u32 s12, s13, s12
	s_addc_u32 s11, 0, s11
	s_mul_hi_u32 s59, s5, s4
	s_mul_i32 s4, s5, s4
	s_add_u32 s4, s12, s4
	s_mul_hi_u32 s13, s5, s10
	s_addc_u32 s4, s11, s59
	s_addc_u32 s11, s13, 0
	s_mul_i32 s10, s5, s10
	s_add_u32 s4, s4, s10
	s_addc_u32 s10, 0, s11
	s_mul_i32 s10, s83, s10
	s_mul_hi_u32 s11, s83, s4
	s_add_i32 s12, s11, s10
	s_mul_i32 s4, s83, s4
	s_sub_u32 s4, s58, s4
	s_cselect_b64 s[10:11], -1, 0
	s_cmp_lg_u64 s[10:11], 0
	s_subb_u32 s12, s5, s12
	s_sub_u32 s13, s4, s83
	s_cselect_b64 s[10:11], -1, 0
	s_cmp_lg_u64 s[10:11], 0
	s_subb_u32 s59, s12, 0
	s_sub_u32 s76, s13, s83
	s_cselect_b64 s[10:11], -1, 0
	s_cmp_lg_u64 s[10:11], 0
	s_subb_u32 s10, s59, 0
	s_cmp_ge_u32 s13, s83
	s_cselect_b32 s11, -1, 0
	s_cmp_eq_u32 s59, 0
	s_cselect_b32 s11, s11, -1
	s_cmp_lg_u32 s11, 0
	s_cselect_b32 s10, s10, s59
	s_cselect_b32 s13, s76, s13
	s_cmp_ge_u32 s4, s83
	s_cselect_b32 s11, -1, 0
	s_cmp_eq_u32 s12, 0
	s_cselect_b32 s11, s11, -1
	s_cmp_lg_u32 s11, 0
	s_cselect_b32 s11, s10, s12
	s_cselect_b32 s10, s13, s4
	s_cbranch_execnz .LBB222_188
.LBB222_187:                            ;   in Loop: Header=BB222_18 Depth=1
	v_cvt_f32_u32_e32 v4, s83
	s_sub_i32 s4, 0, s83
	v_rcp_iflag_f32_e32 v4, v4
	v_mul_f32_e32 v4, 0x4f7ffffe, v4
	v_cvt_u32_f32_e32 v4, v4
	v_readfirstlane_b32 s10, v4
	s_mul_i32 s4, s4, s10
	s_mul_hi_u32 s4, s10, s4
	s_add_i32 s10, s10, s4
	s_mul_hi_u32 s4, s58, s10
	s_mul_i32 s4, s4, s83
	s_sub_i32 s4, s58, s4
	s_sub_i32 s10, s4, s83
	s_cmp_ge_u32 s4, s83
	s_cselect_b32 s4, s10, s4
	s_sub_i32 s10, s4, s83
	s_cmp_ge_u32 s4, s83
	s_cselect_b32 s92, s10, s4
	s_mov_b64 s[10:11], s[92:93]
	v_readlane_b32 s92, v47, 7
.LBB222_188:                            ;   in Loop: Header=BB222_18 Depth=1
	s_sub_u32 s58, s58, s10
	s_subb_u32 s59, s5, s11
	v_cmp_gt_u64_e32 vcc, s[58:59], v[0:1]
	s_mov_b64 s[10:11], 0
	s_mov_b64 s[4:5], 0
                                        ; implicit-def: $vgpr10
	s_and_saveexec_b64 s[12:13], vcc
	s_cbranch_execz .LBB222_199
; %bb.189:                              ;   in Loop: Header=BB222_18 Depth=1
	v_mov_b32_e32 v5, v1
	v_mov_b32_e32 v10, v27
	;; [unrolled: 1-line block ×3, first 2 shown]
                                        ; implicit-def: $sgpr76_sgpr77
	s_branch .LBB222_192
.LBB222_190:                            ;   in Loop: Header=BB222_192 Depth=2
	s_or_b64 exec, exec, s[78:79]
	s_waitcnt lgkmcnt(0)
	s_barrier
	ds_read_b32 v11, v3 offset:3072
	s_mov_b64 s[78:79], -1
	s_mov_b64 s[84:85], -1
	s_waitcnt lgkmcnt(0)
	s_barrier
	v_and_b32_e32 v21, 0x7fff, v11
	v_cmp_ne_u32_e32 vcc, 0, v21
	s_cbranch_vccz .LBB222_195
.LBB222_191:                            ;   in Loop: Header=BB222_192 Depth=2
	s_and_b64 s[78:79], exec, s[78:79]
	s_or_b64 s[4:5], s[78:79], s[4:5]
	s_andn2_b64 s[76:77], s[76:77], exec
	s_and_b64 s[78:79], s[84:85], exec
	s_or_b64 s[76:77], s[76:77], s[78:79]
	s_andn2_b64 exec, exec, s[4:5]
	s_cbranch_execz .LBB222_198
.LBB222_192:                            ;   Parent Loop BB222_18 Depth=1
                                        ; =>  This Inner Loop Header: Depth=2
	v_cmp_gt_u64_e32 vcc, s[8:9], v[4:5]
	s_and_saveexec_b64 s[78:79], vcc
	s_cbranch_execz .LBB222_190
; %bb.193:                              ;   in Loop: Header=BB222_192 Depth=2
	ds_read_u16 v11, v10
	s_waitcnt lgkmcnt(0)
	v_cmp_lt_i16_e32 vcc, -1, v11
	v_cndmask_b32_e32 v21, v33, v34, vcc
	v_lshlrev_b32_e32 v22, 16, v11
	v_cmp_o_f32_e32 vcc, v22, v22
	v_xor_b32_sdwa v21, v21, v11 dst_sel:DWORD dst_unused:UNUSED_PAD src0_sel:DWORD src1_sel:WORD_0
	v_cndmask_b32_e32 v21, v33, v21, vcc
	v_and_b32_e32 v21, v21, v8
	v_cmp_eq_u32_e32 vcc, v21, v9
	s_and_b64 exec, exec, vcc
	s_cbranch_execz .LBB222_190
; %bb.194:                              ;   in Loop: Header=BB222_192 Depth=2
	s_movk_i32 s84, 0x3f80
	v_perm_b32 v11, v11, s84, v37
	ds_write_b32 v3, v11 offset:3072
	s_branch .LBB222_190
.LBB222_195:                            ;   in Loop: Header=BB222_192 Depth=2
	v_add_co_u32_e32 v4, vcc, s83, v4
	v_addc_co_u32_e32 v5, vcc, 0, v5, vcc
	v_cmp_le_u64_e32 vcc, s[58:59], v[4:5]
	v_readlane_b32 s78, v47, 3
	v_add_u32_e32 v10, s78, v10
	s_mov_b64 s[84:85], 0
	s_orn2_b64 s[78:79], vcc, exec
	s_branch .LBB222_191
.LBB222_196:                            ;   in Loop: Header=BB222_18 Depth=1
                                        ; implicit-def: $sgpr10_sgpr11
	s_branch .LBB222_142
.LBB222_197:                            ;   in Loop: Header=BB222_18 Depth=1
                                        ; implicit-def: $sgpr8_sgpr9
	s_branch .LBB222_158
.LBB222_198:                            ;   in Loop: Header=BB222_18 Depth=1
	s_or_b64 exec, exec, s[4:5]
	v_readlane_b32 s84, v47, 5
	v_lshrrev_b32_e32 v10, 16, v11
	s_and_b64 s[4:5], s[76:77], exec
	v_readlane_b32 s85, v47, 6
.LBB222_199:                            ;   in Loop: Header=BB222_18 Depth=1
	s_or_b64 exec, exec, s[12:13]
.LBB222_200:                            ;   in Loop: Header=BB222_18 Depth=1
	s_and_b64 vcc, exec, s[10:11]
	s_cbranch_vccz .LBB222_214
; %bb.201:                              ;   in Loop: Header=BB222_18 Depth=1
	v_readlane_b32 s58, v48, 55
	v_readlane_b32 s59, v48, 56
	s_mov_b32 s58, s93
	s_cmp_lg_u64 s[58:59], 0
	v_writelane_b32 v48, s58, 55
	v_writelane_b32 v48, s59, 56
	s_cbranch_scc0 .LBB222_233
; %bb.202:                              ;   in Loop: Header=BB222_18 Depth=1
	v_cvt_f32_u32_e32 v4, s83
	s_sub_u32 s10, 0, s83
	s_subb_u32 s11, 0, 0
	v_mac_f32_e32 v4, 0, v35
	v_rcp_f32_e32 v4, v4
	v_mul_f32_e32 v4, 0x5f7ffffc, v4
	v_mul_f32_e32 v5, 0x2f800000, v4
	v_trunc_f32_e32 v5, v5
	v_mac_f32_e32 v4, 0xcf800000, v5
	v_cvt_u32_f32_e32 v5, v5
	v_cvt_u32_f32_e32 v4, v4
	v_readfirstlane_b32 s12, v5
	v_readfirstlane_b32 s8, v4
	s_mul_i32 s9, s10, s12
	s_mul_hi_u32 s50, s10, s8
	s_mul_i32 s13, s11, s8
	s_add_i32 s9, s50, s9
	s_mul_i32 s51, s10, s8
	s_add_i32 s9, s9, s13
	s_mul_hi_u32 s50, s8, s51
	s_mul_i32 s52, s8, s9
	s_mul_hi_u32 s13, s8, s9
	s_add_u32 s50, s50, s52
	s_addc_u32 s13, 0, s13
	s_mul_hi_u32 s53, s12, s51
	s_mul_i32 s51, s12, s51
	s_add_u32 s50, s50, s51
	s_mul_hi_u32 s52, s12, s9
	s_addc_u32 s13, s13, s53
	s_addc_u32 s50, s52, 0
	s_mul_i32 s9, s12, s9
	s_add_u32 s9, s13, s9
	s_addc_u32 s13, 0, s50
	s_add_u32 s50, s8, s9
	s_cselect_b64 s[8:9], -1, 0
	s_cmp_lg_u64 s[8:9], 0
	s_addc_u32 s12, s12, s13
	s_mul_i32 s8, s10, s12
	s_mul_hi_u32 s9, s10, s50
	s_add_i32 s8, s9, s8
	s_mul_i32 s11, s11, s50
	s_add_i32 s8, s8, s11
	s_mul_i32 s10, s10, s50
	s_mul_hi_u32 s11, s12, s10
	s_mul_i32 s13, s12, s10
	s_mul_i32 s52, s50, s8
	s_mul_hi_u32 s10, s50, s10
	s_mul_hi_u32 s51, s50, s8
	s_add_u32 s10, s10, s52
	s_addc_u32 s51, 0, s51
	s_add_u32 s10, s10, s13
	s_mul_hi_u32 s9, s12, s8
	s_addc_u32 s10, s51, s11
	s_addc_u32 s9, s9, 0
	s_mul_i32 s8, s12, s8
	s_add_u32 s8, s10, s8
	s_addc_u32 s10, 0, s9
	s_add_u32 s11, s50, s8
	s_cselect_b64 s[8:9], -1, 0
	s_cmp_lg_u64 s[8:9], 0
	s_addc_u32 s8, s12, s10
	v_readlane_b32 s50, v48, 53
	s_mul_i32 s10, s50, s8
	s_mul_hi_u32 s12, s50, s11
	s_mul_hi_u32 s9, s50, s8
	s_add_u32 s10, s12, s10
	s_addc_u32 s9, 0, s9
	s_mul_hi_u32 s13, s59, s11
	s_mul_i32 s11, s59, s11
	s_add_u32 s10, s10, s11
	s_mul_hi_u32 s12, s59, s8
	s_addc_u32 s9, s9, s13
	s_addc_u32 s10, s12, 0
	s_mul_i32 s8, s59, s8
	s_add_u32 s8, s9, s8
	s_addc_u32 s9, 0, s10
	s_mul_i32 s9, s83, s9
	s_mul_hi_u32 s10, s83, s8
	s_add_i32 s10, s10, s9
	s_mul_i32 s8, s83, s8
	s_sub_u32 s11, s50, s8
	s_cselect_b64 s[8:9], -1, 0
	s_cmp_lg_u64 s[8:9], 0
	s_subb_u32 s10, s59, s10
	s_sub_u32 s12, s11, s83
	s_cselect_b64 s[8:9], -1, 0
	s_cmp_lg_u64 s[8:9], 0
	s_subb_u32 s13, s10, 0
	;; [unrolled: 4-line block ×3, first 2 shown]
	s_cmp_ge_u32 s12, s83
	s_cselect_b32 s9, -1, 0
	s_cmp_eq_u32 s13, 0
	s_cselect_b32 s9, s9, -1
	s_cmp_lg_u32 s9, 0
	s_cselect_b32 s8, s8, s13
	s_cselect_b32 s12, s50, s12
	s_cmp_ge_u32 s11, s83
	s_cselect_b32 s9, -1, 0
	s_cmp_eq_u32 s10, 0
	s_cselect_b32 s9, s9, -1
	s_cmp_lg_u32 s9, 0
	s_cselect_b32 s9, s8, s10
	s_cselect_b32 s8, s12, s11
	s_cbranch_execnz .LBB222_204
.LBB222_203:                            ;   in Loop: Header=BB222_18 Depth=1
	v_cvt_f32_u32_e32 v4, s83
	s_sub_i32 s8, 0, s83
	v_readlane_b32 s10, v48, 53
	v_rcp_iflag_f32_e32 v4, v4
	v_mul_f32_e32 v4, 0x4f7ffffe, v4
	v_cvt_u32_f32_e32 v4, v4
	v_readfirstlane_b32 s9, v4
	s_mul_i32 s8, s8, s9
	s_mul_hi_u32 s8, s9, s8
	s_add_i32 s9, s9, s8
	s_mul_hi_u32 s8, s10, s9
	s_mul_i32 s8, s8, s83
	s_sub_i32 s8, s10, s8
	s_sub_i32 s9, s8, s83
	s_cmp_ge_u32 s8, s83
	s_cselect_b32 s8, s9, s8
	s_sub_i32 s9, s8, s83
	s_cmp_ge_u32 s8, s83
	s_cselect_b32 s92, s9, s8
	s_mov_b64 s[8:9], s[92:93]
	v_readlane_b32 s92, v47, 7
.LBB222_204:                            ;   in Loop: Header=BB222_18 Depth=1
	v_readlane_b32 s10, v48, 53
	v_readlane_b32 s12, v48, 55
	s_sub_u32 s10, s10, s8
	v_readlane_b32 s13, v48, 56
	s_subb_u32 s11, s13, s9
	v_cmp_gt_u64_e32 vcc, s[10:11], v[0:1]
                                        ; implicit-def: $vgpr10
	s_and_saveexec_b64 s[8:9], vcc
	s_cbranch_execz .LBB222_213
; %bb.205:                              ;   in Loop: Header=BB222_18 Depth=1
	v_mov_b32_e32 v5, v1
	s_mov_b64 s[12:13], 0
	v_mov_b32_e32 v4, v0
                                        ; implicit-def: $sgpr50_sgpr51
	s_branch .LBB222_208
.LBB222_206:                            ;   in Loop: Header=BB222_208 Depth=2
	s_or_b64 exec, exec, s[52:53]
	s_waitcnt lgkmcnt(0)
	s_barrier
	ds_read_b32 v10, v3 offset:3072
	s_mov_b64 s[52:53], -1
	s_mov_b64 s[58:59], -1
	s_waitcnt lgkmcnt(0)
	s_barrier
	v_and_b32_e32 v11, 0x7fff, v10
	v_cmp_eq_u32_e32 vcc, 0, v11
	s_cbranch_vccnz .LBB222_211
.LBB222_207:                            ;   in Loop: Header=BB222_208 Depth=2
	s_and_b64 s[52:53], exec, s[52:53]
	s_or_b64 s[12:13], s[52:53], s[12:13]
	s_andn2_b64 s[50:51], s[50:51], exec
	s_and_b64 s[52:53], s[58:59], exec
	s_or_b64 s[50:51], s[50:51], s[52:53]
	s_andn2_b64 exec, exec, s[12:13]
	s_cbranch_execz .LBB222_212
.LBB222_208:                            ;   Parent Loop BB222_18 Depth=1
                                        ; =>  This Inner Loop Header: Depth=2
	v_cmp_gt_u64_e32 vcc, s[64:65], v[4:5]
	s_and_saveexec_b64 s[52:53], vcc
	s_cbranch_execz .LBB222_206
; %bb.209:                              ;   in Loop: Header=BB222_208 Depth=2
	v_mul_lo_u32 v21, v5, s62
	v_mul_lo_u32 v22, v4, s63
	v_mad_u64_u32 v[10:11], s[58:59], v4, s62, 0
	v_add3_u32 v11, v11, v22, v21
	v_lshlrev_b64 v[10:11], 1, v[10:11]
	v_mov_b32_e32 v21, s82
	v_add_co_u32_e32 v10, vcc, s33, v10
	v_addc_co_u32_e32 v11, vcc, v21, v11, vcc
	global_load_ushort v10, v[10:11], off
	s_waitcnt vmcnt(0)
	v_cmp_lt_i16_e32 vcc, -1, v10
	v_cndmask_b32_e32 v11, v33, v34, vcc
	v_lshlrev_b32_e32 v21, 16, v10
	v_xor_b32_sdwa v11, v11, v10 dst_sel:DWORD dst_unused:UNUSED_PAD src0_sel:DWORD src1_sel:WORD_0
	v_cmp_o_f32_e32 vcc, v21, v21
	v_cndmask_b32_e32 v11, v33, v11, vcc
	v_and_b32_e32 v11, v11, v8
	v_cmp_eq_u32_e32 vcc, v11, v9
	s_and_b64 exec, exec, vcc
	s_cbranch_execz .LBB222_206
; %bb.210:                              ;   in Loop: Header=BB222_208 Depth=2
	s_movk_i32 s58, 0x3f80
	v_perm_b32 v10, v10, s58, v37
	ds_write_b32 v3, v10 offset:3072
	s_branch .LBB222_206
.LBB222_211:                            ;   in Loop: Header=BB222_208 Depth=2
	v_add_co_u32_e32 v4, vcc, s83, v4
	v_addc_co_u32_e32 v5, vcc, 0, v5, vcc
	v_cmp_le_u64_e32 vcc, s[10:11], v[4:5]
	s_mov_b64 s[58:59], 0
	s_orn2_b64 s[52:53], vcc, exec
	s_branch .LBB222_207
.LBB222_212:                            ;   in Loop: Header=BB222_18 Depth=1
	s_or_b64 exec, exec, s[12:13]
	s_andn2_b64 s[4:5], s[4:5], exec
	s_and_b64 s[10:11], s[50:51], exec
	v_lshrrev_b32_e32 v10, 16, v10
	s_or_b64 s[4:5], s[4:5], s[10:11]
.LBB222_213:                            ;   in Loop: Header=BB222_18 Depth=1
	s_or_b64 exec, exec, s[8:9]
	s_mov_b64 s[50:51], 0
	s_mov_b64 s[52:53], -1
.LBB222_214:                            ;   in Loop: Header=BB222_18 Depth=1
	s_orn2_b64 s[4:5], s[4:5], exec
.LBB222_215:                            ;   in Loop: Header=BB222_18 Depth=1
	s_or_b64 exec, exec, s[54:55]
	s_mov_b64 s[8:9], 0
	s_and_saveexec_b64 s[54:55], s[4:5]
	s_cbranch_execz .LBB222_277
; %bb.216:                              ;   in Loop: Header=BB222_18 Depth=1
	v_mov_b32_e32 v4, 1
	s_xor_b64 s[8:9], s[56:57], -1
	v_mov_b32_e32 v2, 1
	v_mov_b32_e32 v5, 0
	s_mov_b64 s[12:13], 0
	s_and_saveexec_b64 s[4:5], s[8:9]
	s_cbranch_execz .LBB222_225
; %bb.217:                              ;   in Loop: Header=BB222_18 Depth=1
	v_cmp_ge_u64_e32 vcc, s[26:27], v[6:7]
	s_and_saveexec_b64 s[8:9], vcc
	s_xor_b64 s[8:9], exec, s[8:9]
	s_cbranch_execz .LBB222_222
; %bb.218:                              ;   in Loop: Header=BB222_18 Depth=1
	ds_read_b64 v[4:5], v3 offset:5120
	v_and_b32_e32 v2, s1, v9
	v_lshl_or_b32 v9, 2, s81, v2
	v_or_b32_e32 v8, s0, v8
	s_waitcnt lgkmcnt(0)
	v_cmp_ne_u64_e32 vcc, 0, v[4:5]
	s_cbranch_vccnz .LBB222_222
; %bb.219:                              ;   in Loop: Header=BB222_18 Depth=1
	s_mov_b64 s[10:11], exec
	v_readlane_b32 s12, v48, 32
	v_readlane_b32 s13, v48, 33
	s_and_b64 s[12:13], s[10:11], s[12:13]
	s_mov_b64 exec, s[12:13]
; %bb.220:                              ;   in Loop: Header=BB222_18 Depth=1
	v_mov_b32_e32 v4, s26
	v_mov_b32_e32 v5, s27
	ds_write_b64 v3, v[4:5] offset:5128
; %bb.221:                              ;   in Loop: Header=BB222_18 Depth=1
	s_or_b64 exec, exec, s[10:11]
	s_waitcnt lgkmcnt(0)
	s_barrier
.LBB222_222:                            ;   in Loop: Header=BB222_18 Depth=1
	s_or_saveexec_b64 s[8:9], s[8:9]
	s_mov_b64 s[10:11], 0
	v_mov_b32_e32 v2, 8
	s_xor_b64 exec, exec, s[8:9]
; %bb.223:                              ;   in Loop: Header=BB222_18 Depth=1
	v_subrev_co_u32_e32 v6, vcc, s26, v6
	v_mov_b32_e32 v2, s27
	v_subb_co_u32_e32 v7, vcc, v7, v2, vcc
	v_mov_b32_e32 v2, 0
	s_mov_b64 s[10:11], exec
; %bb.224:                              ;   in Loop: Header=BB222_18 Depth=1
	s_or_b64 exec, exec, s[8:9]
	v_mov_b32_e32 v4, v6
	s_and_b64 s[12:13], s[10:11], exec
	v_mov_b32_e32 v5, v7
.LBB222_225:                            ;   in Loop: Header=BB222_18 Depth=1
	s_or_b64 exec, exec, s[4:5]
	s_mov_b64 s[4:5], -1
                                        ; implicit-def: $sgpr10_sgpr11
                                        ; implicit-def: $sgpr8_sgpr9
	s_and_saveexec_b64 s[56:57], s[12:13]
	s_cbranch_execz .LBB222_276
; %bb.226:                              ;   in Loop: Header=BB222_18 Depth=1
	s_cmp_eq_u64 s[28:29], 1
	v_cmp_eq_u64_e32 vcc, 1, v[4:5]
	s_cselect_b64 s[4:5], -1, 0
	s_mov_b64 s[12:13], -1
	s_and_b64 s[4:5], s[4:5], vcc
                                        ; implicit-def: $sgpr10_sgpr11
                                        ; implicit-def: $sgpr8_sgpr9
	s_mov_b64 s[58:59], exec
	v_writelane_b32 v47, s4, 10
	v_writelane_b32 v47, s5, 11
	s_and_b64 s[4:5], s[58:59], s[4:5]
	s_mov_b64 exec, s[4:5]
	s_cbranch_execz .LBB222_264
; %bb.227:                              ;   in Loop: Header=BB222_18 Depth=1
	ds_read_b64 v[6:7], v3 offset:5120
	s_waitcnt lgkmcnt(0)
	s_barrier
	v_readfirstlane_b32 s12, v6
	v_readfirstlane_b32 s13, v7
	s_mov_b64 s[4:5], exec
	v_readlane_b32 s8, v48, 48
	v_readlane_b32 s9, v48, 49
	s_and_b64 s[8:9], s[4:5], s[8:9]
	s_mov_b64 exec, s[8:9]
; %bb.228:                              ;   in Loop: Header=BB222_18 Depth=1
	ds_write_b16 v28, v3
; %bb.229:                              ;   in Loop: Header=BB222_18 Depth=1
	s_or_b64 exec, exec, s[4:5]
	v_or_b32_e32 v9, s0, v9
	v_or_b32_e32 v8, s0, v8
	s_mov_b64 s[8:9], -1
	s_mov_b64 s[10:11], 0
	s_cmp_eq_u64 s[12:13], 0
	s_mov_b64 s[4:5], 0
	s_mov_b64 s[76:77], -1
	s_waitcnt lgkmcnt(0)
	s_barrier
                                        ; implicit-def: $vgpr10
	s_cbranch_scc1 .LBB222_247
; %bb.230:                              ;   in Loop: Header=BB222_18 Depth=1
	v_readlane_b32 s4, v48, 52
	s_add_u32 s78, s12, s4
	v_readlane_b32 s4, v48, 54
	s_addc_u32 s5, s13, s4
	s_mov_b32 s4, s93
	v_writelane_b32 v47, s58, 12
	s_cmp_lg_u64 s[4:5], 0
	v_writelane_b32 v47, s59, 13
	s_cbranch_scc0 .LBB222_234
; %bb.231:                              ;   in Loop: Header=BB222_18 Depth=1
	v_cvt_f32_u32_e32 v6, s83
	s_sub_u32 s4, 0, s83
	s_subb_u32 s76, 0, 0
	v_mac_f32_e32 v6, 0, v35
	v_rcp_f32_e32 v6, v6
	v_mul_f32_e32 v6, 0x5f7ffffc, v6
	v_mul_f32_e32 v7, 0x2f800000, v6
	v_trunc_f32_e32 v7, v7
	v_mac_f32_e32 v6, 0xcf800000, v7
	v_cvt_u32_f32_e32 v7, v7
	v_cvt_u32_f32_e32 v6, v6
	v_readfirstlane_b32 s77, v7
	v_readfirstlane_b32 s58, v6
	s_mul_i32 s59, s4, s77
	s_mul_hi_u32 s84, s4, s58
	s_mul_i32 s79, s76, s58
	s_add_i32 s59, s84, s59
	s_mul_i32 s85, s4, s58
	s_add_i32 s59, s59, s79
	s_mul_hi_u32 s84, s58, s85
	s_mul_i32 s86, s58, s59
	s_mul_hi_u32 s79, s58, s59
	s_add_u32 s84, s84, s86
	s_addc_u32 s79, 0, s79
	s_mul_hi_u32 s87, s77, s85
	s_mul_i32 s85, s77, s85
	s_add_u32 s84, s84, s85
	s_mul_hi_u32 s86, s77, s59
	s_addc_u32 s79, s79, s87
	s_addc_u32 s84, s86, 0
	s_mul_i32 s59, s77, s59
	s_add_u32 s59, s79, s59
	s_addc_u32 s79, 0, s84
	s_add_u32 s84, s58, s59
	s_cselect_b64 s[58:59], -1, 0
	s_cmp_lg_u64 s[58:59], 0
	s_addc_u32 s77, s77, s79
	s_mul_i32 s58, s4, s77
	s_mul_hi_u32 s59, s4, s84
	s_add_i32 s58, s59, s58
	s_mul_i32 s76, s76, s84
	s_add_i32 s58, s58, s76
	s_mul_i32 s4, s4, s84
	s_mul_hi_u32 s76, s77, s4
	s_mul_i32 s79, s77, s4
	s_mul_i32 s86, s84, s58
	s_mul_hi_u32 s4, s84, s4
	s_mul_hi_u32 s85, s84, s58
	s_add_u32 s4, s4, s86
	s_addc_u32 s85, 0, s85
	s_add_u32 s4, s4, s79
	s_mul_hi_u32 s59, s77, s58
	s_addc_u32 s4, s85, s76
	s_addc_u32 s59, s59, 0
	s_mul_i32 s58, s77, s58
	s_add_u32 s4, s4, s58
	s_addc_u32 s76, 0, s59
	s_add_u32 s4, s84, s4
	s_cselect_b64 s[58:59], -1, 0
	s_cmp_lg_u64 s[58:59], 0
	s_addc_u32 s58, s77, s76
	s_mul_i32 s76, s78, s58
	s_mul_hi_u32 s77, s78, s4
	s_mul_hi_u32 s59, s78, s58
	s_add_u32 s76, s77, s76
	s_addc_u32 s59, 0, s59
	s_mul_hi_u32 s79, s5, s4
	s_mul_i32 s4, s5, s4
	s_add_u32 s4, s76, s4
	s_mul_hi_u32 s77, s5, s58
	s_addc_u32 s4, s59, s79
	s_addc_u32 s59, s77, 0
	s_mul_i32 s58, s5, s58
	s_add_u32 s4, s4, s58
	s_addc_u32 s58, 0, s59
	s_mul_i32 s58, s83, s58
	s_mul_hi_u32 s59, s83, s4
	s_add_i32 s76, s59, s58
	s_mul_i32 s4, s83, s4
	s_sub_u32 s4, s78, s4
	s_cselect_b64 s[58:59], -1, 0
	s_cmp_lg_u64 s[58:59], 0
	s_subb_u32 s76, s5, s76
	s_sub_u32 s77, s4, s83
	s_cselect_b64 s[58:59], -1, 0
	s_cmp_lg_u64 s[58:59], 0
	s_subb_u32 s79, s76, 0
	;; [unrolled: 4-line block ×3, first 2 shown]
	s_cmp_ge_u32 s77, s83
	s_cselect_b32 s59, -1, 0
	s_cmp_eq_u32 s79, 0
	s_cselect_b32 s59, s59, -1
	s_cmp_lg_u32 s59, 0
	s_cselect_b32 s58, s58, s79
	s_cselect_b32 s77, s84, s77
	s_cmp_ge_u32 s4, s83
	s_cselect_b32 s59, -1, 0
	s_cmp_eq_u32 s76, 0
	s_cselect_b32 s59, s59, -1
	s_cmp_lg_u32 s59, 0
	s_cselect_b32 s59, s58, s76
	s_cselect_b32 s58, s77, s4
	s_mov_b64 s[76:77], 0
	s_branch .LBB222_235
.LBB222_232:                            ;   in Loop: Header=BB222_18 Depth=1
                                        ; implicit-def: $sgpr10_sgpr11
	s_branch .LBB222_187
.LBB222_233:                            ;   in Loop: Header=BB222_18 Depth=1
                                        ; implicit-def: $sgpr8_sgpr9
	s_branch .LBB222_203
.LBB222_234:                            ;   in Loop: Header=BB222_18 Depth=1
                                        ; implicit-def: $sgpr58_sgpr59
.LBB222_235:                            ;   in Loop: Header=BB222_18 Depth=1
	s_andn2_b64 vcc, exec, s[76:77]
	s_cbranch_vccnz .LBB222_237
; %bb.236:                              ;   in Loop: Header=BB222_18 Depth=1
	v_cvt_f32_u32_e32 v6, s83
	s_sub_i32 s4, 0, s83
	v_rcp_iflag_f32_e32 v6, v6
	v_mul_f32_e32 v6, 0x4f7ffffe, v6
	v_cvt_u32_f32_e32 v6, v6
	v_readfirstlane_b32 s58, v6
	s_mul_i32 s4, s4, s58
	s_mul_hi_u32 s4, s58, s4
	s_add_i32 s58, s58, s4
	s_mul_hi_u32 s4, s78, s58
	s_mul_i32 s4, s4, s83
	s_sub_i32 s4, s78, s4
	s_sub_i32 s58, s4, s83
	s_cmp_ge_u32 s4, s83
	s_cselect_b32 s4, s58, s4
	s_sub_i32 s58, s4, s83
	s_cmp_ge_u32 s4, s83
	s_cselect_b32 s92, s58, s4
	s_mov_b64 s[58:59], s[92:93]
	v_readlane_b32 s92, v47, 7
.LBB222_237:                            ;   in Loop: Header=BB222_18 Depth=1
	s_sub_u32 s84, s78, s58
	s_subb_u32 s85, s5, s59
	v_cmp_gt_u64_e32 vcc, s[84:85], v[0:1]
	s_mov_b64 s[76:77], 0
	s_mov_b64 s[4:5], 0
                                        ; implicit-def: $vgpr10
	s_and_saveexec_b64 s[78:79], vcc
	s_cbranch_execz .LBB222_246
; %bb.238:                              ;   in Loop: Header=BB222_18 Depth=1
	v_mov_b32_e32 v7, v1
	v_mov_b32_e32 v10, v27
	;; [unrolled: 1-line block ×3, first 2 shown]
                                        ; implicit-def: $sgpr94_sgpr95
	s_branch .LBB222_241
.LBB222_239:                            ;   in Loop: Header=BB222_241 Depth=2
	s_or_b64 exec, exec, s[58:59]
	s_waitcnt lgkmcnt(0)
	s_barrier
	ds_read_b32 v11, v3 offset:3072
	s_mov_b64 s[58:59], -1
	s_mov_b64 s[86:87], -1
	s_waitcnt lgkmcnt(0)
	s_barrier
	v_and_b32_e32 v21, 0x7fff, v11
	v_cmp_ne_u32_e32 vcc, 0, v21
	s_cbranch_vccz .LBB222_244
.LBB222_240:                            ;   in Loop: Header=BB222_241 Depth=2
	s_and_b64 s[58:59], exec, s[58:59]
	s_or_b64 s[4:5], s[58:59], s[4:5]
	s_andn2_b64 s[58:59], s[94:95], exec
	s_and_b64 s[86:87], s[86:87], exec
	s_or_b64 s[94:95], s[58:59], s[86:87]
	s_andn2_b64 exec, exec, s[4:5]
	s_cbranch_execz .LBB222_245
.LBB222_241:                            ;   Parent Loop BB222_18 Depth=1
                                        ; =>  This Inner Loop Header: Depth=2
	v_cmp_gt_u64_e32 vcc, s[12:13], v[6:7]
	s_and_saveexec_b64 s[58:59], vcc
	s_cbranch_execz .LBB222_239
; %bb.242:                              ;   in Loop: Header=BB222_241 Depth=2
	ds_read_u16 v11, v10
	s_waitcnt lgkmcnt(0)
	v_cmp_lt_i16_e32 vcc, -1, v11
	v_cndmask_b32_e32 v21, v33, v34, vcc
	v_lshlrev_b32_e32 v22, 16, v11
	v_cmp_o_f32_e32 vcc, v22, v22
	v_xor_b32_sdwa v21, v21, v11 dst_sel:DWORD dst_unused:UNUSED_PAD src0_sel:DWORD src1_sel:WORD_0
	v_cndmask_b32_e32 v21, v33, v21, vcc
	v_and_b32_e32 v21, v21, v8
	v_cmp_eq_u32_e32 vcc, v21, v9
	s_and_b64 exec, exec, vcc
	s_cbranch_execz .LBB222_239
; %bb.243:                              ;   in Loop: Header=BB222_241 Depth=2
	s_movk_i32 s86, 0x3f80
	v_perm_b32 v11, v11, s86, v37
	ds_write_b32 v3, v11 offset:3072
	s_branch .LBB222_239
.LBB222_244:                            ;   in Loop: Header=BB222_241 Depth=2
	v_add_co_u32_e32 v6, vcc, s83, v6
	v_addc_co_u32_e32 v7, vcc, 0, v7, vcc
	v_cmp_le_u64_e32 vcc, s[84:85], v[6:7]
	v_readlane_b32 s58, v47, 3
	v_add_u32_e32 v10, s58, v10
	s_mov_b64 s[86:87], 0
	s_orn2_b64 s[58:59], vcc, exec
	s_branch .LBB222_240
.LBB222_245:                            ;   in Loop: Header=BB222_18 Depth=1
	s_or_b64 exec, exec, s[4:5]
	v_lshrrev_b32_e32 v10, 16, v11
	s_and_b64 s[4:5], s[94:95], exec
.LBB222_246:                            ;   in Loop: Header=BB222_18 Depth=1
	s_or_b64 exec, exec, s[78:79]
	v_readlane_b32 s84, v47, 5
	v_readlane_b32 s58, v47, 12
	;; [unrolled: 1-line block ×3, first 2 shown]
	s_mov_b32 s87, s74
	v_readlane_b32 s59, v47, 13
.LBB222_247:                            ;   in Loop: Header=BB222_18 Depth=1
	s_and_b64 vcc, exec, s[76:77]
	s_cbranch_vccz .LBB222_263
; %bb.248:                              ;   in Loop: Header=BB222_18 Depth=1
	v_readlane_b32 s78, v48, 55
	v_readlane_b32 s79, v48, 56
	s_mov_b32 s78, s93
	s_cmp_lg_u64 s[78:79], 0
	v_writelane_b32 v48, s78, 55
	v_writelane_b32 v48, s79, 56
	s_cbranch_scc0 .LBB222_250
; %bb.249:                              ;   in Loop: Header=BB222_18 Depth=1
	v_cvt_f32_u32_e32 v6, s83
	s_sub_u32 s10, 0, s83
	s_subb_u32 s11, 0, 0
	s_mov_b64 s[94:95], s[58:59]
	v_mac_f32_e32 v6, 0, v35
	v_rcp_f32_e32 v6, v6
	v_mul_f32_e32 v6, 0x5f7ffffc, v6
	v_mul_f32_e32 v7, 0x2f800000, v6
	v_trunc_f32_e32 v7, v7
	v_mac_f32_e32 v6, 0xcf800000, v7
	v_cvt_u32_f32_e32 v7, v7
	v_cvt_u32_f32_e32 v6, v6
	v_readfirstlane_b32 s12, v7
	v_readfirstlane_b32 s8, v6
	s_mul_i32 s9, s10, s12
	s_mul_hi_u32 s58, s10, s8
	s_mul_i32 s13, s11, s8
	s_add_i32 s9, s58, s9
	s_mul_i32 s59, s10, s8
	s_add_i32 s9, s9, s13
	s_mul_hi_u32 s58, s8, s59
	s_mul_i32 s76, s8, s9
	s_mul_hi_u32 s13, s8, s9
	s_add_u32 s58, s58, s76
	s_addc_u32 s13, 0, s13
	s_mul_hi_u32 s77, s12, s59
	s_mul_i32 s59, s12, s59
	s_add_u32 s58, s58, s59
	s_mul_hi_u32 s76, s12, s9
	s_addc_u32 s13, s13, s77
	s_addc_u32 s58, s76, 0
	s_mul_i32 s9, s12, s9
	s_add_u32 s9, s13, s9
	s_addc_u32 s13, 0, s58
	s_add_u32 s58, s8, s9
	s_cselect_b64 s[8:9], -1, 0
	s_cmp_lg_u64 s[8:9], 0
	s_addc_u32 s12, s12, s13
	s_mul_i32 s8, s10, s12
	s_mul_hi_u32 s9, s10, s58
	s_add_i32 s8, s9, s8
	s_mul_i32 s11, s11, s58
	s_add_i32 s8, s8, s11
	s_mul_i32 s10, s10, s58
	s_mul_hi_u32 s11, s12, s10
	s_mul_i32 s13, s12, s10
	s_mul_i32 s76, s58, s8
	s_mul_hi_u32 s10, s58, s10
	s_mul_hi_u32 s59, s58, s8
	s_add_u32 s10, s10, s76
	s_addc_u32 s59, 0, s59
	s_add_u32 s10, s10, s13
	s_mul_hi_u32 s9, s12, s8
	s_addc_u32 s10, s59, s11
	s_addc_u32 s9, s9, 0
	s_mul_i32 s8, s12, s8
	s_add_u32 s8, s10, s8
	s_addc_u32 s10, 0, s9
	s_add_u32 s11, s58, s8
	s_cselect_b64 s[8:9], -1, 0
	s_cmp_lg_u64 s[8:9], 0
	s_addc_u32 s8, s12, s10
	v_readlane_b32 s58, v48, 53
	s_mul_i32 s10, s58, s8
	s_mul_hi_u32 s12, s58, s11
	s_mul_hi_u32 s9, s58, s8
	s_add_u32 s10, s12, s10
	s_addc_u32 s9, 0, s9
	s_mul_hi_u32 s13, s79, s11
	s_mul_i32 s11, s79, s11
	s_add_u32 s10, s10, s11
	s_mul_hi_u32 s12, s79, s8
	s_addc_u32 s9, s9, s13
	s_addc_u32 s10, s12, 0
	s_mul_i32 s8, s79, s8
	s_add_u32 s8, s9, s8
	s_addc_u32 s9, 0, s10
	s_mul_i32 s9, s83, s9
	s_mul_hi_u32 s10, s83, s8
	s_add_i32 s10, s10, s9
	s_mul_i32 s8, s83, s8
	s_sub_u32 s11, s58, s8
	s_cselect_b64 s[8:9], -1, 0
	s_cmp_lg_u64 s[8:9], 0
	s_subb_u32 s10, s79, s10
	s_sub_u32 s12, s11, s83
	s_cselect_b64 s[8:9], -1, 0
	s_cmp_lg_u64 s[8:9], 0
	s_subb_u32 s13, s10, 0
	;; [unrolled: 4-line block ×3, first 2 shown]
	s_cmp_ge_u32 s12, s83
	s_cselect_b32 s9, -1, 0
	s_cmp_eq_u32 s13, 0
	s_cselect_b32 s9, s9, -1
	s_cmp_lg_u32 s9, 0
	s_cselect_b32 s8, s8, s13
	s_cselect_b32 s12, s58, s12
	s_cmp_ge_u32 s11, s83
	s_cselect_b32 s9, -1, 0
	s_cmp_eq_u32 s10, 0
	s_cselect_b32 s9, s9, -1
	s_cmp_lg_u32 s9, 0
	s_mov_b64 s[58:59], s[94:95]
	s_cselect_b32 s9, s8, s10
	s_cselect_b32 s8, s12, s11
	s_mov_b64 s[10:11], 0
	s_branch .LBB222_251
.LBB222_250:                            ;   in Loop: Header=BB222_18 Depth=1
	s_mov_b64 s[10:11], -1
                                        ; implicit-def: $sgpr8_sgpr9
.LBB222_251:                            ;   in Loop: Header=BB222_18 Depth=1
	s_andn2_b64 vcc, exec, s[10:11]
	s_cbranch_vccnz .LBB222_253
; %bb.252:                              ;   in Loop: Header=BB222_18 Depth=1
	v_cvt_f32_u32_e32 v6, s83
	s_sub_i32 s8, 0, s83
	v_readlane_b32 s10, v48, 53
	v_rcp_iflag_f32_e32 v6, v6
	v_mul_f32_e32 v6, 0x4f7ffffe, v6
	v_cvt_u32_f32_e32 v6, v6
	v_readfirstlane_b32 s9, v6
	s_mul_i32 s8, s8, s9
	s_mul_hi_u32 s8, s9, s8
	s_add_i32 s9, s9, s8
	s_mul_hi_u32 s8, s10, s9
	s_mul_i32 s8, s8, s83
	s_sub_i32 s8, s10, s8
	s_sub_i32 s9, s8, s83
	s_cmp_ge_u32 s8, s83
	s_cselect_b32 s8, s9, s8
	s_sub_i32 s9, s8, s83
	s_cmp_ge_u32 s8, s83
	s_cselect_b32 s92, s9, s8
	s_mov_b64 s[8:9], s[92:93]
	v_readlane_b32 s92, v47, 7
.LBB222_253:                            ;   in Loop: Header=BB222_18 Depth=1
	v_readlane_b32 s10, v48, 53
	v_readlane_b32 s12, v48, 55
	s_sub_u32 s10, s10, s8
	v_readlane_b32 s13, v48, 56
	s_subb_u32 s11, s13, s9
	v_cmp_gt_u64_e32 vcc, s[10:11], v[0:1]
                                        ; implicit-def: $vgpr10
	s_and_saveexec_b64 s[8:9], vcc
	s_cbranch_execz .LBB222_262
; %bb.254:                              ;   in Loop: Header=BB222_18 Depth=1
	v_mov_b32_e32 v7, v1
	s_mov_b64 s[94:95], s[58:59]
	s_mov_b64 s[12:13], 0
	v_mov_b32_e32 v6, v0
                                        ; implicit-def: $sgpr76_sgpr77
	s_branch .LBB222_257
.LBB222_255:                            ;   in Loop: Header=BB222_257 Depth=2
	s_or_b64 exec, exec, s[78:79]
	s_waitcnt lgkmcnt(0)
	s_barrier
	ds_read_b32 v10, v3 offset:3072
	s_mov_b64 s[58:59], -1
	s_mov_b64 s[78:79], -1
	s_waitcnt lgkmcnt(0)
	s_barrier
	v_and_b32_e32 v11, 0x7fff, v10
	v_cmp_eq_u32_e32 vcc, 0, v11
	s_cbranch_vccnz .LBB222_260
.LBB222_256:                            ;   in Loop: Header=BB222_257 Depth=2
	s_and_b64 s[58:59], exec, s[58:59]
	s_or_b64 s[12:13], s[58:59], s[12:13]
	s_andn2_b64 s[58:59], s[76:77], exec
	s_and_b64 s[76:77], s[78:79], exec
	s_or_b64 s[76:77], s[58:59], s[76:77]
	s_andn2_b64 exec, exec, s[12:13]
	s_cbranch_execz .LBB222_261
.LBB222_257:                            ;   Parent Loop BB222_18 Depth=1
                                        ; =>  This Inner Loop Header: Depth=2
	v_cmp_gt_u64_e32 vcc, s[64:65], v[6:7]
	s_and_saveexec_b64 s[78:79], vcc
	s_cbranch_execz .LBB222_255
; %bb.258:                              ;   in Loop: Header=BB222_257 Depth=2
	v_mul_lo_u32 v21, v7, s62
	v_mul_lo_u32 v22, v6, s63
	v_mad_u64_u32 v[10:11], s[58:59], v6, s62, 0
	v_add3_u32 v11, v11, v22, v21
	v_lshlrev_b64 v[10:11], 1, v[10:11]
	v_mov_b32_e32 v21, s82
	v_add_co_u32_e32 v10, vcc, s33, v10
	v_addc_co_u32_e32 v11, vcc, v21, v11, vcc
	global_load_ushort v10, v[10:11], off
	s_waitcnt vmcnt(0)
	v_cmp_lt_i16_e32 vcc, -1, v10
	v_cndmask_b32_e32 v11, v33, v34, vcc
	v_lshlrev_b32_e32 v21, 16, v10
	v_xor_b32_sdwa v11, v11, v10 dst_sel:DWORD dst_unused:UNUSED_PAD src0_sel:DWORD src1_sel:WORD_0
	v_cmp_o_f32_e32 vcc, v21, v21
	v_cndmask_b32_e32 v11, v33, v11, vcc
	v_and_b32_e32 v11, v11, v8
	v_cmp_eq_u32_e32 vcc, v11, v9
	s_and_b64 exec, exec, vcc
	s_cbranch_execz .LBB222_255
; %bb.259:                              ;   in Loop: Header=BB222_257 Depth=2
	s_movk_i32 s58, 0x3f80
	v_perm_b32 v10, v10, s58, v37
	ds_write_b32 v3, v10 offset:3072
	s_branch .LBB222_255
.LBB222_260:                            ;   in Loop: Header=BB222_257 Depth=2
	v_add_co_u32_e32 v6, vcc, s83, v6
	v_addc_co_u32_e32 v7, vcc, 0, v7, vcc
	v_cmp_le_u64_e32 vcc, s[10:11], v[6:7]
	s_mov_b64 s[78:79], 0
	s_orn2_b64 s[58:59], vcc, exec
	s_branch .LBB222_256
.LBB222_261:                            ;   in Loop: Header=BB222_18 Depth=1
	s_or_b64 exec, exec, s[12:13]
	s_andn2_b64 s[4:5], s[4:5], exec
	s_and_b64 s[10:11], s[76:77], exec
	v_lshrrev_b32_e32 v10, 16, v10
	s_or_b64 s[4:5], s[4:5], s[10:11]
	s_mov_b64 s[58:59], s[94:95]
.LBB222_262:                            ;   in Loop: Header=BB222_18 Depth=1
	s_or_b64 exec, exec, s[8:9]
	s_mov_b64 s[8:9], 0
	s_mov_b64 s[10:11], -1
.LBB222_263:                            ;   in Loop: Header=BB222_18 Depth=1
	s_orn2_b64 s[12:13], s[4:5], exec
.LBB222_264:                            ;   in Loop: Header=BB222_18 Depth=1
	s_or_b64 exec, exec, s[58:59]
	s_mov_b64 s[58:59], 0
	s_and_saveexec_b64 s[4:5], s[12:13]
	s_cbranch_execz .LBB222_275
; %bb.265:                              ;   in Loop: Header=BB222_18 Depth=1
	v_readlane_b32 s12, v47, 10
	v_readlane_b32 s13, v47, 11
	v_mov_b32_e32 v6, 1
	s_xor_b64 s[58:59], s[12:13], -1
	v_mov_b32_e32 v7, 0
	v_mov_b32_e32 v2, 1
	s_and_saveexec_b64 s[12:13], s[58:59]
	s_cbranch_execz .LBB222_274
; %bb.266:                              ;   in Loop: Header=BB222_18 Depth=1
	v_cmp_ge_u64_e32 vcc, s[28:29], v[4:5]
	s_and_saveexec_b64 s[58:59], vcc
	s_xor_b64 s[58:59], exec, s[58:59]
	s_cbranch_execz .LBB222_271
; %bb.267:                              ;   in Loop: Header=BB222_18 Depth=1
	ds_read_b64 v[6:7], v3 offset:5120
	v_or_b32_e32 v9, s0, v9
	v_or_b32_e32 v8, s0, v8
	s_waitcnt lgkmcnt(0)
	v_cmp_ne_u64_e32 vcc, 0, v[6:7]
	s_cbranch_vccnz .LBB222_271
; %bb.268:                              ;   in Loop: Header=BB222_18 Depth=1
	s_mov_b64 s[76:77], exec
	v_readlane_b32 s78, v48, 32
	v_readlane_b32 s79, v48, 33
	s_and_b64 s[78:79], s[76:77], s[78:79]
	s_mov_b64 exec, s[78:79]
; %bb.269:                              ;   in Loop: Header=BB222_18 Depth=1
	v_mov_b32_e32 v6, s28
	v_mov_b32_e32 v7, s29
	ds_write_b64 v3, v[6:7] offset:5128
; %bb.270:                              ;   in Loop: Header=BB222_18 Depth=1
	s_or_b64 exec, exec, s[76:77]
	s_waitcnt lgkmcnt(0)
	s_barrier
.LBB222_271:                            ;   in Loop: Header=BB222_18 Depth=1
	s_andn2_saveexec_b64 s[58:59], s[58:59]
; %bb.272:                              ;   in Loop: Header=BB222_18 Depth=1
	v_mov_b32_e32 v2, s29
	v_subrev_co_u32_e32 v4, vcc, s28, v4
	v_subb_co_u32_e32 v5, vcc, v5, v2, vcc
; %bb.273:                              ;   in Loop: Header=BB222_18 Depth=1
	s_or_b64 exec, exec, s[58:59]
	v_mov_b32_e32 v7, v5
	v_mov_b32_e32 v2, 8
	;; [unrolled: 1-line block ×3, first 2 shown]
.LBB222_274:                            ;   in Loop: Header=BB222_18 Depth=1
	s_or_b64 exec, exec, s[12:13]
	v_mov_b32_e32 v4, v6
	s_mov_b64 s[58:59], exec
	v_mov_b32_e32 v5, v7
.LBB222_275:                            ;   in Loop: Header=BB222_18 Depth=1
	s_or_b64 exec, exec, s[4:5]
	s_orn2_b64 s[4:5], s[58:59], exec
.LBB222_276:                            ;   in Loop: Header=BB222_18 Depth=1
	s_or_b64 exec, exec, s[56:57]
	s_andn2_b64 s[12:13], s[52:53], exec
	s_and_b64 s[10:11], s[10:11], exec
	s_or_b64 s[52:53], s[12:13], s[10:11]
	s_andn2_b64 s[10:11], s[50:51], exec
	s_and_b64 s[8:9], s[8:9], exec
	v_mov_b32_e32 v7, v5
	s_or_b64 s[50:51], s[10:11], s[8:9]
	s_and_b64 s[8:9], s[4:5], exec
	v_mov_b32_e32 v6, v4
.LBB222_277:                            ;   in Loop: Header=BB222_18 Depth=1
	s_or_b64 exec, exec, s[54:55]
	s_orn2_b64 s[4:5], s[8:9], exec
.LBB222_278:                            ;   in Loop: Header=BB222_18 Depth=1
	s_or_b64 exec, exec, s[48:49]
	s_andn2_b64 s[8:9], s[34:35], exec
	s_and_b64 s[10:11], s[52:53], exec
	s_or_b64 s[34:35], s[8:9], s[10:11]
	s_andn2_b64 s[8:9], s[30:31], exec
	s_and_b64 s[10:11], s[50:51], exec
	v_mov_b32_e32 v4, v6
	s_or_b64 s[30:31], s[8:9], s[10:11]
	s_and_b64 s[8:9], s[4:5], exec
	v_mov_b32_e32 v5, v7
.LBB222_279:                            ;   in Loop: Header=BB222_18 Depth=1
	s_or_b64 exec, exec, s[46:47]
	s_orn2_b64 s[4:5], s[8:9], exec
.LBB222_280:                            ;   in Loop: Header=BB222_18 Depth=1
	s_or_b64 exec, exec, s[6:7]
	s_mov_b64 s[6:7], 0
	s_mov_b64 s[8:9], 0
	s_and_saveexec_b64 s[10:11], s[4:5]
	s_xor_b64 s[4:5], exec, s[10:11]
; %bb.281:                              ;   in Loop: Header=BB222_18 Depth=1
	v_cmp_eq_u32_e32 vcc, 8, v2
	v_cmp_ne_u32_e64 s[6:7], 8, v2
	s_and_b64 s[8:9], s[6:7], exec
	s_and_b64 s[6:7], vcc, exec
; %bb.282:                              ;   in Loop: Header=BB222_18 Depth=1
	s_or_b64 exec, exec, s[4:5]
	s_andn2_b64 s[4:5], s[38:39], exec
	s_and_b64 s[10:11], s[34:35], exec
	s_or_b64 s[38:39], s[4:5], s[10:11]
	s_andn2_b64 s[4:5], s[36:37], exec
	s_and_b64 s[10:11], s[30:31], exec
	s_or_b64 s[36:37], s[4:5], s[10:11]
	s_and_b64 s[30:31], s[8:9], exec
	s_and_b64 s[34:35], s[6:7], exec
.LBB222_283:                            ;   in Loop: Header=BB222_18 Depth=1
	s_or_b64 exec, exec, s[44:45]
.LBB222_284:                            ;   in Loop: Header=BB222_18 Depth=1
	s_and_b64 vcc, exec, s[40:41]
	s_cbranch_vccz .LBB222_300
; %bb.285:                              ;   in Loop: Header=BB222_18 Depth=1
	s_cmp_eq_u64 s[28:29], 1
	s_cselect_b64 s[4:5], -1, 0
	s_and_b64 s[6:7], s[4:5], s[18:19]
	s_mov_b64 s[4:5], -1
                                        ; implicit-def: $sgpr18_sgpr19
                                        ; implicit-def: $sgpr22_sgpr23
	s_and_saveexec_b64 s[36:37], s[6:7]
	s_cbranch_execz .LBB222_318
; %bb.286:                              ;   in Loop: Header=BB222_18 Depth=1
	ds_read_b64 v[4:5], v3 offset:5120
	s_waitcnt lgkmcnt(0)
	s_barrier
	v_readfirstlane_b32 s8, v4
	v_readfirstlane_b32 s9, v5
	s_mov_b64 s[4:5], exec
	v_readlane_b32 s10, v48, 48
	v_readlane_b32 s11, v48, 49
	s_and_b64 s[10:11], s[4:5], s[10:11]
	s_mov_b64 exec, s[10:11]
; %bb.287:                              ;   in Loop: Header=BB222_18 Depth=1
	ds_write_b16 v28, v3
; %bb.288:                              ;   in Loop: Header=BB222_18 Depth=1
	s_or_b64 exec, exec, s[4:5]
	v_or_b32_e32 v30, s0, v30
	v_or_b32_e32 v38, s0, v38
	s_mov_b64 s[22:23], -1
	s_mov_b64 s[18:19], 0
	s_cmp_eq_u64 s[8:9], 0
	s_mov_b64 s[4:5], 0
	s_mov_b64 s[10:11], -1
	s_waitcnt lgkmcnt(0)
	s_barrier
                                        ; implicit-def: $vgpr39
	s_cbranch_scc1 .LBB222_303
; %bb.289:                              ;   in Loop: Header=BB222_18 Depth=1
	v_readlane_b32 s4, v48, 52
	s_add_u32 s38, s8, s4
	v_readlane_b32 s4, v48, 54
	s_addc_u32 s5, s9, s4
	s_mov_b32 s4, s93
	s_cmp_lg_u64 s[4:5], 0
	s_cbranch_scc0 .LBB222_344
; %bb.290:                              ;   in Loop: Header=BB222_18 Depth=1
	v_cvt_f32_u32_e32 v2, s83
	s_sub_u32 s4, 0, s83
	s_subb_u32 s12, 0, 0
	v_mac_f32_e32 v2, 0, v35
	v_rcp_f32_e32 v2, v2
	v_mul_f32_e32 v2, 0x5f7ffffc, v2
	v_mul_f32_e32 v4, 0x2f800000, v2
	v_trunc_f32_e32 v4, v4
	v_mac_f32_e32 v2, 0xcf800000, v4
	v_cvt_u32_f32_e32 v4, v4
	v_cvt_u32_f32_e32 v2, v2
	v_readfirstlane_b32 s13, v4
	v_readfirstlane_b32 s10, v2
	s_mul_i32 s11, s4, s13
	s_mul_hi_u32 s40, s4, s10
	s_mul_i32 s39, s12, s10
	s_add_i32 s11, s40, s11
	s_mul_i32 s41, s4, s10
	s_add_i32 s11, s11, s39
	s_mul_hi_u32 s40, s10, s41
	s_mul_i32 s44, s10, s11
	s_mul_hi_u32 s39, s10, s11
	s_add_u32 s40, s40, s44
	s_addc_u32 s39, 0, s39
	s_mul_hi_u32 s45, s13, s41
	s_mul_i32 s41, s13, s41
	s_add_u32 s40, s40, s41
	s_mul_hi_u32 s44, s13, s11
	s_addc_u32 s39, s39, s45
	s_addc_u32 s40, s44, 0
	s_mul_i32 s11, s13, s11
	s_add_u32 s11, s39, s11
	s_addc_u32 s39, 0, s40
	s_add_u32 s40, s10, s11
	s_cselect_b64 s[10:11], -1, 0
	s_cmp_lg_u64 s[10:11], 0
	s_addc_u32 s13, s13, s39
	s_mul_i32 s10, s4, s13
	s_mul_hi_u32 s11, s4, s40
	s_add_i32 s10, s11, s10
	s_mul_i32 s12, s12, s40
	s_add_i32 s10, s10, s12
	s_mul_i32 s4, s4, s40
	s_mul_hi_u32 s12, s13, s4
	s_mul_i32 s39, s13, s4
	s_mul_i32 s44, s40, s10
	s_mul_hi_u32 s4, s40, s4
	s_mul_hi_u32 s41, s40, s10
	s_add_u32 s4, s4, s44
	s_addc_u32 s41, 0, s41
	s_add_u32 s4, s4, s39
	s_mul_hi_u32 s11, s13, s10
	s_addc_u32 s4, s41, s12
	s_addc_u32 s11, s11, 0
	s_mul_i32 s10, s13, s10
	s_add_u32 s4, s4, s10
	s_addc_u32 s12, 0, s11
	s_add_u32 s4, s40, s4
	s_cselect_b64 s[10:11], -1, 0
	s_cmp_lg_u64 s[10:11], 0
	s_addc_u32 s10, s13, s12
	s_mul_i32 s12, s38, s10
	s_mul_hi_u32 s13, s38, s4
	s_mul_hi_u32 s11, s38, s10
	s_add_u32 s12, s13, s12
	s_addc_u32 s11, 0, s11
	s_mul_hi_u32 s39, s5, s4
	s_mul_i32 s4, s5, s4
	s_add_u32 s4, s12, s4
	s_mul_hi_u32 s13, s5, s10
	s_addc_u32 s4, s11, s39
	s_addc_u32 s11, s13, 0
	s_mul_i32 s10, s5, s10
	s_add_u32 s4, s4, s10
	s_addc_u32 s10, 0, s11
	s_mul_i32 s10, s83, s10
	s_mul_hi_u32 s11, s83, s4
	s_add_i32 s12, s11, s10
	s_mul_i32 s4, s83, s4
	s_sub_u32 s4, s38, s4
	s_cselect_b64 s[10:11], -1, 0
	s_cmp_lg_u64 s[10:11], 0
	s_subb_u32 s12, s5, s12
	s_sub_u32 s13, s4, s83
	s_cselect_b64 s[10:11], -1, 0
	s_cmp_lg_u64 s[10:11], 0
	s_subb_u32 s39, s12, 0
	;; [unrolled: 4-line block ×3, first 2 shown]
	s_cmp_ge_u32 s13, s83
	s_cselect_b32 s11, -1, 0
	s_cmp_eq_u32 s39, 0
	s_cselect_b32 s11, s11, -1
	s_cmp_lg_u32 s11, 0
	s_cselect_b32 s10, s10, s39
	s_cselect_b32 s13, s40, s13
	s_cmp_ge_u32 s4, s83
	s_cselect_b32 s11, -1, 0
	s_cmp_eq_u32 s12, 0
	s_cselect_b32 s11, s11, -1
	s_cmp_lg_u32 s11, 0
	s_cselect_b32 s11, s10, s12
	s_cselect_b32 s10, s13, s4
	s_cbranch_execnz .LBB222_292
.LBB222_291:                            ;   in Loop: Header=BB222_18 Depth=1
	v_cvt_f32_u32_e32 v2, s83
	s_sub_i32 s4, 0, s83
	v_rcp_iflag_f32_e32 v2, v2
	v_mul_f32_e32 v2, 0x4f7ffffe, v2
	v_cvt_u32_f32_e32 v2, v2
	v_readfirstlane_b32 s10, v2
	s_mul_i32 s4, s4, s10
	s_mul_hi_u32 s4, s10, s4
	s_add_i32 s10, s10, s4
	s_mul_hi_u32 s4, s38, s10
	s_mul_i32 s4, s4, s83
	s_sub_i32 s4, s38, s4
	s_sub_i32 s10, s4, s83
	s_cmp_ge_u32 s4, s83
	s_cselect_b32 s4, s10, s4
	s_sub_i32 s10, s4, s83
	s_cmp_ge_u32 s4, s83
	s_cselect_b32 s92, s10, s4
	s_mov_b64 s[10:11], s[92:93]
	v_readlane_b32 s92, v47, 7
.LBB222_292:                            ;   in Loop: Header=BB222_18 Depth=1
	s_sub_u32 s38, s38, s10
	s_subb_u32 s39, s5, s11
	v_cmp_gt_u64_e32 vcc, s[38:39], v[0:1]
	s_mov_b64 s[10:11], 0
	s_mov_b64 s[4:5], 0
                                        ; implicit-def: $vgpr39
	s_and_saveexec_b64 s[12:13], vcc
	s_cbranch_execz .LBB222_302
; %bb.293:                              ;   in Loop: Header=BB222_18 Depth=1
	v_mov_b32_e32 v5, v1
	v_mov_b32_e32 v2, v27
	;; [unrolled: 1-line block ×3, first 2 shown]
                                        ; implicit-def: $sgpr40_sgpr41
	s_branch .LBB222_296
.LBB222_294:                            ;   in Loop: Header=BB222_296 Depth=2
	s_or_b64 exec, exec, s[44:45]
	s_waitcnt lgkmcnt(0)
	s_barrier
	ds_read_b32 v6, v3 offset:3072
	s_mov_b64 s[44:45], -1
	s_mov_b64 s[46:47], -1
	s_waitcnt lgkmcnt(0)
	s_barrier
	v_and_b32_e32 v7, 0x7fff, v6
	v_cmp_ne_u32_e32 vcc, 0, v7
	s_cbranch_vccz .LBB222_299
.LBB222_295:                            ;   in Loop: Header=BB222_296 Depth=2
	s_and_b64 s[44:45], exec, s[44:45]
	s_or_b64 s[4:5], s[44:45], s[4:5]
	s_andn2_b64 s[40:41], s[40:41], exec
	s_and_b64 s[44:45], s[46:47], exec
	s_or_b64 s[40:41], s[40:41], s[44:45]
	s_andn2_b64 exec, exec, s[4:5]
	s_cbranch_execz .LBB222_301
.LBB222_296:                            ;   Parent Loop BB222_18 Depth=1
                                        ; =>  This Inner Loop Header: Depth=2
	v_cmp_gt_u64_e32 vcc, s[8:9], v[4:5]
	s_and_saveexec_b64 s[44:45], vcc
	s_cbranch_execz .LBB222_294
; %bb.297:                              ;   in Loop: Header=BB222_296 Depth=2
	ds_read_u16 v6, v2
	s_waitcnt lgkmcnt(0)
	v_cmp_lt_i16_e32 vcc, -1, v6
	v_cndmask_b32_e32 v7, v33, v34, vcc
	v_lshlrev_b32_e32 v8, 16, v6
	v_cmp_o_f32_e32 vcc, v8, v8
	v_xor_b32_sdwa v7, v7, v6 dst_sel:DWORD dst_unused:UNUSED_PAD src0_sel:DWORD src1_sel:WORD_0
	v_cndmask_b32_e32 v7, v33, v7, vcc
	v_and_b32_e32 v7, v7, v38
	v_cmp_eq_u32_e32 vcc, v7, v30
	s_and_b64 exec, exec, vcc
	s_cbranch_execz .LBB222_294
; %bb.298:                              ;   in Loop: Header=BB222_296 Depth=2
	s_movk_i32 s46, 0x3f80
	v_perm_b32 v6, v6, s46, v37
	ds_write_b32 v3, v6 offset:3072
	s_branch .LBB222_294
.LBB222_299:                            ;   in Loop: Header=BB222_296 Depth=2
	v_add_co_u32_e32 v4, vcc, s83, v4
	v_addc_co_u32_e32 v5, vcc, 0, v5, vcc
	v_cmp_le_u64_e32 vcc, s[38:39], v[4:5]
	v_readlane_b32 s44, v47, 3
	v_add_u32_e32 v2, s44, v2
	s_mov_b64 s[46:47], 0
	s_orn2_b64 s[44:45], vcc, exec
	s_branch .LBB222_295
.LBB222_300:                            ;   in Loop: Header=BB222_18 Depth=1
	s_mov_b64 s[18:19], 0
	v_mov_b32_e32 v30, v9
	v_mov_b32_e32 v38, v8
	;; [unrolled: 1-line block ×3, first 2 shown]
	s_and_saveexec_b64 s[4:5], s[34:35]
	s_cbranch_execnz .LBB222_477
	s_branch .LBB222_478
.LBB222_301:                            ;   in Loop: Header=BB222_18 Depth=1
	s_or_b64 exec, exec, s[4:5]
	v_lshrrev_b32_e32 v39, 16, v6
	s_and_b64 s[4:5], s[40:41], exec
.LBB222_302:                            ;   in Loop: Header=BB222_18 Depth=1
	s_or_b64 exec, exec, s[12:13]
.LBB222_303:                            ;   in Loop: Header=BB222_18 Depth=1
	s_and_b64 vcc, exec, s[10:11]
	s_cbranch_vccz .LBB222_317
; %bb.304:                              ;   in Loop: Header=BB222_18 Depth=1
	v_readlane_b32 s38, v48, 55
	v_readlane_b32 s39, v48, 56
	s_mov_b32 s38, s93
	s_cmp_lg_u64 s[38:39], 0
	v_writelane_b32 v48, s38, 55
	v_writelane_b32 v48, s39, 56
	s_cbranch_scc0 .LBB222_345
; %bb.305:                              ;   in Loop: Header=BB222_18 Depth=1
	v_cvt_f32_u32_e32 v2, s83
	s_sub_u32 s10, 0, s83
	s_subb_u32 s11, 0, 0
	v_mac_f32_e32 v2, 0, v35
	v_rcp_f32_e32 v2, v2
	v_mul_f32_e32 v2, 0x5f7ffffc, v2
	v_mul_f32_e32 v4, 0x2f800000, v2
	v_trunc_f32_e32 v4, v4
	v_mac_f32_e32 v2, 0xcf800000, v4
	v_cvt_u32_f32_e32 v4, v4
	v_cvt_u32_f32_e32 v2, v2
	v_readfirstlane_b32 s12, v4
	v_readfirstlane_b32 s8, v2
	s_mul_i32 s9, s10, s12
	s_mul_hi_u32 s18, s10, s8
	s_mul_i32 s13, s11, s8
	s_add_i32 s9, s18, s9
	s_mul_i32 s19, s10, s8
	s_add_i32 s9, s9, s13
	s_mul_hi_u32 s18, s8, s19
	s_mul_i32 s22, s8, s9
	s_mul_hi_u32 s13, s8, s9
	s_add_u32 s18, s18, s22
	s_addc_u32 s13, 0, s13
	s_mul_hi_u32 s23, s12, s19
	s_mul_i32 s19, s12, s19
	s_add_u32 s18, s18, s19
	s_mul_hi_u32 s22, s12, s9
	s_addc_u32 s13, s13, s23
	s_addc_u32 s18, s22, 0
	s_mul_i32 s9, s12, s9
	s_add_u32 s9, s13, s9
	s_addc_u32 s13, 0, s18
	s_add_u32 s18, s8, s9
	s_cselect_b64 s[8:9], -1, 0
	s_cmp_lg_u64 s[8:9], 0
	s_addc_u32 s12, s12, s13
	s_mul_i32 s8, s10, s12
	s_mul_hi_u32 s9, s10, s18
	s_add_i32 s8, s9, s8
	s_mul_i32 s11, s11, s18
	s_add_i32 s8, s8, s11
	s_mul_i32 s10, s10, s18
	s_mul_hi_u32 s11, s12, s10
	s_mul_i32 s13, s12, s10
	s_mul_i32 s22, s18, s8
	s_mul_hi_u32 s10, s18, s10
	s_mul_hi_u32 s19, s18, s8
	s_add_u32 s10, s10, s22
	s_addc_u32 s19, 0, s19
	s_add_u32 s10, s10, s13
	s_mul_hi_u32 s9, s12, s8
	s_addc_u32 s10, s19, s11
	s_addc_u32 s9, s9, 0
	s_mul_i32 s8, s12, s8
	s_add_u32 s8, s10, s8
	s_addc_u32 s10, 0, s9
	s_add_u32 s11, s18, s8
	s_cselect_b64 s[8:9], -1, 0
	s_cmp_lg_u64 s[8:9], 0
	s_addc_u32 s8, s12, s10
	v_readlane_b32 s18, v48, 53
	s_mul_i32 s10, s18, s8
	s_mul_hi_u32 s12, s18, s11
	s_mul_hi_u32 s9, s18, s8
	s_add_u32 s10, s12, s10
	s_addc_u32 s9, 0, s9
	s_mul_hi_u32 s13, s39, s11
	s_mul_i32 s11, s39, s11
	s_add_u32 s10, s10, s11
	s_mul_hi_u32 s12, s39, s8
	s_addc_u32 s9, s9, s13
	s_addc_u32 s10, s12, 0
	s_mul_i32 s8, s39, s8
	s_add_u32 s8, s9, s8
	s_addc_u32 s9, 0, s10
	s_mul_i32 s9, s83, s9
	s_mul_hi_u32 s10, s83, s8
	s_add_i32 s10, s10, s9
	s_mul_i32 s8, s83, s8
	s_sub_u32 s11, s18, s8
	s_cselect_b64 s[8:9], -1, 0
	s_cmp_lg_u64 s[8:9], 0
	s_subb_u32 s10, s39, s10
	s_sub_u32 s12, s11, s83
	s_cselect_b64 s[8:9], -1, 0
	s_cmp_lg_u64 s[8:9], 0
	s_subb_u32 s13, s10, 0
	;; [unrolled: 4-line block ×3, first 2 shown]
	s_cmp_ge_u32 s12, s83
	s_cselect_b32 s9, -1, 0
	s_cmp_eq_u32 s13, 0
	s_cselect_b32 s9, s9, -1
	s_cmp_lg_u32 s9, 0
	s_cselect_b32 s8, s8, s13
	s_cselect_b32 s12, s18, s12
	s_cmp_ge_u32 s11, s83
	s_cselect_b32 s9, -1, 0
	s_cmp_eq_u32 s10, 0
	s_cselect_b32 s9, s9, -1
	s_cmp_lg_u32 s9, 0
	s_cselect_b32 s9, s8, s10
	s_cselect_b32 s8, s12, s11
	s_cbranch_execnz .LBB222_307
.LBB222_306:                            ;   in Loop: Header=BB222_18 Depth=1
	v_cvt_f32_u32_e32 v2, s83
	s_sub_i32 s8, 0, s83
	v_readlane_b32 s10, v48, 53
	v_rcp_iflag_f32_e32 v2, v2
	v_mul_f32_e32 v2, 0x4f7ffffe, v2
	v_cvt_u32_f32_e32 v2, v2
	v_readfirstlane_b32 s9, v2
	s_mul_i32 s8, s8, s9
	s_mul_hi_u32 s8, s9, s8
	s_add_i32 s9, s9, s8
	s_mul_hi_u32 s8, s10, s9
	s_mul_i32 s8, s8, s83
	s_sub_i32 s8, s10, s8
	s_sub_i32 s9, s8, s83
	s_cmp_ge_u32 s8, s83
	s_cselect_b32 s8, s9, s8
	s_sub_i32 s9, s8, s83
	s_cmp_ge_u32 s8, s83
	s_cselect_b32 s92, s9, s8
	s_mov_b64 s[8:9], s[92:93]
	v_readlane_b32 s92, v47, 7
.LBB222_307:                            ;   in Loop: Header=BB222_18 Depth=1
	v_readlane_b32 s10, v48, 53
	v_readlane_b32 s12, v48, 55
	s_sub_u32 s10, s10, s8
	v_readlane_b32 s13, v48, 56
	s_subb_u32 s11, s13, s9
	v_cmp_gt_u64_e32 vcc, s[10:11], v[0:1]
                                        ; implicit-def: $vgpr39
	s_and_saveexec_b64 s[8:9], vcc
	s_cbranch_execz .LBB222_316
; %bb.308:                              ;   in Loop: Header=BB222_18 Depth=1
	v_mov_b32_e32 v5, v1
	s_mov_b64 s[12:13], 0
	v_mov_b32_e32 v4, v0
                                        ; implicit-def: $sgpr18_sgpr19
	s_branch .LBB222_311
.LBB222_309:                            ;   in Loop: Header=BB222_311 Depth=2
	s_or_b64 exec, exec, s[22:23]
	s_waitcnt lgkmcnt(0)
	s_barrier
	ds_read_b32 v2, v3 offset:3072
	s_mov_b64 s[22:23], -1
	s_mov_b64 s[38:39], -1
	s_waitcnt lgkmcnt(0)
	s_barrier
	v_and_b32_e32 v6, 0x7fff, v2
	v_cmp_ne_u32_e32 vcc, 0, v6
	s_cbranch_vccz .LBB222_314
.LBB222_310:                            ;   in Loop: Header=BB222_311 Depth=2
	s_and_b64 s[22:23], exec, s[22:23]
	s_or_b64 s[12:13], s[22:23], s[12:13]
	s_andn2_b64 s[18:19], s[18:19], exec
	s_and_b64 s[22:23], s[38:39], exec
	s_or_b64 s[18:19], s[18:19], s[22:23]
	s_andn2_b64 exec, exec, s[12:13]
	s_cbranch_execz .LBB222_315
.LBB222_311:                            ;   Parent Loop BB222_18 Depth=1
                                        ; =>  This Inner Loop Header: Depth=2
	v_cmp_gt_u64_e32 vcc, s[64:65], v[4:5]
	s_and_saveexec_b64 s[22:23], vcc
	s_cbranch_execz .LBB222_309
; %bb.312:                              ;   in Loop: Header=BB222_311 Depth=2
	v_mul_lo_u32 v2, v5, s62
	v_mul_lo_u32 v8, v4, s63
	v_mad_u64_u32 v[6:7], s[38:39], v4, s62, 0
	v_add3_u32 v7, v7, v8, v2
	v_lshlrev_b64 v[6:7], 1, v[6:7]
	v_mov_b32_e32 v2, s82
	v_add_co_u32_e32 v6, vcc, s33, v6
	v_addc_co_u32_e32 v7, vcc, v2, v7, vcc
	global_load_ushort v2, v[6:7], off
	s_waitcnt vmcnt(0)
	v_cmp_lt_i16_e32 vcc, -1, v2
	v_cndmask_b32_e32 v6, v33, v34, vcc
	v_lshlrev_b32_e32 v7, 16, v2
	v_xor_b32_sdwa v6, v6, v2 dst_sel:DWORD dst_unused:UNUSED_PAD src0_sel:DWORD src1_sel:WORD_0
	v_cmp_o_f32_e32 vcc, v7, v7
	v_cndmask_b32_e32 v6, v33, v6, vcc
	v_and_b32_e32 v6, v6, v38
	v_cmp_eq_u32_e32 vcc, v6, v30
	s_and_b64 exec, exec, vcc
	s_cbranch_execz .LBB222_309
; %bb.313:                              ;   in Loop: Header=BB222_311 Depth=2
	s_movk_i32 s38, 0x3f80
	v_perm_b32 v2, v2, s38, v37
	ds_write_b32 v3, v2 offset:3072
	s_branch .LBB222_309
.LBB222_314:                            ;   in Loop: Header=BB222_311 Depth=2
	v_add_co_u32_e32 v4, vcc, s83, v4
	v_addc_co_u32_e32 v5, vcc, 0, v5, vcc
	v_cmp_le_u64_e32 vcc, s[10:11], v[4:5]
	s_mov_b64 s[38:39], 0
	s_orn2_b64 s[22:23], vcc, exec
	s_branch .LBB222_310
.LBB222_315:                            ;   in Loop: Header=BB222_18 Depth=1
	s_or_b64 exec, exec, s[12:13]
	s_andn2_b64 s[4:5], s[4:5], exec
	s_and_b64 s[10:11], s[18:19], exec
	v_lshrrev_b32_e32 v39, 16, v2
	s_or_b64 s[4:5], s[4:5], s[10:11]
.LBB222_316:                            ;   in Loop: Header=BB222_18 Depth=1
	s_or_b64 exec, exec, s[8:9]
	s_mov_b64 s[22:23], 0
	s_mov_b64 s[18:19], -1
.LBB222_317:                            ;   in Loop: Header=BB222_18 Depth=1
	s_orn2_b64 s[4:5], s[4:5], exec
.LBB222_318:                            ;   in Loop: Header=BB222_18 Depth=1
	s_or_b64 exec, exec, s[36:37]
                                        ; implicit-def: $vgpr4_vgpr5
                                        ; implicit-def: $vgpr2
	s_and_saveexec_b64 s[36:37], s[4:5]
	s_cbranch_execz .LBB222_476
; %bb.319:                              ;   in Loop: Header=BB222_18 Depth=1
	v_mov_b32_e32 v4, 1
	s_xor_b64 s[8:9], s[6:7], -1
	v_mov_b32_e32 v2, 1
	v_mov_b32_e32 v5, 0
	s_mov_b64 s[6:7], 0
	s_and_saveexec_b64 s[4:5], s[8:9]
	s_cbranch_execz .LBB222_328
; %bb.320:                              ;   in Loop: Header=BB222_18 Depth=1
	v_cmp_ge_u64_e32 vcc, s[28:29], v[19:20]
	s_and_saveexec_b64 s[6:7], vcc
	s_xor_b64 s[6:7], exec, s[6:7]
	s_cbranch_execz .LBB222_325
; %bb.321:                              ;   in Loop: Header=BB222_18 Depth=1
	ds_read_b64 v[4:5], v3 offset:5120
	v_or_b32_e32 v30, s0, v30
	v_or_b32_e32 v38, s0, v38
	s_waitcnt lgkmcnt(0)
	v_cmp_ne_u64_e32 vcc, 0, v[4:5]
	s_cbranch_vccnz .LBB222_325
; %bb.322:                              ;   in Loop: Header=BB222_18 Depth=1
	s_mov_b64 s[8:9], exec
	v_readlane_b32 s10, v48, 32
	v_readlane_b32 s11, v48, 33
	s_and_b64 s[10:11], s[8:9], s[10:11]
	s_mov_b64 exec, s[10:11]
; %bb.323:                              ;   in Loop: Header=BB222_18 Depth=1
	v_mov_b32_e32 v4, s28
	v_mov_b32_e32 v5, s29
	ds_write_b64 v3, v[4:5] offset:5128
; %bb.324:                              ;   in Loop: Header=BB222_18 Depth=1
	s_or_b64 exec, exec, s[8:9]
	s_waitcnt lgkmcnt(0)
	s_barrier
.LBB222_325:                            ;   in Loop: Header=BB222_18 Depth=1
	s_or_saveexec_b64 s[6:7], s[6:7]
	s_mov_b64 s[8:9], 0
	v_mov_b32_e32 v2, 5
	s_xor_b64 exec, exec, s[6:7]
; %bb.326:                              ;   in Loop: Header=BB222_18 Depth=1
	v_subrev_co_u32_e32 v19, vcc, s28, v19
	v_mov_b32_e32 v2, s29
	v_subb_co_u32_e32 v20, vcc, v20, v2, vcc
	v_mov_b32_e32 v2, 0
	s_mov_b64 s[8:9], exec
; %bb.327:                              ;   in Loop: Header=BB222_18 Depth=1
	s_or_b64 exec, exec, s[6:7]
	v_mov_b32_e32 v4, v19
	s_and_b64 s[6:7], s[8:9], exec
	v_mov_b32_e32 v5, v20
.LBB222_328:                            ;   in Loop: Header=BB222_18 Depth=1
	s_or_b64 exec, exec, s[4:5]
	s_mov_b64 s[4:5], -1
                                        ; implicit-def: $sgpr28_sgpr29
                                        ; implicit-def: $sgpr38_sgpr39
	s_and_saveexec_b64 s[8:9], s[6:7]
	s_xor_b64 s[6:7], exec, s[8:9]
	s_cbranch_execz .LBB222_473
; %bb.329:                              ;   in Loop: Header=BB222_18 Depth=1
	s_cmp_eq_u64 s[26:27], 1
	v_cmp_eq_u64_e32 vcc, 1, v[4:5]
	s_cselect_b64 s[4:5], -1, 0
	s_and_b64 s[44:45], s[4:5], vcc
	s_mov_b64 s[4:5], -1
                                        ; implicit-def: $sgpr38_sgpr39
                                        ; implicit-def: $sgpr28_sgpr29
	s_and_saveexec_b64 s[40:41], s[44:45]
	s_cbranch_execz .LBB222_363
; %bb.330:                              ;   in Loop: Header=BB222_18 Depth=1
	ds_read_b64 v[6:7], v3 offset:5120
	s_waitcnt lgkmcnt(0)
	s_barrier
	v_readfirstlane_b32 s8, v6
	v_readfirstlane_b32 s9, v7
	s_mov_b64 s[4:5], exec
	v_readlane_b32 s10, v48, 48
	v_readlane_b32 s11, v48, 49
	s_and_b64 s[10:11], s[4:5], s[10:11]
	s_mov_b64 exec, s[10:11]
; %bb.331:                              ;   in Loop: Header=BB222_18 Depth=1
	ds_write_b16 v28, v3
; %bb.332:                              ;   in Loop: Header=BB222_18 Depth=1
	s_or_b64 exec, exec, s[4:5]
	v_and_b32_e32 v6, s1, v30
	v_lshl_or_b32 v30, 2, s81, v6
	v_or_b32_e32 v38, s0, v38
	s_mov_b64 s[28:29], -1
	s_mov_b64 s[38:39], 0
	s_cmp_eq_u64 s[8:9], 0
	s_mov_b64 s[4:5], 0
	s_mov_b64 s[10:11], -1
	s_waitcnt lgkmcnt(0)
	s_barrier
                                        ; implicit-def: $vgpr39
	s_cbranch_scc1 .LBB222_348
; %bb.333:                              ;   in Loop: Header=BB222_18 Depth=1
	v_readlane_b32 s4, v48, 52
	s_add_u32 s46, s8, s4
	v_readlane_b32 s4, v48, 54
	s_addc_u32 s5, s9, s4
	s_mov_b32 s4, s93
	s_cmp_lg_u64 s[4:5], 0
	s_cbranch_scc0 .LBB222_389
; %bb.334:                              ;   in Loop: Header=BB222_18 Depth=1
	v_cvt_f32_u32_e32 v6, s83
	s_sub_u32 s4, 0, s83
	s_subb_u32 s12, 0, 0
	v_mac_f32_e32 v6, 0, v35
	v_rcp_f32_e32 v6, v6
	v_mul_f32_e32 v6, 0x5f7ffffc, v6
	v_mul_f32_e32 v7, 0x2f800000, v6
	v_trunc_f32_e32 v7, v7
	v_mac_f32_e32 v6, 0xcf800000, v7
	v_cvt_u32_f32_e32 v7, v7
	v_cvt_u32_f32_e32 v6, v6
	v_readfirstlane_b32 s13, v7
	v_readfirstlane_b32 s10, v6
	s_mul_i32 s11, s4, s13
	s_mul_hi_u32 s48, s4, s10
	s_mul_i32 s47, s12, s10
	s_add_i32 s11, s48, s11
	s_mul_i32 s49, s4, s10
	s_add_i32 s11, s11, s47
	s_mul_hi_u32 s48, s10, s49
	s_mul_i32 s50, s10, s11
	s_mul_hi_u32 s47, s10, s11
	s_add_u32 s48, s48, s50
	s_addc_u32 s47, 0, s47
	s_mul_hi_u32 s51, s13, s49
	s_mul_i32 s49, s13, s49
	s_add_u32 s48, s48, s49
	s_mul_hi_u32 s50, s13, s11
	s_addc_u32 s47, s47, s51
	s_addc_u32 s48, s50, 0
	s_mul_i32 s11, s13, s11
	s_add_u32 s11, s47, s11
	s_addc_u32 s47, 0, s48
	s_add_u32 s48, s10, s11
	s_cselect_b64 s[10:11], -1, 0
	s_cmp_lg_u64 s[10:11], 0
	s_addc_u32 s13, s13, s47
	s_mul_i32 s10, s4, s13
	s_mul_hi_u32 s11, s4, s48
	s_add_i32 s10, s11, s10
	s_mul_i32 s12, s12, s48
	s_add_i32 s10, s10, s12
	s_mul_i32 s4, s4, s48
	s_mul_hi_u32 s12, s13, s4
	s_mul_i32 s47, s13, s4
	s_mul_i32 s50, s48, s10
	s_mul_hi_u32 s4, s48, s4
	s_mul_hi_u32 s49, s48, s10
	s_add_u32 s4, s4, s50
	s_addc_u32 s49, 0, s49
	s_add_u32 s4, s4, s47
	s_mul_hi_u32 s11, s13, s10
	s_addc_u32 s4, s49, s12
	s_addc_u32 s11, s11, 0
	s_mul_i32 s10, s13, s10
	s_add_u32 s4, s4, s10
	s_addc_u32 s12, 0, s11
	s_add_u32 s4, s48, s4
	s_cselect_b64 s[10:11], -1, 0
	s_cmp_lg_u64 s[10:11], 0
	s_addc_u32 s10, s13, s12
	s_mul_i32 s12, s46, s10
	s_mul_hi_u32 s13, s46, s4
	s_mul_hi_u32 s11, s46, s10
	s_add_u32 s12, s13, s12
	s_addc_u32 s11, 0, s11
	s_mul_hi_u32 s47, s5, s4
	s_mul_i32 s4, s5, s4
	s_add_u32 s4, s12, s4
	s_mul_hi_u32 s13, s5, s10
	s_addc_u32 s4, s11, s47
	s_addc_u32 s11, s13, 0
	s_mul_i32 s10, s5, s10
	s_add_u32 s4, s4, s10
	s_addc_u32 s10, 0, s11
	s_mul_i32 s10, s83, s10
	s_mul_hi_u32 s11, s83, s4
	s_add_i32 s12, s11, s10
	s_mul_i32 s4, s83, s4
	s_sub_u32 s4, s46, s4
	s_cselect_b64 s[10:11], -1, 0
	s_cmp_lg_u64 s[10:11], 0
	s_subb_u32 s12, s5, s12
	s_sub_u32 s13, s4, s83
	s_cselect_b64 s[10:11], -1, 0
	s_cmp_lg_u64 s[10:11], 0
	s_subb_u32 s47, s12, 0
	;; [unrolled: 4-line block ×3, first 2 shown]
	s_cmp_ge_u32 s13, s83
	s_cselect_b32 s11, -1, 0
	s_cmp_eq_u32 s47, 0
	s_cselect_b32 s11, s11, -1
	s_cmp_lg_u32 s11, 0
	s_cselect_b32 s10, s10, s47
	s_cselect_b32 s13, s48, s13
	s_cmp_ge_u32 s4, s83
	s_cselect_b32 s11, -1, 0
	s_cmp_eq_u32 s12, 0
	s_cselect_b32 s11, s11, -1
	s_cmp_lg_u32 s11, 0
	s_cselect_b32 s11, s10, s12
	s_cselect_b32 s10, s13, s4
	s_cbranch_execnz .LBB222_336
.LBB222_335:                            ;   in Loop: Header=BB222_18 Depth=1
	v_cvt_f32_u32_e32 v6, s83
	s_sub_i32 s4, 0, s83
	v_rcp_iflag_f32_e32 v6, v6
	v_mul_f32_e32 v6, 0x4f7ffffe, v6
	v_cvt_u32_f32_e32 v6, v6
	v_readfirstlane_b32 s10, v6
	s_mul_i32 s4, s4, s10
	s_mul_hi_u32 s4, s10, s4
	s_add_i32 s10, s10, s4
	s_mul_hi_u32 s4, s46, s10
	s_mul_i32 s4, s4, s83
	s_sub_i32 s4, s46, s4
	s_sub_i32 s10, s4, s83
	s_cmp_ge_u32 s4, s83
	s_cselect_b32 s4, s10, s4
	s_sub_i32 s10, s4, s83
	s_cmp_ge_u32 s4, s83
	s_cselect_b32 s92, s10, s4
	s_mov_b64 s[10:11], s[92:93]
	v_readlane_b32 s92, v47, 7
.LBB222_336:                            ;   in Loop: Header=BB222_18 Depth=1
	s_sub_u32 s46, s46, s10
	s_subb_u32 s47, s5, s11
	v_cmp_gt_u64_e32 vcc, s[46:47], v[0:1]
	s_mov_b64 s[10:11], 0
	s_mov_b64 s[4:5], 0
                                        ; implicit-def: $vgpr39
	s_and_saveexec_b64 s[12:13], vcc
	s_cbranch_execz .LBB222_347
; %bb.337:                              ;   in Loop: Header=BB222_18 Depth=1
	v_mov_b32_e32 v7, v1
	v_mov_b32_e32 v8, v27
	;; [unrolled: 1-line block ×3, first 2 shown]
                                        ; implicit-def: $sgpr48_sgpr49
	s_branch .LBB222_340
.LBB222_338:                            ;   in Loop: Header=BB222_340 Depth=2
	s_or_b64 exec, exec, s[50:51]
	s_waitcnt lgkmcnt(0)
	s_barrier
	ds_read_b32 v9, v3 offset:3072
	s_mov_b64 s[50:51], -1
	s_mov_b64 s[52:53], -1
	s_waitcnt lgkmcnt(0)
	s_barrier
	v_and_b32_e32 v10, 0x7fff, v9
	v_cmp_ne_u32_e32 vcc, 0, v10
	s_cbranch_vccz .LBB222_343
.LBB222_339:                            ;   in Loop: Header=BB222_340 Depth=2
	s_and_b64 s[50:51], exec, s[50:51]
	s_or_b64 s[4:5], s[50:51], s[4:5]
	s_andn2_b64 s[48:49], s[48:49], exec
	s_and_b64 s[50:51], s[52:53], exec
	s_or_b64 s[48:49], s[48:49], s[50:51]
	s_andn2_b64 exec, exec, s[4:5]
	s_cbranch_execz .LBB222_346
.LBB222_340:                            ;   Parent Loop BB222_18 Depth=1
                                        ; =>  This Inner Loop Header: Depth=2
	v_cmp_gt_u64_e32 vcc, s[8:9], v[6:7]
	s_and_saveexec_b64 s[50:51], vcc
	s_cbranch_execz .LBB222_338
; %bb.341:                              ;   in Loop: Header=BB222_340 Depth=2
	ds_read_u16 v9, v8
	s_waitcnt lgkmcnt(0)
	v_cmp_lt_i16_e32 vcc, -1, v9
	v_cndmask_b32_e32 v10, v33, v34, vcc
	v_lshlrev_b32_e32 v11, 16, v9
	v_cmp_o_f32_e32 vcc, v11, v11
	v_xor_b32_sdwa v10, v10, v9 dst_sel:DWORD dst_unused:UNUSED_PAD src0_sel:DWORD src1_sel:WORD_0
	v_cndmask_b32_e32 v10, v33, v10, vcc
	v_and_b32_e32 v10, v10, v38
	v_cmp_eq_u32_e32 vcc, v10, v30
	s_and_b64 exec, exec, vcc
	s_cbranch_execz .LBB222_338
; %bb.342:                              ;   in Loop: Header=BB222_340 Depth=2
	s_movk_i32 s52, 0x3f80
	v_perm_b32 v9, v9, s52, v37
	ds_write_b32 v3, v9 offset:3072
	s_branch .LBB222_338
.LBB222_343:                            ;   in Loop: Header=BB222_340 Depth=2
	v_add_co_u32_e32 v6, vcc, s83, v6
	v_addc_co_u32_e32 v7, vcc, 0, v7, vcc
	v_cmp_le_u64_e32 vcc, s[46:47], v[6:7]
	v_readlane_b32 s50, v47, 3
	v_add_u32_e32 v8, s50, v8
	s_mov_b64 s[52:53], 0
	s_orn2_b64 s[50:51], vcc, exec
	s_branch .LBB222_339
.LBB222_344:                            ;   in Loop: Header=BB222_18 Depth=1
                                        ; implicit-def: $sgpr10_sgpr11
	s_branch .LBB222_291
.LBB222_345:                            ;   in Loop: Header=BB222_18 Depth=1
                                        ; implicit-def: $sgpr8_sgpr9
	s_branch .LBB222_306
.LBB222_346:                            ;   in Loop: Header=BB222_18 Depth=1
	s_or_b64 exec, exec, s[4:5]
	v_lshrrev_b32_e32 v39, 16, v9
	s_and_b64 s[4:5], s[48:49], exec
.LBB222_347:                            ;   in Loop: Header=BB222_18 Depth=1
	s_or_b64 exec, exec, s[12:13]
.LBB222_348:                            ;   in Loop: Header=BB222_18 Depth=1
	s_and_b64 vcc, exec, s[10:11]
	s_cbranch_vccz .LBB222_362
; %bb.349:                              ;   in Loop: Header=BB222_18 Depth=1
	v_readlane_b32 s46, v48, 55
	v_readlane_b32 s47, v48, 56
	s_mov_b32 s46, s93
	s_cmp_lg_u64 s[46:47], 0
	v_writelane_b32 v48, s46, 55
	v_writelane_b32 v48, s47, 56
	s_cbranch_scc0 .LBB222_390
; %bb.350:                              ;   in Loop: Header=BB222_18 Depth=1
	v_cvt_f32_u32_e32 v6, s83
	s_sub_u32 s10, 0, s83
	s_subb_u32 s11, 0, 0
	v_mac_f32_e32 v6, 0, v35
	v_rcp_f32_e32 v6, v6
	v_mul_f32_e32 v6, 0x5f7ffffc, v6
	v_mul_f32_e32 v7, 0x2f800000, v6
	v_trunc_f32_e32 v7, v7
	v_mac_f32_e32 v6, 0xcf800000, v7
	v_cvt_u32_f32_e32 v7, v7
	v_cvt_u32_f32_e32 v6, v6
	v_readfirstlane_b32 s12, v7
	v_readfirstlane_b32 s8, v6
	s_mul_i32 s9, s10, s12
	s_mul_hi_u32 s28, s10, s8
	s_mul_i32 s13, s11, s8
	s_add_i32 s9, s28, s9
	s_mul_i32 s29, s10, s8
	s_add_i32 s9, s9, s13
	s_mul_hi_u32 s28, s8, s29
	s_mul_i32 s38, s8, s9
	s_mul_hi_u32 s13, s8, s9
	s_add_u32 s28, s28, s38
	s_addc_u32 s13, 0, s13
	s_mul_hi_u32 s39, s12, s29
	s_mul_i32 s29, s12, s29
	s_add_u32 s28, s28, s29
	s_mul_hi_u32 s38, s12, s9
	s_addc_u32 s13, s13, s39
	s_addc_u32 s28, s38, 0
	s_mul_i32 s9, s12, s9
	s_add_u32 s9, s13, s9
	s_addc_u32 s13, 0, s28
	s_add_u32 s28, s8, s9
	s_cselect_b64 s[8:9], -1, 0
	s_cmp_lg_u64 s[8:9], 0
	s_addc_u32 s12, s12, s13
	s_mul_i32 s8, s10, s12
	s_mul_hi_u32 s9, s10, s28
	s_add_i32 s8, s9, s8
	s_mul_i32 s11, s11, s28
	s_add_i32 s8, s8, s11
	s_mul_i32 s10, s10, s28
	s_mul_hi_u32 s11, s12, s10
	s_mul_i32 s13, s12, s10
	s_mul_i32 s38, s28, s8
	s_mul_hi_u32 s10, s28, s10
	s_mul_hi_u32 s29, s28, s8
	s_add_u32 s10, s10, s38
	s_addc_u32 s29, 0, s29
	s_add_u32 s10, s10, s13
	s_mul_hi_u32 s9, s12, s8
	s_addc_u32 s10, s29, s11
	s_addc_u32 s9, s9, 0
	s_mul_i32 s8, s12, s8
	s_add_u32 s8, s10, s8
	s_addc_u32 s10, 0, s9
	s_add_u32 s11, s28, s8
	s_cselect_b64 s[8:9], -1, 0
	s_cmp_lg_u64 s[8:9], 0
	s_addc_u32 s8, s12, s10
	v_readlane_b32 s28, v48, 53
	s_mul_i32 s10, s28, s8
	s_mul_hi_u32 s12, s28, s11
	s_mul_hi_u32 s9, s28, s8
	s_add_u32 s10, s12, s10
	s_addc_u32 s9, 0, s9
	s_mul_hi_u32 s13, s47, s11
	s_mul_i32 s11, s47, s11
	s_add_u32 s10, s10, s11
	s_mul_hi_u32 s12, s47, s8
	s_addc_u32 s9, s9, s13
	s_addc_u32 s10, s12, 0
	s_mul_i32 s8, s47, s8
	s_add_u32 s8, s9, s8
	s_addc_u32 s9, 0, s10
	s_mul_i32 s9, s83, s9
	s_mul_hi_u32 s10, s83, s8
	s_add_i32 s10, s10, s9
	s_mul_i32 s8, s83, s8
	s_sub_u32 s11, s28, s8
	s_cselect_b64 s[8:9], -1, 0
	s_cmp_lg_u64 s[8:9], 0
	s_subb_u32 s10, s47, s10
	s_sub_u32 s12, s11, s83
	s_cselect_b64 s[8:9], -1, 0
	s_cmp_lg_u64 s[8:9], 0
	s_subb_u32 s13, s10, 0
	s_sub_u32 s28, s12, s83
	s_cselect_b64 s[8:9], -1, 0
	s_cmp_lg_u64 s[8:9], 0
	s_subb_u32 s8, s13, 0
	s_cmp_ge_u32 s12, s83
	s_cselect_b32 s9, -1, 0
	s_cmp_eq_u32 s13, 0
	s_cselect_b32 s9, s9, -1
	s_cmp_lg_u32 s9, 0
	s_cselect_b32 s8, s8, s13
	s_cselect_b32 s12, s28, s12
	s_cmp_ge_u32 s11, s83
	s_cselect_b32 s9, -1, 0
	s_cmp_eq_u32 s10, 0
	s_cselect_b32 s9, s9, -1
	s_cmp_lg_u32 s9, 0
	s_cselect_b32 s9, s8, s10
	s_cselect_b32 s8, s12, s11
	s_cbranch_execnz .LBB222_352
.LBB222_351:                            ;   in Loop: Header=BB222_18 Depth=1
	v_cvt_f32_u32_e32 v6, s83
	s_sub_i32 s8, 0, s83
	v_readlane_b32 s10, v48, 53
	v_rcp_iflag_f32_e32 v6, v6
	v_mul_f32_e32 v6, 0x4f7ffffe, v6
	v_cvt_u32_f32_e32 v6, v6
	v_readfirstlane_b32 s9, v6
	s_mul_i32 s8, s8, s9
	s_mul_hi_u32 s8, s9, s8
	s_add_i32 s9, s9, s8
	s_mul_hi_u32 s8, s10, s9
	s_mul_i32 s8, s8, s83
	s_sub_i32 s8, s10, s8
	s_sub_i32 s9, s8, s83
	s_cmp_ge_u32 s8, s83
	s_cselect_b32 s8, s9, s8
	s_sub_i32 s9, s8, s83
	s_cmp_ge_u32 s8, s83
	s_cselect_b32 s92, s9, s8
	s_mov_b64 s[8:9], s[92:93]
	v_readlane_b32 s92, v47, 7
.LBB222_352:                            ;   in Loop: Header=BB222_18 Depth=1
	v_readlane_b32 s10, v48, 53
	v_readlane_b32 s12, v48, 55
	s_sub_u32 s10, s10, s8
	v_readlane_b32 s13, v48, 56
	s_subb_u32 s11, s13, s9
	v_cmp_gt_u64_e32 vcc, s[10:11], v[0:1]
                                        ; implicit-def: $vgpr39
	s_and_saveexec_b64 s[8:9], vcc
	s_cbranch_execz .LBB222_361
; %bb.353:                              ;   in Loop: Header=BB222_18 Depth=1
	v_mov_b32_e32 v7, v1
	s_mov_b64 s[12:13], 0
	v_mov_b32_e32 v6, v0
                                        ; implicit-def: $sgpr28_sgpr29
	s_branch .LBB222_356
.LBB222_354:                            ;   in Loop: Header=BB222_356 Depth=2
	s_or_b64 exec, exec, s[38:39]
	s_waitcnt lgkmcnt(0)
	s_barrier
	ds_read_b32 v8, v3 offset:3072
	s_mov_b64 s[38:39], -1
	s_mov_b64 s[46:47], -1
	s_waitcnt lgkmcnt(0)
	s_barrier
	v_and_b32_e32 v9, 0x7fff, v8
	v_cmp_eq_u32_e32 vcc, 0, v9
	s_cbranch_vccnz .LBB222_359
.LBB222_355:                            ;   in Loop: Header=BB222_356 Depth=2
	s_and_b64 s[38:39], exec, s[38:39]
	s_or_b64 s[12:13], s[38:39], s[12:13]
	s_andn2_b64 s[28:29], s[28:29], exec
	s_and_b64 s[38:39], s[46:47], exec
	s_or_b64 s[28:29], s[28:29], s[38:39]
	s_andn2_b64 exec, exec, s[12:13]
	s_cbranch_execz .LBB222_360
.LBB222_356:                            ;   Parent Loop BB222_18 Depth=1
                                        ; =>  This Inner Loop Header: Depth=2
	v_cmp_gt_u64_e32 vcc, s[64:65], v[6:7]
	s_and_saveexec_b64 s[38:39], vcc
	s_cbranch_execz .LBB222_354
; %bb.357:                              ;   in Loop: Header=BB222_356 Depth=2
	v_mul_lo_u32 v10, v7, s62
	v_mul_lo_u32 v11, v6, s63
	v_mad_u64_u32 v[8:9], s[46:47], v6, s62, 0
	v_add3_u32 v9, v9, v11, v10
	v_lshlrev_b64 v[8:9], 1, v[8:9]
	v_mov_b32_e32 v10, s82
	v_add_co_u32_e32 v8, vcc, s33, v8
	v_addc_co_u32_e32 v9, vcc, v10, v9, vcc
	global_load_ushort v8, v[8:9], off
	s_waitcnt vmcnt(0)
	v_cmp_lt_i16_e32 vcc, -1, v8
	v_cndmask_b32_e32 v9, v33, v34, vcc
	v_lshlrev_b32_e32 v10, 16, v8
	v_xor_b32_sdwa v9, v9, v8 dst_sel:DWORD dst_unused:UNUSED_PAD src0_sel:DWORD src1_sel:WORD_0
	v_cmp_o_f32_e32 vcc, v10, v10
	v_cndmask_b32_e32 v9, v33, v9, vcc
	v_and_b32_e32 v9, v9, v38
	v_cmp_eq_u32_e32 vcc, v9, v30
	s_and_b64 exec, exec, vcc
	s_cbranch_execz .LBB222_354
; %bb.358:                              ;   in Loop: Header=BB222_356 Depth=2
	s_movk_i32 s46, 0x3f80
	v_perm_b32 v8, v8, s46, v37
	ds_write_b32 v3, v8 offset:3072
	s_branch .LBB222_354
.LBB222_359:                            ;   in Loop: Header=BB222_356 Depth=2
	v_add_co_u32_e32 v6, vcc, s83, v6
	v_addc_co_u32_e32 v7, vcc, 0, v7, vcc
	v_cmp_le_u64_e32 vcc, s[10:11], v[6:7]
	s_mov_b64 s[46:47], 0
	s_orn2_b64 s[38:39], vcc, exec
	s_branch .LBB222_355
.LBB222_360:                            ;   in Loop: Header=BB222_18 Depth=1
	s_or_b64 exec, exec, s[12:13]
	s_andn2_b64 s[4:5], s[4:5], exec
	s_and_b64 s[10:11], s[28:29], exec
	v_lshrrev_b32_e32 v39, 16, v8
	s_or_b64 s[4:5], s[4:5], s[10:11]
.LBB222_361:                            ;   in Loop: Header=BB222_18 Depth=1
	s_or_b64 exec, exec, s[8:9]
	s_mov_b64 s[28:29], 0
	s_mov_b64 s[38:39], -1
.LBB222_362:                            ;   in Loop: Header=BB222_18 Depth=1
	s_orn2_b64 s[4:5], s[4:5], exec
.LBB222_363:                            ;   in Loop: Header=BB222_18 Depth=1
	s_or_b64 exec, exec, s[40:41]
	s_mov_b64 s[8:9], 0
	s_and_saveexec_b64 s[40:41], s[4:5]
	s_cbranch_execz .LBB222_472
; %bb.364:                              ;   in Loop: Header=BB222_18 Depth=1
	v_mov_b32_e32 v6, 1
	s_xor_b64 s[10:11], s[44:45], -1
	v_mov_b32_e32 v2, 1
	v_mov_b32_e32 v7, 0
	s_and_saveexec_b64 s[4:5], s[10:11]
	s_cbranch_execz .LBB222_373
; %bb.365:                              ;   in Loop: Header=BB222_18 Depth=1
	v_cmp_ge_u64_e32 vcc, s[26:27], v[4:5]
	s_and_saveexec_b64 s[8:9], vcc
	s_xor_b64 s[8:9], exec, s[8:9]
	s_cbranch_execz .LBB222_370
; %bb.366:                              ;   in Loop: Header=BB222_18 Depth=1
	ds_read_b64 v[6:7], v3 offset:5120
	v_and_b32_e32 v2, s1, v30
	v_lshl_or_b32 v30, 2, s81, v2
	v_or_b32_e32 v38, s0, v38
	s_waitcnt lgkmcnt(0)
	v_cmp_ne_u64_e32 vcc, 0, v[6:7]
	s_cbranch_vccnz .LBB222_370
; %bb.367:                              ;   in Loop: Header=BB222_18 Depth=1
	s_mov_b64 s[10:11], exec
	v_readlane_b32 s12, v48, 32
	v_readlane_b32 s13, v48, 33
	s_and_b64 s[12:13], s[10:11], s[12:13]
	s_mov_b64 exec, s[12:13]
; %bb.368:                              ;   in Loop: Header=BB222_18 Depth=1
	v_mov_b32_e32 v6, s26
	v_mov_b32_e32 v7, s27
	ds_write_b64 v3, v[6:7] offset:5128
; %bb.369:                              ;   in Loop: Header=BB222_18 Depth=1
	s_or_b64 exec, exec, s[10:11]
	s_waitcnt lgkmcnt(0)
	s_barrier
.LBB222_370:                            ;   in Loop: Header=BB222_18 Depth=1
	s_or_saveexec_b64 s[8:9], s[8:9]
	s_mov_b64 s[10:11], 0
	v_mov_b32_e32 v2, 5
	s_xor_b64 exec, exec, s[8:9]
; %bb.371:                              ;   in Loop: Header=BB222_18 Depth=1
	v_subrev_co_u32_e32 v4, vcc, s26, v4
	v_mov_b32_e32 v2, s27
	v_subb_co_u32_e32 v5, vcc, v5, v2, vcc
	v_mov_b32_e32 v2, 0
	s_mov_b64 s[10:11], exec
; %bb.372:                              ;   in Loop: Header=BB222_18 Depth=1
	s_or_b64 exec, exec, s[8:9]
	v_mov_b32_e32 v7, v5
	s_and_b64 s[8:9], s[10:11], exec
	v_mov_b32_e32 v6, v4
.LBB222_373:                            ;   in Loop: Header=BB222_18 Depth=1
	s_or_b64 exec, exec, s[4:5]
	s_mov_b64 s[4:5], -1
                                        ; implicit-def: $sgpr44_sgpr45
                                        ; implicit-def: $sgpr46_sgpr47
	s_and_saveexec_b64 s[26:27], s[8:9]
	s_cbranch_execz .LBB222_471
; %bb.374:                              ;   in Loop: Header=BB222_18 Depth=1
	s_cmp_eq_u64 s[24:25], 1
	v_cmp_eq_u64_e32 vcc, 1, v[6:7]
	s_cselect_b64 s[4:5], -1, 0
	s_and_b64 s[50:51], s[4:5], vcc
	s_mov_b64 s[4:5], -1
                                        ; implicit-def: $sgpr46_sgpr47
                                        ; implicit-def: $sgpr44_sgpr45
	s_and_saveexec_b64 s[48:49], s[50:51]
	s_cbranch_execz .LBB222_408
; %bb.375:                              ;   in Loop: Header=BB222_18 Depth=1
	ds_read_b64 v[4:5], v3 offset:5120
	s_waitcnt lgkmcnt(0)
	s_barrier
	v_readfirstlane_b32 s8, v4
	v_readfirstlane_b32 s9, v5
	s_mov_b64 s[4:5], exec
	v_readlane_b32 s10, v48, 48
	v_readlane_b32 s11, v48, 49
	s_and_b64 s[10:11], s[4:5], s[10:11]
	s_mov_b64 exec, s[10:11]
; %bb.376:                              ;   in Loop: Header=BB222_18 Depth=1
	ds_write_b16 v28, v3
; %bb.377:                              ;   in Loop: Header=BB222_18 Depth=1
	s_or_b64 exec, exec, s[4:5]
	v_and_b32_e32 v4, s1, v30
	v_lshl_or_b32 v30, 1, s81, v4
	v_or_b32_e32 v38, s0, v38
	s_mov_b64 s[44:45], -1
	s_mov_b64 s[46:47], 0
	s_cmp_eq_u64 s[8:9], 0
	s_mov_b64 s[4:5], 0
	s_mov_b64 s[10:11], -1
	s_waitcnt lgkmcnt(0)
	s_barrier
                                        ; implicit-def: $vgpr39
	s_cbranch_scc1 .LBB222_393
; %bb.378:                              ;   in Loop: Header=BB222_18 Depth=1
	v_readlane_b32 s4, v48, 52
	s_add_u32 s52, s8, s4
	v_readlane_b32 s4, v48, 54
	s_addc_u32 s5, s9, s4
	s_mov_b32 s4, s93
	s_cmp_lg_u64 s[4:5], 0
	s_cbranch_scc0 .LBB222_425
; %bb.379:                              ;   in Loop: Header=BB222_18 Depth=1
	v_cvt_f32_u32_e32 v4, s83
	s_sub_u32 s4, 0, s83
	s_subb_u32 s12, 0, 0
	v_mac_f32_e32 v4, 0, v35
	v_rcp_f32_e32 v4, v4
	v_mul_f32_e32 v4, 0x5f7ffffc, v4
	v_mul_f32_e32 v5, 0x2f800000, v4
	v_trunc_f32_e32 v5, v5
	v_mac_f32_e32 v4, 0xcf800000, v5
	v_cvt_u32_f32_e32 v5, v5
	v_cvt_u32_f32_e32 v4, v4
	v_readfirstlane_b32 s13, v5
	v_readfirstlane_b32 s10, v4
	s_mul_i32 s11, s4, s13
	s_mul_hi_u32 s54, s4, s10
	s_mul_i32 s53, s12, s10
	s_add_i32 s11, s54, s11
	s_mul_i32 s55, s4, s10
	s_add_i32 s11, s11, s53
	s_mul_hi_u32 s54, s10, s55
	s_mul_i32 s56, s10, s11
	s_mul_hi_u32 s53, s10, s11
	s_add_u32 s54, s54, s56
	s_addc_u32 s53, 0, s53
	s_mul_hi_u32 s57, s13, s55
	s_mul_i32 s55, s13, s55
	s_add_u32 s54, s54, s55
	s_mul_hi_u32 s56, s13, s11
	s_addc_u32 s53, s53, s57
	s_addc_u32 s54, s56, 0
	s_mul_i32 s11, s13, s11
	s_add_u32 s11, s53, s11
	s_addc_u32 s53, 0, s54
	s_add_u32 s54, s10, s11
	s_cselect_b64 s[10:11], -1, 0
	s_cmp_lg_u64 s[10:11], 0
	s_addc_u32 s13, s13, s53
	s_mul_i32 s10, s4, s13
	s_mul_hi_u32 s11, s4, s54
	s_add_i32 s10, s11, s10
	s_mul_i32 s12, s12, s54
	s_add_i32 s10, s10, s12
	s_mul_i32 s4, s4, s54
	s_mul_hi_u32 s12, s13, s4
	s_mul_i32 s53, s13, s4
	s_mul_i32 s56, s54, s10
	s_mul_hi_u32 s4, s54, s4
	s_mul_hi_u32 s55, s54, s10
	s_add_u32 s4, s4, s56
	s_addc_u32 s55, 0, s55
	s_add_u32 s4, s4, s53
	s_mul_hi_u32 s11, s13, s10
	s_addc_u32 s4, s55, s12
	s_addc_u32 s11, s11, 0
	s_mul_i32 s10, s13, s10
	s_add_u32 s4, s4, s10
	s_addc_u32 s12, 0, s11
	s_add_u32 s4, s54, s4
	s_cselect_b64 s[10:11], -1, 0
	s_cmp_lg_u64 s[10:11], 0
	s_addc_u32 s10, s13, s12
	s_mul_i32 s12, s52, s10
	s_mul_hi_u32 s13, s52, s4
	s_mul_hi_u32 s11, s52, s10
	s_add_u32 s12, s13, s12
	s_addc_u32 s11, 0, s11
	s_mul_hi_u32 s53, s5, s4
	s_mul_i32 s4, s5, s4
	s_add_u32 s4, s12, s4
	s_mul_hi_u32 s13, s5, s10
	s_addc_u32 s4, s11, s53
	s_addc_u32 s11, s13, 0
	s_mul_i32 s10, s5, s10
	s_add_u32 s4, s4, s10
	s_addc_u32 s10, 0, s11
	s_mul_i32 s10, s83, s10
	s_mul_hi_u32 s11, s83, s4
	s_add_i32 s12, s11, s10
	s_mul_i32 s4, s83, s4
	s_sub_u32 s4, s52, s4
	s_cselect_b64 s[10:11], -1, 0
	s_cmp_lg_u64 s[10:11], 0
	s_subb_u32 s12, s5, s12
	s_sub_u32 s13, s4, s83
	s_cselect_b64 s[10:11], -1, 0
	s_cmp_lg_u64 s[10:11], 0
	s_subb_u32 s53, s12, 0
	;; [unrolled: 4-line block ×3, first 2 shown]
	s_cmp_ge_u32 s13, s83
	s_cselect_b32 s11, -1, 0
	s_cmp_eq_u32 s53, 0
	s_cselect_b32 s11, s11, -1
	s_cmp_lg_u32 s11, 0
	s_cselect_b32 s10, s10, s53
	s_cselect_b32 s13, s54, s13
	s_cmp_ge_u32 s4, s83
	s_cselect_b32 s11, -1, 0
	s_cmp_eq_u32 s12, 0
	s_cselect_b32 s11, s11, -1
	s_cmp_lg_u32 s11, 0
	s_cselect_b32 s11, s10, s12
	s_cselect_b32 s10, s13, s4
	s_cbranch_execnz .LBB222_381
.LBB222_380:                            ;   in Loop: Header=BB222_18 Depth=1
	v_cvt_f32_u32_e32 v4, s83
	s_sub_i32 s4, 0, s83
	v_rcp_iflag_f32_e32 v4, v4
	v_mul_f32_e32 v4, 0x4f7ffffe, v4
	v_cvt_u32_f32_e32 v4, v4
	v_readfirstlane_b32 s10, v4
	s_mul_i32 s4, s4, s10
	s_mul_hi_u32 s4, s10, s4
	s_add_i32 s10, s10, s4
	s_mul_hi_u32 s4, s52, s10
	s_mul_i32 s4, s4, s83
	s_sub_i32 s4, s52, s4
	s_sub_i32 s10, s4, s83
	s_cmp_ge_u32 s4, s83
	s_cselect_b32 s4, s10, s4
	s_sub_i32 s10, s4, s83
	s_cmp_ge_u32 s4, s83
	s_cselect_b32 s92, s10, s4
	s_mov_b64 s[10:11], s[92:93]
	v_readlane_b32 s92, v47, 7
.LBB222_381:                            ;   in Loop: Header=BB222_18 Depth=1
	s_sub_u32 s52, s52, s10
	s_subb_u32 s53, s5, s11
	v_cmp_gt_u64_e32 vcc, s[52:53], v[0:1]
	s_mov_b64 s[10:11], 0
	s_mov_b64 s[4:5], 0
                                        ; implicit-def: $vgpr39
	s_and_saveexec_b64 s[12:13], vcc
	s_cbranch_execz .LBB222_392
; %bb.382:                              ;   in Loop: Header=BB222_18 Depth=1
	v_mov_b32_e32 v5, v1
	v_mov_b32_e32 v8, v27
	;; [unrolled: 1-line block ×3, first 2 shown]
                                        ; implicit-def: $sgpr54_sgpr55
	s_branch .LBB222_385
.LBB222_383:                            ;   in Loop: Header=BB222_385 Depth=2
	s_or_b64 exec, exec, s[56:57]
	s_waitcnt lgkmcnt(0)
	s_barrier
	ds_read_b32 v9, v3 offset:3072
	s_mov_b64 s[56:57], -1
	s_mov_b64 s[58:59], -1
	s_waitcnt lgkmcnt(0)
	s_barrier
	v_and_b32_e32 v10, 0x7fff, v9
	v_cmp_ne_u32_e32 vcc, 0, v10
	s_cbranch_vccz .LBB222_388
.LBB222_384:                            ;   in Loop: Header=BB222_385 Depth=2
	s_and_b64 s[56:57], exec, s[56:57]
	s_or_b64 s[4:5], s[56:57], s[4:5]
	s_andn2_b64 s[54:55], s[54:55], exec
	s_and_b64 s[56:57], s[58:59], exec
	s_or_b64 s[54:55], s[54:55], s[56:57]
	s_andn2_b64 exec, exec, s[4:5]
	s_cbranch_execz .LBB222_391
.LBB222_385:                            ;   Parent Loop BB222_18 Depth=1
                                        ; =>  This Inner Loop Header: Depth=2
	v_cmp_gt_u64_e32 vcc, s[8:9], v[4:5]
	s_and_saveexec_b64 s[56:57], vcc
	s_cbranch_execz .LBB222_383
; %bb.386:                              ;   in Loop: Header=BB222_385 Depth=2
	ds_read_u16 v9, v8
	s_waitcnt lgkmcnt(0)
	v_cmp_lt_i16_e32 vcc, -1, v9
	v_cndmask_b32_e32 v10, v33, v34, vcc
	v_lshlrev_b32_e32 v11, 16, v9
	v_cmp_o_f32_e32 vcc, v11, v11
	v_xor_b32_sdwa v10, v10, v9 dst_sel:DWORD dst_unused:UNUSED_PAD src0_sel:DWORD src1_sel:WORD_0
	v_cndmask_b32_e32 v10, v33, v10, vcc
	v_and_b32_e32 v10, v10, v38
	v_cmp_eq_u32_e32 vcc, v10, v30
	s_and_b64 exec, exec, vcc
	s_cbranch_execz .LBB222_383
; %bb.387:                              ;   in Loop: Header=BB222_385 Depth=2
	s_movk_i32 s58, 0x3f80
	v_perm_b32 v9, v9, s58, v37
	ds_write_b32 v3, v9 offset:3072
	s_branch .LBB222_383
.LBB222_388:                            ;   in Loop: Header=BB222_385 Depth=2
	v_add_co_u32_e32 v4, vcc, s83, v4
	v_addc_co_u32_e32 v5, vcc, 0, v5, vcc
	v_cmp_le_u64_e32 vcc, s[52:53], v[4:5]
	v_readlane_b32 s56, v47, 3
	v_add_u32_e32 v8, s56, v8
	s_mov_b64 s[58:59], 0
	s_orn2_b64 s[56:57], vcc, exec
	s_branch .LBB222_384
.LBB222_389:                            ;   in Loop: Header=BB222_18 Depth=1
                                        ; implicit-def: $sgpr10_sgpr11
	s_branch .LBB222_335
.LBB222_390:                            ;   in Loop: Header=BB222_18 Depth=1
                                        ; implicit-def: $sgpr8_sgpr9
	s_branch .LBB222_351
.LBB222_391:                            ;   in Loop: Header=BB222_18 Depth=1
	s_or_b64 exec, exec, s[4:5]
	v_lshrrev_b32_e32 v39, 16, v9
	s_and_b64 s[4:5], s[54:55], exec
.LBB222_392:                            ;   in Loop: Header=BB222_18 Depth=1
	s_or_b64 exec, exec, s[12:13]
.LBB222_393:                            ;   in Loop: Header=BB222_18 Depth=1
	s_and_b64 vcc, exec, s[10:11]
	s_cbranch_vccz .LBB222_407
; %bb.394:                              ;   in Loop: Header=BB222_18 Depth=1
	v_readlane_b32 s52, v48, 55
	v_readlane_b32 s53, v48, 56
	s_mov_b32 s52, s93
	s_cmp_lg_u64 s[52:53], 0
	v_writelane_b32 v48, s52, 55
	v_writelane_b32 v48, s53, 56
	s_cbranch_scc0 .LBB222_426
; %bb.395:                              ;   in Loop: Header=BB222_18 Depth=1
	v_cvt_f32_u32_e32 v4, s83
	s_sub_u32 s10, 0, s83
	s_subb_u32 s11, 0, 0
	v_mac_f32_e32 v4, 0, v35
	v_rcp_f32_e32 v4, v4
	v_mul_f32_e32 v4, 0x5f7ffffc, v4
	v_mul_f32_e32 v5, 0x2f800000, v4
	v_trunc_f32_e32 v5, v5
	v_mac_f32_e32 v4, 0xcf800000, v5
	v_cvt_u32_f32_e32 v5, v5
	v_cvt_u32_f32_e32 v4, v4
	v_readfirstlane_b32 s12, v5
	v_readfirstlane_b32 s8, v4
	s_mul_i32 s9, s10, s12
	s_mul_hi_u32 s44, s10, s8
	s_mul_i32 s13, s11, s8
	s_add_i32 s9, s44, s9
	s_mul_i32 s45, s10, s8
	s_add_i32 s9, s9, s13
	s_mul_hi_u32 s44, s8, s45
	s_mul_i32 s46, s8, s9
	s_mul_hi_u32 s13, s8, s9
	s_add_u32 s44, s44, s46
	s_addc_u32 s13, 0, s13
	s_mul_hi_u32 s47, s12, s45
	s_mul_i32 s45, s12, s45
	s_add_u32 s44, s44, s45
	s_mul_hi_u32 s46, s12, s9
	s_addc_u32 s13, s13, s47
	s_addc_u32 s44, s46, 0
	s_mul_i32 s9, s12, s9
	s_add_u32 s9, s13, s9
	s_addc_u32 s13, 0, s44
	s_add_u32 s44, s8, s9
	s_cselect_b64 s[8:9], -1, 0
	s_cmp_lg_u64 s[8:9], 0
	s_addc_u32 s12, s12, s13
	s_mul_i32 s8, s10, s12
	s_mul_hi_u32 s9, s10, s44
	s_add_i32 s8, s9, s8
	s_mul_i32 s11, s11, s44
	s_add_i32 s8, s8, s11
	s_mul_i32 s10, s10, s44
	s_mul_hi_u32 s11, s12, s10
	s_mul_i32 s13, s12, s10
	s_mul_i32 s46, s44, s8
	s_mul_hi_u32 s10, s44, s10
	s_mul_hi_u32 s45, s44, s8
	s_add_u32 s10, s10, s46
	s_addc_u32 s45, 0, s45
	s_add_u32 s10, s10, s13
	s_mul_hi_u32 s9, s12, s8
	s_addc_u32 s10, s45, s11
	s_addc_u32 s9, s9, 0
	s_mul_i32 s8, s12, s8
	s_add_u32 s8, s10, s8
	s_addc_u32 s10, 0, s9
	s_add_u32 s11, s44, s8
	s_cselect_b64 s[8:9], -1, 0
	s_cmp_lg_u64 s[8:9], 0
	s_addc_u32 s8, s12, s10
	v_readlane_b32 s44, v48, 53
	s_mul_i32 s10, s44, s8
	s_mul_hi_u32 s12, s44, s11
	s_mul_hi_u32 s9, s44, s8
	s_add_u32 s10, s12, s10
	s_addc_u32 s9, 0, s9
	s_mul_hi_u32 s13, s53, s11
	s_mul_i32 s11, s53, s11
	s_add_u32 s10, s10, s11
	s_mul_hi_u32 s12, s53, s8
	s_addc_u32 s9, s9, s13
	s_addc_u32 s10, s12, 0
	s_mul_i32 s8, s53, s8
	s_add_u32 s8, s9, s8
	s_addc_u32 s9, 0, s10
	s_mul_i32 s9, s83, s9
	s_mul_hi_u32 s10, s83, s8
	s_add_i32 s10, s10, s9
	s_mul_i32 s8, s83, s8
	s_sub_u32 s11, s44, s8
	s_cselect_b64 s[8:9], -1, 0
	s_cmp_lg_u64 s[8:9], 0
	s_subb_u32 s10, s53, s10
	s_sub_u32 s12, s11, s83
	s_cselect_b64 s[8:9], -1, 0
	s_cmp_lg_u64 s[8:9], 0
	s_subb_u32 s13, s10, 0
	;; [unrolled: 4-line block ×3, first 2 shown]
	s_cmp_ge_u32 s12, s83
	s_cselect_b32 s9, -1, 0
	s_cmp_eq_u32 s13, 0
	s_cselect_b32 s9, s9, -1
	s_cmp_lg_u32 s9, 0
	s_cselect_b32 s8, s8, s13
	s_cselect_b32 s12, s44, s12
	s_cmp_ge_u32 s11, s83
	s_cselect_b32 s9, -1, 0
	s_cmp_eq_u32 s10, 0
	s_cselect_b32 s9, s9, -1
	s_cmp_lg_u32 s9, 0
	s_cselect_b32 s9, s8, s10
	s_cselect_b32 s8, s12, s11
	s_cbranch_execnz .LBB222_397
.LBB222_396:                            ;   in Loop: Header=BB222_18 Depth=1
	v_cvt_f32_u32_e32 v4, s83
	s_sub_i32 s8, 0, s83
	v_readlane_b32 s10, v48, 53
	v_rcp_iflag_f32_e32 v4, v4
	v_mul_f32_e32 v4, 0x4f7ffffe, v4
	v_cvt_u32_f32_e32 v4, v4
	v_readfirstlane_b32 s9, v4
	s_mul_i32 s8, s8, s9
	s_mul_hi_u32 s8, s9, s8
	s_add_i32 s9, s9, s8
	s_mul_hi_u32 s8, s10, s9
	s_mul_i32 s8, s8, s83
	s_sub_i32 s8, s10, s8
	s_sub_i32 s9, s8, s83
	s_cmp_ge_u32 s8, s83
	s_cselect_b32 s8, s9, s8
	s_sub_i32 s9, s8, s83
	s_cmp_ge_u32 s8, s83
	s_cselect_b32 s92, s9, s8
	s_mov_b64 s[8:9], s[92:93]
	v_readlane_b32 s92, v47, 7
.LBB222_397:                            ;   in Loop: Header=BB222_18 Depth=1
	v_readlane_b32 s10, v48, 53
	v_readlane_b32 s12, v48, 55
	s_sub_u32 s10, s10, s8
	v_readlane_b32 s13, v48, 56
	s_subb_u32 s11, s13, s9
	v_cmp_gt_u64_e32 vcc, s[10:11], v[0:1]
                                        ; implicit-def: $vgpr39
	s_and_saveexec_b64 s[8:9], vcc
	s_cbranch_execz .LBB222_406
; %bb.398:                              ;   in Loop: Header=BB222_18 Depth=1
	v_mov_b32_e32 v5, v1
	s_mov_b64 s[12:13], 0
	v_mov_b32_e32 v4, v0
                                        ; implicit-def: $sgpr44_sgpr45
	s_branch .LBB222_401
.LBB222_399:                            ;   in Loop: Header=BB222_401 Depth=2
	s_or_b64 exec, exec, s[46:47]
	s_waitcnt lgkmcnt(0)
	s_barrier
	ds_read_b32 v8, v3 offset:3072
	s_mov_b64 s[46:47], -1
	s_mov_b64 s[52:53], -1
	s_waitcnt lgkmcnt(0)
	s_barrier
	v_and_b32_e32 v9, 0x7fff, v8
	v_cmp_eq_u32_e32 vcc, 0, v9
	s_cbranch_vccnz .LBB222_404
.LBB222_400:                            ;   in Loop: Header=BB222_401 Depth=2
	s_and_b64 s[46:47], exec, s[46:47]
	s_or_b64 s[12:13], s[46:47], s[12:13]
	s_andn2_b64 s[44:45], s[44:45], exec
	s_and_b64 s[46:47], s[52:53], exec
	s_or_b64 s[44:45], s[44:45], s[46:47]
	s_andn2_b64 exec, exec, s[12:13]
	s_cbranch_execz .LBB222_405
.LBB222_401:                            ;   Parent Loop BB222_18 Depth=1
                                        ; =>  This Inner Loop Header: Depth=2
	v_cmp_gt_u64_e32 vcc, s[64:65], v[4:5]
	s_and_saveexec_b64 s[46:47], vcc
	s_cbranch_execz .LBB222_399
; %bb.402:                              ;   in Loop: Header=BB222_401 Depth=2
	v_mul_lo_u32 v10, v5, s62
	v_mul_lo_u32 v11, v4, s63
	v_mad_u64_u32 v[8:9], s[52:53], v4, s62, 0
	v_add3_u32 v9, v9, v11, v10
	v_lshlrev_b64 v[8:9], 1, v[8:9]
	v_mov_b32_e32 v10, s82
	v_add_co_u32_e32 v8, vcc, s33, v8
	v_addc_co_u32_e32 v9, vcc, v10, v9, vcc
	global_load_ushort v8, v[8:9], off
	s_waitcnt vmcnt(0)
	v_cmp_lt_i16_e32 vcc, -1, v8
	v_cndmask_b32_e32 v9, v33, v34, vcc
	v_lshlrev_b32_e32 v10, 16, v8
	v_xor_b32_sdwa v9, v9, v8 dst_sel:DWORD dst_unused:UNUSED_PAD src0_sel:DWORD src1_sel:WORD_0
	v_cmp_o_f32_e32 vcc, v10, v10
	v_cndmask_b32_e32 v9, v33, v9, vcc
	v_and_b32_e32 v9, v9, v38
	v_cmp_eq_u32_e32 vcc, v9, v30
	s_and_b64 exec, exec, vcc
	s_cbranch_execz .LBB222_399
; %bb.403:                              ;   in Loop: Header=BB222_401 Depth=2
	s_movk_i32 s52, 0x3f80
	v_perm_b32 v8, v8, s52, v37
	ds_write_b32 v3, v8 offset:3072
	s_branch .LBB222_399
.LBB222_404:                            ;   in Loop: Header=BB222_401 Depth=2
	v_add_co_u32_e32 v4, vcc, s83, v4
	v_addc_co_u32_e32 v5, vcc, 0, v5, vcc
	v_cmp_le_u64_e32 vcc, s[10:11], v[4:5]
	s_mov_b64 s[52:53], 0
	s_orn2_b64 s[46:47], vcc, exec
	s_branch .LBB222_400
.LBB222_405:                            ;   in Loop: Header=BB222_18 Depth=1
	s_or_b64 exec, exec, s[12:13]
	s_andn2_b64 s[4:5], s[4:5], exec
	s_and_b64 s[10:11], s[44:45], exec
	v_lshrrev_b32_e32 v39, 16, v8
	s_or_b64 s[4:5], s[4:5], s[10:11]
.LBB222_406:                            ;   in Loop: Header=BB222_18 Depth=1
	s_or_b64 exec, exec, s[8:9]
	s_mov_b64 s[44:45], 0
	s_mov_b64 s[46:47], -1
.LBB222_407:                            ;   in Loop: Header=BB222_18 Depth=1
	s_orn2_b64 s[4:5], s[4:5], exec
.LBB222_408:                            ;   in Loop: Header=BB222_18 Depth=1
	s_or_b64 exec, exec, s[48:49]
	s_mov_b64 s[8:9], 0
	s_and_saveexec_b64 s[48:49], s[4:5]
	s_cbranch_execz .LBB222_470
; %bb.409:                              ;   in Loop: Header=BB222_18 Depth=1
	v_mov_b32_e32 v4, 1
	s_xor_b64 s[8:9], s[50:51], -1
	v_mov_b32_e32 v2, 1
	v_mov_b32_e32 v5, 0
	s_mov_b64 s[10:11], 0
	s_and_saveexec_b64 s[4:5], s[8:9]
	s_cbranch_execz .LBB222_418
; %bb.410:                              ;   in Loop: Header=BB222_18 Depth=1
	v_cmp_ge_u64_e32 vcc, s[24:25], v[6:7]
	s_and_saveexec_b64 s[8:9], vcc
	s_xor_b64 s[8:9], exec, s[8:9]
	s_cbranch_execz .LBB222_415
; %bb.411:                              ;   in Loop: Header=BB222_18 Depth=1
	ds_read_b64 v[4:5], v3 offset:5120
	v_and_b32_e32 v2, s1, v30
	v_lshl_or_b32 v30, 1, s81, v2
	v_or_b32_e32 v38, s0, v38
	s_waitcnt lgkmcnt(0)
	v_cmp_ne_u64_e32 vcc, 0, v[4:5]
	s_cbranch_vccnz .LBB222_415
; %bb.412:                              ;   in Loop: Header=BB222_18 Depth=1
	s_mov_b64 s[10:11], exec
	v_readlane_b32 s12, v48, 32
	v_readlane_b32 s13, v48, 33
	s_and_b64 s[12:13], s[10:11], s[12:13]
	s_mov_b64 exec, s[12:13]
; %bb.413:                              ;   in Loop: Header=BB222_18 Depth=1
	v_mov_b32_e32 v4, s24
	v_mov_b32_e32 v5, s25
	ds_write_b64 v3, v[4:5] offset:5128
; %bb.414:                              ;   in Loop: Header=BB222_18 Depth=1
	s_or_b64 exec, exec, s[10:11]
	s_waitcnt lgkmcnt(0)
	s_barrier
.LBB222_415:                            ;   in Loop: Header=BB222_18 Depth=1
	s_or_saveexec_b64 s[8:9], s[8:9]
	s_mov_b64 s[10:11], 0
	v_mov_b32_e32 v2, 5
	s_xor_b64 exec, exec, s[8:9]
; %bb.416:                              ;   in Loop: Header=BB222_18 Depth=1
	v_subrev_co_u32_e32 v6, vcc, s24, v6
	v_mov_b32_e32 v2, s25
	v_subb_co_u32_e32 v7, vcc, v7, v2, vcc
	v_mov_b32_e32 v2, 0
	s_mov_b64 s[10:11], exec
; %bb.417:                              ;   in Loop: Header=BB222_18 Depth=1
	s_or_b64 exec, exec, s[8:9]
	v_mov_b32_e32 v4, v6
	s_and_b64 s[10:11], s[10:11], exec
	v_mov_b32_e32 v5, v7
.LBB222_418:                            ;   in Loop: Header=BB222_18 Depth=1
	s_or_b64 exec, exec, s[4:5]
	s_mov_b64 s[4:5], -1
                                        ; implicit-def: $sgpr54_sgpr55
                                        ; implicit-def: $sgpr8_sgpr9
	s_and_saveexec_b64 s[24:25], s[10:11]
	s_cbranch_execz .LBB222_469
; %bb.419:                              ;   in Loop: Header=BB222_18 Depth=1
	s_cmp_eq_u64 s[20:21], 1
	v_cmp_eq_u64_e32 vcc, 1, v[4:5]
	s_cselect_b64 s[4:5], -1, 0
	s_and_b64 s[50:51], s[4:5], vcc
	s_mov_b64 s[10:11], -1
                                        ; implicit-def: $sgpr54_sgpr55
                                        ; implicit-def: $sgpr8_sgpr9
	s_and_saveexec_b64 s[52:53], s[50:51]
	s_cbranch_execz .LBB222_457
; %bb.420:                              ;   in Loop: Header=BB222_18 Depth=1
	ds_read_b64 v[6:7], v3 offset:5120
	s_waitcnt lgkmcnt(0)
	s_barrier
	v_readfirstlane_b32 s10, v6
	v_readfirstlane_b32 s11, v7
	s_mov_b64 s[4:5], exec
	v_readlane_b32 s8, v48, 48
	v_readlane_b32 s9, v48, 49
	s_and_b64 s[8:9], s[4:5], s[8:9]
	s_mov_b64 exec, s[8:9]
; %bb.421:                              ;   in Loop: Header=BB222_18 Depth=1
	ds_write_b16 v28, v3
; %bb.422:                              ;   in Loop: Header=BB222_18 Depth=1
	s_or_b64 exec, exec, s[4:5]
	v_and_b32_e32 v30, s1, v30
	v_or_b32_e32 v38, s0, v38
	s_mov_b64 s[8:9], -1
	s_mov_b64 s[54:55], 0
	s_cmp_eq_u64 s[10:11], 0
	s_mov_b64 s[4:5], 0
	s_mov_b64 s[12:13], -1
	s_waitcnt lgkmcnt(0)
	s_barrier
                                        ; implicit-def: $vgpr39
	s_cbranch_scc1 .LBB222_440
; %bb.423:                              ;   in Loop: Header=BB222_18 Depth=1
	v_readlane_b32 s4, v48, 52
	s_add_u32 s58, s10, s4
	v_readlane_b32 s4, v48, 54
	s_addc_u32 s5, s11, s4
	s_mov_b32 s4, s93
	s_cmp_lg_u64 s[4:5], 0
	s_cbranch_scc0 .LBB222_427
; %bb.424:                              ;   in Loop: Header=BB222_18 Depth=1
	v_cvt_f32_u32_e32 v6, s83
	s_sub_u32 s4, 0, s83
	s_subb_u32 s56, 0, 0
	v_mac_f32_e32 v6, 0, v35
	v_rcp_f32_e32 v6, v6
	v_mul_f32_e32 v6, 0x5f7ffffc, v6
	v_mul_f32_e32 v7, 0x2f800000, v6
	v_trunc_f32_e32 v7, v7
	v_mac_f32_e32 v6, 0xcf800000, v7
	v_cvt_u32_f32_e32 v7, v7
	v_cvt_u32_f32_e32 v6, v6
	v_readfirstlane_b32 s57, v7
	v_readfirstlane_b32 s12, v6
	s_mul_i32 s13, s4, s57
	s_mul_hi_u32 s76, s4, s12
	s_mul_i32 s59, s56, s12
	s_add_i32 s13, s76, s13
	s_mul_i32 s77, s4, s12
	s_add_i32 s13, s13, s59
	s_mul_hi_u32 s76, s12, s77
	s_mul_i32 s78, s12, s13
	s_mul_hi_u32 s59, s12, s13
	s_add_u32 s76, s76, s78
	s_addc_u32 s59, 0, s59
	s_mul_hi_u32 s79, s57, s77
	s_mul_i32 s77, s57, s77
	s_add_u32 s76, s76, s77
	s_mul_hi_u32 s78, s57, s13
	s_addc_u32 s59, s59, s79
	s_addc_u32 s76, s78, 0
	s_mul_i32 s13, s57, s13
	s_add_u32 s13, s59, s13
	s_addc_u32 s59, 0, s76
	s_add_u32 s76, s12, s13
	s_cselect_b64 s[12:13], -1, 0
	s_cmp_lg_u64 s[12:13], 0
	s_addc_u32 s57, s57, s59
	s_mul_i32 s12, s4, s57
	s_mul_hi_u32 s13, s4, s76
	s_add_i32 s12, s13, s12
	s_mul_i32 s56, s56, s76
	s_add_i32 s12, s12, s56
	s_mul_i32 s4, s4, s76
	s_mul_hi_u32 s56, s57, s4
	s_mul_i32 s59, s57, s4
	s_mul_i32 s78, s76, s12
	s_mul_hi_u32 s4, s76, s4
	s_mul_hi_u32 s77, s76, s12
	s_add_u32 s4, s4, s78
	s_addc_u32 s77, 0, s77
	s_add_u32 s4, s4, s59
	s_mul_hi_u32 s13, s57, s12
	s_addc_u32 s4, s77, s56
	s_addc_u32 s13, s13, 0
	s_mul_i32 s12, s57, s12
	s_add_u32 s4, s4, s12
	s_addc_u32 s56, 0, s13
	s_add_u32 s4, s76, s4
	s_cselect_b64 s[12:13], -1, 0
	s_cmp_lg_u64 s[12:13], 0
	s_addc_u32 s12, s57, s56
	s_mul_i32 s56, s58, s12
	s_mul_hi_u32 s57, s58, s4
	s_mul_hi_u32 s13, s58, s12
	s_add_u32 s56, s57, s56
	s_addc_u32 s13, 0, s13
	s_mul_hi_u32 s59, s5, s4
	s_mul_i32 s4, s5, s4
	s_add_u32 s4, s56, s4
	s_mul_hi_u32 s57, s5, s12
	s_addc_u32 s4, s13, s59
	s_addc_u32 s13, s57, 0
	s_mul_i32 s12, s5, s12
	s_add_u32 s4, s4, s12
	s_addc_u32 s12, 0, s13
	s_mul_i32 s12, s83, s12
	s_mul_hi_u32 s13, s83, s4
	s_add_i32 s56, s13, s12
	s_mul_i32 s4, s83, s4
	s_sub_u32 s4, s58, s4
	s_cselect_b64 s[12:13], -1, 0
	s_cmp_lg_u64 s[12:13], 0
	s_subb_u32 s56, s5, s56
	s_sub_u32 s57, s4, s83
	s_cselect_b64 s[12:13], -1, 0
	s_cmp_lg_u64 s[12:13], 0
	s_subb_u32 s59, s56, 0
	;; [unrolled: 4-line block ×3, first 2 shown]
	s_cmp_ge_u32 s57, s83
	s_cselect_b32 s13, -1, 0
	s_cmp_eq_u32 s59, 0
	s_cselect_b32 s13, s13, -1
	s_cmp_lg_u32 s13, 0
	s_cselect_b32 s12, s12, s59
	s_cselect_b32 s57, s76, s57
	s_cmp_ge_u32 s4, s83
	s_cselect_b32 s13, -1, 0
	s_cmp_eq_u32 s56, 0
	s_cselect_b32 s13, s13, -1
	s_cmp_lg_u32 s13, 0
	s_cselect_b32 s13, s12, s56
	s_cselect_b32 s12, s57, s4
	s_mov_b64 s[56:57], 0
	s_branch .LBB222_428
.LBB222_425:                            ;   in Loop: Header=BB222_18 Depth=1
                                        ; implicit-def: $sgpr10_sgpr11
	s_branch .LBB222_380
.LBB222_426:                            ;   in Loop: Header=BB222_18 Depth=1
                                        ; implicit-def: $sgpr8_sgpr9
	s_branch .LBB222_396
.LBB222_427:                            ;   in Loop: Header=BB222_18 Depth=1
	s_mov_b64 s[56:57], -1
                                        ; implicit-def: $sgpr12_sgpr13
.LBB222_428:                            ;   in Loop: Header=BB222_18 Depth=1
	s_andn2_b64 vcc, exec, s[56:57]
	s_cbranch_vccnz .LBB222_430
; %bb.429:                              ;   in Loop: Header=BB222_18 Depth=1
	v_cvt_f32_u32_e32 v6, s83
	s_sub_i32 s4, 0, s83
	v_rcp_iflag_f32_e32 v6, v6
	v_mul_f32_e32 v6, 0x4f7ffffe, v6
	v_cvt_u32_f32_e32 v6, v6
	v_readfirstlane_b32 s12, v6
	s_mul_i32 s4, s4, s12
	s_mul_hi_u32 s4, s12, s4
	s_add_i32 s12, s12, s4
	s_mul_hi_u32 s4, s58, s12
	s_mul_i32 s4, s4, s83
	s_sub_i32 s4, s58, s4
	s_sub_i32 s12, s4, s83
	s_cmp_ge_u32 s4, s83
	s_cselect_b32 s4, s12, s4
	s_sub_i32 s12, s4, s83
	s_cmp_ge_u32 s4, s83
	s_cselect_b32 s92, s12, s4
	s_mov_b64 s[12:13], s[92:93]
	v_readlane_b32 s92, v47, 7
.LBB222_430:                            ;   in Loop: Header=BB222_18 Depth=1
	s_sub_u32 s58, s58, s12
	s_subb_u32 s59, s5, s13
	v_cmp_gt_u64_e32 vcc, s[58:59], v[0:1]
	s_mov_b64 s[12:13], 0
	s_mov_b64 s[4:5], 0
                                        ; implicit-def: $vgpr39
	s_and_saveexec_b64 s[56:57], vcc
	s_cbranch_execz .LBB222_439
; %bb.431:                              ;   in Loop: Header=BB222_18 Depth=1
	v_mov_b32_e32 v7, v1
	v_mov_b32_e32 v8, v27
	;; [unrolled: 1-line block ×3, first 2 shown]
                                        ; implicit-def: $sgpr76_sgpr77
	s_branch .LBB222_434
.LBB222_432:                            ;   in Loop: Header=BB222_434 Depth=2
	s_or_b64 exec, exec, s[78:79]
	s_waitcnt lgkmcnt(0)
	s_barrier
	ds_read_b32 v9, v3 offset:3072
	s_mov_b64 s[78:79], -1
	s_mov_b64 s[84:85], -1
	s_waitcnt lgkmcnt(0)
	s_barrier
	v_and_b32_e32 v10, 0x7fff, v9
	v_cmp_ne_u32_e32 vcc, 0, v10
	s_cbranch_vccz .LBB222_437
.LBB222_433:                            ;   in Loop: Header=BB222_434 Depth=2
	s_and_b64 s[78:79], exec, s[78:79]
	s_or_b64 s[4:5], s[78:79], s[4:5]
	s_andn2_b64 s[76:77], s[76:77], exec
	s_and_b64 s[78:79], s[84:85], exec
	s_or_b64 s[76:77], s[76:77], s[78:79]
	s_andn2_b64 exec, exec, s[4:5]
	s_cbranch_execz .LBB222_438
.LBB222_434:                            ;   Parent Loop BB222_18 Depth=1
                                        ; =>  This Inner Loop Header: Depth=2
	v_cmp_gt_u64_e32 vcc, s[10:11], v[6:7]
	s_and_saveexec_b64 s[78:79], vcc
	s_cbranch_execz .LBB222_432
; %bb.435:                              ;   in Loop: Header=BB222_434 Depth=2
	ds_read_u16 v9, v8
	s_waitcnt lgkmcnt(0)
	v_cmp_lt_i16_e32 vcc, -1, v9
	v_cndmask_b32_e32 v10, v33, v34, vcc
	v_lshlrev_b32_e32 v11, 16, v9
	v_cmp_o_f32_e32 vcc, v11, v11
	v_xor_b32_sdwa v10, v10, v9 dst_sel:DWORD dst_unused:UNUSED_PAD src0_sel:DWORD src1_sel:WORD_0
	v_cndmask_b32_e32 v10, v33, v10, vcc
	v_and_b32_e32 v10, v10, v38
	v_cmp_eq_u32_e32 vcc, v10, v30
	s_and_b64 exec, exec, vcc
	s_cbranch_execz .LBB222_432
; %bb.436:                              ;   in Loop: Header=BB222_434 Depth=2
	s_movk_i32 s74, 0x3f80
	v_perm_b32 v9, v9, s74, v37
	ds_write_b32 v3, v9 offset:3072
	s_branch .LBB222_432
.LBB222_437:                            ;   in Loop: Header=BB222_434 Depth=2
	v_add_co_u32_e32 v6, vcc, s83, v6
	v_addc_co_u32_e32 v7, vcc, 0, v7, vcc
	v_cmp_le_u64_e32 vcc, s[58:59], v[6:7]
	v_readlane_b32 s74, v47, 3
	v_add_u32_e32 v8, s74, v8
	s_mov_b64 s[84:85], 0
	s_orn2_b64 s[78:79], vcc, exec
	s_branch .LBB222_433
.LBB222_438:                            ;   in Loop: Header=BB222_18 Depth=1
	s_or_b64 exec, exec, s[4:5]
	v_readlane_b32 s84, v47, 5
	v_lshrrev_b32_e32 v39, 16, v9
	s_and_b64 s[4:5], s[76:77], exec
	v_readlane_b32 s85, v47, 6
.LBB222_439:                            ;   in Loop: Header=BB222_18 Depth=1
	s_or_b64 exec, exec, s[56:57]
.LBB222_440:                            ;   in Loop: Header=BB222_18 Depth=1
	s_and_b64 vcc, exec, s[12:13]
	s_cbranch_vccz .LBB222_456
; %bb.441:                              ;   in Loop: Header=BB222_18 Depth=1
	v_readlane_b32 s58, v48, 55
	v_readlane_b32 s59, v48, 56
	s_mov_b32 s58, s93
	s_cmp_lg_u64 s[58:59], 0
	v_writelane_b32 v48, s58, 55
	v_writelane_b32 v48, s59, 56
	s_cbranch_scc0 .LBB222_443
; %bb.442:                              ;   in Loop: Header=BB222_18 Depth=1
	v_cvt_f32_u32_e32 v6, s83
	s_sub_u32 s10, 0, s83
	s_subb_u32 s11, 0, 0
	v_mac_f32_e32 v6, 0, v35
	v_rcp_f32_e32 v6, v6
	v_mul_f32_e32 v6, 0x5f7ffffc, v6
	v_mul_f32_e32 v7, 0x2f800000, v6
	v_trunc_f32_e32 v7, v7
	v_mac_f32_e32 v6, 0xcf800000, v7
	v_cvt_u32_f32_e32 v7, v7
	v_cvt_u32_f32_e32 v6, v6
	v_readfirstlane_b32 s12, v7
	v_readfirstlane_b32 s8, v6
	s_mul_i32 s9, s10, s12
	s_mul_hi_u32 s54, s10, s8
	s_mul_i32 s13, s11, s8
	s_add_i32 s9, s54, s9
	s_mul_i32 s55, s10, s8
	s_add_i32 s9, s9, s13
	s_mul_hi_u32 s54, s8, s55
	s_mul_i32 s56, s8, s9
	s_mul_hi_u32 s13, s8, s9
	s_add_u32 s54, s54, s56
	s_addc_u32 s13, 0, s13
	s_mul_hi_u32 s57, s12, s55
	s_mul_i32 s55, s12, s55
	s_add_u32 s54, s54, s55
	s_mul_hi_u32 s56, s12, s9
	s_addc_u32 s13, s13, s57
	s_addc_u32 s54, s56, 0
	s_mul_i32 s9, s12, s9
	s_add_u32 s9, s13, s9
	s_addc_u32 s13, 0, s54
	s_add_u32 s54, s8, s9
	s_cselect_b64 s[8:9], -1, 0
	s_cmp_lg_u64 s[8:9], 0
	s_addc_u32 s12, s12, s13
	s_mul_i32 s8, s10, s12
	s_mul_hi_u32 s9, s10, s54
	s_add_i32 s8, s9, s8
	s_mul_i32 s11, s11, s54
	s_add_i32 s8, s8, s11
	s_mul_i32 s10, s10, s54
	s_mul_hi_u32 s11, s12, s10
	s_mul_i32 s13, s12, s10
	s_mul_i32 s56, s54, s8
	s_mul_hi_u32 s10, s54, s10
	s_mul_hi_u32 s55, s54, s8
	s_add_u32 s10, s10, s56
	s_addc_u32 s55, 0, s55
	s_add_u32 s10, s10, s13
	s_mul_hi_u32 s9, s12, s8
	s_addc_u32 s10, s55, s11
	s_addc_u32 s9, s9, 0
	s_mul_i32 s8, s12, s8
	s_add_u32 s8, s10, s8
	s_addc_u32 s10, 0, s9
	s_add_u32 s11, s54, s8
	s_cselect_b64 s[8:9], -1, 0
	s_cmp_lg_u64 s[8:9], 0
	s_addc_u32 s8, s12, s10
	v_readlane_b32 s54, v48, 53
	s_mul_i32 s10, s54, s8
	s_mul_hi_u32 s12, s54, s11
	s_mul_hi_u32 s9, s54, s8
	s_add_u32 s10, s12, s10
	s_addc_u32 s9, 0, s9
	s_mul_hi_u32 s13, s59, s11
	s_mul_i32 s11, s59, s11
	s_add_u32 s10, s10, s11
	s_mul_hi_u32 s12, s59, s8
	s_addc_u32 s9, s9, s13
	s_addc_u32 s10, s12, 0
	s_mul_i32 s8, s59, s8
	s_add_u32 s8, s9, s8
	s_addc_u32 s9, 0, s10
	s_mul_i32 s9, s83, s9
	s_mul_hi_u32 s10, s83, s8
	s_add_i32 s10, s10, s9
	s_mul_i32 s8, s83, s8
	s_sub_u32 s11, s54, s8
	s_cselect_b64 s[8:9], -1, 0
	s_cmp_lg_u64 s[8:9], 0
	s_subb_u32 s10, s59, s10
	s_sub_u32 s12, s11, s83
	s_cselect_b64 s[8:9], -1, 0
	s_cmp_lg_u64 s[8:9], 0
	s_subb_u32 s13, s10, 0
	;; [unrolled: 4-line block ×3, first 2 shown]
	s_cmp_ge_u32 s12, s83
	s_cselect_b32 s9, -1, 0
	s_cmp_eq_u32 s13, 0
	s_cselect_b32 s9, s9, -1
	s_cmp_lg_u32 s9, 0
	s_cselect_b32 s8, s8, s13
	s_cselect_b32 s12, s54, s12
	s_cmp_ge_u32 s11, s83
	s_cselect_b32 s9, -1, 0
	s_cmp_eq_u32 s10, 0
	s_cselect_b32 s9, s9, -1
	s_cmp_lg_u32 s9, 0
	s_cselect_b32 s9, s8, s10
	s_cselect_b32 s8, s12, s11
	s_mov_b64 s[10:11], 0
	s_branch .LBB222_444
.LBB222_443:                            ;   in Loop: Header=BB222_18 Depth=1
	s_mov_b64 s[10:11], -1
                                        ; implicit-def: $sgpr8_sgpr9
.LBB222_444:                            ;   in Loop: Header=BB222_18 Depth=1
	s_andn2_b64 vcc, exec, s[10:11]
	s_cbranch_vccnz .LBB222_446
; %bb.445:                              ;   in Loop: Header=BB222_18 Depth=1
	v_cvt_f32_u32_e32 v6, s83
	s_sub_i32 s8, 0, s83
	v_readlane_b32 s10, v48, 53
	v_rcp_iflag_f32_e32 v6, v6
	v_mul_f32_e32 v6, 0x4f7ffffe, v6
	v_cvt_u32_f32_e32 v6, v6
	v_readfirstlane_b32 s9, v6
	s_mul_i32 s8, s8, s9
	s_mul_hi_u32 s8, s9, s8
	s_add_i32 s9, s9, s8
	s_mul_hi_u32 s8, s10, s9
	s_mul_i32 s8, s8, s83
	s_sub_i32 s8, s10, s8
	s_sub_i32 s9, s8, s83
	s_cmp_ge_u32 s8, s83
	s_cselect_b32 s8, s9, s8
	s_sub_i32 s9, s8, s83
	s_cmp_ge_u32 s8, s83
	s_cselect_b32 s92, s9, s8
	s_mov_b64 s[8:9], s[92:93]
	v_readlane_b32 s92, v47, 7
.LBB222_446:                            ;   in Loop: Header=BB222_18 Depth=1
	v_readlane_b32 s10, v48, 53
	v_readlane_b32 s12, v48, 55
	s_sub_u32 s10, s10, s8
	v_readlane_b32 s13, v48, 56
	s_subb_u32 s11, s13, s9
	v_cmp_gt_u64_e32 vcc, s[10:11], v[0:1]
                                        ; implicit-def: $vgpr39
	s_and_saveexec_b64 s[8:9], vcc
	s_cbranch_execz .LBB222_455
; %bb.447:                              ;   in Loop: Header=BB222_18 Depth=1
	v_mov_b32_e32 v7, v1
	s_mov_b64 s[12:13], 0
	v_mov_b32_e32 v6, v0
                                        ; implicit-def: $sgpr54_sgpr55
	s_branch .LBB222_450
.LBB222_448:                            ;   in Loop: Header=BB222_450 Depth=2
	s_or_b64 exec, exec, s[56:57]
	s_waitcnt lgkmcnt(0)
	s_barrier
	ds_read_b32 v8, v3 offset:3072
	s_mov_b64 s[56:57], -1
	s_mov_b64 s[58:59], -1
	s_waitcnt lgkmcnt(0)
	s_barrier
	v_and_b32_e32 v9, 0x7fff, v8
	v_cmp_eq_u32_e32 vcc, 0, v9
	s_cbranch_vccnz .LBB222_453
.LBB222_449:                            ;   in Loop: Header=BB222_450 Depth=2
	s_and_b64 s[56:57], exec, s[56:57]
	s_or_b64 s[12:13], s[56:57], s[12:13]
	s_andn2_b64 s[54:55], s[54:55], exec
	s_and_b64 s[56:57], s[58:59], exec
	s_or_b64 s[54:55], s[54:55], s[56:57]
	s_andn2_b64 exec, exec, s[12:13]
	s_cbranch_execz .LBB222_454
.LBB222_450:                            ;   Parent Loop BB222_18 Depth=1
                                        ; =>  This Inner Loop Header: Depth=2
	v_cmp_gt_u64_e32 vcc, s[64:65], v[6:7]
	s_and_saveexec_b64 s[56:57], vcc
	s_cbranch_execz .LBB222_448
; %bb.451:                              ;   in Loop: Header=BB222_450 Depth=2
	v_mul_lo_u32 v10, v7, s62
	v_mul_lo_u32 v11, v6, s63
	v_mad_u64_u32 v[8:9], s[58:59], v6, s62, 0
	v_add3_u32 v9, v9, v11, v10
	v_lshlrev_b64 v[8:9], 1, v[8:9]
	v_mov_b32_e32 v10, s82
	v_add_co_u32_e32 v8, vcc, s33, v8
	v_addc_co_u32_e32 v9, vcc, v10, v9, vcc
	global_load_ushort v8, v[8:9], off
	s_waitcnt vmcnt(0)
	v_cmp_lt_i16_e32 vcc, -1, v8
	v_cndmask_b32_e32 v9, v33, v34, vcc
	v_lshlrev_b32_e32 v10, 16, v8
	v_xor_b32_sdwa v9, v9, v8 dst_sel:DWORD dst_unused:UNUSED_PAD src0_sel:DWORD src1_sel:WORD_0
	v_cmp_o_f32_e32 vcc, v10, v10
	v_cndmask_b32_e32 v9, v33, v9, vcc
	v_and_b32_e32 v9, v9, v38
	v_cmp_eq_u32_e32 vcc, v9, v30
	s_and_b64 exec, exec, vcc
	s_cbranch_execz .LBB222_448
; %bb.452:                              ;   in Loop: Header=BB222_450 Depth=2
	s_movk_i32 s58, 0x3f80
	v_perm_b32 v8, v8, s58, v37
	ds_write_b32 v3, v8 offset:3072
	s_branch .LBB222_448
.LBB222_453:                            ;   in Loop: Header=BB222_450 Depth=2
	v_add_co_u32_e32 v6, vcc, s83, v6
	v_addc_co_u32_e32 v7, vcc, 0, v7, vcc
	v_cmp_le_u64_e32 vcc, s[10:11], v[6:7]
	s_mov_b64 s[58:59], 0
	s_orn2_b64 s[56:57], vcc, exec
	s_branch .LBB222_449
.LBB222_454:                            ;   in Loop: Header=BB222_18 Depth=1
	s_or_b64 exec, exec, s[12:13]
	s_andn2_b64 s[4:5], s[4:5], exec
	s_and_b64 s[10:11], s[54:55], exec
	v_lshrrev_b32_e32 v39, 16, v8
	s_or_b64 s[4:5], s[4:5], s[10:11]
.LBB222_455:                            ;   in Loop: Header=BB222_18 Depth=1
	s_or_b64 exec, exec, s[8:9]
	s_mov_b64 s[8:9], 0
	s_mov_b64 s[54:55], -1
.LBB222_456:                            ;   in Loop: Header=BB222_18 Depth=1
	s_orn2_b64 s[10:11], s[4:5], exec
.LBB222_457:                            ;   in Loop: Header=BB222_18 Depth=1
	s_or_b64 exec, exec, s[52:53]
	s_mov_b64 s[12:13], 0
	s_and_saveexec_b64 s[4:5], s[10:11]
	s_cbranch_execz .LBB222_468
; %bb.458:                              ;   in Loop: Header=BB222_18 Depth=1
	v_mov_b32_e32 v6, 1
	s_xor_b64 s[12:13], s[50:51], -1
	v_mov_b32_e32 v7, 0
	v_mov_b32_e32 v2, 1
	s_and_saveexec_b64 s[10:11], s[12:13]
	s_cbranch_execz .LBB222_467
; %bb.459:                              ;   in Loop: Header=BB222_18 Depth=1
	v_cmp_ge_u64_e32 vcc, s[20:21], v[4:5]
	s_and_saveexec_b64 s[12:13], vcc
	s_xor_b64 s[12:13], exec, s[12:13]
	s_cbranch_execz .LBB222_464
; %bb.460:                              ;   in Loop: Header=BB222_18 Depth=1
	ds_read_b64 v[6:7], v3 offset:5120
	v_and_b32_e32 v30, s1, v30
	v_or_b32_e32 v38, s0, v38
	s_waitcnt lgkmcnt(0)
	v_cmp_ne_u64_e32 vcc, 0, v[6:7]
	s_cbranch_vccnz .LBB222_464
; %bb.461:                              ;   in Loop: Header=BB222_18 Depth=1
	s_mov_b64 s[50:51], exec
	v_readlane_b32 s0, v48, 32
	v_readlane_b32 s1, v48, 33
	s_and_b64 s[0:1], s[50:51], s[0:1]
	s_mov_b64 exec, s[0:1]
; %bb.462:                              ;   in Loop: Header=BB222_18 Depth=1
	v_mov_b32_e32 v6, s20
	v_mov_b32_e32 v7, s21
	ds_write_b64 v3, v[6:7] offset:5128
; %bb.463:                              ;   in Loop: Header=BB222_18 Depth=1
	s_or_b64 exec, exec, s[50:51]
	s_waitcnt lgkmcnt(0)
	s_barrier
.LBB222_464:                            ;   in Loop: Header=BB222_18 Depth=1
	s_andn2_saveexec_b64 s[12:13], s[12:13]
; %bb.465:                              ;   in Loop: Header=BB222_18 Depth=1
	v_mov_b32_e32 v2, s21
	v_subrev_co_u32_e32 v4, vcc, s20, v4
	v_subb_co_u32_e32 v5, vcc, v5, v2, vcc
; %bb.466:                              ;   in Loop: Header=BB222_18 Depth=1
	s_or_b64 exec, exec, s[12:13]
	v_mov_b32_e32 v7, v5
	v_mov_b32_e32 v2, 5
	;; [unrolled: 1-line block ×3, first 2 shown]
.LBB222_467:                            ;   in Loop: Header=BB222_18 Depth=1
	s_or_b64 exec, exec, s[10:11]
	v_mov_b32_e32 v4, v6
	s_mov_b64 s[12:13], exec
	v_mov_b32_e32 v5, v7
.LBB222_468:                            ;   in Loop: Header=BB222_18 Depth=1
	s_or_b64 exec, exec, s[4:5]
	s_orn2_b64 s[4:5], s[12:13], exec
.LBB222_469:                            ;   in Loop: Header=BB222_18 Depth=1
	s_or_b64 exec, exec, s[24:25]
	s_andn2_b64 s[0:1], s[46:47], exec
	s_and_b64 s[10:11], s[54:55], exec
	s_or_b64 s[46:47], s[0:1], s[10:11]
	s_andn2_b64 s[0:1], s[44:45], exec
	s_and_b64 s[8:9], s[8:9], exec
	v_mov_b32_e32 v7, v5
	s_or_b64 s[44:45], s[0:1], s[8:9]
	s_and_b64 s[8:9], s[4:5], exec
	v_mov_b32_e32 v6, v4
.LBB222_470:                            ;   in Loop: Header=BB222_18 Depth=1
	s_or_b64 exec, exec, s[48:49]
	s_orn2_b64 s[4:5], s[8:9], exec
.LBB222_471:                            ;   in Loop: Header=BB222_18 Depth=1
	s_or_b64 exec, exec, s[26:27]
	s_andn2_b64 s[0:1], s[38:39], exec
	s_and_b64 s[8:9], s[46:47], exec
	s_or_b64 s[38:39], s[0:1], s[8:9]
	s_andn2_b64 s[0:1], s[28:29], exec
	s_and_b64 s[8:9], s[44:45], exec
	v_mov_b32_e32 v4, v6
	s_or_b64 s[28:29], s[0:1], s[8:9]
	s_and_b64 s[8:9], s[4:5], exec
	v_mov_b32_e32 v5, v7
.LBB222_472:                            ;   in Loop: Header=BB222_18 Depth=1
	s_or_b64 exec, exec, s[40:41]
	s_orn2_b64 s[4:5], s[8:9], exec
.LBB222_473:                            ;   in Loop: Header=BB222_18 Depth=1
	s_or_b64 exec, exec, s[6:7]
	s_mov_b64 s[6:7], s[34:35]
	s_mov_b64 s[8:9], s[30:31]
	s_and_saveexec_b64 s[10:11], s[4:5]
; %bb.474:                              ;   in Loop: Header=BB222_18 Depth=1
	v_cmp_ne_u32_e64 s[6:7], 5, v2
	v_cmp_eq_u32_e32 vcc, 5, v2
	s_andn2_b64 s[0:1], s[30:31], exec
	s_and_b64 s[4:5], s[6:7], exec
	s_or_b64 s[8:9], s[0:1], s[4:5]
	s_andn2_b64 s[0:1], s[34:35], exec
	s_and_b64 s[4:5], vcc, exec
	s_or_b64 s[6:7], s[0:1], s[4:5]
; %bb.475:                              ;   in Loop: Header=BB222_18 Depth=1
	s_or_b64 exec, exec, s[10:11]
	s_andn2_b64 s[0:1], s[18:19], exec
	s_and_b64 s[4:5], s[38:39], exec
	s_or_b64 s[18:19], s[0:1], s[4:5]
	s_andn2_b64 s[0:1], s[22:23], exec
	s_and_b64 s[4:5], s[28:29], exec
	s_or_b64 s[22:23], s[0:1], s[4:5]
	;; [unrolled: 3-line block ×4, first 2 shown]
.LBB222_476:                            ;   in Loop: Header=BB222_18 Depth=1
	s_or_b64 exec, exec, s[36:37]
	s_mov_b64 s[36:37], 0
	s_mov_b64 s[38:39], 0
	s_and_saveexec_b64 s[4:5], s[34:35]
.LBB222_477:                            ;   in Loop: Header=BB222_18 Depth=1
	v_mov_b32_e32 v2, 0
	s_or_b64 s[30:31], s[30:31], exec
.LBB222_478:                            ;   in Loop: Header=BB222_18 Depth=1
	s_or_b64 exec, exec, s[4:5]
	s_andn2_b64 s[0:1], s[42:43], exec
	s_and_b64 s[4:5], s[18:19], exec
	s_or_b64 s[42:43], s[0:1], s[4:5]
	s_andn2_b64 s[0:1], s[90:91], exec
	s_and_b64 s[4:5], s[22:23], exec
	s_or_b64 s[90:91], s[0:1], s[4:5]
	;; [unrolled: 3-line block ×3, first 2 shown]
	v_readlane_b32 s0, v47, 8
	v_readlane_b32 s1, v47, 9
	s_andn2_b64 s[0:1], s[0:1], exec
	s_and_b64 s[4:5], s[36:37], exec
	v_mov_b32_e32 v20, v5
	s_mov_b64 s[6:7], -1
	s_andn2_b64 s[16:17], s[16:17], exec
	s_or_b64 s[24:25], s[0:1], s[4:5]
	v_mov_b32_e32 v19, v4
	s_and_saveexec_b64 s[0:1], s[30:31]
	s_xor_b64 s[4:5], exec, s[0:1]
	s_cbranch_execz .LBB222_17
; %bb.479:                              ;   in Loop: Header=BB222_18 Depth=1
	v_cmp_eq_u32_e32 vcc, 0, v2
	s_mov_b64 s[8:9], -1
	s_and_saveexec_b64 s[10:11], vcc
	s_cbranch_execz .LBB222_16
; %bb.480:                              ;   in Loop: Header=BB222_18 Depth=1
	v_readlane_b32 s0, v47, 4
	s_xor_b32 s0, s0, 1
	s_add_i32 s12, s81, -2
	s_cmp_eq_u32 s81, 0
	v_writelane_b32 v47, s0, 4
	s_cselect_b64 s[0:1], -1, 0
	s_xor_b64 s[8:9], exec, -1
	s_orn2_b64 s[6:7], s[0:1], exec
	s_mov_b32 s81, s12
	s_branch .LBB222_16
.LBB222_481:
	s_or_b64 exec, exec, s[88:89]
	s_xor_b64 s[4:5], s[72:73], -1
	s_xor_b64 s[8:9], s[70:71], -1
	;; [unrolled: 1-line block ×5, first 2 shown]
	s_mov_b64 s[6:7], 0
	s_and_saveexec_b64 s[10:11], s[0:1]
	s_xor_b64 s[10:11], exec, s[10:11]
	s_cbranch_execnz .LBB222_486
; %bb.482:
	s_andn2_saveexec_b64 s[0:1], s[10:11]
	s_cbranch_execnz .LBB222_505
.LBB222_483:
	s_or_b64 exec, exec, s[0:1]
	s_and_saveexec_b64 s[0:1], s[6:7]
.LBB222_484:
	; divergent unreachable
.LBB222_485:
	s_endpgm
.LBB222_486:
	s_and_saveexec_b64 s[0:1], s[12:13]
	s_xor_b64 s[12:13], exec, s[0:1]
	s_cbranch_execz .LBB222_503
; %bb.487:
	s_and_saveexec_b64 s[0:1], s[8:9]
	s_xor_b64 s[14:15], exec, s[0:1]
	s_cbranch_execz .LBB222_501
; %bb.488:
	;; [unrolled: 4-line block ×3, first 2 shown]
	s_and_saveexec_b64 s[0:1], s[2:3]
	s_xor_b64 s[2:3], exec, s[0:1]
; %bb.490:
	v_and_b32_e32 v2, 0x8000, v30
	v_mov_b32_e32 v3, 0x8000
	v_mov_b32_e32 v4, 0xffff
	v_cmp_eq_u32_e32 vcc, 0, v2
	v_cndmask_b32_e32 v2, v3, v4, vcc
	v_xor_b32_e32 v39, v2, v30
; %bb.491:
	s_or_b64 exec, exec, s[2:3]
	s_mov_b64 s[2:3], exec
	v_readlane_b32 s0, v48, 32
	v_readlane_b32 s1, v48, 33
	;; [unrolled: 1-line block ×4, first 2 shown]
	s_and_b64 s[0:1], s[2:3], s[0:1]
	v_readlane_b32 s23, v48, 37
	v_readlane_b32 s18, v48, 34
	;; [unrolled: 1-line block ×4, first 2 shown]
	s_mov_b64 exec, s[0:1]
; %bb.492:
	v_mov_b32_e32 v2, 0
	v_mov_b32_e32 v3, v2
	ds_write_b64 v2, v[2:3] offset:5136
; %bb.493:
	s_or_b64 exec, exec, s[2:3]
	v_mov_b32_e32 v17, 0
	s_waitcnt lgkmcnt(0)
	s_barrier
	s_mov_b64 s[2:3], exec
	v_readlane_b32 s0, v48, 46
	v_readlane_b32 s1, v48, 47
	;; [unrolled: 1-line block ×3, first 2 shown]
	s_and_b64 s[0:1], s[2:3], s[0:1]
	v_readlane_b32 s5, v48, 23
	s_mov_b64 exec, s[0:1]
	s_cbranch_execz .LBB222_495
; %bb.494:
	global_load_ushort v17, v[12:13], off
.LBB222_495:
	s_or_b64 exec, exec, s[2:3]
	v_readlane_b32 s28, v48, 24
	s_add_u32 s0, s64, 63
	v_readlane_b32 s30, v48, 26
	v_readlane_b32 s31, v48, 27
	s_addc_u32 s9, s65, 0
	s_and_b32 s8, s0, 0xffffffc0
	s_mul_i32 s0, s4, s31
	s_mul_hi_u32 s1, s4, s30
	s_add_i32 s1, s1, s0
	s_mul_i32 s0, s4, s30
	v_readlane_b32 s6, v48, 10
	s_sub_u32 s0, s18, s0
	v_readlane_b32 s7, v48, 11
	s_subb_u32 s1, 0, s1
	s_mul_i32 s2, s0, s7
	s_mul_hi_u32 s3, s0, s6
	s_add_i32 s2, s3, s2
	s_mul_i32 s1, s1, s6
	s_add_i32 s3, s2, s1
	s_mul_i32 s2, s0, s6
	v_readlane_b32 s24, v48, 2
	v_readlane_b32 s0, v48, 0
	;; [unrolled: 1-line block ×4, first 2 shown]
	s_mov_b32 s6, s0
	s_mul_i32 s0, s0, s25
	s_mul_hi_u32 s1, s6, s24
	s_add_i32 s1, s1, s0
	s_mul_i32 s0, s6, s24
	v_readlane_b32 s20, v48, 8
	v_readlane_b32 s36, v48, 18
	;; [unrolled: 1-line block ×3, first 2 shown]
	s_sub_u32 s0, s20, s0
	v_readlane_b32 s38, v48, 20
	v_readlane_b32 s39, v48, 21
	s_subb_u32 s1, s21, s1
	s_mov_b64 s[30:31], s[4:5]
	s_mul_i32 s4, s0, s39
	s_mul_hi_u32 s5, s0, s38
	v_readlane_b32 s37, v48, 19
	s_add_i32 s4, s5, s4
	s_mul_i32 s1, s1, s38
	v_readlane_b32 s26, v48, 4
	v_readlane_b32 s27, v48, 5
	s_add_i32 s1, s4, s1
	s_mul_i32 s4, s6, s37
	s_mul_hi_u32 s5, s6, s36
	s_add_i32 s5, s5, s4
	s_mul_i32 s4, s6, s36
	s_mul_i32 s6, s20, s27
	s_mul_hi_u32 s7, s20, s26
	s_add_i32 s7, s7, s6
	s_mul_i32 s6, s20, s26
	v_readlane_b32 s20, v48, 16
	s_sub_u32 s6, s18, s6
	v_readlane_b32 s21, v48, 17
	s_subb_u32 s7, 0, s7
	s_mul_i32 s18, s6, s21
	s_mul_hi_u32 s19, s6, s20
	s_add_i32 s18, s19, s18
	s_mul_i32 s7, s7, s20
	s_add_i32 s7, s18, s7
	v_readlane_b32 s18, v48, 6
	v_readlane_b32 s29, v48, 25
	;; [unrolled: 1-line block ×3, first 2 shown]
	s_mov_b32 s24, s18
	s_mul_i32 s18, s18, s29
	s_mul_hi_u32 s19, s24, s28
	s_add_i32 s19, s19, s18
	s_mul_i32 s18, s24, s28
	s_sub_u32 s18, s30, s18
	s_subb_u32 s19, s31, s19
	v_readlane_b32 s28, v48, 12
	v_readlane_b32 s30, v48, 14
	;; [unrolled: 1-line block ×3, first 2 shown]
	s_mul_i32 s6, s6, s20
	s_mul_i32 s20, s18, s31
	s_mul_hi_u32 s21, s18, s30
	v_readlane_b32 s29, v48, 13
	s_add_i32 s20, s21, s20
	s_mul_i32 s19, s19, s30
	s_add_i32 s19, s20, s19
	s_mul_i32 s20, s24, s29
	s_mul_hi_u32 s21, s24, s28
	s_add_i32 s21, s21, s20
	s_mul_i32 s20, s24, s28
	s_lshl_b64 s[4:5], s[4:5], 1
	v_readlane_b32 s24, v48, 30
	s_mul_i32 s0, s0, s38
	v_readlane_b32 s25, v48, 31
	s_add_u32 s4, s24, s4
	s_addc_u32 s5, s25, s5
	s_lshl_b64 s[0:1], s[0:1], 1
	s_add_u32 s4, s4, s0
	s_addc_u32 s5, s5, s1
	s_lshl_b64 s[0:1], s[6:7], 1
	;; [unrolled: 3-line block ×3, first 2 shown]
	v_readlane_b32 s6, v48, 28
	s_mul_i32 s18, s18, s30
	v_readlane_b32 s7, v48, 29
	s_add_u32 s6, s6, s4
	v_mov_b32_e32 v15, 0xffff
	v_mov_b32_e32 v16, 0x8000
	v_cmp_lt_i16_e32 vcc, -1, v39
	s_addc_u32 s7, s7, s5
	s_lshl_b64 s[4:5], s[18:19], 3
	s_load_dwordx2 s[18:19], s[22:23], 0x368
	s_load_dwordx2 s[20:21], s[22:23], 0x510
	v_cndmask_b32_e32 v2, v15, v16, vcc
	v_lshlrev_b32_e32 v3, 16, v39
	s_add_u32 s4, s6, s4
	v_xor_b32_sdwa v2, v2, v39 dst_sel:DWORD dst_unused:UNUSED_PAD src0_sel:DWORD src1_sel:WORD_0
	v_cmp_o_f32_e32 vcc, v3, v3
	s_addc_u32 s5, s7, s5
	s_lshl_b64 s[2:3], s[2:3], 3
	v_cndmask_b32_e32 v14, v15, v2, vcc
	s_add_u32 s38, s4, s2
	v_cmp_gt_u64_e32 vcc, s[8:9], v[0:1]
	s_addc_u32 s39, s5, s3
	s_mov_b64 s[24:25], -1
	s_mov_b64 s[2:3], 0
	s_mov_b64 s[4:5], 0
	s_and_saveexec_b64 s[22:23], vcc
	s_cbranch_execnz .LBB222_506
; %bb.496:
	s_or_b64 exec, exec, s[22:23]
	s_and_saveexec_b64 s[6:7], s[24:25]
	s_cbranch_execnz .LBB222_523
.LBB222_497:
	s_or_b64 exec, exec, s[6:7]
	s_and_saveexec_b64 s[0:1], s[4:5]
	s_xor_b64 s[0:1], exec, s[0:1]
	s_cbranch_execnz .LBB222_548
.LBB222_498:
	s_or_b64 exec, exec, s[0:1]
	s_and_b64 s[6:7], s[2:3], exec
.LBB222_499:
	s_andn2_saveexec_b64 s[0:1], s[16:17]
	s_cbranch_execnz .LBB222_550
.LBB222_500:
	s_or_b64 exec, exec, s[0:1]
	s_and_b64 s[6:7], s[6:7], exec
.LBB222_501:
	s_andn2_saveexec_b64 s[0:1], s[14:15]
	s_cbranch_execnz .LBB222_549
.LBB222_502:
	s_or_b64 exec, exec, s[0:1]
	s_and_b64 s[6:7], s[6:7], exec
.LBB222_503:
	s_andn2_saveexec_b64 s[0:1], s[12:13]
	s_cbranch_execnz .LBB222_544
.LBB222_504:
	s_or_b64 exec, exec, s[0:1]
	s_and_b64 s[6:7], s[6:7], exec
	s_andn2_saveexec_b64 s[0:1], s[10:11]
	s_cbranch_execz .LBB222_483
.LBB222_505:
	s_or_b64 s[6:7], s[6:7], exec
	s_trap 2
	s_or_b64 exec, exec, s[0:1]
	s_and_saveexec_b64 s[0:1], s[6:7]
	s_cbranch_execnz .LBB222_484
	s_branch .LBB222_485
.LBB222_506:
	v_mov_b32_e32 v9, v1
	s_mov_b64 s[24:25], 0
	v_mov_b32_e32 v3, 0
	v_mov_b32_e32 v8, v0
                                        ; implicit-def: $sgpr26_sgpr27
                                        ; implicit-def: $vgpr6_vgpr7
	s_branch .LBB222_508
.LBB222_507:                            ;   in Loop: Header=BB222_508 Depth=1
	s_or_b64 exec, exec, s[30:31]
	s_xor_b64 s[4:5], s[28:29], -1
	s_and_b64 s[6:7], exec, s[6:7]
	s_or_b64 s[24:25], s[6:7], s[24:25]
	s_andn2_b64 s[6:7], s[26:27], exec
	s_and_b64 s[4:5], s[4:5], exec
	v_mov_b32_e32 v9, v5
	s_or_b64 s[26:27], s[6:7], s[4:5]
	v_mov_b32_e32 v8, v4
	s_waitcnt vmcnt(0)
	v_mov_b32_e32 v17, v18
	s_andn2_b64 exec, exec, s[24:25]
	s_cbranch_execz .LBB222_522
.LBB222_508:                            ; =>This Inner Loop Header: Depth=1
	v_add_co_u32_e64 v4, s[4:5], s83, v8
	v_addc_co_u32_e64 v5, s[4:5], 0, v9, s[4:5]
	v_cmp_gt_u64_e64 s[4:5], s[64:65], v[4:5]
	v_mov_b32_e32 v18, 0
	s_and_saveexec_b64 s[6:7], s[4:5]
	s_cbranch_execz .LBB222_510
; %bb.509:                              ;   in Loop: Header=BB222_508 Depth=1
	v_mul_lo_u32 v2, v5, s62
	v_mul_lo_u32 v18, v4, s63
	v_mad_u64_u32 v[10:11], s[4:5], v4, s62, 0
	v_add3_u32 v11, v11, v18, v2
	v_lshlrev_b64 v[10:11], 1, v[10:11]
	v_mov_b32_e32 v2, s82
	v_add_co_u32_e64 v10, s[4:5], s33, v10
	v_addc_co_u32_e64 v11, s[4:5], v2, v11, s[4:5]
	global_load_ushort v18, v[10:11], off
.LBB222_510:                            ;   in Loop: Header=BB222_508 Depth=1
	s_or_b64 exec, exec, s[6:7]
	v_cmp_gt_u64_e64 s[4:5], s[64:65], v[8:9]
	s_mov_b64 s[28:29], 0
	s_and_saveexec_b64 s[6:7], s[4:5]
	s_cbranch_execz .LBB222_512
; %bb.511:                              ;   in Loop: Header=BB222_508 Depth=1
	s_waitcnt vmcnt(0)
	v_cmp_lt_i16_e64 s[4:5], -1, v17
	v_cndmask_b32_e64 v2, v15, v16, s[4:5]
	v_lshlrev_b32_e32 v10, 16, v17
	v_xor_b32_sdwa v2, v2, v17 dst_sel:DWORD dst_unused:UNUSED_PAD src0_sel:DWORD src1_sel:WORD_0
	v_cmp_o_f32_e64 s[4:5], v10, v10
	v_cndmask_b32_e64 v2, v15, v2, s[4:5]
	v_cmp_gt_u32_e64 s[4:5], v2, v14
	v_cndmask_b32_e64 v10, 0, 1, s[4:5]
	v_cmp_lt_u32_e64 s[4:5], v2, v14
	v_cndmask_b32_e64 v2, 0, 1, s[4:5]
	v_cndmask_b32_e64 v2, v2, v10, s[42:43]
	v_and_b32_e32 v2, 1, v2
	v_cmp_eq_u32_e64 s[4:5], 1, v2
	s_and_b64 s[28:29], s[4:5], exec
.LBB222_512:                            ;   in Loop: Header=BB222_508 Depth=1
	s_or_b64 exec, exec, s[6:7]
	v_cndmask_b32_e64 v2, 0, 1, s[28:29]
	v_cmp_ne_u32_e64 s[4:5], 0, v2
	s_cmp_lg_u64 s[4:5], 0
	s_cselect_b64 s[6:7], -1, 0
	s_and_b64 s[6:7], s[84:85], s[6:7]
	s_and_saveexec_b64 s[30:31], s[6:7]
	s_cbranch_execz .LBB222_516
; %bb.513:                              ;   in Loop: Header=BB222_508 Depth=1
	s_mov_b64 s[36:37], exec
	v_mbcnt_lo_u32_b32 v2, s36, 0
	v_mbcnt_hi_u32_b32 v10, s37, v2
	s_bcnt1_i32_b64 s40, s[4:5]
	v_cmp_eq_u32_e64 s[6:7], 0, v10
                                        ; implicit-def: $vgpr6_vgpr7
	s_and_saveexec_b64 s[34:35], s[6:7]
	s_cbranch_execz .LBB222_515
; %bb.514:                              ;   in Loop: Header=BB222_508 Depth=1
	s_bcnt1_i32_b64 s6, s[36:37]
	s_mul_i32 s6, s40, s6
	v_mov_b32_e32 v2, s6
	s_waitcnt lgkmcnt(0)
	ds_add_rtn_u64 v[6:7], v3, v[2:3] offset:5136
.LBB222_515:                            ;   in Loop: Header=BB222_508 Depth=1
	s_or_b64 exec, exec, s[34:35]
	s_waitcnt lgkmcnt(0)
	v_readfirstlane_b32 s6, v7
	v_readfirstlane_b32 s7, v6
	v_mov_b32_e32 v6, s7
	v_mov_b32_e32 v7, s6
	v_mad_u64_u32 v[6:7], s[6:7], s40, v10, v[6:7]
.LBB222_516:                            ;   in Loop: Header=BB222_508 Depth=1
	s_or_b64 exec, exec, s[30:31]
	s_waitcnt lgkmcnt(0)
	ds_bpermute_b32 v6, v23, v6
	ds_bpermute_b32 v7, v23, v7
	s_mov_b64 s[6:7], -1
	s_mov_b64 s[34:35], -1
	s_and_saveexec_b64 s[30:31], s[28:29]
	s_cbranch_execz .LBB222_520
; %bb.517:                              ;   in Loop: Header=BB222_508 Depth=1
	v_and_b32_e32 v10, s4, v25
	v_and_b32_e32 v2, s5, v24
	v_bcnt_u32_b32 v10, v10, 0
	v_bcnt_u32_b32 v2, v2, v10
	s_waitcnt lgkmcnt(0)
	v_add_co_u32_e64 v10, s[4:5], v6, v2
	v_addc_co_u32_e64 v11, s[4:5], 0, v7, s[4:5]
	v_cmp_gt_u64_e64 s[4:5], s[66:67], v[10:11]
	s_mov_b64 s[28:29], 0
	s_and_saveexec_b64 s[34:35], s[4:5]
	s_cbranch_execz .LBB222_519
; %bb.518:                              ;   in Loop: Header=BB222_508 Depth=1
	v_mul_lo_u32 v2, v11, s18
	v_mul_lo_u32 v21, v10, s19
	v_mad_u64_u32 v[19:20], s[4:5], v10, s18, 0
	v_mul_lo_u32 v22, v11, s20
	v_mul_lo_u32 v26, v10, s21
	v_mad_u64_u32 v[10:11], s[4:5], v10, s20, 0
	v_add3_u32 v20, v20, v21, v2
	v_lshlrev_b64 v[19:20], 1, v[19:20]
	v_add3_u32 v11, v11, v26, v22
	v_mov_b32_e32 v2, s1
	v_add_co_u32_e64 v19, s[4:5], s0, v19
	v_lshlrev_b64 v[10:11], 3, v[10:11]
	v_addc_co_u32_e64 v20, s[4:5], v2, v20, s[4:5]
	v_mov_b32_e32 v2, s39
	v_add_co_u32_e64 v10, s[4:5], s38, v10
	s_mov_b64 s[28:29], exec
	v_addc_co_u32_e64 v11, s[4:5], v2, v11, s[4:5]
	s_waitcnt vmcnt(0)
	global_store_short v[19:20], v17, off
	global_store_dwordx2 v[10:11], v[8:9], off
.LBB222_519:                            ;   in Loop: Header=BB222_508 Depth=1
	s_or_b64 exec, exec, s[34:35]
	s_orn2_b64 s[34:35], s[28:29], exec
.LBB222_520:                            ;   in Loop: Header=BB222_508 Depth=1
	s_or_b64 exec, exec, s[30:31]
	s_mov_b64 s[28:29], -1
	s_and_saveexec_b64 s[30:31], s[34:35]
	s_cbranch_execz .LBB222_507
; %bb.521:                              ;   in Loop: Header=BB222_508 Depth=1
	v_cmp_le_u64_e64 s[4:5], s[8:9], v[4:5]
	s_xor_b64 s[28:29], exec, -1
	s_orn2_b64 s[6:7], s[4:5], exec
	s_branch .LBB222_507
.LBB222_522:
	s_or_b64 exec, exec, s[24:25]
	s_mov_b64 s[4:5], exec
	s_orn2_b64 s[24:25], s[26:27], exec
	s_or_b64 exec, exec, s[22:23]
	s_and_saveexec_b64 s[6:7], s[24:25]
	s_cbranch_execz .LBB222_497
.LBB222_523:
	v_mov_b32_e32 v15, 0
	s_waitcnt vmcnt(0) lgkmcnt(0)
	s_barrier
	s_mov_b64 s[2:3], exec
	v_readlane_b32 s22, v48, 46
	v_readlane_b32 s23, v48, 47
	s_and_b64 s[22:23], s[2:3], s[22:23]
	s_mov_b64 exec, s[22:23]
	s_cbranch_execz .LBB222_525
; %bb.524:
	global_load_ushort v15, v[12:13], off
.LBB222_525:
	s_or_b64 exec, exec, s[2:3]
	s_mov_b64 s[2:3], 0
	s_and_saveexec_b64 s[22:23], vcc
	s_cbranch_execz .LBB222_547
; %bb.526:
	s_mov_b64 s[24:25], 0
	v_mov_b32_e32 v3, 0
	v_mov_b32_e32 v10, 0xffff
	;; [unrolled: 1-line block ×3, first 2 shown]
                                        ; implicit-def: $sgpr26_sgpr27
                                        ; implicit-def: $vgpr6_vgpr7
	s_branch .LBB222_529
.LBB222_527:                            ;   in Loop: Header=BB222_529 Depth=1
	s_or_b64 exec, exec, s[30:31]
	s_orn2_b64 s[34:35], s[36:37], exec
	s_orn2_b64 s[30:31], s[28:29], exec
.LBB222_528:                            ;   in Loop: Header=BB222_529 Depth=1
	s_or_b64 exec, exec, s[2:3]
	s_xor_b64 s[2:3], s[34:35], -1
	s_and_b64 s[28:29], exec, s[30:31]
	s_or_b64 s[24:25], s[28:29], s[24:25]
	s_andn2_b64 s[26:27], s[26:27], exec
	s_and_b64 s[2:3], s[2:3], exec
	v_mov_b32_e32 v0, v4
	s_or_b64 s[26:27], s[26:27], s[2:3]
	v_mov_b32_e32 v1, v5
	s_waitcnt vmcnt(0)
	v_mov_b32_e32 v15, v12
	s_andn2_b64 exec, exec, s[24:25]
	s_cbranch_execz .LBB222_545
.LBB222_529:                            ; =>This Inner Loop Header: Depth=1
	v_add_co_u32_e32 v4, vcc, s83, v0
	v_addc_co_u32_e32 v5, vcc, 0, v1, vcc
	v_cmp_gt_u64_e32 vcc, s[64:65], v[4:5]
	v_mov_b32_e32 v12, 0
	s_and_saveexec_b64 s[2:3], vcc
	s_cbranch_execz .LBB222_531
; %bb.530:                              ;   in Loop: Header=BB222_529 Depth=1
	v_mul_lo_u32 v2, v5, s62
	v_mul_lo_u32 v12, v4, s63
	v_mad_u64_u32 v[8:9], s[28:29], v4, s62, 0
	v_add3_u32 v9, v9, v12, v2
	v_lshlrev_b64 v[8:9], 1, v[8:9]
	v_mov_b32_e32 v2, s82
	v_add_co_u32_e32 v8, vcc, s33, v8
	v_addc_co_u32_e32 v9, vcc, v2, v9, vcc
	global_load_ushort v12, v[8:9], off
.LBB222_531:                            ;   in Loop: Header=BB222_529 Depth=1
	s_or_b64 exec, exec, s[2:3]
	v_cmp_gt_u64_e32 vcc, s[64:65], v[0:1]
	s_mov_b64 s[28:29], 0
	s_and_saveexec_b64 s[2:3], vcc
	s_cbranch_execz .LBB222_533
; %bb.532:                              ;   in Loop: Header=BB222_529 Depth=1
	s_waitcnt vmcnt(0)
	v_cmp_lt_i16_e32 vcc, -1, v15
	v_cndmask_b32_e32 v2, v10, v11, vcc
	v_lshlrev_b32_e32 v8, 16, v15
	v_xor_b32_sdwa v2, v2, v15 dst_sel:DWORD dst_unused:UNUSED_PAD src0_sel:DWORD src1_sel:WORD_0
	v_cmp_o_f32_e32 vcc, v8, v8
	v_cndmask_b32_e32 v2, v10, v2, vcc
	v_cmp_eq_u32_e32 vcc, v2, v14
	s_and_b64 s[28:29], vcc, exec
.LBB222_533:                            ;   in Loop: Header=BB222_529 Depth=1
	s_or_b64 exec, exec, s[2:3]
	v_cndmask_b32_e64 v2, 0, 1, s[28:29]
	v_cmp_ne_u32_e32 vcc, 0, v2
	s_cmp_lg_u64 vcc, 0
	s_cselect_b64 s[2:3], -1, 0
	s_and_b64 s[2:3], s[84:85], s[2:3]
	s_and_saveexec_b64 s[30:31], s[2:3]
	s_cbranch_execz .LBB222_537
; %bb.534:                              ;   in Loop: Header=BB222_529 Depth=1
	s_mov_b64 s[36:37], exec
	v_mbcnt_lo_u32_b32 v2, s36, 0
	v_mbcnt_hi_u32_b32 v8, s37, v2
	s_bcnt1_i32_b64 s40, vcc
	v_cmp_eq_u32_e64 s[2:3], 0, v8
                                        ; implicit-def: $vgpr6_vgpr7
	s_and_saveexec_b64 s[34:35], s[2:3]
; %bb.535:                              ;   in Loop: Header=BB222_529 Depth=1
	s_bcnt1_i32_b64 s2, s[36:37]
	s_mul_i32 s2, s40, s2
	v_mov_b32_e32 v2, s2
	ds_add_rtn_u64 v[6:7], v3, v[2:3] offset:5136
; %bb.536:                              ;   in Loop: Header=BB222_529 Depth=1
	s_or_b64 exec, exec, s[34:35]
	s_waitcnt lgkmcnt(0)
	v_readfirstlane_b32 s2, v7
	v_readfirstlane_b32 s3, v6
	v_mov_b32_e32 v6, s3
	v_mov_b32_e32 v7, s2
	v_mad_u64_u32 v[6:7], s[2:3], s40, v8, v[6:7]
.LBB222_537:                            ;   in Loop: Header=BB222_529 Depth=1
	s_or_b64 exec, exec, s[30:31]
	ds_bpermute_b32 v6, v23, v6
	ds_bpermute_b32 v7, v23, v7
	s_cmp_eq_u64 vcc, 0
	s_cselect_b64 s[34:35], -1, 0
	s_mov_b64 s[30:31], -1
	s_waitcnt lgkmcnt(0)
	v_cmp_gt_u64_e64 s[2:3], s[66:67], v[6:7]
	s_or_b64 s[36:37], s[34:35], s[2:3]
	s_mov_b64 s[34:35], -1
	s_and_saveexec_b64 s[2:3], s[36:37]
	s_cbranch_execz .LBB222_528
; %bb.538:                              ;   in Loop: Header=BB222_529 Depth=1
	v_and_b32_e32 v8, vcc_lo, v25
	v_and_b32_e32 v2, vcc_hi, v24
	v_bcnt_u32_b32 v8, v8, 0
	v_bcnt_u32_b32 v2, v2, v8
	v_mov_b32_e32 v9, s67
	v_sub_co_u32_e32 v8, vcc, s66, v6
	v_subb_co_u32_e32 v9, vcc, v9, v7, vcc
	v_cmp_gt_u64_e32 vcc, v[8:9], v[2:3]
	s_mov_b64 s[36:37], -1
	s_and_b64 s[40:41], s[28:29], vcc
	s_mov_b64 s[28:29], -1
	s_and_saveexec_b64 s[30:31], s[40:41]
	s_cbranch_execz .LBB222_542
; %bb.539:                              ;   in Loop: Header=BB222_529 Depth=1
	v_add_co_u32_e32 v8, vcc, v6, v2
	v_addc_co_u32_e32 v9, vcc, 0, v7, vcc
	v_cmp_gt_u64_e32 vcc, s[66:67], v[8:9]
	s_mov_b64 s[34:35], 0
	s_and_saveexec_b64 s[36:37], vcc
	s_cbranch_execz .LBB222_541
; %bb.540:                              ;   in Loop: Header=BB222_529 Depth=1
	v_mul_lo_u32 v2, v9, s18
	v_mul_lo_u32 v13, v8, s19
	v_mad_u64_u32 v[16:17], s[40:41], v8, s18, 0
	v_mul_lo_u32 v18, v9, s20
	v_mul_lo_u32 v19, v8, s21
	v_mad_u64_u32 v[8:9], s[40:41], v8, s20, 0
	v_add3_u32 v17, v17, v13, v2
	v_lshlrev_b64 v[16:17], 1, v[16:17]
	v_add3_u32 v9, v9, v19, v18
	v_mov_b32_e32 v2, s1
	v_add_co_u32_e32 v16, vcc, s0, v16
	v_lshlrev_b64 v[8:9], 3, v[8:9]
	v_addc_co_u32_e32 v17, vcc, v2, v17, vcc
	v_mov_b32_e32 v2, s39
	v_add_co_u32_e32 v8, vcc, s38, v8
	s_mov_b64 s[34:35], exec
	v_addc_co_u32_e32 v9, vcc, v2, v9, vcc
	s_waitcnt vmcnt(0)
	global_store_short v[16:17], v15, off
	global_store_dwordx2 v[8:9], v[0:1], off
.LBB222_541:                            ;   in Loop: Header=BB222_529 Depth=1
	s_or_b64 exec, exec, s[36:37]
	s_xor_b64 s[36:37], exec, -1
	s_orn2_b64 s[34:35], s[34:35], exec
.LBB222_542:                            ;   in Loop: Header=BB222_529 Depth=1
	s_or_b64 exec, exec, s[30:31]
	s_and_saveexec_b64 s[30:31], s[34:35]
	s_cbranch_execz .LBB222_527
; %bb.543:                              ;   in Loop: Header=BB222_529 Depth=1
	v_cmp_le_u64_e32 vcc, s[8:9], v[4:5]
	s_or_b64 s[36:37], s[36:37], exec
	s_orn2_b64 s[28:29], vcc, exec
	s_branch .LBB222_527
.LBB222_544:
	s_or_b64 s[6:7], s[6:7], exec
	s_trap 2
	s_branch .LBB222_504
.LBB222_545:
	s_or_b64 exec, exec, s[24:25]
	s_mov_b64 s[0:1], 0
	s_and_saveexec_b64 s[2:3], s[26:27]
	s_xor_b64 s[2:3], exec, s[2:3]
	s_cbranch_execnz .LBB222_551
.LBB222_546:
	s_or_b64 exec, exec, s[2:3]
	s_and_b64 s[2:3], s[0:1], exec
.LBB222_547:
	s_or_b64 exec, exec, s[22:23]
	s_and_b64 s[2:3], s[2:3], exec
	s_andn2_b64 s[4:5], s[4:5], exec
	s_or_b64 exec, exec, s[6:7]
	s_and_saveexec_b64 s[0:1], s[4:5]
	s_xor_b64 s[0:1], exec, s[0:1]
	s_cbranch_execz .LBB222_498
.LBB222_548:
	s_trap 2
	s_or_b64 s[2:3], s[2:3], exec
	s_branch .LBB222_498
.LBB222_549:
	s_or_b64 s[6:7], s[6:7], exec
	s_trap 2
	s_branch .LBB222_502
.LBB222_550:
	s_trap 2
	s_or_b64 s[6:7], s[6:7], exec
	s_branch .LBB222_500
.LBB222_551:
	s_mov_b64 s[0:1], exec
	s_trap 2
	s_branch .LBB222_546
	.section	.rodata,"a",@progbits
	.p2align	6, 0x0
	.amdhsa_kernel _ZN2at6native6sbtopk10gatherTopKIN3c108BFloat16EmLi3ELb0EEEvNS_4cuda6detail10TensorInfoIKT_T0_EESA_SA_bSA_SA_NS7_IS8_SA_EESA_NS7_IlSA_EESA_PS8_
		.amdhsa_group_segment_fixed_size 5152
		.amdhsa_private_segment_fixed_size 0
		.amdhsa_kernarg_size 1568
		.amdhsa_user_sgpr_count 6
		.amdhsa_user_sgpr_private_segment_buffer 1
		.amdhsa_user_sgpr_dispatch_ptr 0
		.amdhsa_user_sgpr_queue_ptr 0
		.amdhsa_user_sgpr_kernarg_segment_ptr 1
		.amdhsa_user_sgpr_dispatch_id 0
		.amdhsa_user_sgpr_flat_scratch_init 0
		.amdhsa_user_sgpr_private_segment_size 0
		.amdhsa_uses_dynamic_stack 0
		.amdhsa_system_sgpr_private_segment_wavefront_offset 0
		.amdhsa_system_sgpr_workgroup_id_x 1
		.amdhsa_system_sgpr_workgroup_id_y 1
		.amdhsa_system_sgpr_workgroup_id_z 1
		.amdhsa_system_sgpr_workgroup_info 0
		.amdhsa_system_vgpr_workitem_id 0
		.amdhsa_next_free_vgpr 49
		.amdhsa_next_free_sgpr 96
		.amdhsa_reserve_vcc 1
		.amdhsa_reserve_flat_scratch 0
		.amdhsa_float_round_mode_32 0
		.amdhsa_float_round_mode_16_64 0
		.amdhsa_float_denorm_mode_32 3
		.amdhsa_float_denorm_mode_16_64 3
		.amdhsa_dx10_clamp 1
		.amdhsa_ieee_mode 1
		.amdhsa_fp16_overflow 0
		.amdhsa_exception_fp_ieee_invalid_op 0
		.amdhsa_exception_fp_denorm_src 0
		.amdhsa_exception_fp_ieee_div_zero 0
		.amdhsa_exception_fp_ieee_overflow 0
		.amdhsa_exception_fp_ieee_underflow 0
		.amdhsa_exception_fp_ieee_inexact 0
		.amdhsa_exception_int_div_zero 0
	.end_amdhsa_kernel
	.section	.text._ZN2at6native6sbtopk10gatherTopKIN3c108BFloat16EmLi3ELb0EEEvNS_4cuda6detail10TensorInfoIKT_T0_EESA_SA_bSA_SA_NS7_IS8_SA_EESA_NS7_IlSA_EESA_PS8_,"axG",@progbits,_ZN2at6native6sbtopk10gatherTopKIN3c108BFloat16EmLi3ELb0EEEvNS_4cuda6detail10TensorInfoIKT_T0_EESA_SA_bSA_SA_NS7_IS8_SA_EESA_NS7_IlSA_EESA_PS8_,comdat
.Lfunc_end222:
	.size	_ZN2at6native6sbtopk10gatherTopKIN3c108BFloat16EmLi3ELb0EEEvNS_4cuda6detail10TensorInfoIKT_T0_EESA_SA_bSA_SA_NS7_IS8_SA_EESA_NS7_IlSA_EESA_PS8_, .Lfunc_end222-_ZN2at6native6sbtopk10gatherTopKIN3c108BFloat16EmLi3ELb0EEEvNS_4cuda6detail10TensorInfoIKT_T0_EESA_SA_bSA_SA_NS7_IS8_SA_EESA_NS7_IlSA_EESA_PS8_
                                        ; -- End function
	.set _ZN2at6native6sbtopk10gatherTopKIN3c108BFloat16EmLi3ELb0EEEvNS_4cuda6detail10TensorInfoIKT_T0_EESA_SA_bSA_SA_NS7_IS8_SA_EESA_NS7_IlSA_EESA_PS8_.num_vgpr, 49
	.set _ZN2at6native6sbtopk10gatherTopKIN3c108BFloat16EmLi3ELb0EEEvNS_4cuda6detail10TensorInfoIKT_T0_EESA_SA_bSA_SA_NS7_IS8_SA_EESA_NS7_IlSA_EESA_PS8_.num_agpr, 0
	.set _ZN2at6native6sbtopk10gatherTopKIN3c108BFloat16EmLi3ELb0EEEvNS_4cuda6detail10TensorInfoIKT_T0_EESA_SA_bSA_SA_NS7_IS8_SA_EESA_NS7_IlSA_EESA_PS8_.numbered_sgpr, 96
	.set _ZN2at6native6sbtopk10gatherTopKIN3c108BFloat16EmLi3ELb0EEEvNS_4cuda6detail10TensorInfoIKT_T0_EESA_SA_bSA_SA_NS7_IS8_SA_EESA_NS7_IlSA_EESA_PS8_.num_named_barrier, 0
	.set _ZN2at6native6sbtopk10gatherTopKIN3c108BFloat16EmLi3ELb0EEEvNS_4cuda6detail10TensorInfoIKT_T0_EESA_SA_bSA_SA_NS7_IS8_SA_EESA_NS7_IlSA_EESA_PS8_.private_seg_size, 0
	.set _ZN2at6native6sbtopk10gatherTopKIN3c108BFloat16EmLi3ELb0EEEvNS_4cuda6detail10TensorInfoIKT_T0_EESA_SA_bSA_SA_NS7_IS8_SA_EESA_NS7_IlSA_EESA_PS8_.uses_vcc, 1
	.set _ZN2at6native6sbtopk10gatherTopKIN3c108BFloat16EmLi3ELb0EEEvNS_4cuda6detail10TensorInfoIKT_T0_EESA_SA_bSA_SA_NS7_IS8_SA_EESA_NS7_IlSA_EESA_PS8_.uses_flat_scratch, 0
	.set _ZN2at6native6sbtopk10gatherTopKIN3c108BFloat16EmLi3ELb0EEEvNS_4cuda6detail10TensorInfoIKT_T0_EESA_SA_bSA_SA_NS7_IS8_SA_EESA_NS7_IlSA_EESA_PS8_.has_dyn_sized_stack, 0
	.set _ZN2at6native6sbtopk10gatherTopKIN3c108BFloat16EmLi3ELb0EEEvNS_4cuda6detail10TensorInfoIKT_T0_EESA_SA_bSA_SA_NS7_IS8_SA_EESA_NS7_IlSA_EESA_PS8_.has_recursion, 0
	.set _ZN2at6native6sbtopk10gatherTopKIN3c108BFloat16EmLi3ELb0EEEvNS_4cuda6detail10TensorInfoIKT_T0_EESA_SA_bSA_SA_NS7_IS8_SA_EESA_NS7_IlSA_EESA_PS8_.has_indirect_call, 0
	.section	.AMDGPU.csdata,"",@progbits
; Kernel info:
; codeLenInByte = 28524
; TotalNumSgprs: 100
; NumVgprs: 49
; ScratchSize: 0
; MemoryBound: 0
; FloatMode: 240
; IeeeMode: 1
; LDSByteSize: 5152 bytes/workgroup (compile time only)
; SGPRBlocks: 12
; VGPRBlocks: 12
; NumSGPRsForWavesPerEU: 100
; NumVGPRsForWavesPerEU: 49
; Occupancy: 4
; WaveLimiterHint : 1
; COMPUTE_PGM_RSRC2:SCRATCH_EN: 0
; COMPUTE_PGM_RSRC2:USER_SGPR: 6
; COMPUTE_PGM_RSRC2:TRAP_HANDLER: 0
; COMPUTE_PGM_RSRC2:TGID_X_EN: 1
; COMPUTE_PGM_RSRC2:TGID_Y_EN: 1
; COMPUTE_PGM_RSRC2:TGID_Z_EN: 1
; COMPUTE_PGM_RSRC2:TIDIG_COMP_CNT: 0
	.section	.text._ZN2at6native6mbtopk23computeBlockDigitCountsIN3c108BFloat16EmjLin1EEEvNS_4cuda6detail10TensorInfoIKT_T0_EEjPjjSA_iijT1_PSD_Ps,"axG",@progbits,_ZN2at6native6mbtopk23computeBlockDigitCountsIN3c108BFloat16EmjLin1EEEvNS_4cuda6detail10TensorInfoIKT_T0_EEjPjjSA_iijT1_PSD_Ps,comdat
	.protected	_ZN2at6native6mbtopk23computeBlockDigitCountsIN3c108BFloat16EmjLin1EEEvNS_4cuda6detail10TensorInfoIKT_T0_EEjPjjSA_iijT1_PSD_Ps ; -- Begin function _ZN2at6native6mbtopk23computeBlockDigitCountsIN3c108BFloat16EmjLin1EEEvNS_4cuda6detail10TensorInfoIKT_T0_EEjPjjSA_iijT1_PSD_Ps
	.globl	_ZN2at6native6mbtopk23computeBlockDigitCountsIN3c108BFloat16EmjLin1EEEvNS_4cuda6detail10TensorInfoIKT_T0_EEjPjjSA_iijT1_PSD_Ps
	.p2align	8
	.type	_ZN2at6native6mbtopk23computeBlockDigitCountsIN3c108BFloat16EmjLin1EEEvNS_4cuda6detail10TensorInfoIKT_T0_EEjPjjSA_iijT1_PSD_Ps,@function
_ZN2at6native6mbtopk23computeBlockDigitCountsIN3c108BFloat16EmjLin1EEEvNS_4cuda6detail10TensorInfoIKT_T0_EEjPjjSA_iijT1_PSD_Ps: ; @_ZN2at6native6mbtopk23computeBlockDigitCountsIN3c108BFloat16EmjLin1EEEvNS_4cuda6detail10TensorInfoIKT_T0_EEjPjjSA_iijT1_PSD_Ps
; %bb.0:
	s_load_dwordx4 s[0:3], s[4:5], 0x1c0
	s_load_dword s9, s[4:5], 0x1b0
	s_load_dwordx2 s[10:11], s[4:5], 0x1e0
	s_mov_b32 s13, 0
	s_waitcnt lgkmcnt(0)
	v_cvt_f32_u32_e32 v1, s2
	s_mul_i32 s8, s11, s8
	s_add_i32 s7, s8, s7
	v_rcp_iflag_f32_e32 v1, v1
	s_mul_i32 s24, s7, s10
	s_sub_i32 s11, 0, s2
	s_add_i32 s24, s24, s6
	v_mul_f32_e32 v1, 0x4f7ffffe, v1
	v_cvt_u32_f32_e32 v1, v1
	v_readfirstlane_b32 s6, v1
	s_mul_i32 s11, s11, s6
	s_mul_hi_u32 s7, s6, s11
	s_add_i32 s6, s6, s7
	s_mul_hi_u32 s6, s24, s6
	s_mul_i32 s7, s6, s2
	s_sub_i32 s7, s24, s7
	s_add_i32 s8, s6, 1
	s_sub_i32 s10, s7, s2
	s_cmp_ge_u32 s7, s2
	s_cselect_b32 s6, s8, s6
	s_cselect_b32 s7, s10, s7
	s_add_i32 s8, s6, 1
	s_cmp_ge_u32 s7, s2
	s_cselect_b32 s12, s8, s6
	s_cmp_ge_u32 s12, s9
	s_cbranch_scc1 .LBB223_28
; %bb.1:
	s_load_dwordx4 s[8:11], s[4:5], 0x1d0
	s_load_dword s14, s[4:5], 0x198
	s_lshl_b64 s[6:7], s[12:13], 2
	s_mov_b64 s[20:21], s[12:13]
	s_waitcnt lgkmcnt(0)
	s_add_u32 s8, s8, s6
	s_addc_u32 s9, s9, s7
	s_cmp_lt_i32 s14, 2
	s_mov_b64 s[6:7], 0
	s_cbranch_scc1 .LBB223_7
; %bb.2:
	s_add_i32 s16, s14, -1
	s_mov_b32 s17, 0
	s_add_i32 s13, s14, 1
	s_lshl_b64 s[6:7], s[16:17], 3
	s_add_u32 s6, s4, s6
	s_addc_u32 s7, s5, s7
	s_add_u32 s18, s6, 8
	s_addc_u32 s19, s7, 0
	s_mov_b64 s[6:7], 0
.LBB223_3:                              ; =>This Inner Loop Header: Depth=1
	s_load_dwordx2 s[22:23], s[18:19], 0x0
	s_mov_b64 s[14:15], 0
	s_waitcnt lgkmcnt(0)
	v_mov_b32_e32 v1, s22
	v_mov_b32_e32 v2, s23
	v_cmp_lt_u64_e32 vcc, s[20:21], v[1:2]
	s_cbranch_vccnz .LBB223_5
; %bb.4:                                ;   in Loop: Header=BB223_3 Depth=1
	v_cvt_f32_u32_e32 v1, s22
	s_sub_i32 s14, 0, s22
	v_rcp_iflag_f32_e32 v1, v1
	v_mul_f32_e32 v1, 0x4f7ffffe, v1
	v_cvt_u32_f32_e32 v1, v1
	v_readfirstlane_b32 s15, v1
	s_mul_i32 s14, s14, s15
	s_mul_hi_u32 s14, s15, s14
	s_add_i32 s15, s15, s14
	s_mul_hi_u32 s14, s20, s15
	s_mul_i32 s16, s14, s22
	s_sub_i32 s16, s20, s16
	s_add_i32 s15, s14, 1
	s_sub_i32 s25, s16, s22
	s_cmp_ge_u32 s16, s22
	s_cselect_b32 s14, s15, s14
	s_cselect_b32 s16, s25, s16
	s_add_i32 s15, s14, 1
	s_cmp_ge_u32 s16, s22
	s_cselect_b32 s16, s15, s14
	s_mov_b64 s[14:15], s[16:17]
.LBB223_5:                              ;   in Loop: Header=BB223_3 Depth=1
	s_load_dwordx2 s[26:27], s[18:19], 0xc8
	s_mul_i32 s16, s14, s23
	s_mul_hi_u32 s23, s14, s22
	s_add_i32 s23, s23, s16
	s_mul_i32 s16, s14, s22
	s_sub_u32 s16, s20, s16
	s_subb_u32 s20, s21, s23
	s_waitcnt lgkmcnt(0)
	s_mul_i32 s20, s26, s20
	s_mul_hi_u32 s21, s26, s16
	s_add_i32 s20, s21, s20
	s_mul_i32 s21, s27, s16
	s_add_i32 s20, s20, s21
	s_mul_i32 s16, s26, s16
	s_add_u32 s6, s16, s6
	s_addc_u32 s7, s20, s7
	s_add_i32 s13, s13, -1
	s_add_u32 s18, s18, -8
	s_addc_u32 s19, s19, -1
	s_cmp_gt_u32 s13, 2
	s_cbranch_scc0 .LBB223_8
; %bb.6:                                ;   in Loop: Header=BB223_3 Depth=1
	s_mov_b64 s[20:21], s[14:15]
	s_branch .LBB223_3
.LBB223_7:
	s_mov_b64 s[14:15], s[20:21]
.LBB223_8:
	s_load_dword s13, s[8:9], 0x0
	s_movk_i32 s8, 0x100
	v_cmp_gt_u32_e32 vcc, s8, v0
	v_lshlrev_b32_e32 v1, 2, v0
	s_and_saveexec_b64 s[8:9], vcc
; %bb.9:
	v_mov_b32_e32 v2, 0
	ds_write_b32 v1, v2
; %bb.10:
	s_or_b64 exec, exec, s[8:9]
	s_load_dword s15, s[4:5], 0x1a0
	s_mul_i32 s8, s12, s2
	s_sub_i32 s8, s24, s8
	s_add_i32 s12, s8, 1
	s_mul_i32 s8, s1, s8
	s_lshl_b32 s16, s8, 8
	s_waitcnt lgkmcnt(0)
	s_sub_i32 s8, s15, s16
	s_add_u32 s8, s8, 0xff
	s_addc_u32 s9, 0, 0
	s_lshr_b64 s[8:9], s[8:9], 8
	s_cmp_lt_u32 s12, s2
	s_cselect_b32 s12, s1, s8
	s_cmp_lt_i32 s12, 1
	s_mov_b32 s1, 0
	s_barrier
	s_cbranch_scc1 .LBB223_26
; %bb.11:
	s_load_dwordx2 s[18:19], s[4:5], 0xd0
	s_load_dwordx2 s[8:9], s[4:5], 0x1b8
	;; [unrolled: 1-line block ×3, first 2 shown]
	v_add_u32_e32 v2, s16, v0
	s_waitcnt lgkmcnt(0)
	s_mul_i32 s2, s19, s14
	s_mul_hi_u32 s5, s18, s14
	s_mul_i32 s4, s18, s14
	s_add_i32 s5, s5, s2
	s_lshl_b64 s[4:5], s[4:5], 1
	s_add_u32 s2, s20, s4
	s_addc_u32 s14, s21, s5
	s_lshl_b64 s[4:5], s[6:7], 1
	s_add_u32 s6, s2, s4
	s_addc_u32 s7, s14, s5
	s_and_b32 s2, s0, 0xff
	s_cmp_eq_u32 s12, 1
	s_cbranch_scc1 .LBB223_21
; %bb.12:
	s_and_b32 s14, s12, 0x7ffffffe
	s_mov_b32 s16, 0
	v_mov_b32_e32 v3, 1
	v_mov_b32_e32 v4, 0xffff
	;; [unrolled: 1-line block ×4, first 2 shown]
	s_branch .LBB223_14
.LBB223_13:                             ;   in Loop: Header=BB223_14 Depth=1
	s_or_b64 exec, exec, s[4:5]
	s_add_i32 s16, s16, 2
	s_cmp_eq_u32 s14, s16
	v_add_u32_e32 v6, 0x200, v6
	s_cbranch_scc1 .LBB223_20
.LBB223_14:                             ; =>This Inner Loop Header: Depth=1
	v_cmp_gt_u32_e64 s[0:1], s15, v6
	s_and_saveexec_b64 s[4:5], s[0:1]
	s_cbranch_execz .LBB223_17
; %bb.15:                               ;   in Loop: Header=BB223_14 Depth=1
	v_mad_u64_u32 v[7:8], s[0:1], s8, v6, 0
	v_mad_u64_u32 v[8:9], s[0:1], s9, v6, v[8:9]
	v_mov_b32_e32 v9, s7
	v_lshlrev_b64 v[7:8], 1, v[7:8]
	v_add_co_u32_e64 v7, s[0:1], s6, v7
	v_addc_co_u32_e64 v8, s[0:1], v9, v8, s[0:1]
	global_load_ushort v7, v[7:8], off
	s_waitcnt vmcnt(0)
	v_cmp_lt_i16_e64 s[0:1], -1, v7
	v_cndmask_b32_e64 v8, v4, v5, s[0:1]
	v_lshlrev_b32_e32 v9, 16, v7
	v_xor_b32_sdwa v7, v8, v7 dst_sel:DWORD dst_unused:UNUSED_PAD src0_sel:DWORD src1_sel:WORD_0
	v_cmp_o_f32_e64 s[0:1], v9, v9
	v_cndmask_b32_e64 v7, v4, v7, s[0:1]
	v_xor_b32_e32 v8, s13, v7
	v_and_b32_e32 v8, s3, v8
	v_cmp_eq_u32_e64 s[0:1], 0, v8
	s_and_b64 exec, exec, s[0:1]
; %bb.16:                               ;   in Loop: Header=BB223_14 Depth=1
	v_bfe_u32 v7, v7, s2, 8
	v_lshlrev_b32_e32 v7, 2, v7
	ds_add_u32 v7, v3
.LBB223_17:                             ;   in Loop: Header=BB223_14 Depth=1
	s_or_b64 exec, exec, s[4:5]
	v_add_u32_e32 v7, 0x100, v6
	v_cmp_gt_u32_e64 s[0:1], s15, v7
	s_and_saveexec_b64 s[4:5], s[0:1]
	s_cbranch_execz .LBB223_13
; %bb.18:                               ;   in Loop: Header=BB223_14 Depth=1
	v_mad_u64_u32 v[8:9], s[0:1], s8, v7, 0
	v_mad_u64_u32 v[9:10], s[0:1], s9, v7, v[9:10]
	v_mov_b32_e32 v10, s7
	v_lshlrev_b64 v[7:8], 1, v[8:9]
	v_add_co_u32_e64 v7, s[0:1], s6, v7
	v_addc_co_u32_e64 v8, s[0:1], v10, v8, s[0:1]
	global_load_ushort v7, v[7:8], off
	s_waitcnt vmcnt(0)
	v_cmp_lt_i16_e64 s[0:1], -1, v7
	v_cndmask_b32_e64 v8, v4, v5, s[0:1]
	v_lshlrev_b32_e32 v9, 16, v7
	v_xor_b32_sdwa v7, v8, v7 dst_sel:DWORD dst_unused:UNUSED_PAD src0_sel:DWORD src1_sel:WORD_0
	v_cmp_o_f32_e64 s[0:1], v9, v9
	v_cndmask_b32_e64 v7, v4, v7, s[0:1]
	v_xor_b32_e32 v8, s13, v7
	v_and_b32_e32 v8, s3, v8
	v_cmp_eq_u32_e64 s[0:1], 0, v8
	s_and_b64 exec, exec, s[0:1]
	s_cbranch_execz .LBB223_13
; %bb.19:                               ;   in Loop: Header=BB223_14 Depth=1
	v_bfe_u32 v7, v7, s2, 8
	v_lshlrev_b32_e32 v7, 2, v7
	ds_add_u32 v7, v3
	s_branch .LBB223_13
.LBB223_20:
	s_lshl_b32 s1, s14, 8
.LBB223_21:
	s_bitcmp0_b32 s12, 0
	s_cbranch_scc1 .LBB223_26
; %bb.22:
	v_add_u32_e32 v2, s1, v2
	v_cmp_gt_u32_e64 s[0:1], s15, v2
	s_and_saveexec_b64 s[4:5], s[0:1]
	s_cbranch_execz .LBB223_25
; %bb.23:
	v_mad_u64_u32 v[3:4], s[0:1], s8, v2, 0
	v_mad_u64_u32 v[4:5], s[0:1], s9, v2, v[4:5]
	v_mov_b32_e32 v5, s7
	v_lshlrev_b64 v[2:3], 1, v[3:4]
	v_mov_b32_e32 v4, 0x8000
	v_add_co_u32_e64 v2, s[0:1], s6, v2
	v_addc_co_u32_e64 v3, s[0:1], v5, v3, s[0:1]
	global_load_ushort v2, v[2:3], off
	v_mov_b32_e32 v3, 0xffff
	s_waitcnt vmcnt(0)
	v_cmp_lt_i16_e64 s[0:1], -1, v2
	v_cndmask_b32_e64 v4, v3, v4, s[0:1]
	v_lshlrev_b32_e32 v5, 16, v2
	v_xor_b32_sdwa v2, v4, v2 dst_sel:DWORD dst_unused:UNUSED_PAD src0_sel:DWORD src1_sel:WORD_0
	v_cmp_o_f32_e64 s[0:1], v5, v5
	v_cndmask_b32_e64 v2, v3, v2, s[0:1]
	v_xor_b32_e32 v3, s13, v2
	v_and_b32_e32 v3, s3, v3
	v_cmp_eq_u32_e64 s[0:1], 0, v3
	s_and_b64 exec, exec, s[0:1]
; %bb.24:
	v_bfe_u32 v2, v2, s2, 8
	v_lshlrev_b32_e32 v2, 2, v2
	v_mov_b32_e32 v3, 1
	ds_add_u32 v2, v3
.LBB223_25:
	s_or_b64 exec, exec, s[4:5]
.LBB223_26:
	s_waitcnt lgkmcnt(0)
	s_barrier
	s_and_saveexec_b64 s[0:1], vcc
	s_cbranch_execz .LBB223_28
; %bb.27:
	v_lshl_or_b32 v2, s24, 8, v0
	v_mov_b32_e32 v3, 0
	ds_read_b32 v5, v1
	v_lshlrev_b64 v[2:3], 1, v[2:3]
	v_mov_b32_e32 v4, s11
	v_add_co_u32_e32 v0, vcc, s10, v2
	v_addc_co_u32_e32 v1, vcc, v4, v3, vcc
	s_waitcnt lgkmcnt(0)
	global_store_short v[0:1], v5, off
.LBB223_28:
	s_endpgm
	.section	.rodata,"a",@progbits
	.p2align	6, 0x0
	.amdhsa_kernel _ZN2at6native6mbtopk23computeBlockDigitCountsIN3c108BFloat16EmjLin1EEEvNS_4cuda6detail10TensorInfoIKT_T0_EEjPjjSA_iijT1_PSD_Ps
		.amdhsa_group_segment_fixed_size 1024
		.amdhsa_private_segment_fixed_size 0
		.amdhsa_kernarg_size 736
		.amdhsa_user_sgpr_count 6
		.amdhsa_user_sgpr_private_segment_buffer 1
		.amdhsa_user_sgpr_dispatch_ptr 0
		.amdhsa_user_sgpr_queue_ptr 0
		.amdhsa_user_sgpr_kernarg_segment_ptr 1
		.amdhsa_user_sgpr_dispatch_id 0
		.amdhsa_user_sgpr_flat_scratch_init 0
		.amdhsa_user_sgpr_private_segment_size 0
		.amdhsa_uses_dynamic_stack 0
		.amdhsa_system_sgpr_private_segment_wavefront_offset 0
		.amdhsa_system_sgpr_workgroup_id_x 1
		.amdhsa_system_sgpr_workgroup_id_y 1
		.amdhsa_system_sgpr_workgroup_id_z 1
		.amdhsa_system_sgpr_workgroup_info 0
		.amdhsa_system_vgpr_workitem_id 0
		.amdhsa_next_free_vgpr 11
		.amdhsa_next_free_sgpr 28
		.amdhsa_reserve_vcc 1
		.amdhsa_reserve_flat_scratch 0
		.amdhsa_float_round_mode_32 0
		.amdhsa_float_round_mode_16_64 0
		.amdhsa_float_denorm_mode_32 3
		.amdhsa_float_denorm_mode_16_64 3
		.amdhsa_dx10_clamp 1
		.amdhsa_ieee_mode 1
		.amdhsa_fp16_overflow 0
		.amdhsa_exception_fp_ieee_invalid_op 0
		.amdhsa_exception_fp_denorm_src 0
		.amdhsa_exception_fp_ieee_div_zero 0
		.amdhsa_exception_fp_ieee_overflow 0
		.amdhsa_exception_fp_ieee_underflow 0
		.amdhsa_exception_fp_ieee_inexact 0
		.amdhsa_exception_int_div_zero 0
	.end_amdhsa_kernel
	.section	.text._ZN2at6native6mbtopk23computeBlockDigitCountsIN3c108BFloat16EmjLin1EEEvNS_4cuda6detail10TensorInfoIKT_T0_EEjPjjSA_iijT1_PSD_Ps,"axG",@progbits,_ZN2at6native6mbtopk23computeBlockDigitCountsIN3c108BFloat16EmjLin1EEEvNS_4cuda6detail10TensorInfoIKT_T0_EEjPjjSA_iijT1_PSD_Ps,comdat
.Lfunc_end223:
	.size	_ZN2at6native6mbtopk23computeBlockDigitCountsIN3c108BFloat16EmjLin1EEEvNS_4cuda6detail10TensorInfoIKT_T0_EEjPjjSA_iijT1_PSD_Ps, .Lfunc_end223-_ZN2at6native6mbtopk23computeBlockDigitCountsIN3c108BFloat16EmjLin1EEEvNS_4cuda6detail10TensorInfoIKT_T0_EEjPjjSA_iijT1_PSD_Ps
                                        ; -- End function
	.set _ZN2at6native6mbtopk23computeBlockDigitCountsIN3c108BFloat16EmjLin1EEEvNS_4cuda6detail10TensorInfoIKT_T0_EEjPjjSA_iijT1_PSD_Ps.num_vgpr, 11
	.set _ZN2at6native6mbtopk23computeBlockDigitCountsIN3c108BFloat16EmjLin1EEEvNS_4cuda6detail10TensorInfoIKT_T0_EEjPjjSA_iijT1_PSD_Ps.num_agpr, 0
	.set _ZN2at6native6mbtopk23computeBlockDigitCountsIN3c108BFloat16EmjLin1EEEvNS_4cuda6detail10TensorInfoIKT_T0_EEjPjjSA_iijT1_PSD_Ps.numbered_sgpr, 28
	.set _ZN2at6native6mbtopk23computeBlockDigitCountsIN3c108BFloat16EmjLin1EEEvNS_4cuda6detail10TensorInfoIKT_T0_EEjPjjSA_iijT1_PSD_Ps.num_named_barrier, 0
	.set _ZN2at6native6mbtopk23computeBlockDigitCountsIN3c108BFloat16EmjLin1EEEvNS_4cuda6detail10TensorInfoIKT_T0_EEjPjjSA_iijT1_PSD_Ps.private_seg_size, 0
	.set _ZN2at6native6mbtopk23computeBlockDigitCountsIN3c108BFloat16EmjLin1EEEvNS_4cuda6detail10TensorInfoIKT_T0_EEjPjjSA_iijT1_PSD_Ps.uses_vcc, 1
	.set _ZN2at6native6mbtopk23computeBlockDigitCountsIN3c108BFloat16EmjLin1EEEvNS_4cuda6detail10TensorInfoIKT_T0_EEjPjjSA_iijT1_PSD_Ps.uses_flat_scratch, 0
	.set _ZN2at6native6mbtopk23computeBlockDigitCountsIN3c108BFloat16EmjLin1EEEvNS_4cuda6detail10TensorInfoIKT_T0_EEjPjjSA_iijT1_PSD_Ps.has_dyn_sized_stack, 0
	.set _ZN2at6native6mbtopk23computeBlockDigitCountsIN3c108BFloat16EmjLin1EEEvNS_4cuda6detail10TensorInfoIKT_T0_EEjPjjSA_iijT1_PSD_Ps.has_recursion, 0
	.set _ZN2at6native6mbtopk23computeBlockDigitCountsIN3c108BFloat16EmjLin1EEEvNS_4cuda6detail10TensorInfoIKT_T0_EEjPjjSA_iijT1_PSD_Ps.has_indirect_call, 0
	.section	.AMDGPU.csdata,"",@progbits
; Kernel info:
; codeLenInByte = 1312
; TotalNumSgprs: 32
; NumVgprs: 11
; ScratchSize: 0
; MemoryBound: 0
; FloatMode: 240
; IeeeMode: 1
; LDSByteSize: 1024 bytes/workgroup (compile time only)
; SGPRBlocks: 3
; VGPRBlocks: 2
; NumSGPRsForWavesPerEU: 32
; NumVGPRsForWavesPerEU: 11
; Occupancy: 10
; WaveLimiterHint : 0
; COMPUTE_PGM_RSRC2:SCRATCH_EN: 0
; COMPUTE_PGM_RSRC2:USER_SGPR: 6
; COMPUTE_PGM_RSRC2:TRAP_HANDLER: 0
; COMPUTE_PGM_RSRC2:TGID_X_EN: 1
; COMPUTE_PGM_RSRC2:TGID_Y_EN: 1
; COMPUTE_PGM_RSRC2:TGID_Z_EN: 1
; COMPUTE_PGM_RSRC2:TIDIG_COMP_CNT: 0
	.section	.text._ZN2at6native6mbtopk10gatherTopKIN3c108BFloat16EmLin1EEEvNS_4cuda6detail10TensorInfoIKT_T0_EESA_SA_bjSA_NS7_IS8_SA_EESA_NS7_IlSA_EESA_jjPS8_PjSF_j,"axG",@progbits,_ZN2at6native6mbtopk10gatherTopKIN3c108BFloat16EmLin1EEEvNS_4cuda6detail10TensorInfoIKT_T0_EESA_SA_bjSA_NS7_IS8_SA_EESA_NS7_IlSA_EESA_jjPS8_PjSF_j,comdat
	.protected	_ZN2at6native6mbtopk10gatherTopKIN3c108BFloat16EmLin1EEEvNS_4cuda6detail10TensorInfoIKT_T0_EESA_SA_bjSA_NS7_IS8_SA_EESA_NS7_IlSA_EESA_jjPS8_PjSF_j ; -- Begin function _ZN2at6native6mbtopk10gatherTopKIN3c108BFloat16EmLin1EEEvNS_4cuda6detail10TensorInfoIKT_T0_EESA_SA_bjSA_NS7_IS8_SA_EESA_NS7_IlSA_EESA_jjPS8_PjSF_j
	.globl	_ZN2at6native6mbtopk10gatherTopKIN3c108BFloat16EmLin1EEEvNS_4cuda6detail10TensorInfoIKT_T0_EESA_SA_bjSA_NS7_IS8_SA_EESA_NS7_IlSA_EESA_jjPS8_PjSF_j
	.p2align	8
	.type	_ZN2at6native6mbtopk10gatherTopKIN3c108BFloat16EmLin1EEEvNS_4cuda6detail10TensorInfoIKT_T0_EESA_SA_bjSA_NS7_IS8_SA_EESA_NS7_IlSA_EESA_jjPS8_PjSF_j,@function
_ZN2at6native6mbtopk10gatherTopKIN3c108BFloat16EmLin1EEEvNS_4cuda6detail10TensorInfoIKT_T0_EESA_SA_bjSA_NS7_IS8_SA_EESA_NS7_IlSA_EESA_jjPS8_PjSF_j: ; @_ZN2at6native6mbtopk10gatherTopKIN3c108BFloat16EmLin1EEEvNS_4cuda6detail10TensorInfoIKT_T0_EESA_SA_bjSA_NS7_IS8_SA_EESA_NS7_IlSA_EESA_jjPS8_PjSF_j
; %bb.0:
	s_load_dwordx2 s[0:1], s[4:5], 0x538
	s_load_dword s3, s[4:5], 0x530
	s_waitcnt lgkmcnt(0)
	s_mul_i32 s1, s1, s8
	s_add_i32 s1, s1, s7
	s_mul_i32 s2, s1, s0
	s_add_i32 s2, s2, s6
	s_cmp_ge_u32 s2, s3
	s_cbranch_scc1 .LBB224_61
; %bb.1:
	s_load_dwordx2 s[20:21], s[4:5], 0x510
	s_load_dwordx4 s[8:11], s[4:5], 0x1a0
	s_mov_b32 s1, 0
	s_waitcnt lgkmcnt(0)
	v_cvt_f32_u32_e32 v1, s21
	s_sub_i32 s0, 0, s21
	s_lshl_b32 s3, s20, 8
	v_rcp_iflag_f32_e32 v1, v1
	v_mul_f32_e32 v1, 0x4f7ffffe, v1
	v_cvt_u32_f32_e32 v1, v1
	v_readfirstlane_b32 s6, v1
	s_mul_i32 s0, s0, s6
	s_mul_hi_u32 s0, s6, s0
	s_add_i32 s6, s6, s0
	s_mul_hi_u32 s0, s2, s6
	s_mul_i32 s6, s0, s21
	s_sub_i32 s6, s2, s6
	s_add_i32 s7, s0, 1
	s_sub_i32 s12, s6, s21
	s_cmp_ge_u32 s6, s21
	s_cselect_b32 s0, s7, s0
	s_cselect_b32 s6, s12, s6
	s_add_i32 s7, s0, 1
	s_cmp_ge_u32 s6, s21
	s_cselect_b32 s0, s7, s0
	s_mul_i32 s6, s0, s21
	s_sub_i32 s54, s2, s6
	s_add_i32 s2, s54, 1
	s_cmp_lt_u32 s2, s21
	s_mul_i32 s33, s54, s3
	s_cbranch_scc1 .LBB224_3
; %bb.2:
	s_sub_u32 s2, s8, s33
	s_subb_u32 s3, s9, 0
	s_add_u32 s2, s2, 0xff
	s_addc_u32 s3, s3, 0
	s_ashr_i32 s7, s3, 31
	s_lshr_b32 s7, s7, 24
	s_add_u32 s2, s2, s7
	s_addc_u32 s3, s3, 0
	s_lshr_b64 s[2:3], s[2:3], 8
	s_mov_b32 s20, s2
.LBB224_3:
	s_load_dword s2, s[4:5], 0x198
	s_mov_b64 s[22:23], 0
	s_mov_b64 s[24:25], s[0:1]
	s_waitcnt lgkmcnt(0)
	s_cmp_lt_i32 s2, 2
	s_cbranch_scc1 .LBB224_9
; %bb.4:
	s_add_i32 s7, s2, 1
	s_add_i32 s2, s2, -1
	s_mov_b32 s3, 0
	s_lshl_b64 s[12:13], s[2:3], 3
	s_add_u32 s2, s4, s12
	s_addc_u32 s13, s5, s13
	s_add_u32 s12, s2, 8
	s_addc_u32 s13, s13, 0
	s_mov_b64 s[14:15], s[0:1]
.LBB224_5:                              ; =>This Inner Loop Header: Depth=1
	s_load_dwordx2 s[16:17], s[12:13], 0x0
	s_mov_b64 s[24:25], 0
	s_waitcnt lgkmcnt(0)
	v_mov_b32_e32 v1, s16
	v_mov_b32_e32 v2, s17
	v_cmp_lt_u64_e32 vcc, s[14:15], v[1:2]
	s_cbranch_vccnz .LBB224_7
; %bb.6:                                ;   in Loop: Header=BB224_5 Depth=1
	v_cvt_f32_u32_e32 v1, s16
	s_sub_i32 s2, 0, s16
	v_rcp_iflag_f32_e32 v1, v1
	v_mul_f32_e32 v1, 0x4f7ffffe, v1
	v_cvt_u32_f32_e32 v1, v1
	v_readfirstlane_b32 s18, v1
	s_mul_i32 s2, s2, s18
	s_mul_hi_u32 s2, s18, s2
	s_add_i32 s18, s18, s2
	s_mul_hi_u32 s2, s14, s18
	s_mul_i32 s19, s2, s16
	s_sub_i32 s19, s14, s19
	s_add_i32 s18, s2, 1
	s_sub_i32 s24, s19, s16
	s_cmp_ge_u32 s19, s16
	s_cselect_b32 s2, s18, s2
	s_cselect_b32 s19, s24, s19
	s_add_i32 s18, s2, 1
	s_cmp_ge_u32 s19, s16
	s_cselect_b32 s2, s18, s2
	s_mov_b64 s[24:25], s[2:3]
.LBB224_7:                              ;   in Loop: Header=BB224_5 Depth=1
	s_load_dwordx2 s[18:19], s[12:13], 0xc8
	s_mul_i32 s2, s24, s17
	s_mul_hi_u32 s17, s24, s16
	s_add_i32 s17, s17, s2
	s_mul_i32 s2, s24, s16
	s_sub_u32 s2, s14, s2
	s_subb_u32 s14, s15, s17
	s_waitcnt lgkmcnt(0)
	s_mul_i32 s14, s18, s14
	s_mul_hi_u32 s15, s18, s2
	s_add_i32 s14, s15, s14
	s_mul_i32 s15, s19, s2
	s_add_i32 s14, s14, s15
	s_mul_i32 s2, s18, s2
	s_add_u32 s22, s2, s22
	s_addc_u32 s23, s14, s23
	s_add_i32 s7, s7, -1
	s_add_u32 s12, s12, -8
	s_addc_u32 s13, s13, -1
	s_cmp_gt_u32 s7, 2
	s_cbranch_scc0 .LBB224_9
; %bb.8:                                ;   in Loop: Header=BB224_5 Depth=1
	s_mov_b64 s[14:15], s[24:25]
	s_branch .LBB224_5
.LBB224_9:
	s_load_dword s12, s[4:5], 0x358
	s_load_dwordx2 s[28:29], s[4:5], 0xd0
	s_add_u32 s2, s4, 0x1c0
	s_addc_u32 s3, s5, 0
	s_mov_b64 s[26:27], 0
	s_waitcnt lgkmcnt(0)
	s_cmp_lt_i32 s12, 2
	s_mov_b64 s[30:31], s[0:1]
	s_cbranch_scc1 .LBB224_15
; %bb.10:
	s_add_i32 s7, s12, 1
	s_add_i32 s12, s12, -1
	s_mov_b32 s13, 0
	s_lshl_b64 s[14:15], s[12:13], 3
	s_add_u32 s12, s2, s14
	s_addc_u32 s15, s3, s15
	s_add_u32 s14, s12, 8
	s_addc_u32 s15, s15, 0
	s_mov_b64 s[16:17], s[0:1]
.LBB224_11:                             ; =>This Inner Loop Header: Depth=1
	s_load_dwordx2 s[18:19], s[14:15], 0x0
	s_mov_b64 s[30:31], 0
	s_waitcnt lgkmcnt(0)
	v_mov_b32_e32 v1, s18
	v_mov_b32_e32 v2, s19
	v_cmp_lt_u64_e32 vcc, s[16:17], v[1:2]
	s_cbranch_vccnz .LBB224_13
; %bb.12:                               ;   in Loop: Header=BB224_11 Depth=1
	v_cvt_f32_u32_e32 v1, s18
	s_sub_i32 s12, 0, s18
	v_rcp_iflag_f32_e32 v1, v1
	v_mul_f32_e32 v1, 0x4f7ffffe, v1
	v_cvt_u32_f32_e32 v1, v1
	v_readfirstlane_b32 s25, v1
	s_mul_i32 s12, s12, s25
	s_mul_hi_u32 s12, s25, s12
	s_add_i32 s25, s25, s12
	s_mul_hi_u32 s12, s16, s25
	s_mul_i32 s30, s12, s18
	s_sub_i32 s30, s16, s30
	s_add_i32 s25, s12, 1
	s_sub_i32 s31, s30, s18
	s_cmp_ge_u32 s30, s18
	s_cselect_b32 s12, s25, s12
	s_cselect_b32 s30, s31, s30
	s_add_i32 s25, s12, 1
	s_cmp_ge_u32 s30, s18
	s_cselect_b32 s12, s25, s12
	s_mov_b64 s[30:31], s[12:13]
.LBB224_13:                             ;   in Loop: Header=BB224_11 Depth=1
	s_load_dwordx2 s[34:35], s[14:15], 0xc8
	s_mul_i32 s12, s30, s19
	s_mul_hi_u32 s19, s30, s18
	s_add_i32 s19, s19, s12
	s_mul_i32 s12, s30, s18
	s_sub_u32 s12, s16, s12
	s_subb_u32 s16, s17, s19
	s_waitcnt lgkmcnt(0)
	s_mul_i32 s16, s34, s16
	s_mul_hi_u32 s17, s34, s12
	s_add_i32 s16, s17, s16
	s_mul_i32 s17, s35, s12
	s_add_i32 s16, s16, s17
	s_mul_i32 s12, s34, s12
	s_add_u32 s26, s12, s26
	s_addc_u32 s27, s16, s27
	s_add_i32 s7, s7, -1
	s_add_u32 s14, s14, -8
	s_addc_u32 s15, s15, -1
	s_cmp_gt_u32 s7, 2
	s_cbranch_scc0 .LBB224_15
; %bb.14:                               ;   in Loop: Header=BB224_11 Depth=1
	s_mov_b64 s[16:17], s[30:31]
	s_branch .LBB224_11
.LBB224_15:
	s_load_dword s14, s[4:5], 0x500
	s_load_dwordx2 s[36:37], s[2:3], 0xd0
	s_add_u32 s12, s4, 0x368
	s_addc_u32 s13, s5, 0
	s_mov_b64 s[34:35], 0
	s_waitcnt lgkmcnt(0)
	s_cmp_lt_i32 s14, 2
	s_cbranch_scc1 .LBB224_21
; %bb.16:
	s_add_i32 s2, s14, -1
	s_mov_b32 s3, 0
	s_add_i32 s7, s14, 1
	s_lshl_b64 s[14:15], s[2:3], 3
	s_add_u32 s2, s12, s14
	s_addc_u32 s13, s13, s15
	s_add_u32 s12, s2, 8
	s_addc_u32 s13, s13, 0
	s_mov_b64 s[14:15], s[0:1]
.LBB224_17:                             ; =>This Inner Loop Header: Depth=1
	s_load_dwordx2 s[16:17], s[12:13], 0x0
	s_mov_b64 s[38:39], 0
	s_waitcnt lgkmcnt(0)
	v_mov_b32_e32 v1, s16
	v_mov_b32_e32 v2, s17
	v_cmp_lt_u64_e32 vcc, s[14:15], v[1:2]
	s_cbranch_vccnz .LBB224_19
; %bb.18:                               ;   in Loop: Header=BB224_17 Depth=1
	v_cvt_f32_u32_e32 v1, s16
	s_sub_i32 s2, 0, s16
	v_rcp_iflag_f32_e32 v1, v1
	v_mul_f32_e32 v1, 0x4f7ffffe, v1
	v_cvt_u32_f32_e32 v1, v1
	v_readfirstlane_b32 s18, v1
	s_mul_i32 s2, s2, s18
	s_mul_hi_u32 s2, s18, s2
	s_add_i32 s18, s18, s2
	s_mul_hi_u32 s2, s14, s18
	s_mul_i32 s19, s2, s16
	s_sub_i32 s19, s14, s19
	s_add_i32 s18, s2, 1
	s_sub_i32 s25, s19, s16
	s_cmp_ge_u32 s19, s16
	s_cselect_b32 s2, s18, s2
	s_cselect_b32 s19, s25, s19
	s_add_i32 s18, s2, 1
	s_cmp_ge_u32 s19, s16
	s_cselect_b32 s2, s18, s2
	s_mov_b64 s[38:39], s[2:3]
.LBB224_19:                             ;   in Loop: Header=BB224_17 Depth=1
	s_load_dwordx2 s[18:19], s[12:13], 0xc8
	s_mul_i32 s2, s38, s17
	s_mul_hi_u32 s17, s38, s16
	s_add_i32 s17, s17, s2
	s_mul_i32 s2, s38, s16
	s_sub_u32 s2, s14, s2
	s_subb_u32 s14, s15, s17
	s_waitcnt lgkmcnt(0)
	s_mul_i32 s14, s18, s14
	s_mul_hi_u32 s15, s18, s2
	s_add_i32 s14, s15, s14
	s_mul_i32 s15, s19, s2
	s_add_i32 s14, s14, s15
	s_mul_i32 s2, s18, s2
	s_add_u32 s34, s2, s34
	s_addc_u32 s35, s14, s35
	s_add_i32 s7, s7, -1
	s_add_u32 s12, s12, -8
	s_addc_u32 s13, s13, -1
	s_cmp_gt_u32 s7, 2
	s_cbranch_scc0 .LBB224_22
; %bb.20:                               ;   in Loop: Header=BB224_17 Depth=1
	s_mov_b64 s[14:15], s[38:39]
	s_branch .LBB224_17
.LBB224_21:
	s_mov_b64 s[38:39], s[0:1]
.LBB224_22:
	s_load_dwordx4 s[12:15], s[4:5], 0x518
	s_lshl_b64 s[0:1], s[0:1], 1
	v_mov_b32_e32 v1, 0
	s_mov_b32 s7, 0
	v_cmp_eq_u32_e64 s[2:3], 0, v0
	s_waitcnt lgkmcnt(0)
	s_add_u32 s0, s12, s0
	s_addc_u32 s1, s13, s1
	global_load_ushort v1, v1, s[0:1]
	s_load_dwordx2 s[44:45], s[4:5], 0x438
	s_load_dwordx2 s[42:43], s[4:5], 0x0
	;; [unrolled: 1-line block ×4, first 2 shown]
	v_cmp_ne_u32_e64 s[0:1], 0, v0
	s_waitcnt vmcnt(0)
	v_readfirstlane_b32 s31, v1
	s_and_saveexec_b64 s[46:47], s[2:3]
	s_cbranch_execz .LBB224_38
; %bb.23:
	s_load_dwordx2 s[48:49], s[4:5], 0x528
	s_lshl_b64 s[50:51], s[6:7], 2
	s_add_u32 s16, s14, s50
	s_addc_u32 s17, s15, s51
	s_mov_b32 s6, 0
	s_waitcnt lgkmcnt(0)
	s_add_u32 s18, s48, s50
	s_addc_u32 s19, s49, s51
	s_mov_b32 s25, 0
	s_cmp_lt_u32 s21, 4
	s_cbranch_scc1 .LBB224_35
; %bb.24:
	s_mov_b32 s39, 0
.LBB224_25:                             ; =>This Inner Loop Header: Depth=1
	s_add_u32 s52, s14, s50
	s_addc_u32 s53, s15, s51
	s_load_dwordx4 s[16:19], s[52:53], 0x0
	s_add_u32 s52, s48, s50
	s_addc_u32 s53, s49, s51
	s_cmp_ge_u32 s39, s54
	s_cbranch_scc0 .LBB224_32
; %bb.26:                               ;   in Loop: Header=BB224_25 Depth=1
	s_add_i32 s55, s39, 1
	s_cmp_ge_u32 s55, s54
	s_cbranch_scc0 .LBB224_33
.LBB224_27:                             ;   in Loop: Header=BB224_25 Depth=1
	s_add_i32 s55, s55, 1
	s_cmp_ge_u32 s55, s54
	s_cbranch_scc0 .LBB224_34
.LBB224_28:                             ;   in Loop: Header=BB224_25 Depth=1
	s_add_i32 s55, s55, 1
	s_cmp_ge_u32 s55, s54
	s_cbranch_scc1 .LBB224_30
.LBB224_29:                             ;   in Loop: Header=BB224_25 Depth=1
	s_load_dword s52, s[52:53], 0xc
	s_waitcnt lgkmcnt(0)
	s_add_i32 s7, s7, s19
	s_add_i32 s6, s52, s6
.LBB224_30:                             ;   in Loop: Header=BB224_25 Depth=1
	s_waitcnt lgkmcnt(0)
	s_add_i32 s16, s16, s25
	s_add_i32 s16, s16, s17
	s_add_i32 s16, s16, s18
	s_add_i32 s25, s16, s19
	s_add_u32 s14, s14, 16
	s_addc_u32 s15, s15, 0
	s_add_u32 s48, s48, 16
	s_addc_u32 s49, s49, 0
	s_add_i32 s53, s55, 4
	s_add_u32 s18, s48, s50
	s_addc_u32 s19, s49, s51
	s_add_u32 s16, s14, s50
	s_addc_u32 s17, s15, s51
	s_add_i32 s52, s55, 1
	s_cmp_ge_u32 s53, s21
	s_cbranch_scc1 .LBB224_36
; %bb.31:                               ;   in Loop: Header=BB224_25 Depth=1
	s_mov_b32 s39, s52
	s_branch .LBB224_25
.LBB224_32:                             ;   in Loop: Header=BB224_25 Depth=1
	s_load_dword s55, s[52:53], 0x0
	s_waitcnt lgkmcnt(0)
	s_add_i32 s7, s16, s7
	s_add_i32 s6, s55, s6
	;; [unrolled: 1-line block ×3, first 2 shown]
	s_cmp_ge_u32 s55, s54
	s_cbranch_scc1 .LBB224_27
.LBB224_33:                             ;   in Loop: Header=BB224_25 Depth=1
	s_load_dword s56, s[52:53], 0x4
	s_waitcnt lgkmcnt(0)
	s_add_i32 s7, s7, s17
	s_add_i32 s6, s56, s6
	;; [unrolled: 1-line block ×3, first 2 shown]
	s_cmp_ge_u32 s55, s54
	s_cbranch_scc1 .LBB224_28
.LBB224_34:                             ;   in Loop: Header=BB224_25 Depth=1
	s_load_dword s56, s[52:53], 0x8
	s_waitcnt lgkmcnt(0)
	s_add_i32 s7, s7, s18
	s_add_i32 s6, s56, s6
	;; [unrolled: 1-line block ×3, first 2 shown]
	s_cmp_ge_u32 s55, s54
	s_cbranch_scc0 .LBB224_29
	s_branch .LBB224_30
.LBB224_35:
	s_mov_b32 s14, 0
	s_cmp_ge_u32 s14, s21
	s_cbranch_scc0 .LBB224_59
	s_branch .LBB224_37
.LBB224_36:
	s_add_i32 s14, s39, 4
	s_cmp_ge_u32 s14, s21
	s_cbranch_scc0 .LBB224_59
.LBB224_37:
	v_mov_b32_e32 v1, s6
	v_mov_b32_e32 v2, s25
	v_mov_b32_e32 v3, s7
	v_mov_b32_e32 v4, 0
	ds_write_b96 v4, v[1:3] offset:1056
.LBB224_38:
	s_or_b64 exec, exec, s[46:47]
	s_cmp_eq_u32 s20, 0
	s_waitcnt lgkmcnt(0)
	s_barrier
	s_cbranch_scc1 .LBB224_61
; %bb.39:
	s_mul_i32 s14, s29, s24
	s_mul_hi_u32 s15, s28, s24
	s_mul_i32 s6, s37, s30
	s_mul_hi_u32 s7, s36, s30
	s_add_i32 s15, s15, s14
	s_mul_i32 s14, s28, s24
	s_mul_i32 s16, s45, s38
	s_mul_hi_u32 s17, s44, s38
	s_add_i32 s7, s7, s6
	s_add_i32 s17, s17, s16
	s_lshl_b64 s[14:15], s[14:15], 1
	s_add_u32 s18, s42, s14
	s_addc_u32 s19, s43, s15
	s_lshl_b64 s[14:15], s[22:23], 1
	s_mul_i32 s6, s36, s30
	s_add_u32 s21, s18, s14
	s_addc_u32 s22, s19, s15
	s_lshl_b64 s[6:7], s[6:7], 1
	s_add_u32 s14, s40, s6
	s_addc_u32 s15, s41, s7
	s_lshl_b64 s[6:7], s[26:27], 1
	s_mul_i32 s16, s44, s38
	s_add_u32 s23, s14, s6
	s_addc_u32 s24, s15, s7
	s_lshl_b64 s[6:7], s[16:17], 3
	s_add_u32 s12, s12, s6
	s_addc_u32 s13, s13, s7
	s_lshl_b64 s[6:7], s[34:35], 3
	v_mov_b32_e32 v5, 0
	s_add_u32 s25, s12, s6
	ds_read_b96 v[1:3], v5 offset:1056
	s_addc_u32 s26, s13, s7
	s_and_b32 s12, 0xffff, s31
	s_sext_i32_i16 s6, s31
	s_cmp_gt_i32 s6, -1
	s_mov_b32 s6, 0x8000
	s_cselect_b32 s13, s6, 0xffff
	s_lshl_b32 s6, s31, 16
	v_cmp_o_f32_e64 s[6:7], s6, s6
	s_xor_b32 s12, s13, s12
	s_and_b64 s[6:7], s[6:7], exec
	s_waitcnt lgkmcnt(0)
	v_add_u32_e32 v1, v1, v2
	v_lshrrev_b32_e32 v2, 3, v0
	s_load_dword s6, s[4:5], 0x1b0
	v_and_b32_e32 v2, 28, v2
	s_cselect_b32 s27, s12, 0xffff
	s_load_dwordx2 s[12:13], s[4:5], 0x1b8
	s_load_dwordx2 s[14:15], s[4:5], 0x360
	;; [unrolled: 1-line block ×3, first 2 shown]
	v_lshl_add_u32 v8, v0, 2, v2
	v_lshrrev_b32_e32 v2, 1, v0
	v_and_b32_e32 v9, 0x7c, v2
	v_add_u32_e32 v2, -1, v0
	v_lshrrev_b32_e32 v4, 3, v2
	v_and_b32_e32 v4, 0x1ffffffc, v4
	s_waitcnt lgkmcnt(0)
	s_bitcmp1_b32 s6, 0
	v_lshl_add_u32 v11, v2, 2, v4
	v_mbcnt_lo_u32_b32 v2, -1, 0
	s_cselect_b64 s[4:5], -1, 0
	v_cmp_gt_u32_e64 s[6:7], 64, v0
	v_lshlrev_b32_e32 v10, 4, v0
	v_add_u32_e32 v4, s33, v0
	v_mov_b32_e32 v0, 0xffff
	v_mov_b32_e32 v12, 0x8000
	v_mbcnt_hi_u32_b32 v13, -1, v2
                                        ; implicit-def: $vgpr14
	s_branch .LBB224_42
.LBB224_40:                             ;   in Loop: Header=BB224_42 Depth=1
	s_or_b64 exec, exec, s[18:19]
	v_add_u32_e32 v1, v2, v1
.LBB224_41:                             ;   in Loop: Header=BB224_42 Depth=1
	s_add_i32 s20, s20, -1
	v_add_u32_e32 v3, v15, v3
	s_cmp_lg_u32 s20, 0
	v_add_u32_e32 v4, 0x100, v4
	s_cbranch_scc0 .LBB224_61
.LBB224_42:                             ; =>This Inner Loop Header: Depth=1
	v_cmp_gt_u64_e32 vcc, s[8:9], v[4:5]
	v_mov_b32_e32 v2, v5
	v_mov_b32_e32 v6, v5
	s_and_saveexec_b64 s[18:19], vcc
	s_cbranch_execz .LBB224_44
; %bb.43:                               ;   in Loop: Header=BB224_42 Depth=1
	v_mad_u64_u32 v[6:7], s[28:29], s12, v4, 0
	v_mov_b32_e32 v2, v7
	v_mad_u64_u32 v[14:15], s[28:29], s13, v4, v[2:3]
	v_mov_b32_e32 v2, s22
	v_mov_b32_e32 v7, v14
	v_lshlrev_b64 v[6:7], 1, v[6:7]
	v_add_co_u32_e32 v6, vcc, s21, v6
	v_addc_co_u32_e32 v7, vcc, v2, v7, vcc
	global_load_ushort v14, v[6:7], off
	s_waitcnt vmcnt(0)
	v_cmp_lt_i16_e32 vcc, -1, v14
	v_cndmask_b32_e32 v2, v0, v12, vcc
	v_lshlrev_b32_e32 v6, 16, v14
	v_xor_b32_sdwa v2, v2, v14 dst_sel:DWORD dst_unused:UNUSED_PAD src0_sel:DWORD src1_sel:WORD_0
	v_cmp_o_f32_e32 vcc, v6, v6
	v_cndmask_b32_e32 v6, v0, v2, vcc
	v_cmp_lt_u32_e32 vcc, s27, v6
	v_cndmask_b32_e64 v2, 0, 1, vcc
	v_cmp_gt_u32_e32 vcc, s27, v6
	v_cndmask_b32_e64 v7, 0, 1, vcc
	v_cndmask_b32_e64 v2, v7, v2, s[4:5]
	v_cmp_eq_u32_e32 vcc, s27, v6
	v_and_b32_e32 v2, 1, v2
	v_cndmask_b32_e64 v6, 0, 1, vcc
.LBB224_44:                             ;   in Loop: Header=BB224_42 Depth=1
	s_or_b64 exec, exec, s[18:19]
	ds_write_b32 v8, v2
	s_waitcnt vmcnt(0) lgkmcnt(0)
	s_barrier
	s_and_saveexec_b64 s[18:19], s[6:7]
	s_cbranch_execz .LBB224_46
; %bb.45:                               ;   in Loop: Header=BB224_42 Depth=1
	v_add_u32_e32 v7, v9, v10
	ds_read2_b32 v[15:16], v7 offset1:1
	ds_read2_b32 v[17:18], v7 offset0:2 offset1:3
	v_and_b32_e32 v19, 15, v13
	v_cmp_ne_u32_e32 vcc, 0, v19
	s_waitcnt lgkmcnt(1)
	v_add_u32_e32 v16, v16, v15
	s_waitcnt lgkmcnt(0)
	v_add3_u32 v16, v16, v17, v18
	v_bfe_i32 v18, v13, 4, 1
	; wave barrier
	s_nop 0
	v_mov_b32_dpp v17, v16 row_shr:1 row_mask:0xf bank_mask:0xf
	v_cndmask_b32_e32 v17, 0, v17, vcc
	v_add_u32_e32 v16, v17, v16
	v_cmp_lt_u32_e32 vcc, 1, v19
	s_nop 0
	v_mov_b32_dpp v17, v16 row_shr:2 row_mask:0xf bank_mask:0xf
	v_cndmask_b32_e32 v17, 0, v17, vcc
	v_add_u32_e32 v16, v16, v17
	v_cmp_lt_u32_e32 vcc, 3, v19
	;; [unrolled: 5-line block ×4, first 2 shown]
	s_nop 0
	v_mov_b32_dpp v17, v16 row_bcast:15 row_mask:0xf bank_mask:0xf
	v_and_b32_e32 v17, v18, v17
	v_add_u32_e32 v16, v16, v17
	v_and_b32_e32 v18, 64, v13
	s_nop 0
	v_mov_b32_dpp v17, v16 row_bcast:31 row_mask:0xf bank_mask:0xf
	v_cndmask_b32_e32 v17, 0, v17, vcc
	v_add_u32_e32 v16, v16, v17
	v_add_u32_e32 v17, -1, v13
	v_cmp_lt_i32_e32 vcc, v17, v18
	v_cndmask_b32_e32 v17, v17, v13, vcc
	v_lshlrev_b32_e32 v17, 2, v17
	ds_bpermute_b32 v16, v17, v16
	s_waitcnt lgkmcnt(0)
	v_add_u32_e32 v15, v16, v15
	v_cndmask_b32_e64 v17, v15, v2, s[2:3]
	ds_write_b32 v7, v17
	; wave barrier
	ds_read2_b32 v[15:16], v7 offset0:1 offset1:2
	ds_read_b32 v18, v7 offset:12
	s_waitcnt lgkmcnt(1)
	v_add_u32_e32 v15, v15, v17
	v_add_u32_e32 v16, v16, v15
	ds_write2_b32 v7, v15, v16 offset0:1 offset1:2
	s_waitcnt lgkmcnt(1)
	v_add_u32_e32 v15, v18, v16
	ds_write_b32 v7, v15 offset:12
.LBB224_46:                             ;   in Loop: Header=BB224_42 Depth=1
	s_or_b64 exec, exec, s[18:19]
	v_mov_b32_e32 v7, 0
	s_waitcnt lgkmcnt(0)
	s_barrier
	s_and_saveexec_b64 s[18:19], s[0:1]
; %bb.47:                               ;   in Loop: Header=BB224_42 Depth=1
	ds_read_b32 v7, v11
; %bb.48:                               ;   in Loop: Header=BB224_42 Depth=1
	s_or_b64 exec, exec, s[18:19]
	ds_read_b32 v15, v5 offset:1048
	v_cmp_ne_u32_e32 vcc, 0, v2
	s_waitcnt lgkmcnt(0)
	s_barrier
	s_and_saveexec_b64 s[18:19], vcc
	s_cbranch_execz .LBB224_50
; %bb.49:                               ;   in Loop: Header=BB224_42 Depth=1
	v_add_u32_e32 v7, v7, v3
	v_mad_u64_u32 v[16:17], s[28:29], s14, v7, 0
	v_mad_u64_u32 v[18:19], s[28:29], s16, v7, 0
	v_mov_b32_e32 v2, v17
	v_mad_u64_u32 v[20:21], s[28:29], s15, v7, v[2:3]
	v_mov_b32_e32 v2, v19
	v_mov_b32_e32 v21, s24
	v_mov_b32_e32 v17, v20
	v_lshlrev_b64 v[16:17], 1, v[16:17]
	v_mad_u64_u32 v[19:20], s[28:29], s17, v7, v[2:3]
	v_add_co_u32_e32 v16, vcc, s23, v16
	v_addc_co_u32_e32 v17, vcc, v21, v17, vcc
	global_store_short v[16:17], v14, off
	v_lshlrev_b64 v[16:17], 3, v[18:19]
	v_mov_b32_e32 v2, s26
	v_add_co_u32_e32 v16, vcc, s25, v16
	v_addc_co_u32_e32 v17, vcc, v2, v17, vcc
	global_store_dwordx2 v[16:17], v[4:5], off
.LBB224_50:                             ;   in Loop: Header=BB224_42 Depth=1
	s_or_b64 exec, exec, s[18:19]
	v_mov_b32_e32 v2, v5
	v_cmp_le_u64_e32 vcc, s[10:11], v[1:2]
	s_cbranch_vccnz .LBB224_41
; %bb.51:                               ;   in Loop: Header=BB224_42 Depth=1
	ds_write_b32 v8, v6
	s_waitcnt vmcnt(0) lgkmcnt(0)
	s_barrier
	s_and_saveexec_b64 s[18:19], s[6:7]
	s_cbranch_execz .LBB224_53
; %bb.52:                               ;   in Loop: Header=BB224_42 Depth=1
	v_add_u32_e32 v2, v9, v10
	ds_read2_b32 v[16:17], v2 offset1:1
	ds_read2_b32 v[18:19], v2 offset0:2 offset1:3
	v_and_b32_e32 v7, 15, v13
	v_cmp_ne_u32_e32 vcc, 0, v7
	s_waitcnt lgkmcnt(1)
	v_add_u32_e32 v17, v17, v16
	s_waitcnt lgkmcnt(0)
	v_add3_u32 v17, v17, v18, v19
	; wave barrier
	s_nop 1
	v_mov_b32_dpp v18, v17 row_shr:1 row_mask:0xf bank_mask:0xf
	v_cndmask_b32_e32 v18, 0, v18, vcc
	v_add_u32_e32 v17, v18, v17
	v_cmp_lt_u32_e32 vcc, 1, v7
	s_nop 0
	v_mov_b32_dpp v18, v17 row_shr:2 row_mask:0xf bank_mask:0xf
	v_cndmask_b32_e32 v18, 0, v18, vcc
	v_add_u32_e32 v17, v17, v18
	v_cmp_lt_u32_e32 vcc, 3, v7
	;; [unrolled: 5-line block ×3, first 2 shown]
	s_nop 0
	v_mov_b32_dpp v18, v17 row_shr:8 row_mask:0xf bank_mask:0xf
	v_cndmask_b32_e32 v7, 0, v18, vcc
	v_add_u32_e32 v7, v17, v7
	v_bfe_i32 v18, v13, 4, 1
	v_cmp_lt_u32_e32 vcc, 31, v13
	v_mov_b32_dpp v17, v7 row_bcast:15 row_mask:0xf bank_mask:0xf
	v_and_b32_e32 v17, v18, v17
	v_add_u32_e32 v7, v7, v17
	v_and_b32_e32 v18, 64, v13
	s_nop 0
	v_mov_b32_dpp v17, v7 row_bcast:31 row_mask:0xf bank_mask:0xf
	v_cndmask_b32_e32 v17, 0, v17, vcc
	v_add_u32_e32 v7, v7, v17
	v_add_u32_e32 v17, -1, v13
	v_cmp_lt_i32_e32 vcc, v17, v18
	v_cndmask_b32_e32 v17, v17, v13, vcc
	v_lshlrev_b32_e32 v17, 2, v17
	ds_bpermute_b32 v7, v17, v7
	s_waitcnt lgkmcnt(0)
	v_add_u32_e32 v7, v7, v16
	v_cndmask_b32_e64 v7, v7, v6, s[2:3]
	ds_write_b32 v2, v7
	; wave barrier
	ds_read2_b32 v[16:17], v2 offset0:1 offset1:2
	ds_read_b32 v18, v2 offset:12
	s_waitcnt lgkmcnt(1)
	v_add_u32_e32 v7, v16, v7
	v_add_u32_e32 v16, v17, v7
	ds_write2_b32 v2, v7, v16 offset0:1 offset1:2
	s_waitcnt lgkmcnt(1)
	v_add_u32_e32 v7, v18, v16
	ds_write_b32 v2, v7 offset:12
.LBB224_53:                             ;   in Loop: Header=BB224_42 Depth=1
	s_or_b64 exec, exec, s[18:19]
	v_mov_b32_e32 v7, 0
	s_waitcnt lgkmcnt(0)
	s_barrier
	s_and_saveexec_b64 s[18:19], s[0:1]
; %bb.54:                               ;   in Loop: Header=BB224_42 Depth=1
	ds_read_b32 v7, v11
; %bb.55:                               ;   in Loop: Header=BB224_42 Depth=1
	s_or_b64 exec, exec, s[18:19]
	ds_read_b32 v2, v5 offset:1048
	v_cmp_ne_u32_e32 vcc, 0, v6
	s_waitcnt lgkmcnt(0)
	s_barrier
	s_and_saveexec_b64 s[18:19], vcc
	s_cbranch_execz .LBB224_40
; %bb.56:                               ;   in Loop: Header=BB224_42 Depth=1
	v_add_u32_e32 v6, v7, v1
	v_mov_b32_e32 v7, v5
	v_cmp_gt_u64_e32 vcc, s[10:11], v[6:7]
	s_and_b64 exec, exec, vcc
	s_cbranch_execz .LBB224_40
; %bb.57:                               ;   in Loop: Header=BB224_42 Depth=1
	v_mad_u64_u32 v[16:17], s[28:29], s14, v6, 0
	v_mad_u64_u32 v[18:19], s[28:29], s16, v6, 0
	v_mov_b32_e32 v7, v17
	v_mad_u64_u32 v[20:21], s[28:29], s15, v6, v[7:8]
	v_mov_b32_e32 v7, v19
	;; [unrolled: 2-line block ×3, first 2 shown]
	v_lshlrev_b64 v[16:17], 1, v[16:17]
	v_mov_b32_e32 v19, v6
	v_mov_b32_e32 v21, s24
	v_add_co_u32_e32 v16, vcc, s23, v16
	v_lshlrev_b64 v[6:7], 3, v[18:19]
	v_addc_co_u32_e32 v17, vcc, v21, v17, vcc
	global_store_short v[16:17], v14, off
	v_mov_b32_e32 v16, s26
	v_add_co_u32_e32 v6, vcc, s25, v6
	v_addc_co_u32_e32 v7, vcc, v16, v7, vcc
	global_store_dwordx2 v[6:7], v[4:5], off
	s_branch .LBB224_40
.LBB224_58:                             ;   in Loop: Header=BB224_59 Depth=1
	s_add_u32 s16, s16, 4
	s_addc_u32 s17, s17, 0
	s_waitcnt lgkmcnt(0)
	s_add_i32 s25, s15, s25
	s_add_u32 s18, s18, 4
	s_addc_u32 s19, s19, 0
	s_add_i32 s14, s14, 1
	s_cmp_lt_u32 s14, s21
	s_cbranch_scc0 .LBB224_37
.LBB224_59:                             ; =>This Inner Loop Header: Depth=1
	s_load_dword s15, s[16:17], 0x0
	s_cmp_ge_u32 s14, s54
	s_cbranch_scc1 .LBB224_58
; %bb.60:                               ;   in Loop: Header=BB224_59 Depth=1
	s_load_dword s39, s[18:19], 0x0
	s_waitcnt lgkmcnt(0)
	s_add_i32 s7, s15, s7
	s_add_i32 s6, s39, s6
	s_branch .LBB224_58
.LBB224_61:
	s_endpgm
	.section	.rodata,"a",@progbits
	.p2align	6, 0x0
	.amdhsa_kernel _ZN2at6native6mbtopk10gatherTopKIN3c108BFloat16EmLin1EEEvNS_4cuda6detail10TensorInfoIKT_T0_EESA_SA_bjSA_NS7_IS8_SA_EESA_NS7_IlSA_EESA_jjPS8_PjSF_j
		.amdhsa_group_segment_fixed_size 1068
		.amdhsa_private_segment_fixed_size 0
		.amdhsa_kernarg_size 1592
		.amdhsa_user_sgpr_count 6
		.amdhsa_user_sgpr_private_segment_buffer 1
		.amdhsa_user_sgpr_dispatch_ptr 0
		.amdhsa_user_sgpr_queue_ptr 0
		.amdhsa_user_sgpr_kernarg_segment_ptr 1
		.amdhsa_user_sgpr_dispatch_id 0
		.amdhsa_user_sgpr_flat_scratch_init 0
		.amdhsa_user_sgpr_private_segment_size 0
		.amdhsa_uses_dynamic_stack 0
		.amdhsa_system_sgpr_private_segment_wavefront_offset 0
		.amdhsa_system_sgpr_workgroup_id_x 1
		.amdhsa_system_sgpr_workgroup_id_y 1
		.amdhsa_system_sgpr_workgroup_id_z 1
		.amdhsa_system_sgpr_workgroup_info 0
		.amdhsa_system_vgpr_workitem_id 0
		.amdhsa_next_free_vgpr 22
		.amdhsa_next_free_sgpr 57
		.amdhsa_reserve_vcc 1
		.amdhsa_reserve_flat_scratch 0
		.amdhsa_float_round_mode_32 0
		.amdhsa_float_round_mode_16_64 0
		.amdhsa_float_denorm_mode_32 3
		.amdhsa_float_denorm_mode_16_64 3
		.amdhsa_dx10_clamp 1
		.amdhsa_ieee_mode 1
		.amdhsa_fp16_overflow 0
		.amdhsa_exception_fp_ieee_invalid_op 0
		.amdhsa_exception_fp_denorm_src 0
		.amdhsa_exception_fp_ieee_div_zero 0
		.amdhsa_exception_fp_ieee_overflow 0
		.amdhsa_exception_fp_ieee_underflow 0
		.amdhsa_exception_fp_ieee_inexact 0
		.amdhsa_exception_int_div_zero 0
	.end_amdhsa_kernel
	.section	.text._ZN2at6native6mbtopk10gatherTopKIN3c108BFloat16EmLin1EEEvNS_4cuda6detail10TensorInfoIKT_T0_EESA_SA_bjSA_NS7_IS8_SA_EESA_NS7_IlSA_EESA_jjPS8_PjSF_j,"axG",@progbits,_ZN2at6native6mbtopk10gatherTopKIN3c108BFloat16EmLin1EEEvNS_4cuda6detail10TensorInfoIKT_T0_EESA_SA_bjSA_NS7_IS8_SA_EESA_NS7_IlSA_EESA_jjPS8_PjSF_j,comdat
.Lfunc_end224:
	.size	_ZN2at6native6mbtopk10gatherTopKIN3c108BFloat16EmLin1EEEvNS_4cuda6detail10TensorInfoIKT_T0_EESA_SA_bjSA_NS7_IS8_SA_EESA_NS7_IlSA_EESA_jjPS8_PjSF_j, .Lfunc_end224-_ZN2at6native6mbtopk10gatherTopKIN3c108BFloat16EmLin1EEEvNS_4cuda6detail10TensorInfoIKT_T0_EESA_SA_bjSA_NS7_IS8_SA_EESA_NS7_IlSA_EESA_jjPS8_PjSF_j
                                        ; -- End function
	.set _ZN2at6native6mbtopk10gatherTopKIN3c108BFloat16EmLin1EEEvNS_4cuda6detail10TensorInfoIKT_T0_EESA_SA_bjSA_NS7_IS8_SA_EESA_NS7_IlSA_EESA_jjPS8_PjSF_j.num_vgpr, 22
	.set _ZN2at6native6mbtopk10gatherTopKIN3c108BFloat16EmLin1EEEvNS_4cuda6detail10TensorInfoIKT_T0_EESA_SA_bjSA_NS7_IS8_SA_EESA_NS7_IlSA_EESA_jjPS8_PjSF_j.num_agpr, 0
	.set _ZN2at6native6mbtopk10gatherTopKIN3c108BFloat16EmLin1EEEvNS_4cuda6detail10TensorInfoIKT_T0_EESA_SA_bjSA_NS7_IS8_SA_EESA_NS7_IlSA_EESA_jjPS8_PjSF_j.numbered_sgpr, 57
	.set _ZN2at6native6mbtopk10gatherTopKIN3c108BFloat16EmLin1EEEvNS_4cuda6detail10TensorInfoIKT_T0_EESA_SA_bjSA_NS7_IS8_SA_EESA_NS7_IlSA_EESA_jjPS8_PjSF_j.num_named_barrier, 0
	.set _ZN2at6native6mbtopk10gatherTopKIN3c108BFloat16EmLin1EEEvNS_4cuda6detail10TensorInfoIKT_T0_EESA_SA_bjSA_NS7_IS8_SA_EESA_NS7_IlSA_EESA_jjPS8_PjSF_j.private_seg_size, 0
	.set _ZN2at6native6mbtopk10gatherTopKIN3c108BFloat16EmLin1EEEvNS_4cuda6detail10TensorInfoIKT_T0_EESA_SA_bjSA_NS7_IS8_SA_EESA_NS7_IlSA_EESA_jjPS8_PjSF_j.uses_vcc, 1
	.set _ZN2at6native6mbtopk10gatherTopKIN3c108BFloat16EmLin1EEEvNS_4cuda6detail10TensorInfoIKT_T0_EESA_SA_bjSA_NS7_IS8_SA_EESA_NS7_IlSA_EESA_jjPS8_PjSF_j.uses_flat_scratch, 0
	.set _ZN2at6native6mbtopk10gatherTopKIN3c108BFloat16EmLin1EEEvNS_4cuda6detail10TensorInfoIKT_T0_EESA_SA_bjSA_NS7_IS8_SA_EESA_NS7_IlSA_EESA_jjPS8_PjSF_j.has_dyn_sized_stack, 0
	.set _ZN2at6native6mbtopk10gatherTopKIN3c108BFloat16EmLin1EEEvNS_4cuda6detail10TensorInfoIKT_T0_EESA_SA_bjSA_NS7_IS8_SA_EESA_NS7_IlSA_EESA_jjPS8_PjSF_j.has_recursion, 0
	.set _ZN2at6native6mbtopk10gatherTopKIN3c108BFloat16EmLin1EEEvNS_4cuda6detail10TensorInfoIKT_T0_EESA_SA_bjSA_NS7_IS8_SA_EESA_NS7_IlSA_EESA_jjPS8_PjSF_j.has_indirect_call, 0
	.section	.AMDGPU.csdata,"",@progbits
; Kernel info:
; codeLenInByte = 3216
; TotalNumSgprs: 61
; NumVgprs: 22
; ScratchSize: 0
; MemoryBound: 0
; FloatMode: 240
; IeeeMode: 1
; LDSByteSize: 1068 bytes/workgroup (compile time only)
; SGPRBlocks: 7
; VGPRBlocks: 5
; NumSGPRsForWavesPerEU: 61
; NumVGPRsForWavesPerEU: 22
; Occupancy: 10
; WaveLimiterHint : 1
; COMPUTE_PGM_RSRC2:SCRATCH_EN: 0
; COMPUTE_PGM_RSRC2:USER_SGPR: 6
; COMPUTE_PGM_RSRC2:TRAP_HANDLER: 0
; COMPUTE_PGM_RSRC2:TGID_X_EN: 1
; COMPUTE_PGM_RSRC2:TGID_Y_EN: 1
; COMPUTE_PGM_RSRC2:TGID_Z_EN: 1
; COMPUTE_PGM_RSRC2:TIDIG_COMP_CNT: 0
	.section	.text._ZN2at6native6sbtopk10gatherTopKIN3c108BFloat16EmLin1ELb0EEEvNS_4cuda6detail10TensorInfoIKT_T0_EESA_SA_bSA_SA_NS7_IS8_SA_EESA_NS7_IlSA_EESA_PS8_,"axG",@progbits,_ZN2at6native6sbtopk10gatherTopKIN3c108BFloat16EmLin1ELb0EEEvNS_4cuda6detail10TensorInfoIKT_T0_EESA_SA_bSA_SA_NS7_IS8_SA_EESA_NS7_IlSA_EESA_PS8_,comdat
	.protected	_ZN2at6native6sbtopk10gatherTopKIN3c108BFloat16EmLin1ELb0EEEvNS_4cuda6detail10TensorInfoIKT_T0_EESA_SA_bSA_SA_NS7_IS8_SA_EESA_NS7_IlSA_EESA_PS8_ ; -- Begin function _ZN2at6native6sbtopk10gatherTopKIN3c108BFloat16EmLin1ELb0EEEvNS_4cuda6detail10TensorInfoIKT_T0_EESA_SA_bSA_SA_NS7_IS8_SA_EESA_NS7_IlSA_EESA_PS8_
	.globl	_ZN2at6native6sbtopk10gatherTopKIN3c108BFloat16EmLin1ELb0EEEvNS_4cuda6detail10TensorInfoIKT_T0_EESA_SA_bSA_SA_NS7_IS8_SA_EESA_NS7_IlSA_EESA_PS8_
	.p2align	8
	.type	_ZN2at6native6sbtopk10gatherTopKIN3c108BFloat16EmLin1ELb0EEEvNS_4cuda6detail10TensorInfoIKT_T0_EESA_SA_bSA_SA_NS7_IS8_SA_EESA_NS7_IlSA_EESA_PS8_,@function
_ZN2at6native6sbtopk10gatherTopKIN3c108BFloat16EmLin1ELb0EEEvNS_4cuda6detail10TensorInfoIKT_T0_EESA_SA_bSA_SA_NS7_IS8_SA_EESA_NS7_IlSA_EESA_PS8_: ; @_ZN2at6native6sbtopk10gatherTopKIN3c108BFloat16EmLin1ELb0EEEvNS_4cuda6detail10TensorInfoIKT_T0_EESA_SA_bSA_SA_NS7_IS8_SA_EESA_NS7_IlSA_EESA_PS8_
; %bb.0:
	s_load_dwordx2 s[12:13], s[4:5], 0x520
	s_load_dwordx4 s[24:27], s[4:5], 0x1b8
	s_mov_b64 s[40:41], s[4:5]
	s_add_u32 s2, s40, 0x520
	s_addc_u32 s3, s41, 0
	s_waitcnt lgkmcnt(0)
	s_mul_i32 s0, s13, s8
	s_add_i32 s0, s0, s7
	s_mul_i32 s0, s0, s12
	s_add_i32 s8, s0, s6
	s_mov_b32 s9, 0
	v_mov_b32_e32 v1, s8
	v_mov_b32_e32 v2, s9
	v_cmp_le_u64_e32 vcc, s[24:25], v[1:2]
	s_cbranch_vccnz .LBB225_500
; %bb.1:
	s_load_dword s10, s[40:41], 0x198
	s_mov_b64 s[0:1], 0
	s_mov_b64 s[4:5], s[8:9]
	s_waitcnt lgkmcnt(0)
	s_cmp_lt_i32 s10, 2
	s_cbranch_scc1 .LBB225_9
; %bb.2:
	s_add_i32 s7, s10, 1
	s_add_i32 s0, s10, -1
	s_mov_b32 s10, 0
	s_mov_b32 s1, s10
	s_lshl_b64 s[0:1], s[0:1], 3
	s_add_u32 s0, s40, s0
	s_addc_u32 s1, s41, s1
	s_add_u32 s14, s0, 8
	s_addc_u32 s15, s1, 0
	s_mov_b64 s[0:1], 0
	s_mov_b64 s[16:17], s[8:9]
.LBB225_3:                              ; =>This Inner Loop Header: Depth=1
	s_load_dwordx2 s[18:19], s[14:15], 0x0
	s_waitcnt lgkmcnt(0)
	s_or_b64 s[4:5], s[16:17], s[18:19]
	s_mov_b32 s11, s5
	s_cmp_lg_u64 s[10:11], 0
	s_cbranch_scc0 .LBB225_8
; %bb.4:                                ;   in Loop: Header=BB225_3 Depth=1
	v_cvt_f32_u32_e32 v1, s18
	v_cvt_f32_u32_e32 v2, s19
	s_sub_u32 s11, 0, s18
	s_subb_u32 s13, 0, s19
	v_mac_f32_e32 v1, 0x4f800000, v2
	v_rcp_f32_e32 v1, v1
	v_mul_f32_e32 v1, 0x5f7ffffc, v1
	v_mul_f32_e32 v2, 0x2f800000, v1
	v_trunc_f32_e32 v2, v2
	v_mac_f32_e32 v1, 0xcf800000, v2
	v_cvt_u32_f32_e32 v2, v2
	v_cvt_u32_f32_e32 v1, v1
	v_readfirstlane_b32 s20, v2
	v_readfirstlane_b32 s4, v1
	s_mul_i32 s5, s11, s20
	s_mul_hi_u32 s22, s11, s4
	s_mul_i32 s21, s13, s4
	s_add_i32 s5, s22, s5
	s_mul_i32 s23, s11, s4
	s_add_i32 s5, s5, s21
	s_mul_i32 s22, s4, s5
	s_mul_hi_u32 s24, s4, s23
	s_mul_hi_u32 s21, s4, s5
	s_add_u32 s22, s24, s22
	s_addc_u32 s21, 0, s21
	s_mul_hi_u32 s25, s20, s23
	s_mul_i32 s23, s20, s23
	s_add_u32 s22, s22, s23
	s_mul_hi_u32 s24, s20, s5
	s_addc_u32 s21, s21, s25
	s_addc_u32 s22, s24, 0
	s_mul_i32 s5, s20, s5
	s_add_u32 s5, s21, s5
	s_addc_u32 s21, 0, s22
	s_add_u32 s22, s4, s5
	s_cselect_b64 s[4:5], -1, 0
	s_cmp_lg_u64 s[4:5], 0
	s_addc_u32 s20, s20, s21
	s_mul_i32 s4, s11, s20
	s_mul_hi_u32 s5, s11, s22
	s_add_i32 s4, s5, s4
	s_mul_i32 s13, s13, s22
	s_add_i32 s4, s4, s13
	s_mul_i32 s11, s11, s22
	s_mul_hi_u32 s13, s20, s11
	s_mul_i32 s21, s20, s11
	s_mul_i32 s24, s22, s4
	s_mul_hi_u32 s11, s22, s11
	s_mul_hi_u32 s23, s22, s4
	s_add_u32 s11, s11, s24
	s_addc_u32 s23, 0, s23
	s_add_u32 s11, s11, s21
	s_mul_hi_u32 s5, s20, s4
	s_addc_u32 s11, s23, s13
	s_addc_u32 s5, s5, 0
	s_mul_i32 s4, s20, s4
	s_add_u32 s4, s11, s4
	s_addc_u32 s11, 0, s5
	s_add_u32 s13, s22, s4
	s_cselect_b64 s[4:5], -1, 0
	s_cmp_lg_u64 s[4:5], 0
	s_addc_u32 s4, s20, s11
	s_mul_i32 s11, s16, s4
	s_mul_hi_u32 s20, s16, s13
	s_mul_hi_u32 s5, s16, s4
	s_add_u32 s11, s20, s11
	s_addc_u32 s5, 0, s5
	s_mul_hi_u32 s21, s17, s13
	s_mul_i32 s13, s17, s13
	s_add_u32 s11, s11, s13
	s_mul_hi_u32 s20, s17, s4
	s_addc_u32 s5, s5, s21
	s_addc_u32 s11, s20, 0
	s_mul_i32 s4, s17, s4
	s_add_u32 s13, s5, s4
	s_addc_u32 s11, 0, s11
	s_mul_i32 s4, s18, s11
	s_mul_hi_u32 s5, s18, s13
	s_add_i32 s4, s5, s4
	s_mul_i32 s5, s19, s13
	s_add_i32 s22, s4, s5
	s_sub_i32 s20, s17, s22
	s_mul_i32 s4, s18, s13
	s_sub_u32 s23, s16, s4
	s_cselect_b64 s[4:5], -1, 0
	s_cmp_lg_u64 s[4:5], 0
	s_subb_u32 s24, s20, s19
	s_sub_u32 s25, s23, s18
	s_cselect_b64 s[20:21], -1, 0
	s_cmp_lg_u64 s[20:21], 0
	s_subb_u32 s20, s24, 0
	s_cmp_ge_u32 s20, s19
	s_cselect_b32 s21, -1, 0
	s_cmp_ge_u32 s25, s18
	s_cselect_b32 s24, -1, 0
	s_cmp_eq_u32 s20, s19
	s_cselect_b32 s20, s24, s21
	s_add_u32 s21, s13, 1
	s_addc_u32 s24, s11, 0
	s_add_u32 s25, s13, 2
	s_addc_u32 s28, s11, 0
	s_cmp_lg_u32 s20, 0
	s_cselect_b32 s20, s25, s21
	s_cselect_b32 s21, s28, s24
	s_cmp_lg_u64 s[4:5], 0
	s_subb_u32 s4, s17, s22
	s_cmp_ge_u32 s4, s19
	s_cselect_b32 s5, -1, 0
	s_cmp_ge_u32 s23, s18
	s_cselect_b32 s22, -1, 0
	s_cmp_eq_u32 s4, s19
	s_cselect_b32 s4, s22, s5
	s_cmp_lg_u32 s4, 0
	s_cselect_b32 s5, s21, s11
	s_cselect_b32 s4, s20, s13
	s_cbranch_execnz .LBB225_6
.LBB225_5:                              ;   in Loop: Header=BB225_3 Depth=1
	v_cvt_f32_u32_e32 v1, s18
	s_sub_i32 s4, 0, s18
	v_rcp_iflag_f32_e32 v1, v1
	v_mul_f32_e32 v1, 0x4f7ffffe, v1
	v_cvt_u32_f32_e32 v1, v1
	v_readfirstlane_b32 s5, v1
	s_mul_i32 s4, s4, s5
	s_mul_hi_u32 s4, s5, s4
	s_add_i32 s5, s5, s4
	s_mul_hi_u32 s4, s16, s5
	s_mul_i32 s11, s4, s18
	s_sub_i32 s11, s16, s11
	s_add_i32 s5, s4, 1
	s_sub_i32 s13, s11, s18
	s_cmp_ge_u32 s11, s18
	s_cselect_b32 s4, s5, s4
	s_cselect_b32 s11, s13, s11
	s_add_i32 s5, s4, 1
	s_cmp_ge_u32 s11, s18
	s_cselect_b32 s4, s5, s4
	s_mov_b32 s5, s10
.LBB225_6:                              ;   in Loop: Header=BB225_3 Depth=1
	s_mul_i32 s11, s4, s19
	s_mul_hi_u32 s13, s4, s18
	s_load_dwordx2 s[20:21], s[14:15], 0xc8
	s_add_i32 s11, s13, s11
	s_mul_i32 s13, s5, s18
	s_add_i32 s11, s11, s13
	s_mul_i32 s13, s4, s18
	s_sub_u32 s13, s16, s13
	s_subb_u32 s11, s17, s11
	s_waitcnt lgkmcnt(0)
	s_mul_i32 s11, s20, s11
	s_mul_hi_u32 s16, s20, s13
	s_add_i32 s11, s16, s11
	s_mul_i32 s16, s21, s13
	s_add_i32 s11, s11, s16
	s_mul_i32 s13, s20, s13
	s_add_u32 s0, s13, s0
	s_addc_u32 s1, s11, s1
	s_add_i32 s7, s7, -1
	s_add_u32 s14, s14, -8
	s_addc_u32 s15, s15, -1
	s_cmp_gt_u32 s7, 2
	s_cbranch_scc0 .LBB225_9
; %bb.7:                                ;   in Loop: Header=BB225_3 Depth=1
	s_mov_b64 s[16:17], s[4:5]
	s_branch .LBB225_3
.LBB225_8:                              ;   in Loop: Header=BB225_3 Depth=1
                                        ; implicit-def: $sgpr4_sgpr5
	s_branch .LBB225_5
.LBB225_9:
	s_load_dword s13, s[40:41], 0x360
	s_load_dwordx2 s[10:11], s[40:41], 0xd0
	s_add_u32 s14, s40, 0x1c8
	s_addc_u32 s15, s41, 0
	s_mov_b64 s[34:35], 0
	s_waitcnt lgkmcnt(0)
	s_cmp_lt_i32 s13, 2
	s_mov_b64 s[38:39], s[8:9]
	s_cbranch_scc1 .LBB225_17
; %bb.10:
	s_mov_b32 s16, 0
	s_add_i32 s18, s13, -1
	s_mov_b32 s19, s16
	s_add_i32 s7, s13, 1
	s_lshl_b64 s[18:19], s[18:19], 3
	s_add_u32 s13, s14, s18
	s_addc_u32 s17, s15, s19
	s_add_u32 s18, s13, 8
	s_addc_u32 s19, s17, 0
	s_mov_b64 s[20:21], s[8:9]
.LBB225_11:                             ; =>This Inner Loop Header: Depth=1
	s_load_dwordx2 s[22:23], s[18:19], 0x0
	s_waitcnt lgkmcnt(0)
	s_or_b64 s[24:25], s[20:21], s[22:23]
	s_mov_b32 s17, s25
	s_cmp_lg_u64 s[16:17], 0
	s_cbranch_scc0 .LBB225_16
; %bb.12:                               ;   in Loop: Header=BB225_11 Depth=1
	v_cvt_f32_u32_e32 v1, s22
	v_cvt_f32_u32_e32 v2, s23
	s_sub_u32 s13, 0, s22
	s_subb_u32 s17, 0, s23
	v_mac_f32_e32 v1, 0x4f800000, v2
	v_rcp_f32_e32 v1, v1
	v_mul_f32_e32 v1, 0x5f7ffffc, v1
	v_mul_f32_e32 v2, 0x2f800000, v1
	v_trunc_f32_e32 v2, v2
	v_mac_f32_e32 v1, 0xcf800000, v2
	v_cvt_u32_f32_e32 v2, v2
	v_cvt_u32_f32_e32 v1, v1
	v_readfirstlane_b32 s28, v2
	v_readfirstlane_b32 s24, v1
	s_mul_i32 s25, s13, s28
	s_mul_hi_u32 s30, s13, s24
	s_mul_i32 s29, s17, s24
	s_add_i32 s25, s30, s25
	s_mul_i32 s31, s13, s24
	s_add_i32 s25, s25, s29
	s_mul_i32 s30, s24, s25
	s_mul_hi_u32 s33, s24, s31
	s_mul_hi_u32 s29, s24, s25
	s_add_u32 s30, s33, s30
	s_addc_u32 s29, 0, s29
	s_mul_hi_u32 s36, s28, s31
	s_mul_i32 s31, s28, s31
	s_add_u32 s30, s30, s31
	s_mul_hi_u32 s33, s28, s25
	s_addc_u32 s29, s29, s36
	s_addc_u32 s30, s33, 0
	s_mul_i32 s25, s28, s25
	s_add_u32 s25, s29, s25
	s_addc_u32 s29, 0, s30
	s_add_u32 s30, s24, s25
	s_cselect_b64 s[24:25], -1, 0
	s_cmp_lg_u64 s[24:25], 0
	s_addc_u32 s28, s28, s29
	s_mul_i32 s24, s13, s28
	s_mul_hi_u32 s25, s13, s30
	s_add_i32 s24, s25, s24
	s_mul_i32 s17, s17, s30
	s_add_i32 s24, s24, s17
	s_mul_i32 s13, s13, s30
	s_mul_hi_u32 s25, s28, s13
	s_mul_i32 s29, s28, s13
	s_mul_i32 s33, s30, s24
	s_mul_hi_u32 s13, s30, s13
	s_mul_hi_u32 s31, s30, s24
	s_add_u32 s13, s13, s33
	s_addc_u32 s31, 0, s31
	s_add_u32 s13, s13, s29
	s_mul_hi_u32 s17, s28, s24
	s_addc_u32 s13, s31, s25
	s_addc_u32 s17, s17, 0
	s_mul_i32 s24, s28, s24
	s_add_u32 s13, s13, s24
	s_addc_u32 s17, 0, s17
	s_add_u32 s13, s30, s13
	s_cselect_b64 s[24:25], -1, 0
	s_cmp_lg_u64 s[24:25], 0
	s_addc_u32 s17, s28, s17
	s_mul_i32 s25, s20, s17
	s_mul_hi_u32 s28, s20, s13
	s_mul_hi_u32 s24, s20, s17
	s_add_u32 s25, s28, s25
	s_addc_u32 s24, 0, s24
	s_mul_hi_u32 s29, s21, s13
	s_mul_i32 s13, s21, s13
	s_add_u32 s13, s25, s13
	s_mul_hi_u32 s28, s21, s17
	s_addc_u32 s13, s24, s29
	s_addc_u32 s24, s28, 0
	s_mul_i32 s17, s21, s17
	s_add_u32 s13, s13, s17
	s_addc_u32 s17, 0, s24
	s_mul_i32 s24, s22, s17
	s_mul_hi_u32 s25, s22, s13
	s_add_i32 s24, s25, s24
	s_mul_i32 s25, s23, s13
	s_add_i32 s30, s24, s25
	s_sub_i32 s28, s21, s30
	s_mul_i32 s24, s22, s13
	s_sub_u32 s31, s20, s24
	s_cselect_b64 s[24:25], -1, 0
	s_cmp_lg_u64 s[24:25], 0
	s_subb_u32 s33, s28, s23
	s_sub_u32 s36, s31, s22
	s_cselect_b64 s[28:29], -1, 0
	s_cmp_lg_u64 s[28:29], 0
	s_subb_u32 s28, s33, 0
	s_cmp_ge_u32 s28, s23
	s_cselect_b32 s29, -1, 0
	s_cmp_ge_u32 s36, s22
	s_cselect_b32 s33, -1, 0
	s_cmp_eq_u32 s28, s23
	s_cselect_b32 s28, s33, s29
	s_add_u32 s29, s13, 1
	s_addc_u32 s33, s17, 0
	s_add_u32 s36, s13, 2
	s_addc_u32 s37, s17, 0
	s_cmp_lg_u32 s28, 0
	s_cselect_b32 s28, s36, s29
	s_cselect_b32 s29, s37, s33
	s_cmp_lg_u64 s[24:25], 0
	s_subb_u32 s24, s21, s30
	s_cmp_ge_u32 s24, s23
	s_cselect_b32 s25, -1, 0
	s_cmp_ge_u32 s31, s22
	s_cselect_b32 s30, -1, 0
	s_cmp_eq_u32 s24, s23
	s_cselect_b32 s24, s30, s25
	s_cmp_lg_u32 s24, 0
	s_cselect_b32 s39, s29, s17
	s_cselect_b32 s38, s28, s13
	s_cbranch_execnz .LBB225_14
.LBB225_13:                             ;   in Loop: Header=BB225_11 Depth=1
	v_cvt_f32_u32_e32 v1, s22
	s_sub_i32 s13, 0, s22
	s_mov_b32 s39, s16
	v_rcp_iflag_f32_e32 v1, v1
	v_mul_f32_e32 v1, 0x4f7ffffe, v1
	v_cvt_u32_f32_e32 v1, v1
	v_readfirstlane_b32 s17, v1
	s_mul_i32 s13, s13, s17
	s_mul_hi_u32 s13, s17, s13
	s_add_i32 s17, s17, s13
	s_mul_hi_u32 s13, s20, s17
	s_mul_i32 s24, s13, s22
	s_sub_i32 s24, s20, s24
	s_add_i32 s17, s13, 1
	s_sub_i32 s25, s24, s22
	s_cmp_ge_u32 s24, s22
	s_cselect_b32 s13, s17, s13
	s_cselect_b32 s24, s25, s24
	s_add_i32 s17, s13, 1
	s_cmp_ge_u32 s24, s22
	s_cselect_b32 s38, s17, s13
.LBB225_14:                             ;   in Loop: Header=BB225_11 Depth=1
	s_mul_i32 s13, s38, s23
	s_mul_hi_u32 s17, s38, s22
	s_load_dwordx2 s[24:25], s[18:19], 0xc8
	s_add_i32 s13, s17, s13
	s_mul_i32 s17, s39, s22
	s_add_i32 s13, s13, s17
	s_mul_i32 s17, s38, s22
	s_sub_u32 s17, s20, s17
	s_subb_u32 s13, s21, s13
	s_waitcnt lgkmcnt(0)
	s_mul_i32 s13, s24, s13
	s_mul_hi_u32 s20, s24, s17
	s_add_i32 s13, s20, s13
	s_mul_i32 s20, s25, s17
	s_add_i32 s13, s13, s20
	s_mul_i32 s17, s24, s17
	s_add_u32 s34, s17, s34
	s_addc_u32 s35, s13, s35
	s_add_i32 s7, s7, -1
	s_add_u32 s18, s18, -8
	s_addc_u32 s19, s19, -1
	s_cmp_gt_u32 s7, 2
	s_cbranch_scc0 .LBB225_17
; %bb.15:                               ;   in Loop: Header=BB225_11 Depth=1
	s_mov_b64 s[20:21], s[38:39]
	s_branch .LBB225_11
.LBB225_16:                             ;   in Loop: Header=BB225_11 Depth=1
                                        ; implicit-def: $sgpr38_sgpr39
	s_branch .LBB225_13
.LBB225_17:
	s_load_dword s16, s[40:41], 0x508
	s_load_dwordx2 s[18:19], s[14:15], 0xd0
	s_add_u32 s13, s40, 0x370
                                        ; implicit-def: $vgpr59 : SGPR spill to VGPR lane
                                        ; kill: killed $sgpr14 killed $sgpr15
	s_addc_u32 s15, s41, 0
	s_mov_b64 s[46:47], 0
	s_waitcnt lgkmcnt(0)
	s_cmp_lt_i32 s16, 2
	v_writelane_b32 v59, s18, 0
	v_writelane_b32 v59, s19, 1
	s_cbranch_scc1 .LBB225_25
; %bb.18:
	s_mov_b32 s14, 0
	s_add_i32 s7, s16, 1
	s_add_i32 s16, s16, -1
	s_mov_b32 s17, s14
	s_lshl_b64 s[16:17], s[16:17], 3
	s_add_u32 s13, s13, s16
	s_addc_u32 s15, s15, s17
	s_add_u32 s16, s13, 8
	s_addc_u32 s17, s15, 0
.LBB225_19:                             ; =>This Inner Loop Header: Depth=1
	s_load_dwordx2 s[18:19], s[16:17], 0x0
	s_waitcnt lgkmcnt(0)
	s_or_b64 s[20:21], s[8:9], s[18:19]
	s_mov_b32 s15, s21
	s_cmp_lg_u64 s[14:15], 0
	s_cbranch_scc0 .LBB225_24
; %bb.20:                               ;   in Loop: Header=BB225_19 Depth=1
	v_cvt_f32_u32_e32 v1, s18
	v_cvt_f32_u32_e32 v2, s19
	s_sub_u32 s13, 0, s18
	s_subb_u32 s15, 0, s19
	v_mac_f32_e32 v1, 0x4f800000, v2
	v_rcp_f32_e32 v1, v1
	v_mul_f32_e32 v1, 0x5f7ffffc, v1
	v_mul_f32_e32 v2, 0x2f800000, v1
	v_trunc_f32_e32 v2, v2
	v_mac_f32_e32 v1, 0xcf800000, v2
	v_cvt_u32_f32_e32 v2, v2
	v_cvt_u32_f32_e32 v1, v1
	v_readfirstlane_b32 s22, v2
	v_readfirstlane_b32 s20, v1
	s_mul_i32 s21, s13, s22
	s_mul_hi_u32 s24, s13, s20
	s_mul_i32 s23, s15, s20
	s_add_i32 s21, s24, s21
	s_mul_i32 s25, s13, s20
	s_add_i32 s21, s21, s23
	s_mul_i32 s24, s20, s21
	s_mul_hi_u32 s28, s20, s25
	s_mul_hi_u32 s23, s20, s21
	s_add_u32 s24, s28, s24
	s_addc_u32 s23, 0, s23
	s_mul_hi_u32 s29, s22, s25
	s_mul_i32 s25, s22, s25
	s_add_u32 s24, s24, s25
	s_mul_hi_u32 s28, s22, s21
	s_addc_u32 s23, s23, s29
	s_addc_u32 s24, s28, 0
	s_mul_i32 s21, s22, s21
	s_add_u32 s21, s23, s21
	s_addc_u32 s23, 0, s24
	s_add_u32 s24, s20, s21
	s_cselect_b64 s[20:21], -1, 0
	s_cmp_lg_u64 s[20:21], 0
	s_addc_u32 s22, s22, s23
	s_mul_i32 s20, s13, s22
	s_mul_hi_u32 s21, s13, s24
	s_add_i32 s20, s21, s20
	s_mul_i32 s15, s15, s24
	s_add_i32 s20, s20, s15
	s_mul_i32 s13, s13, s24
	s_mul_hi_u32 s21, s22, s13
	s_mul_i32 s23, s22, s13
	s_mul_i32 s28, s24, s20
	s_mul_hi_u32 s13, s24, s13
	s_mul_hi_u32 s25, s24, s20
	s_add_u32 s13, s13, s28
	s_addc_u32 s25, 0, s25
	s_add_u32 s13, s13, s23
	s_mul_hi_u32 s15, s22, s20
	s_addc_u32 s13, s25, s21
	s_addc_u32 s15, s15, 0
	s_mul_i32 s20, s22, s20
	s_add_u32 s13, s13, s20
	s_addc_u32 s15, 0, s15
	s_add_u32 s13, s24, s13
	s_cselect_b64 s[20:21], -1, 0
	s_cmp_lg_u64 s[20:21], 0
	s_addc_u32 s15, s22, s15
	s_mul_i32 s21, s8, s15
	s_mul_hi_u32 s22, s8, s13
	s_mul_hi_u32 s20, s8, s15
	s_add_u32 s21, s22, s21
	s_addc_u32 s20, 0, s20
	s_mul_hi_u32 s23, s9, s13
	s_mul_i32 s13, s9, s13
	s_add_u32 s13, s21, s13
	s_mul_hi_u32 s22, s9, s15
	s_addc_u32 s13, s20, s23
	s_addc_u32 s20, s22, 0
	s_mul_i32 s15, s9, s15
	s_add_u32 s13, s13, s15
	s_addc_u32 s15, 0, s20
	s_mul_i32 s20, s18, s15
	s_mul_hi_u32 s21, s18, s13
	s_add_i32 s20, s21, s20
	s_mul_i32 s21, s19, s13
	s_add_i32 s24, s20, s21
	s_sub_i32 s22, s9, s24
	s_mul_i32 s20, s18, s13
	s_sub_u32 s25, s8, s20
	s_cselect_b64 s[20:21], -1, 0
	s_cmp_lg_u64 s[20:21], 0
	s_subb_u32 s28, s22, s19
	s_sub_u32 s29, s25, s18
	s_cselect_b64 s[22:23], -1, 0
	s_cmp_lg_u64 s[22:23], 0
	s_subb_u32 s22, s28, 0
	s_cmp_ge_u32 s22, s19
	s_cselect_b32 s23, -1, 0
	s_cmp_ge_u32 s29, s18
	s_cselect_b32 s28, -1, 0
	s_cmp_eq_u32 s22, s19
	s_cselect_b32 s22, s28, s23
	s_add_u32 s23, s13, 1
	s_addc_u32 s28, s15, 0
	s_add_u32 s29, s13, 2
	s_addc_u32 s30, s15, 0
	s_cmp_lg_u32 s22, 0
	s_cselect_b32 s22, s29, s23
	s_cselect_b32 s23, s30, s28
	s_cmp_lg_u64 s[20:21], 0
	s_subb_u32 s20, s9, s24
	s_cmp_ge_u32 s20, s19
	s_cselect_b32 s21, -1, 0
	s_cmp_ge_u32 s25, s18
	s_cselect_b32 s24, -1, 0
	s_cmp_eq_u32 s20, s19
	s_cselect_b32 s20, s24, s21
	s_cmp_lg_u32 s20, 0
	s_cselect_b32 s51, s23, s15
	s_cselect_b32 s50, s22, s13
	s_cbranch_execnz .LBB225_22
.LBB225_21:                             ;   in Loop: Header=BB225_19 Depth=1
	v_cvt_f32_u32_e32 v1, s18
	s_sub_i32 s13, 0, s18
	s_mov_b32 s51, s14
	v_rcp_iflag_f32_e32 v1, v1
	v_mul_f32_e32 v1, 0x4f7ffffe, v1
	v_cvt_u32_f32_e32 v1, v1
	v_readfirstlane_b32 s15, v1
	s_mul_i32 s13, s13, s15
	s_mul_hi_u32 s13, s15, s13
	s_add_i32 s15, s15, s13
	s_mul_hi_u32 s13, s8, s15
	s_mul_i32 s20, s13, s18
	s_sub_i32 s20, s8, s20
	s_add_i32 s15, s13, 1
	s_sub_i32 s21, s20, s18
	s_cmp_ge_u32 s20, s18
	s_cselect_b32 s13, s15, s13
	s_cselect_b32 s20, s21, s20
	s_add_i32 s15, s13, 1
	s_cmp_ge_u32 s20, s18
	s_cselect_b32 s50, s15, s13
.LBB225_22:                             ;   in Loop: Header=BB225_19 Depth=1
	s_mul_i32 s13, s50, s19
	s_mul_hi_u32 s15, s50, s18
	s_load_dwordx2 s[20:21], s[16:17], 0xc8
	s_add_i32 s13, s15, s13
	s_mul_i32 s15, s51, s18
	s_add_i32 s13, s13, s15
	s_mul_i32 s15, s50, s18
	s_sub_u32 s8, s8, s15
	s_subb_u32 s9, s9, s13
	s_waitcnt lgkmcnt(0)
	s_mul_i32 s9, s20, s9
	s_mul_hi_u32 s13, s20, s8
	s_add_i32 s9, s13, s9
	s_mul_i32 s13, s21, s8
	s_add_i32 s9, s9, s13
	s_mul_i32 s8, s20, s8
	s_add_u32 s46, s8, s46
	s_addc_u32 s47, s9, s47
	s_add_i32 s7, s7, -1
	s_add_u32 s16, s16, -8
	s_addc_u32 s17, s17, -1
	s_cmp_gt_u32 s7, 2
	s_cbranch_scc0 .LBB225_26
; %bb.23:                               ;   in Loop: Header=BB225_19 Depth=1
	s_mov_b64 s[8:9], s[50:51]
	s_branch .LBB225_19
.LBB225_24:                             ;   in Loop: Header=BB225_19 Depth=1
                                        ; implicit-def: $sgpr50_sgpr51
	s_branch .LBB225_21
.LBB225_25:
	s_mov_b64 s[50:51], s[8:9]
.LBB225_26:
	s_load_dwordx4 s[28:31], s[40:41], 0x1a0
	s_load_dwordx2 s[16:17], s[40:41], 0x0
	s_load_dwordx2 s[8:9], s[40:41], 0x440
	s_mov_b32 s59, 0
	v_cmp_eq_u32_e64 s[14:15], 0, v0
	s_waitcnt lgkmcnt(0)
	v_writelane_b32 v59, s8, 2
	v_writelane_b32 v59, s9, 3
	s_load_dwordx2 s[8:9], s[40:41], 0x1c8
	s_waitcnt lgkmcnt(0)
	v_writelane_b32 v59, s8, 4
	v_writelane_b32 v59, s9, 5
	s_load_dwordx2 s[8:9], s[40:41], 0x370
	s_waitcnt lgkmcnt(0)
	v_writelane_b32 v59, s8, 6
	v_writelane_b32 v59, s9, 7
	s_mov_b64 s[8:9], exec
	v_writelane_b32 v59, s14, 8
	v_writelane_b32 v59, s15, 9
	s_and_b64 s[14:15], s[8:9], s[14:15]
	s_mov_b64 exec, s[14:15]
	s_cbranch_execz .LBB225_28
; %bb.27:
	v_mov_b32_e32 v1, 0
	v_mov_b32_e32 v3, s28
	;; [unrolled: 1-line block ×4, first 2 shown]
	ds_write_b32 v1, v1 offset:5144
	ds_write_b128 v1, v[1:4] offset:5120
.LBB225_28:
	s_or_b64 exec, exec, s[8:9]
	s_mul_i32 s5, s10, s5
	s_mul_hi_u32 s7, s10, s4
	s_add_i32 s5, s7, s5
	s_mul_i32 s7, s11, s4
	s_add_i32 s5, s5, s7
	s_mul_i32 s4, s10, s4
	s_lshl_b64 s[8:9], s[4:5], 1
	v_writelane_b32 v59, s40, 10
	s_load_dword s7, s[40:41], 0x1b0
	s_add_u32 s4, s16, s8
	s_addc_u32 s5, s17, s9
	s_lshl_b64 s[44:45], s[0:1], 1
	s_add_u32 s76, s4, s44
	s_addc_u32 s77, s5, s45
	s_waitcnt lgkmcnt(0)
	s_bitcmp1_b32 s7, 0
	v_writelane_b32 v59, s41, 11
	s_cselect_b64 s[0:1], -1, 0
	v_writelane_b32 v59, s0, 12
	v_writelane_b32 v59, s1, 13
	s_xor_b64 s[0:1], s[0:1], -1
	v_mbcnt_lo_u32_b32 v1, -1, 0
	v_writelane_b32 v59, s0, 14
	v_mbcnt_hi_u32_b32 v44, -1, v1
	v_writelane_b32 v59, s1, 15
	v_cmp_eq_u32_e64 s[0:1], 0, v44
	v_writelane_b32 v59, s0, 16
	v_writelane_b32 v59, s1, 17
	v_mad_u64_u32 v[6:7], s[0:1], s26, v0, 0
	v_cmp_gt_u32_e32 vcc, 64, v0
	v_cmp_gt_i32_e64 s[10:11], 4, v44
	s_and_b64 s[0:1], vcc, s[10:11]
	v_writelane_b32 v59, s0, 18
	v_mov_b32_e32 v1, 0x600
	v_mov_b32_e32 v3, v7
	v_writelane_b32 v59, s1, 19
	v_mov_b32_e32 v2, 0
	v_mad_u64_u32 v[4:5], s[0:1], s27, v0, v[3:4]
	v_cmp_gt_u64_e64 s[0:1], s[28:29], v[1:2]
	v_mov_b32_e32 v3, 0
	v_writelane_b32 v59, s0, 20
	v_mov_b32_e32 v1, v3
	v_writelane_b32 v59, s1, 21
	v_cmp_gt_u64_e64 s[0:1], s[28:29], v[0:1]
	v_writelane_b32 v59, s0, 22
	s_barrier
	v_writelane_b32 v59, s1, 23
	s_load_dword s0, s[2:3], 0xc
	v_cmp_gt_u32_e64 s[10:11], 2, v0
	v_writelane_b32 v59, s10, 24
	v_writelane_b32 v59, s11, 25
	v_mov_b32_e32 v7, v4
	s_waitcnt lgkmcnt(0)
	s_and_b32 s33, s0, 0xffff
	s_bfe_u32 s7, s0, 0xa0006
	s_cmp_gt_u32 s33, 63
	s_cselect_b64 s[0:1], -1, 0
	v_writelane_b32 v59, s0, 26
	v_lshlrev_b64 v[4:5], 1, v[6:7]
	v_writelane_b32 v59, s1, 27
	s_add_u32 s0, s33, -1
	s_addc_u32 s1, 0, -1
	v_mov_b32_e32 v2, s77
	v_add_co_u32_e32 v12, vcc, s76, v4
	v_writelane_b32 v59, s0, 28
	s_add_u32 s0, s0, s28
	v_addc_co_u32_e32 v13, vcc, v2, v5, vcc
	v_writelane_b32 v59, s0, 29
	v_add_u32_e32 v2, 2, v0
	v_writelane_b32 v59, s1, 30
	s_addc_u32 s1, s1, s29
	v_cmp_gt_u64_e32 vcc, s[28:29], v[2:3]
	v_writelane_b32 v59, s0, 31
	s_cmp_lt_u32 s6, s12
	v_mov_b32_e32 v9, s29
	v_writelane_b32 v59, s1, 32
	s_cselect_b32 s0, 12, 18
	v_cndmask_b32_e32 v10, 0, v9, vcc
	v_mov_b32_e32 v9, s28
	s_add_u32 s0, s2, s0
	v_cndmask_b32_e32 v2, v2, v9, vcc
	v_not_b32_e32 v9, v0
	s_addc_u32 s1, s3, 0
	v_add_co_u32_e32 v9, vcc, v2, v9
	v_writelane_b32 v59, s0, 33
	v_addc_co_u32_e32 v10, vcc, -1, v10, vcc
	v_writelane_b32 v59, s1, 34
	v_cmp_lt_u64_e64 s[0:1], 1, v[9:10]
	v_and_b32_e32 v16, -2, v9
	v_writelane_b32 v59, s0, 35
	v_mov_b32_e32 v17, v10
	v_writelane_b32 v59, s1, 36
	v_cmp_ne_u64_e64 s[0:1], v[9:10], v[16:17]
	v_lshlrev_b32_e32 v45, 3, v0
	v_writelane_b32 v59, s0, 37
	v_writelane_b32 v59, s1, 38
	s_add_i32 s0, s7, -1
	v_mov_b32_e32 v10, s5
	s_bfe_u32 s2, s33, 0x30006
	s_and_b32 s0, s0, 0xffff
	v_or_b32_e32 v11, 6, v45
	v_mov_b32_e32 v9, s4
	s_cmp_gt_u32 s0, 6
	v_mad_u64_u32 v[18:19], s[0:1], s26, v11, v[9:10]
	s_cselect_b64 s[0:1], -1, 0
	v_writelane_b32 v59, s0, 39
	v_mov_b32_e32 v2, v19
	v_writelane_b32 v59, s1, 40
	v_mad_u64_u32 v[19:20], s[0:1], s27, v11, v[2:3]
	v_or_b32_e32 v11, 4, v45
	v_mad_u64_u32 v[20:21], s[0:1], s26, v11, v[9:10]
	s_and_b32 s66, s7, 0x3f8
	s_cmp_lg_u32 s2, 0
	v_writelane_b32 v59, s2, 41
	s_cselect_b64 s[0:1], -1, 0
	v_writelane_b32 v59, s0, 42
	v_mov_b32_e32 v2, v21
	v_writelane_b32 v59, s1, 43
	v_mad_u64_u32 v[21:22], s[0:1], s27, v11, v[2:3]
	v_or_b32_e32 v11, 2, v45
	v_mad_u64_u32 v[22:23], s[0:1], s26, v11, v[9:10]
	s_add_u32 s2, s8, s44
	s_addc_u32 s3, s9, s45
	s_add_u32 s2, s16, s2
	v_mov_b32_e32 v2, v23
	s_addc_u32 s3, s17, s3
	v_mad_u64_u32 v[9:10], s[0:1], s27, v11, v[2:3]
	v_writelane_b32 v59, s2, 44
	v_writelane_b32 v59, s3, 45
	s_lshl_b64 s[0:1], s[26:27], 3
	v_writelane_b32 v59, s0, 46
	v_writelane_b32 v59, s1, 47
	s_lshl_b32 s0, s33, 1
	s_lshl_b64 s[20:21], s[26:27], 1
	v_lshlrev_b64 v[6:7], 3, v[6:7]
	v_writelane_b32 v59, s0, 48
	s_add_u32 s0, s16, s44
	v_writelane_b32 v59, s16, 49
	v_mov_b32_e32 v2, s5
	v_add_co_u32_e32 v24, vcc, s4, v6
	v_writelane_b32 v59, s17, 50
	s_addc_u32 s1, s17, s45
	v_addc_co_u32_e32 v25, vcc, v2, v7, vcc
	s_add_u32 s0, s0, s8
	v_writelane_b32 v59, s8, 51
	v_writelane_b32 v59, s9, 52
	s_addc_u32 s1, s1, s9
	v_add_co_u32_e32 v26, vcc, s0, v4
	s_mov_b32 s0, s27
	v_mov_b32_e32 v2, s1
	v_writelane_b32 v59, s0, 53
	s_mul_i32 s0, s27, s33
	s_mul_hi_u32 s1, s26, s33
	s_add_i32 s1, s1, s0
	s_mul_i32 s0, s26, s33
	v_addc_co_u32_e32 v27, vcc, v2, v5, vcc
	v_lshrrev_b32_e32 v2, 1, v0
	s_lshl_b64 s[36:37], s[0:1], 1
	s_mov_b32 s0, 0
	v_lshlrev_b64 v[4:5], v44, -1
	v_and_b32_e32 v2, 0x1e0, v2
	v_writelane_b32 v59, s0, 54
	v_lshlrev_b32_e32 v8, 2, v44
	v_or_b32_e32 v46, 0xc00, v2
	v_mov_b32_e32 v2, 0xc00
	v_lshlrev_b32_e32 v49, 1, v0
	v_mov_b32_e32 v29, s30
	v_writelane_b32 v59, s20, 55
	v_lshlrev_b32_e32 v14, 2, v0
	v_mov_b32_e32 v15, v3
	v_mov_b32_e32 v23, v9
	v_and_b32_e32 v41, 0x100, v8
	v_not_b32_e32 v42, v5
	v_not_b32_e32 v43, v4
	s_mov_b32 s58, s26
	v_lshl_or_b32 v48, v44, 3, v2
	s_mov_b32 s67, 14
	s_mov_b64 s[80:81], 0
	v_add_u32_e32 v50, 0xc00, v49
	v_mov_b32_e32 v51, 0xffff
	v_mov_b32_e32 v52, 0x8000
	;; [unrolled: 1-line block ×3, first 2 shown]
	v_mov_b32_e32 v54, -1
	v_mov_b32_e32 v55, 0x5040100
	v_mov_b32_e32 v57, 0
	;; [unrolled: 1-line block ×4, first 2 shown]
	v_add_co_u32_e32 v28, vcc, v16, v0
	v_mov_b32_e32 v30, s31
	v_writelane_b32 v59, s21, 56
                                        ; implicit-def: $sgpr82_sgpr83
                                        ; implicit-def: $sgpr84_sgpr85
                                        ; implicit-def: $sgpr86_sgpr87
                                        ; implicit-def: $sgpr90_sgpr91
                                        ; implicit-def: $sgpr88_sgpr89
                                        ; implicit-def: $sgpr92_sgpr93
                                        ; implicit-def: $sgpr94_sgpr95
                                        ; implicit-def: $sgpr52_sgpr53
                                        ; implicit-def: $sgpr54_sgpr55
                                        ; implicit-def: $sgpr56_sgpr57
	v_writelane_b32 v59, s58, 57
	s_branch .LBB225_31
.LBB225_29:                             ;   in Loop: Header=BB225_31 Depth=1
	s_or_b64 exec, exec, s[8:9]
	s_andn2_b64 s[0:1], s[56:57], exec
	s_and_b64 s[6:7], s[6:7], exec
	v_mov_b32_e32 v30, v5
	s_or_b64 s[56:57], s[0:1], s[6:7]
	s_andn2_b64 s[54:55], s[54:55], exec
	s_andn2_b64 s[52:53], s[52:53], exec
	;; [unrolled: 1-line block ×4, first 2 shown]
	s_orn2_b64 s[4:5], s[4:5], exec
	v_mov_b32_e32 v29, v4
.LBB225_30:                             ;   in Loop: Header=BB225_31 Depth=1
	s_or_b64 exec, exec, s[2:3]
	s_and_b64 s[0:1], exec, s[4:5]
	s_or_b64 s[80:81], s[0:1], s[80:81]
	s_andn2_b64 s[0:1], s[88:89], exec
	s_and_b64 s[2:3], s[56:57], exec
	s_or_b64 s[88:89], s[0:1], s[2:3]
	s_andn2_b64 s[0:1], s[90:91], exec
	s_and_b64 s[2:3], s[54:55], exec
	;; [unrolled: 3-line block ×5, first 2 shown]
	s_or_b64 s[82:83], s[0:1], s[2:3]
	s_andn2_b64 exec, exec, s[80:81]
	s_cbranch_execz .LBB225_496
.LBB225_31:                             ; =>This Loop Header: Depth=1
                                        ;     Child Loop BB225_36 Depth 2
                                        ;     Child Loop BB225_50 Depth 2
	;; [unrolled: 1-line block ×25, first 2 shown]
	ds_read_b128 v[4:7], v3 offset:5120
	s_waitcnt lgkmcnt(0)
	v_readfirstlane_b32 s3, v5
	v_readfirstlane_b32 s2, v4
	s_cmp_lg_u64 s[2:3], 0
	s_cbranch_scc1 .LBB225_63
; %bb.32:                               ;   in Loop: Header=BB225_31 Depth=1
	v_readlane_b32 s0, v59, 20
	v_readlane_b32 s1, v59, 21
	s_and_b64 vcc, exec, s[0:1]
	s_cbranch_vccz .LBB225_44
; %bb.33:                               ;   in Loop: Header=BB225_31 Depth=1
	s_mov_b64 s[0:1], 0x601
	v_cmp_gt_u64_e32 vcc, s[0:1], v[6:7]
	s_mov_b64 s[2:3], 0
	s_mov_b64 s[4:5], 0
	s_cbranch_vccz .LBB225_45
; %bb.34:                               ;   in Loop: Header=BB225_31 Depth=1
	v_readlane_b32 s0, v59, 33
	v_readlane_b32 s1, v59, 34
	s_nop 4
	global_load_ushort v6, v3, s[0:1]
	global_load_ushort v2, v[12:13], off
	v_readlane_b32 s0, v59, 44
	v_readlane_b32 s1, v59, 45
	v_mov_b32_e32 v5, s1
	v_mov_b32_e32 v4, s0
	s_waitcnt vmcnt(1)
	v_and_b32_e32 v8, 0xffff, v6
	v_readfirstlane_b32 s6, v6
	v_add_co_u32_e32 v6, vcc, v0, v8
	v_addc_co_u32_e64 v7, s[0:1], 0, 0, vcc
	v_mul_lo_u32 v7, s20, v7
	v_mul_lo_u32 v9, s21, v6
	v_mad_u64_u32 v[4:5], s[0:1], s20, v6, v[4:5]
	s_and_b32 s6, 0xffff, s6
	s_mul_i32 s1, s21, s6
	s_mul_hi_u32 s7, s20, s6
	v_add3_u32 v5, v9, v5, v7
	v_mov_b32_e32 v7, v1
	s_mul_i32 s0, s20, s6
	s_add_i32 s1, s7, s1
	v_mov_b32_e32 v6, v0
	s_branch .LBB225_36
.LBB225_35:                             ;   in Loop: Header=BB225_36 Depth=2
	s_or_b64 exec, exec, s[6:7]
	v_mov_b32_e32 v2, s1
	v_add_co_u32_e32 v4, vcc, s0, v4
	v_addc_co_u32_e32 v5, vcc, v5, v2, vcc
	v_mov_b32_e32 v2, v9
	s_andn2_b64 exec, exec, s[4:5]
	s_cbranch_execz .LBB225_118
.LBB225_36:                             ;   Parent Loop BB225_31 Depth=1
                                        ; =>  This Inner Loop Header: Depth=2
	v_add_co_u32_e32 v6, vcc, v6, v8
	v_addc_co_u32_e32 v7, vcc, 0, v7, vcc
	v_cmp_gt_u64_e64 s[6:7], s[28:29], v[6:7]
	v_cmp_le_u64_e32 vcc, s[28:29], v[6:7]
	s_waitcnt lgkmcnt(0)
	v_mov_b32_e32 v10, 0
	v_mov_b32_e32 v9, 0
	s_and_saveexec_b64 s[8:9], s[6:7]
	s_cbranch_execz .LBB225_38
; %bb.37:                               ;   in Loop: Header=BB225_36 Depth=2
	global_load_ushort v9, v[4:5], off
.LBB225_38:                             ;   in Loop: Header=BB225_36 Depth=2
	s_or_b64 exec, exec, s[8:9]
	s_waitcnt vmcnt(0)
	v_cmp_lt_i16_e64 s[6:7], -1, v2
	v_cndmask_b32_e64 v11, v51, v52, s[6:7]
	v_lshlrev_b32_e32 v31, 16, v2
	v_cmp_o_f32_e64 s[6:7], v31, v31
	v_xor_b32_sdwa v11, v11, v2 dst_sel:DWORD dst_unused:UNUSED_PAD src0_sel:DWORD src1_sel:WORD_0
	v_cndmask_b32_e64 v11, v51, v11, s[6:7]
	v_and_b32_e32 v11, v11, v56
	v_cmp_eq_u32_e64 s[18:19], v11, v47
	s_cmp_lg_u64 s[18:19], 0
	v_readlane_b32 s8, v59, 16
	s_cselect_b64 s[6:7], -1, 0
	v_readlane_b32 s9, v59, 17
	s_and_b64 s[6:7], s[8:9], s[6:7]
	s_and_saveexec_b64 s[8:9], s[6:7]
	s_cbranch_execz .LBB225_42
; %bb.39:                               ;   in Loop: Header=BB225_36 Depth=2
	s_mov_b64 s[12:13], exec
	v_mbcnt_lo_u32_b32 v10, s12, 0
	v_mbcnt_hi_u32_b32 v10, s13, v10
	s_bcnt1_i32_b64 s14, s[18:19]
	v_cmp_eq_u32_e64 s[6:7], 0, v10
                                        ; implicit-def: $vgpr11
	s_and_saveexec_b64 s[10:11], s[6:7]
; %bb.40:                               ;   in Loop: Header=BB225_36 Depth=2
	s_bcnt1_i32_b64 s6, s[12:13]
	s_mul_i32 s6, s14, s6
	v_mov_b32_e32 v11, s6
	ds_add_rtn_u32 v11, v3, v11 offset:5144
; %bb.41:                               ;   in Loop: Header=BB225_36 Depth=2
	s_or_b64 exec, exec, s[10:11]
	s_waitcnt lgkmcnt(0)
	v_readfirstlane_b32 s6, v11
	v_mov_b32_e32 v11, s6
	v_mad_u32_u24 v10, s14, v10, v11
.LBB225_42:                             ;   in Loop: Header=BB225_36 Depth=2
	s_or_b64 exec, exec, s[8:9]
	ds_bpermute_b32 v10, v41, v10
	s_and_b64 s[6:7], exec, vcc
	s_or_b64 s[4:5], s[6:7], s[4:5]
	s_and_saveexec_b64 s[6:7], s[18:19]
	s_cbranch_execz .LBB225_35
; %bb.43:                               ;   in Loop: Header=BB225_36 Depth=2
	v_and_b32_e32 v31, s18, v43
	v_and_b32_e32 v11, s19, v42
	v_bcnt_u32_b32 v31, v31, 0
	v_bcnt_u32_b32 v11, v11, v31
	v_lshlrev_b32_e32 v11, 1, v11
	s_waitcnt lgkmcnt(0)
	v_lshl_add_u32 v10, v10, 1, v11
	ds_write_b16 v10, v2
	s_branch .LBB225_35
.LBB225_44:                             ;   in Loop: Header=BB225_31 Depth=1
	s_mov_b64 s[2:3], -1
	s_mov_b64 s[4:5], 0
.LBB225_45:                             ;   in Loop: Header=BB225_31 Depth=1
	s_and_b64 vcc, exec, s[2:3]
	s_cbranch_vccz .LBB225_61
.LBB225_46:                             ;   in Loop: Header=BB225_31 Depth=1
	s_mov_b64 s[2:3], exec
	v_readlane_b32 s0, v59, 22
	v_readlane_b32 s1, v59, 23
	s_and_b64 s[0:1], s[2:3], s[0:1]
	s_mov_b64 exec, s[0:1]
	s_cbranch_execz .LBB225_58
; %bb.47:                               ;   in Loop: Header=BB225_31 Depth=1
	v_readlane_b32 s0, v59, 33
	v_readlane_b32 s1, v59, 34
	s_nop 4
	global_load_ushort v2, v3, s[0:1]
	global_load_ushort v11, v[12:13], off
	v_mov_b32_e32 v6, v0
	s_waitcnt vmcnt(1)
	v_readfirstlane_b32 s0, v2
	v_add_u32_sdwa v2, v2, v0 dst_sel:DWORD dst_unused:UNUSED_PAD src0_sel:WORD_0 src1_sel:DWORD
	v_cmp_gt_u64_e32 vcc, s[28:29], v[2:3]
	s_and_saveexec_b64 s[4:5], vcc
	s_cbranch_execz .LBB225_57
; %bb.48:                               ;   in Loop: Header=BB225_31 Depth=1
	s_and_b32 s0, s0, 0xffff
	s_cmp_eq_u32 s0, 1
	v_readlane_b32 s8, v59, 35
                                        ; implicit-def: $vgpr6_vgpr7
	s_cselect_b64 s[6:7], -1, 0
	v_readlane_b32 s9, v59, 36
	v_mov_b32_e32 v8, v1
	v_mov_b32_e32 v5, v3
	s_and_b64 s[8:9], s[8:9], s[6:7]
	s_mov_b64 s[10:11], -1
	v_mov_b32_e32 v7, v0
	v_mov_b32_e32 v4, v2
	s_and_saveexec_b64 s[6:7], s[8:9]
	s_cbranch_execz .LBB225_52
; %bb.49:                               ;   in Loop: Header=BB225_31 Depth=1
	v_add_co_u32_e32 v4, vcc, 1, v2
	v_addc_co_u32_e64 v5, s[8:9], 0, 0, vcc
	v_mov_b32_e32 v8, v16
	v_mov_b32_e32 v7, v5
	s_waitcnt vmcnt(0)
	v_lshlrev_b32_e32 v31, 16, v11
	s_mov_b64 s[8:9], 0
	v_mov_b32_e32 v9, v17
	v_mov_b32_e32 v10, v49
	;; [unrolled: 1-line block ×5, first 2 shown]
	v_readlane_b32 s12, v59, 53
.LBB225_50:                             ;   Parent Loop BB225_31 Depth=1
                                        ; =>  This Inner Loop Header: Depth=2
	v_mul_lo_u32 v11, v7, s26
	v_mul_lo_u32 v34, v6, s27
	v_mad_u64_u32 v[32:33], s[10:11], v6, s26, 0
	v_mul_lo_u32 v36, v4, s12
	s_mov_b32 s1, 0x5040100
	v_add3_u32 v33, v33, v34, v11
	v_mul_lo_u32 v11, v5, s58
	v_mad_u64_u32 v[34:35], s[10:11], v4, s58, 0
	v_lshlrev_b64 v[32:33], 1, v[32:33]
	v_add3_u32 v35, v35, v36, v11
	v_lshlrev_b64 v[34:35], 1, v[34:35]
	v_mov_b32_e32 v11, s77
	v_add_co_u32_e32 v34, vcc, s76, v34
	v_addc_co_u32_e32 v35, vcc, v11, v35, vcc
	v_add_co_u32_e32 v32, vcc, s76, v32
	v_addc_co_u32_e32 v33, vcc, v11, v33, vcc
	global_load_ushort v34, v[34:35], off
	s_nop 0
	global_load_ushort v11, v[32:33], off
	v_add_co_u32_e32 v6, vcc, 2, v6
	v_addc_co_u32_e32 v7, vcc, 0, v7, vcc
	v_add_co_u32_e32 v4, vcc, 2, v4
	v_addc_co_u32_e32 v5, vcc, 0, v5, vcc
	v_add_co_u32_e32 v8, vcc, -2, v8
	v_addc_co_u32_e32 v9, vcc, -1, v9, vcc
	v_cmp_eq_u64_e32 vcc, 0, v[8:9]
	s_or_b64 s[8:9], vcc, s[8:9]
	s_waitcnt vmcnt(1)
	v_alignbit_b32 v31, v34, v31, 16
	s_waitcnt vmcnt(0)
	v_perm_b32 v32, v11, v34, s1
	ds_write_b32 v10, v31
	v_add_u32_e32 v10, 4, v10
	v_mov_b32_e32 v31, v32
	s_andn2_b64 exec, exec, s[8:9]
	s_cbranch_execnz .LBB225_50
; %bb.51:                               ;   in Loop: Header=BB225_31 Depth=1
	s_or_b64 exec, exec, s[8:9]
	v_readlane_b32 s8, v59, 37
	v_add_co_u32_e32 v4, vcc, v2, v16
	v_readlane_b32 s9, v59, 38
	v_addc_co_u32_e32 v5, vcc, 0, v17, vcc
	v_add_co_u32_e32 v6, vcc, -1, v4
	s_orn2_b64 s[10:11], s[8:9], exec
	v_mov_b32_e32 v7, v28
	v_mov_b32_e32 v8, v29
.LBB225_52:                             ;   in Loop: Header=BB225_31 Depth=1
	s_or_b64 exec, exec, s[6:7]
	s_and_saveexec_b64 s[8:9], s[10:11]
	s_cbranch_execz .LBB225_56
; %bb.53:                               ;   in Loop: Header=BB225_31 Depth=1
	v_readlane_b32 s6, v59, 44
	v_readlane_b32 s7, v59, 45
	v_mov_b32_e32 v9, s7
	v_mov_b32_e32 v8, s6
	v_mad_u64_u32 v[9:10], s[6:7], s20, v4, v[8:9]
	v_mul_lo_u32 v2, s20, v5
	v_mul_lo_u32 v6, s21, v4
	s_mul_i32 s6, s21, s0
	s_mul_hi_u32 s7, s20, s0
	s_mov_b64 s[10:11], 0
	s_sub_u32 s1, 0, s0
	v_add3_u32 v10, v6, v10, v2
	s_add_i32 s12, s7, s6
.LBB225_54:                             ;   Parent Loop BB225_31 Depth=1
                                        ; =>  This Inner Loop Header: Depth=2
	s_waitcnt vmcnt(0)
	v_mov_b32_e32 v2, v11
	global_load_ushort v11, v[9:10], off
	v_mov_b32_e32 v32, v5
	v_mov_b32_e32 v31, v4
	v_lshlrev_b32_e32 v4, 1, v7
	ds_write_b16 v4, v2
	v_add_co_u32_e32 v4, vcc, s0, v31
	v_addc_co_u32_e32 v5, vcc, 0, v32, vcc
	s_mul_i32 s6, s20, s0
	v_mov_b32_e32 v2, s12
	v_add_co_u32_e32 v9, vcc, s6, v9
	v_addc_co_u32_e32 v10, vcc, v10, v2, vcc
	v_cmp_le_u64_e32 vcc, s[28:29], v[4:5]
	v_add_co_u32_e64 v6, s[6:7], s1, v4
	s_or_b64 s[10:11], vcc, s[10:11]
	v_mov_b32_e32 v7, v31
	v_mov_b32_e32 v8, v32
	s_andn2_b64 exec, exec, s[10:11]
	s_cbranch_execnz .LBB225_54
; %bb.55:                               ;   in Loop: Header=BB225_31 Depth=1
	s_or_b64 exec, exec, s[10:11]
.LBB225_56:                             ;   in Loop: Header=BB225_31 Depth=1
	s_or_b64 exec, exec, s[8:9]
.LBB225_57:                             ;   in Loop: Header=BB225_31 Depth=1
	s_or_b64 exec, exec, s[4:5]
	v_lshlrev_b32_e32 v2, 1, v6
	s_waitcnt vmcnt(0)
	ds_write_b16 v2, v11
.LBB225_58:                             ;   in Loop: Header=BB225_31 Depth=1
	s_or_b64 exec, exec, s[2:3]
	s_waitcnt lgkmcnt(0)
	s_barrier
	s_mov_b64 s[2:3], exec
	v_readlane_b32 s0, v59, 8
	v_readlane_b32 s1, v59, 9
	s_and_b64 s[0:1], s[2:3], s[0:1]
	s_mov_b64 exec, s[0:1]
; %bb.59:                               ;   in Loop: Header=BB225_31 Depth=1
	v_mov_b32_e32 v4, s28
	v_mov_b32_e32 v5, s29
	ds_write_b64 v3, v[4:5] offset:5120
; %bb.60:                               ;   in Loop: Header=BB225_31 Depth=1
	s_or_b64 exec, exec, s[2:3]
	s_waitcnt lgkmcnt(0)
	s_barrier
	s_mov_b64 s[4:5], -1
.LBB225_61:                             ;   in Loop: Header=BB225_31 Depth=1
	s_mov_b64 s[2:3], 0
	s_and_b64 vcc, exec, s[4:5]
	s_cbranch_vccz .LBB225_63
; %bb.62:                               ;   in Loop: Header=BB225_31 Depth=1
	ds_read_b64 v[4:5], v3 offset:5120
	s_waitcnt lgkmcnt(0)
	v_readfirstlane_b32 s2, v4
.LBB225_63:                             ;   in Loop: Header=BB225_31 Depth=1
	s_cmp_lt_i32 s2, 1
	s_mov_b64 s[4:5], -1
                                        ; implicit-def: $vgpr4_vgpr5
                                        ; implicit-def: $vgpr8_vgpr9
	s_cbranch_scc0 .LBB225_78
; %bb.64:                               ;   in Loop: Header=BB225_31 Depth=1
	v_readlane_b32 s0, v59, 33
	v_readlane_b32 s1, v59, 34
	s_mov_b32 s4, s59
	s_mov_b32 s5, s29
	s_nop 2
	global_load_ushort v2, v3, s[0:1]
	s_waitcnt vmcnt(0)
	v_readfirstlane_b32 s0, v2
	s_and_b32 s0, s0, 0xffff
	s_lshl_b32 s1, s0, 2
	s_cmp_lg_u64 s[4:5], 0
	s_cbranch_scc0 .LBB225_96
; %bb.65:                               ;   in Loop: Header=BB225_31 Depth=1
	v_cvt_f32_u32_e32 v2, s1
	s_sub_u32 s3, 0, s1
	s_subb_u32 s6, 0, 0
	v_mac_f32_e32 v2, 0, v53
	v_rcp_f32_e32 v2, v2
	v_mul_f32_e32 v2, 0x5f7ffffc, v2
	v_mul_f32_e32 v4, 0x2f800000, v2
	v_trunc_f32_e32 v4, v4
	v_mac_f32_e32 v2, 0xcf800000, v4
	v_cvt_u32_f32_e32 v4, v4
	v_cvt_u32_f32_e32 v2, v2
	v_readfirstlane_b32 s7, v4
	v_readfirstlane_b32 s4, v2
	s_mul_i32 s5, s3, s7
	s_mul_hi_u32 s9, s3, s4
	s_mul_i32 s8, s6, s4
	s_add_i32 s5, s9, s5
	s_mul_i32 s10, s3, s4
	s_add_i32 s5, s5, s8
	s_mul_hi_u32 s9, s4, s10
	s_mul_i32 s11, s4, s5
	s_mul_hi_u32 s8, s4, s5
	s_add_u32 s9, s9, s11
	s_addc_u32 s8, 0, s8
	s_mul_hi_u32 s12, s7, s10
	s_mul_i32 s10, s7, s10
	s_add_u32 s9, s9, s10
	s_mul_hi_u32 s11, s7, s5
	s_addc_u32 s8, s8, s12
	s_addc_u32 s9, s11, 0
	s_mul_i32 s5, s7, s5
	s_add_u32 s5, s8, s5
	s_addc_u32 s8, 0, s9
	s_add_u32 s9, s4, s5
	s_cselect_b64 s[4:5], -1, 0
	s_cmp_lg_u64 s[4:5], 0
	s_addc_u32 s7, s7, s8
	s_mul_i32 s4, s3, s7
	s_mul_hi_u32 s5, s3, s9
	s_add_i32 s4, s5, s4
	s_mul_i32 s6, s6, s9
	s_add_i32 s4, s4, s6
	s_mul_i32 s3, s3, s9
	s_mul_hi_u32 s6, s7, s3
	s_mul_i32 s8, s7, s3
	s_mul_i32 s11, s9, s4
	s_mul_hi_u32 s3, s9, s3
	s_mul_hi_u32 s10, s9, s4
	s_add_u32 s3, s3, s11
	s_addc_u32 s10, 0, s10
	s_add_u32 s3, s3, s8
	s_mul_hi_u32 s5, s7, s4
	s_addc_u32 s3, s10, s6
	s_addc_u32 s5, s5, 0
	s_mul_i32 s4, s7, s4
	s_add_u32 s3, s3, s4
	s_addc_u32 s6, 0, s5
	s_add_u32 s3, s9, s3
	s_cselect_b64 s[4:5], -1, 0
	s_cmp_lg_u64 s[4:5], 0
	s_addc_u32 s4, s7, s6
	s_mul_i32 s6, s28, s4
	s_mul_hi_u32 s7, s28, s3
	s_mul_hi_u32 s5, s28, s4
	s_add_u32 s6, s7, s6
	s_addc_u32 s5, 0, s5
	s_mul_hi_u32 s8, s29, s3
	s_mul_i32 s3, s29, s3
	s_add_u32 s3, s6, s3
	s_mul_hi_u32 s7, s29, s4
	s_addc_u32 s3, s5, s8
	s_addc_u32 s5, s7, 0
	s_mul_i32 s4, s29, s4
	s_add_u32 s3, s3, s4
	s_addc_u32 s4, 0, s5
	s_mul_i32 s4, s1, s4
	s_mul_hi_u32 s5, s1, s3
	s_add_i32 s6, s5, s4
	s_mul_i32 s3, s1, s3
	s_sub_u32 s3, s28, s3
	s_cselect_b64 s[4:5], -1, 0
	s_cmp_lg_u64 s[4:5], 0
	s_subb_u32 s6, s29, s6
	s_sub_u32 s7, s3, s1
	s_cselect_b64 s[4:5], -1, 0
	s_cmp_lg_u64 s[4:5], 0
	s_subb_u32 s8, s6, 0
	;; [unrolled: 4-line block ×3, first 2 shown]
	s_cmp_ge_u32 s7, s1
	s_cselect_b32 s5, -1, 0
	s_cmp_eq_u32 s8, 0
	s_cselect_b32 s5, s5, -1
	s_cmp_lg_u32 s5, 0
	s_cselect_b32 s4, s4, s8
	s_cselect_b32 s7, s9, s7
	s_cmp_ge_u32 s3, s1
	s_cselect_b32 s5, -1, 0
	s_cmp_eq_u32 s6, 0
	s_cselect_b32 s5, s5, -1
	s_cmp_lg_u32 s5, 0
	s_cselect_b32 s5, s4, s6
	s_cselect_b32 s4, s7, s3
	s_cbranch_execnz .LBB225_67
.LBB225_66:                             ;   in Loop: Header=BB225_31 Depth=1
	v_cvt_f32_u32_e32 v2, s1
	s_sub_i32 s3, 0, s1
	v_rcp_iflag_f32_e32 v2, v2
	v_mul_f32_e32 v2, 0x4f7ffffe, v2
	v_cvt_u32_f32_e32 v2, v2
	v_readfirstlane_b32 s4, v2
	s_mul_i32 s3, s3, s4
	s_mul_hi_u32 s3, s4, s3
	s_add_i32 s4, s4, s3
	s_mul_hi_u32 s3, s28, s4
	s_mul_i32 s3, s3, s1
	s_sub_i32 s3, s28, s3
	s_sub_i32 s4, s3, s1
	s_cmp_ge_u32 s3, s1
	s_cselect_b32 s3, s4, s3
	s_sub_i32 s4, s3, s1
	s_cmp_ge_u32 s3, s1
	s_cselect_b32 s58, s4, s3
	s_mov_b64 s[4:5], s[58:59]
	v_readlane_b32 s58, v59, 57
.LBB225_67:                             ;   in Loop: Header=BB225_31 Depth=1
	s_sub_u32 s8, s28, s4
	s_subb_u32 s9, s29, s5
	v_cmp_gt_u64_e32 vcc, s[8:9], v[14:15]
	v_mov_b32_e32 v4, 0
	v_mov_b32_e32 v6, 0
	;; [unrolled: 1-line block ×8, first 2 shown]
	s_and_saveexec_b64 s[14:15], vcc
	s_cbranch_execz .LBB225_71
; %bb.68:                               ;   in Loop: Header=BB225_31 Depth=1
	v_readlane_b32 s6, v59, 46
	v_readlane_b32 s7, v59, 47
	s_mul_i32 s3, s7, s0
	s_mul_hi_u32 s4, s6, s0
	v_mov_b32_e32 v32, v25
	v_mov_b32_e32 v34, v23
	;; [unrolled: 1-line block ×5, first 2 shown]
	s_add_i32 s3, s4, s3
	s_mul_i32 s4, s6, s0
	s_mov_b64 s[16:17], 0
	v_mov_b32_e32 v31, v24
	v_mov_b32_e32 v33, v22
	;; [unrolled: 1-line block ×4, first 2 shown]
	s_mov_b64 s[20:21], 0
	s_mov_b64 s[40:41], 0
	;; [unrolled: 1-line block ×4, first 2 shown]
	v_mov_b32_e32 v39, v14
.LBB225_69:                             ;   Parent Loop BB225_31 Depth=1
                                        ; =>  This Inner Loop Header: Depth=2
	v_add_co_u32_e32 v4, vcc, s44, v31
	v_mov_b32_e32 v2, s45
	v_addc_co_u32_e32 v5, vcc, v32, v2, vcc
	global_load_ushort v6, v[4:5], off
	v_add_co_u32_e32 v4, vcc, s44, v33
	v_addc_co_u32_e32 v5, vcc, v34, v2, vcc
	global_load_ushort v7, v[4:5], off
	v_add_co_u32_e32 v4, vcc, s44, v35
	;; [unrolled: 3-line block ×3, first 2 shown]
	v_addc_co_u32_e32 v5, vcc, v38, v2, vcc
	global_load_ushort v2, v[4:5], off
	s_waitcnt vmcnt(3)
	v_cmp_lt_i16_e32 vcc, -1, v6
	v_cndmask_b32_e32 v4, v51, v52, vcc
	v_lshlrev_b32_e32 v5, 16, v6
	v_cmp_o_f32_e32 vcc, v5, v5
	v_xor_b32_sdwa v4, v4, v6 dst_sel:DWORD dst_unused:UNUSED_PAD src0_sel:DWORD src1_sel:WORD_0
	v_cndmask_b32_e32 v4, v51, v4, vcc
	s_waitcnt vmcnt(2)
	v_cmp_lt_i16_e32 vcc, -1, v7
	v_cndmask_b32_e32 v5, v51, v52, vcc
	v_lshlrev_b32_e32 v6, 16, v7
	v_cmp_o_f32_e32 vcc, v6, v6
	v_xor_b32_sdwa v5, v5, v7 dst_sel:DWORD dst_unused:UNUSED_PAD src0_sel:DWORD src1_sel:WORD_0
	v_cndmask_b32_e32 v5, v51, v5, vcc
	;; [unrolled: 7-line block ×3, first 2 shown]
	s_waitcnt vmcnt(0)
	v_cmp_lt_i16_e32 vcc, -1, v2
	v_cndmask_b32_e32 v7, v51, v52, vcc
	v_lshlrev_b32_e32 v8, 16, v2
	v_cmp_o_f32_e32 vcc, v8, v8
	v_xor_b32_sdwa v2, v7, v2 dst_sel:DWORD dst_unused:UNUSED_PAD src0_sel:DWORD src1_sel:WORD_0
	v_and_b32_e32 v7, v4, v56
	v_bfe_u32 v4, v4, s67, 2
	v_cndmask_b32_e32 v2, v51, v2, vcc
	v_cmp_eq_u32_e32 vcc, v7, v47
	v_and_b32_e32 v7, v5, v56
	v_bfe_u32 v5, v5, s67, 2
	v_cmp_eq_u32_e64 s[24:25], 0, v4
	v_cmp_eq_u32_e64 s[6:7], v7, v47
	v_and_b32_e32 v7, v6, v56
	v_bfe_u32 v6, v6, s67, 2
	s_and_b64 s[10:11], vcc, s[24:25]
	v_cmp_eq_u32_e64 s[24:25], 0, v5
	v_cmp_eq_u32_e64 s[18:19], v7, v47
	v_and_b32_e32 v7, v2, v56
	v_bfe_u32 v2, v2, s67, 2
	s_and_b64 s[12:13], s[6:7], s[24:25]
	v_cmp_eq_u32_e64 s[24:25], 0, v6
	v_cmp_eq_u32_e64 s[22:23], v7, v47
	s_and_b64 s[60:61], s[18:19], s[24:25]
	v_cmp_eq_u32_e64 s[24:25], 0, v2
	v_cndmask_b32_e64 v7, 0, 1, s[10:11]
	s_and_b64 s[62:63], s[22:23], s[24:25]
	v_cmp_ne_u32_e64 s[24:25], 0, v7
	v_cndmask_b32_e64 v7, 0, 1, s[12:13]
	s_bcnt1_i32_b64 s5, s[24:25]
	v_cmp_ne_u32_e64 s[24:25], 0, v7
	v_cndmask_b32_e64 v7, 0, 1, s[60:61]
	s_bcnt1_i32_b64 s10, s[24:25]
	;; [unrolled: 3-line block ×3, first 2 shown]
	v_cmp_ne_u32_e64 s[24:25], 0, v7
	s_bcnt1_i32_b64 s12, s[24:25]
	s_add_u32 s5, s5, s48
	s_addc_u32 s13, 0, s49
	s_add_u32 s5, s5, s10
	s_addc_u32 s10, s13, 0
	;; [unrolled: 2-line block ×3, first 2 shown]
	s_add_u32 s48, s5, s12
	v_cmp_eq_u32_e64 s[24:25], 1, v4
	s_addc_u32 s49, s10, 0
	s_and_b64 s[10:11], vcc, s[24:25]
	v_cmp_eq_u32_e64 s[24:25], 1, v5
	s_and_b64 s[12:13], s[6:7], s[24:25]
	v_cmp_eq_u32_e64 s[24:25], 1, v6
	s_and_b64 s[60:61], s[18:19], s[24:25]
	v_cmp_eq_u32_e64 s[24:25], 1, v2
	v_cndmask_b32_e64 v7, 0, 1, s[10:11]
	s_and_b64 s[62:63], s[22:23], s[24:25]
	v_cmp_ne_u32_e64 s[24:25], 0, v7
	v_cndmask_b32_e64 v7, 0, 1, s[12:13]
	s_bcnt1_i32_b64 s5, s[24:25]
	v_cmp_ne_u32_e64 s[24:25], 0, v7
	v_cndmask_b32_e64 v7, 0, 1, s[60:61]
	s_bcnt1_i32_b64 s10, s[24:25]
	;; [unrolled: 3-line block ×3, first 2 shown]
	v_cmp_ne_u32_e64 s[24:25], 0, v7
	s_bcnt1_i32_b64 s12, s[24:25]
	s_add_u32 s5, s5, s42
	s_addc_u32 s13, 0, s43
	s_add_u32 s5, s5, s10
	s_addc_u32 s10, s13, 0
	;; [unrolled: 2-line block ×3, first 2 shown]
	s_add_u32 s42, s5, s12
	v_cmp_eq_u32_e64 s[24:25], 2, v4
	s_addc_u32 s43, s10, 0
	s_and_b64 s[10:11], vcc, s[24:25]
	v_cmp_eq_u32_e64 s[24:25], 2, v5
	s_and_b64 s[12:13], s[6:7], s[24:25]
	v_cmp_eq_u32_e64 s[24:25], 2, v6
	s_and_b64 s[60:61], s[18:19], s[24:25]
	v_cmp_eq_u32_e64 s[24:25], 2, v2
	v_cndmask_b32_e64 v7, 0, 1, s[10:11]
	s_and_b64 s[62:63], s[22:23], s[24:25]
	v_cmp_ne_u32_e64 s[24:25], 0, v7
	v_cndmask_b32_e64 v7, 0, 1, s[12:13]
	s_bcnt1_i32_b64 s5, s[24:25]
	v_cmp_ne_u32_e64 s[24:25], 0, v7
	v_cndmask_b32_e64 v7, 0, 1, s[60:61]
	s_bcnt1_i32_b64 s10, s[24:25]
	;; [unrolled: 3-line block ×3, first 2 shown]
	v_cmp_ne_u32_e64 s[24:25], 0, v7
	s_bcnt1_i32_b64 s12, s[24:25]
	s_add_u32 s5, s5, s40
	s_addc_u32 s13, 0, s41
	s_add_u32 s5, s5, s10
	s_addc_u32 s10, s13, 0
	;; [unrolled: 2-line block ×3, first 2 shown]
	s_add_u32 s40, s5, s12
	v_cmp_eq_u32_e64 s[24:25], 3, v4
	s_addc_u32 s41, s10, 0
	s_and_b64 s[10:11], vcc, s[24:25]
	v_cmp_eq_u32_e32 vcc, 3, v5
	s_and_b64 s[6:7], s[6:7], vcc
	v_cmp_eq_u32_e32 vcc, 3, v6
	s_and_b64 s[12:13], s[18:19], vcc
	v_cmp_eq_u32_e32 vcc, 3, v2
	v_cndmask_b32_e64 v2, 0, 1, s[10:11]
	s_and_b64 s[18:19], s[22:23], vcc
	v_cmp_ne_u32_e32 vcc, 0, v2
	v_cndmask_b32_e64 v2, 0, 1, s[6:7]
	s_bcnt1_i32_b64 s5, vcc
	v_cmp_ne_u32_e32 vcc, 0, v2
	v_cndmask_b32_e64 v2, 0, 1, s[12:13]
	s_bcnt1_i32_b64 s6, vcc
	;; [unrolled: 3-line block ×3, first 2 shown]
	v_cmp_ne_u32_e32 vcc, 0, v2
	s_bcnt1_i32_b64 s10, vcc
	v_add_co_u32_e32 v39, vcc, s1, v39
	v_addc_co_u32_e32 v40, vcc, 0, v40, vcc
	v_add_co_u32_e32 v37, vcc, s4, v37
	v_mov_b32_e32 v2, s3
	v_addc_co_u32_e32 v38, vcc, v38, v2, vcc
	s_add_u32 s5, s5, s20
	v_add_co_u32_e32 v35, vcc, s4, v35
	s_addc_u32 s11, 0, s21
	v_addc_co_u32_e32 v36, vcc, v36, v2, vcc
	s_add_u32 s5, s5, s6
	v_add_co_u32_e32 v33, vcc, s4, v33
	s_addc_u32 s6, s11, 0
	;; [unrolled: 4-line block ×3, first 2 shown]
	v_addc_co_u32_e32 v32, vcc, v32, v2, vcc
	s_add_u32 s20, s5, s10
	v_cmp_le_u64_e32 vcc, s[8:9], v[39:40]
	s_addc_u32 s21, s6, 0
	v_mov_b32_e32 v4, s48
	v_mov_b32_e32 v6, s42
	;; [unrolled: 1-line block ×4, first 2 shown]
	s_or_b64 s[16:17], vcc, s[16:17]
	v_mov_b32_e32 v5, s49
	v_mov_b32_e32 v7, s43
	;; [unrolled: 1-line block ×4, first 2 shown]
	s_andn2_b64 exec, exec, s[16:17]
	s_cbranch_execnz .LBB225_69
; %bb.70:                               ;   in Loop: Header=BB225_31 Depth=1
	s_or_b64 exec, exec, s[16:17]
.LBB225_71:                             ;   in Loop: Header=BB225_31 Depth=1
	s_or_b64 exec, exec, s[14:15]
	v_mov_b32_e32 v2, s9
	v_add_co_u32_e32 v31, vcc, s8, v0
	v_addc_co_u32_e32 v32, vcc, 0, v2, vcc
	v_cmp_gt_u64_e32 vcc, s[28:29], v[31:32]
	s_and_saveexec_b64 s[4:5], vcc
	s_cbranch_execz .LBB225_77
; %bb.72:                               ;   in Loop: Header=BB225_31 Depth=1
	v_mul_lo_u32 v2, v32, s26
	v_mul_lo_u32 v35, v31, s27
	v_mad_u64_u32 v[33:34], s[6:7], v31, s26, 0
	s_mov_b64 s[8:9], 0
	v_add3_u32 v34, v34, v35, v2
	v_lshlrev_b64 v[33:34], 1, v[33:34]
	v_mov_b32_e32 v2, s77
	v_add_co_u32_e32 v33, vcc, s76, v33
	v_addc_co_u32_e32 v34, vcc, v2, v34, vcc
	global_load_ushort v33, v[33:34], off
	s_branch .LBB225_74
.LBB225_73:                             ;   in Loop: Header=BB225_74 Depth=2
	s_or_b64 exec, exec, s[10:11]
	s_and_b64 s[6:7], exec, vcc
	s_waitcnt vmcnt(0)
	v_cmp_lt_i16_e32 vcc, -1, v33
	v_cndmask_b32_e32 v34, v51, v52, vcc
	v_lshlrev_b32_e32 v35, 16, v33
	v_cmp_o_f32_e32 vcc, v35, v35
	v_xor_b32_sdwa v33, v34, v33 dst_sel:DWORD dst_unused:UNUSED_PAD src0_sel:DWORD src1_sel:WORD_0
	v_cndmask_b32_e32 v33, v51, v33, vcc
	v_and_b32_e32 v34, v33, v56
	v_bfe_u32 v33, v33, s67, 2
	s_or_b64 s[8:9], s[6:7], s[8:9]
	v_cmp_eq_u32_e32 vcc, v34, v47
	v_cmp_eq_u32_e64 s[6:7], 0, v33
	s_and_b64 s[6:7], vcc, s[6:7]
	v_cndmask_b32_e64 v34, 0, 1, s[6:7]
	v_cmp_ne_u32_e64 s[6:7], 0, v34
	s_bcnt1_i32_b64 s1, s[6:7]
	v_add_co_u32_e64 v4, s[6:7], s1, v4
	v_addc_co_u32_e64 v5, s[6:7], 0, v5, s[6:7]
	v_cmp_eq_u32_e64 s[6:7], 1, v33
	s_and_b64 s[6:7], vcc, s[6:7]
	v_cndmask_b32_e64 v34, 0, 1, s[6:7]
	v_cmp_ne_u32_e64 s[6:7], 0, v34
	s_bcnt1_i32_b64 s1, s[6:7]
	v_add_co_u32_e64 v6, s[6:7], s1, v6
	v_addc_co_u32_e64 v7, s[6:7], 0, v7, s[6:7]
	;; [unrolled: 7-line block ×3, first 2 shown]
	v_cmp_eq_u32_e64 s[6:7], 3, v33
	s_and_b64 s[6:7], vcc, s[6:7]
	v_cndmask_b32_e64 v33, 0, 1, s[6:7]
	v_cmp_ne_u32_e32 vcc, 0, v33
	s_bcnt1_i32_b64 s1, vcc
	v_add_co_u32_e32 v10, vcc, s1, v10
	v_addc_co_u32_e32 v11, vcc, 0, v11, vcc
	v_mov_b32_e32 v33, v2
	s_andn2_b64 exec, exec, s[8:9]
	s_cbranch_execz .LBB225_76
.LBB225_74:                             ;   Parent Loop BB225_31 Depth=1
                                        ; =>  This Inner Loop Header: Depth=2
	v_add_co_u32_e32 v31, vcc, s0, v31
	v_addc_co_u32_e32 v32, vcc, 0, v32, vcc
	v_cmp_gt_u64_e64 s[6:7], s[28:29], v[31:32]
	v_cmp_le_u64_e32 vcc, s[28:29], v[31:32]
	v_mov_b32_e32 v2, 0
	s_and_saveexec_b64 s[10:11], s[6:7]
	s_cbranch_execz .LBB225_73
; %bb.75:                               ;   in Loop: Header=BB225_74 Depth=2
	v_mul_lo_u32 v2, v32, s26
	v_mul_lo_u32 v36, v31, s27
	v_mad_u64_u32 v[34:35], s[6:7], v31, s26, 0
	v_add3_u32 v35, v35, v36, v2
	v_lshlrev_b64 v[34:35], 1, v[34:35]
	v_mov_b32_e32 v2, s77
	v_add_co_u32_e64 v34, s[6:7], s76, v34
	v_addc_co_u32_e64 v35, s[6:7], v2, v35, s[6:7]
	global_load_ushort v2, v[34:35], off
	s_branch .LBB225_73
.LBB225_76:                             ;   in Loop: Header=BB225_31 Depth=1
	s_or_b64 exec, exec, s[8:9]
.LBB225_77:                             ;   in Loop: Header=BB225_31 Depth=1
	s_or_b64 exec, exec, s[4:5]
	s_mov_b64 s[4:5], 0
.LBB225_78:                             ;   in Loop: Header=BB225_31 Depth=1
	s_and_b64 vcc, exec, s[4:5]
	s_cbranch_vccz .LBB225_88
; %bb.79:                               ;   in Loop: Header=BB225_31 Depth=1
	v_readlane_b32 s0, v59, 33
	v_readlane_b32 s1, v59, 34
	v_mov_b32_e32 v8, 0
	v_mov_b32_e32 v9, 0
	s_nop 2
	global_load_ushort v2, v3, s[0:1]
	s_waitcnt vmcnt(0)
	v_readfirstlane_b32 s0, v2
	s_and_b32 s0, 0xffff, s0
	s_lshl_b32 s1, s0, 2
	v_cvt_f32_u32_e32 v4, s1
	s_sub_i32 s3, 0, s1
	v_rcp_iflag_f32_e32 v6, v4
	v_mov_b32_e32 v4, 0
	v_mov_b32_e32 v5, 0
	v_mul_f32_e32 v6, 0x4f7ffffe, v6
	v_cvt_u32_f32_e32 v10, v6
	v_mov_b32_e32 v6, 0
	v_mov_b32_e32 v7, 0
	v_readfirstlane_b32 s4, v10
	s_mul_i32 s3, s3, s4
	s_mul_hi_u32 s3, s4, s3
	s_add_i32 s4, s4, s3
	s_mul_hi_u32 s3, s2, s4
	s_mul_i32 s4, s3, s1
	s_sub_i32 s4, s2, s4
	s_add_i32 s5, s3, 1
	s_sub_i32 s6, s4, s1
	s_cmp_ge_u32 s4, s1
	s_cselect_b32 s3, s5, s3
	s_cselect_b32 s4, s6, s4
	s_add_i32 s5, s3, 1
	s_cmp_ge_u32 s4, s1
	s_cselect_b32 s3, s5, s3
	s_mul_hi_u32 s9, s0, s3
	s_mul_i32 s8, s0, s3
	s_lshl_b64 s[10:11], s[8:9], 2
	v_cmp_gt_u64_e32 vcc, s[10:11], v[14:15]
	v_mov_b32_e32 v10, 0
	v_mov_b32_e32 v11, 0
	s_and_saveexec_b64 s[14:15], vcc
	s_cbranch_execz .LBB225_83
; %bb.80:                               ;   in Loop: Header=BB225_31 Depth=1
	v_mov_b32_e32 v32, v15
	s_lshl_b32 s3, s0, 3
	s_mov_b64 s[16:17], 0
	v_mov_b32_e32 v33, v45
	s_mov_b64 s[20:21], 0
	s_mov_b64 s[40:41], 0
	;; [unrolled: 1-line block ×4, first 2 shown]
	v_mov_b32_e32 v31, v14
.LBB225_81:                             ;   Parent Loop BB225_31 Depth=1
                                        ; =>  This Inner Loop Header: Depth=2
	ds_read_b64 v[4:5], v33
	v_add_u32_e32 v33, s3, v33
	s_waitcnt lgkmcnt(0)
	v_cmp_lt_i16_e32 vcc, -1, v4
	v_cndmask_b32_e32 v6, v51, v52, vcc
	v_lshlrev_b32_e32 v7, 16, v4
	v_cmp_o_f32_e32 vcc, v7, v7
	v_xor_b32_sdwa v6, v6, v4 dst_sel:DWORD dst_unused:UNUSED_PAD src0_sel:DWORD src1_sel:WORD_0
	v_cndmask_b32_e32 v6, v51, v6, vcc
	v_cmp_gt_i16_sdwa vcc, v4, v54 src0_sel:WORD_1 src1_sel:DWORD
	v_cndmask_b32_e32 v7, v51, v52, vcc
	v_and_b32_e32 v8, 0xffff0000, v4
	v_cmp_o_f32_e32 vcc, v8, v8
	v_xor_b32_sdwa v4, v7, v4 dst_sel:DWORD dst_unused:UNUSED_PAD src0_sel:DWORD src1_sel:WORD_1
	v_cndmask_b32_e32 v4, v51, v4, vcc
	v_cmp_lt_i16_e32 vcc, -1, v5
	v_cndmask_b32_e32 v7, v51, v52, vcc
	v_lshlrev_b32_e32 v8, 16, v5
	v_cmp_o_f32_e32 vcc, v8, v8
	v_xor_b32_sdwa v7, v7, v5 dst_sel:DWORD dst_unused:UNUSED_PAD src0_sel:DWORD src1_sel:WORD_0
	v_cndmask_b32_e32 v7, v51, v7, vcc
	v_cmp_gt_i16_sdwa vcc, v5, v54 src0_sel:WORD_1 src1_sel:DWORD
	v_cndmask_b32_e32 v8, v51, v52, vcc
	v_and_b32_e32 v9, 0xffff0000, v5
	v_cmp_o_f32_e32 vcc, v9, v9
	v_xor_b32_sdwa v5, v8, v5 dst_sel:DWORD dst_unused:UNUSED_PAD src0_sel:DWORD src1_sel:WORD_1
	v_and_b32_e32 v8, v6, v56
	v_bfe_u32 v6, v6, s67, 2
	v_cndmask_b32_e32 v5, v51, v5, vcc
	v_cmp_eq_u32_e32 vcc, v8, v47
	v_and_b32_e32 v8, v4, v56
	v_bfe_u32 v4, v4, s67, 2
	v_cmp_eq_u32_e64 s[24:25], 0, v6
	v_cmp_eq_u32_e64 s[6:7], v8, v47
	v_and_b32_e32 v8, v7, v56
	v_bfe_u32 v7, v7, s67, 2
	s_and_b64 s[4:5], vcc, s[24:25]
	v_cmp_eq_u32_e64 s[24:25], 0, v4
	v_cmp_eq_u32_e64 s[18:19], v8, v47
	v_and_b32_e32 v8, v5, v56
	v_bfe_u32 v5, v5, s67, 2
	s_and_b64 s[12:13], s[6:7], s[24:25]
	v_cmp_eq_u32_e64 s[24:25], 0, v7
	v_cmp_eq_u32_e64 s[22:23], v8, v47
	s_and_b64 s[60:61], s[18:19], s[24:25]
	v_cmp_eq_u32_e64 s[24:25], 0, v5
	v_cndmask_b32_e64 v8, 0, 1, s[4:5]
	s_and_b64 s[62:63], s[22:23], s[24:25]
	v_cmp_ne_u32_e64 s[24:25], 0, v8
	v_cndmask_b32_e64 v8, 0, 1, s[12:13]
	s_bcnt1_i32_b64 s4, s[24:25]
	v_cmp_ne_u32_e64 s[24:25], 0, v8
	v_cndmask_b32_e64 v8, 0, 1, s[60:61]
	s_bcnt1_i32_b64 s5, s[24:25]
	v_cmp_ne_u32_e64 s[24:25], 0, v8
	v_cndmask_b32_e64 v8, 0, 1, s[62:63]
	s_bcnt1_i32_b64 s9, s[24:25]
	v_cmp_ne_u32_e64 s[24:25], 0, v8
	s_bcnt1_i32_b64 s12, s[24:25]
	s_add_u32 s4, s4, s48
	s_addc_u32 s13, 0, s49
	s_add_u32 s4, s4, s5
	s_addc_u32 s5, s13, 0
	;; [unrolled: 2-line block ×3, first 2 shown]
	s_add_u32 s48, s4, s12
	v_cmp_eq_u32_e64 s[24:25], 1, v6
	s_addc_u32 s49, s5, 0
	s_and_b64 s[4:5], vcc, s[24:25]
	v_cmp_eq_u32_e64 s[24:25], 1, v4
	s_and_b64 s[12:13], s[6:7], s[24:25]
	v_cmp_eq_u32_e64 s[24:25], 1, v7
	s_and_b64 s[60:61], s[18:19], s[24:25]
	v_cmp_eq_u32_e64 s[24:25], 1, v5
	v_cndmask_b32_e64 v8, 0, 1, s[4:5]
	s_and_b64 s[62:63], s[22:23], s[24:25]
	v_cmp_ne_u32_e64 s[24:25], 0, v8
	v_cndmask_b32_e64 v8, 0, 1, s[12:13]
	s_bcnt1_i32_b64 s4, s[24:25]
	v_cmp_ne_u32_e64 s[24:25], 0, v8
	v_cndmask_b32_e64 v8, 0, 1, s[60:61]
	s_bcnt1_i32_b64 s5, s[24:25]
	;; [unrolled: 3-line block ×3, first 2 shown]
	v_cmp_ne_u32_e64 s[24:25], 0, v8
	s_bcnt1_i32_b64 s12, s[24:25]
	s_add_u32 s4, s4, s42
	s_addc_u32 s13, 0, s43
	s_add_u32 s4, s4, s5
	s_addc_u32 s5, s13, 0
	;; [unrolled: 2-line block ×3, first 2 shown]
	s_add_u32 s42, s4, s12
	v_cmp_eq_u32_e64 s[24:25], 2, v6
	s_addc_u32 s43, s5, 0
	s_and_b64 s[4:5], vcc, s[24:25]
	v_cmp_eq_u32_e64 s[24:25], 2, v4
	s_and_b64 s[12:13], s[6:7], s[24:25]
	v_cmp_eq_u32_e64 s[24:25], 2, v7
	s_and_b64 s[60:61], s[18:19], s[24:25]
	v_cmp_eq_u32_e64 s[24:25], 2, v5
	v_cndmask_b32_e64 v8, 0, 1, s[4:5]
	s_and_b64 s[62:63], s[22:23], s[24:25]
	v_cmp_ne_u32_e64 s[24:25], 0, v8
	v_cndmask_b32_e64 v8, 0, 1, s[12:13]
	s_bcnt1_i32_b64 s4, s[24:25]
	v_cmp_ne_u32_e64 s[24:25], 0, v8
	v_cndmask_b32_e64 v8, 0, 1, s[60:61]
	s_bcnt1_i32_b64 s5, s[24:25]
	;; [unrolled: 3-line block ×3, first 2 shown]
	v_cmp_ne_u32_e64 s[24:25], 0, v8
	s_bcnt1_i32_b64 s12, s[24:25]
	s_add_u32 s4, s4, s40
	s_addc_u32 s13, 0, s41
	s_add_u32 s4, s4, s5
	s_addc_u32 s5, s13, 0
	;; [unrolled: 2-line block ×3, first 2 shown]
	s_add_u32 s40, s4, s12
	v_cmp_eq_u32_e64 s[24:25], 3, v6
	s_addc_u32 s41, s5, 0
	s_and_b64 s[4:5], vcc, s[24:25]
	v_cmp_eq_u32_e32 vcc, 3, v4
	s_and_b64 s[6:7], s[6:7], vcc
	v_cmp_eq_u32_e32 vcc, 3, v7
	s_and_b64 s[12:13], s[18:19], vcc
	v_cmp_eq_u32_e32 vcc, 3, v5
	v_cndmask_b32_e64 v4, 0, 1, s[4:5]
	s_and_b64 s[18:19], s[22:23], vcc
	v_cmp_ne_u32_e32 vcc, 0, v4
	v_cndmask_b32_e64 v4, 0, 1, s[6:7]
	s_bcnt1_i32_b64 s4, vcc
	v_cmp_ne_u32_e32 vcc, 0, v4
	v_cndmask_b32_e64 v4, 0, 1, s[12:13]
	s_bcnt1_i32_b64 s5, vcc
	;; [unrolled: 3-line block ×3, first 2 shown]
	v_cmp_ne_u32_e32 vcc, 0, v4
	s_bcnt1_i32_b64 s7, vcc
	s_add_u32 s4, s4, s20
	s_addc_u32 s9, 0, s21
	s_add_u32 s4, s4, s5
	s_addc_u32 s5, s9, 0
	s_add_u32 s4, s4, s6
	v_add_co_u32_e32 v31, vcc, s1, v31
	s_addc_u32 s5, s5, 0
	v_addc_co_u32_e32 v32, vcc, 0, v32, vcc
	s_add_u32 s20, s4, s7
	v_cmp_le_u64_e32 vcc, s[10:11], v[31:32]
	s_addc_u32 s21, s5, 0
	v_mov_b32_e32 v4, s48
	v_mov_b32_e32 v6, s42
	;; [unrolled: 1-line block ×4, first 2 shown]
	s_or_b64 s[16:17], vcc, s[16:17]
	v_mov_b32_e32 v5, s49
	v_mov_b32_e32 v7, s43
	;; [unrolled: 1-line block ×4, first 2 shown]
	s_andn2_b64 exec, exec, s[16:17]
	s_cbranch_execnz .LBB225_81
; %bb.82:                               ;   in Loop: Header=BB225_31 Depth=1
	s_or_b64 exec, exec, s[16:17]
.LBB225_83:                             ;   in Loop: Header=BB225_31 Depth=1
	s_or_b64 exec, exec, s[14:15]
	v_mov_b32_e32 v32, s11
	v_add_co_u32_e32 v31, vcc, s10, v0
	s_and_b32 s58, s2, 0x7fffffff
	v_addc_co_u32_e32 v32, vcc, 0, v32, vcc
	v_cmp_gt_u64_e32 vcc, s[58:59], v[31:32]
	s_and_saveexec_b64 s[2:3], vcc
	s_cbranch_execz .LBB225_87
; %bb.84:                               ;   in Loop: Header=BB225_31 Depth=1
	v_lshl_add_u32 v33, s8, 3, v49
	s_lshl_b32 s0, s0, 1
	s_mov_b64 s[8:9], 0
.LBB225_85:                             ;   Parent Loop BB225_31 Depth=1
                                        ; =>  This Inner Loop Header: Depth=2
	ds_read_u16 v34, v33
	v_add_u32_e32 v33, s0, v33
	s_waitcnt lgkmcnt(0)
	v_cmp_lt_i16_e32 vcc, -1, v34
	v_cndmask_b32_e32 v35, v51, v52, vcc
	v_lshlrev_b32_e32 v36, 16, v34
	v_cmp_o_f32_e32 vcc, v36, v36
	v_xor_b32_sdwa v34, v35, v34 dst_sel:DWORD dst_unused:UNUSED_PAD src0_sel:DWORD src1_sel:WORD_0
	v_cndmask_b32_e32 v34, v51, v34, vcc
	v_and_b32_e32 v35, v34, v56
	v_bfe_u32 v34, v34, s67, 2
	v_cmp_eq_u32_e32 vcc, v35, v47
	v_cmp_eq_u32_e64 s[6:7], 0, v34
	s_and_b64 s[4:5], vcc, s[6:7]
	v_cndmask_b32_e64 v35, 0, 1, s[4:5]
	v_cmp_ne_u32_e64 s[6:7], 0, v35
	s_bcnt1_i32_b64 s1, s[6:7]
	v_add_co_u32_e64 v4, s[6:7], s1, v4
	v_addc_co_u32_e64 v5, s[6:7], 0, v5, s[6:7]
	v_cmp_eq_u32_e64 s[6:7], 1, v34
	s_and_b64 s[4:5], vcc, s[6:7]
	v_cndmask_b32_e64 v35, 0, 1, s[4:5]
	v_cmp_ne_u32_e64 s[6:7], 0, v35
	s_bcnt1_i32_b64 s1, s[6:7]
	v_add_co_u32_e64 v6, s[6:7], s1, v6
	v_addc_co_u32_e64 v7, s[6:7], 0, v7, s[6:7]
	;; [unrolled: 7-line block ×3, first 2 shown]
	v_cmp_eq_u32_e64 s[6:7], 3, v34
	s_and_b64 s[4:5], vcc, s[6:7]
	v_cndmask_b32_e64 v34, 0, 1, s[4:5]
	v_cmp_ne_u32_e32 vcc, 0, v34
	s_bcnt1_i32_b64 s1, vcc
	v_add_co_u32_e32 v10, vcc, s1, v10
	v_addc_co_u32_e32 v11, vcc, 0, v11, vcc
	v_add_co_u32_sdwa v31, vcc, v31, v2 dst_sel:DWORD dst_unused:UNUSED_PAD src0_sel:DWORD src1_sel:WORD_0
	v_addc_co_u32_e32 v32, vcc, 0, v32, vcc
	v_cmp_le_u64_e32 vcc, s[58:59], v[31:32]
	s_or_b64 s[8:9], vcc, s[8:9]
	s_andn2_b64 exec, exec, s[8:9]
	s_cbranch_execnz .LBB225_85
; %bb.86:                               ;   in Loop: Header=BB225_31 Depth=1
	s_or_b64 exec, exec, s[8:9]
.LBB225_87:                             ;   in Loop: Header=BB225_31 Depth=1
	s_or_b64 exec, exec, s[2:3]
	v_readlane_b32 s58, v59, 57
.LBB225_88:                             ;   in Loop: Header=BB225_31 Depth=1
	v_readlane_b32 s0, v59, 54
	s_lshl_b32 s0, s0, 6
	s_mov_b64 s[2:3], exec
	v_readlane_b32 s4, v59, 16
	v_readlane_b32 s5, v59, 17
	s_and_b64 s[4:5], s[2:3], s[4:5]
	s_mov_b64 exec, s[4:5]
	s_cbranch_execz .LBB225_90
; %bb.89:                               ;   in Loop: Header=BB225_31 Depth=1
	v_lshl_add_u32 v2, s0, 3, v46
	ds_write_b128 v2, v[4:7]
	ds_write_b128 v2, v[8:11] offset:16
.LBB225_90:                             ;   in Loop: Header=BB225_31 Depth=1
	s_or_b64 exec, exec, s[2:3]
	s_waitcnt lgkmcnt(0)
	s_barrier
	s_mov_b64 s[2:3], exec
	v_readlane_b32 s4, v59, 18
	v_readlane_b32 s5, v59, 19
	s_and_b64 s[4:5], s[2:3], s[4:5]
	s_mov_b64 exec, s[4:5]
	s_cbranch_execz .LBB225_102
; %bb.91:                               ;   in Loop: Header=BB225_31 Depth=1
	v_readlane_b32 s4, v59, 26
	v_mov_b32_e32 v4, 0
	v_readlane_b32 s5, v59, 27
	v_mov_b32_e32 v5, 0
	s_andn2_b64 vcc, exec, s[4:5]
	s_cbranch_vccnz .LBB225_101
; %bb.92:                               ;   in Loop: Header=BB225_31 Depth=1
	v_readlane_b32 s4, v59, 39
	v_readlane_b32 s5, v59, 40
	s_andn2_b64 vcc, exec, s[4:5]
	s_cbranch_vccnz .LBB225_97
; %bb.93:                               ;   in Loop: Header=BB225_31 Depth=1
	v_readlane_b32 s1, v59, 54
	v_mov_b32_e32 v4, 0
	v_lshl_add_u32 v2, s1, 9, v48
	v_mov_b32_e32 v5, 0
	s_mov_b32 s1, 0
.LBB225_94:                             ;   Parent Loop BB225_31 Depth=1
                                        ; =>  This Inner Loop Header: Depth=2
	ds_read2_b64 v[6:9], v2 offset1:4
	s_add_i32 s1, s1, 8
	s_cmp_eq_u32 s66, s1
	s_waitcnt lgkmcnt(0)
	v_add_co_u32_e32 v4, vcc, v6, v4
	v_addc_co_u32_e32 v5, vcc, v7, v5, vcc
	v_add_co_u32_e32 v8, vcc, v8, v4
	v_addc_co_u32_e32 v9, vcc, v9, v5, vcc
	ds_read2_b64 v[4:7], v2 offset0:8 offset1:12
	s_waitcnt lgkmcnt(0)
	v_add_co_u32_e32 v4, vcc, v4, v8
	v_addc_co_u32_e32 v5, vcc, v5, v9, vcc
	v_add_co_u32_e32 v8, vcc, v6, v4
	v_addc_co_u32_e32 v9, vcc, v7, v5, vcc
	ds_read2_b64 v[4:7], v2 offset0:16 offset1:20
	;; [unrolled: 6-line block ×3, first 2 shown]
	v_add_u32_e32 v2, 0x100, v2
	s_waitcnt lgkmcnt(0)
	v_add_co_u32_e32 v4, vcc, v4, v8
	v_addc_co_u32_e32 v5, vcc, v5, v9, vcc
	v_add_co_u32_e32 v4, vcc, v6, v4
	v_addc_co_u32_e32 v5, vcc, v7, v5, vcc
	s_cbranch_scc0 .LBB225_94
; %bb.95:                               ;   in Loop: Header=BB225_31 Depth=1
	s_mov_b32 s1, s66
	s_branch .LBB225_98
.LBB225_96:                             ;   in Loop: Header=BB225_31 Depth=1
                                        ; implicit-def: $sgpr4_sgpr5
	s_branch .LBB225_66
.LBB225_97:                             ;   in Loop: Header=BB225_31 Depth=1
	v_mov_b32_e32 v4, 0
	v_mov_b32_e32 v5, 0
	s_mov_b32 s1, 0
.LBB225_98:                             ;   in Loop: Header=BB225_31 Depth=1
	v_readlane_b32 s4, v59, 42
	v_readlane_b32 s5, v59, 43
	s_andn2_b64 vcc, exec, s[4:5]
	s_cbranch_vccnz .LBB225_101
; %bb.99:                               ;   in Loop: Header=BB225_31 Depth=1
	v_readlane_b32 s4, v59, 54
	s_lshl_b32 s4, s4, 9
	s_lshl_b32 s1, s1, 5
	s_add_i32 s4, s4, s1
	v_add_u32_e32 v2, s4, v48
	v_readlane_b32 s1, v59, 41
.LBB225_100:                            ;   Parent Loop BB225_31 Depth=1
                                        ; =>  This Inner Loop Header: Depth=2
	ds_read_b64 v[6:7], v2
	s_add_i32 s1, s1, -1
	v_add_u32_e32 v2, 32, v2
	s_cmp_lg_u32 s1, 0
	s_waitcnt lgkmcnt(0)
	v_add_co_u32_e32 v4, vcc, v6, v4
	v_addc_co_u32_e32 v5, vcc, v7, v5, vcc
	s_cbranch_scc1 .LBB225_100
.LBB225_101:                            ;   in Loop: Header=BB225_31 Depth=1
	v_add_lshl_u32 v2, s0, v44, 3
	ds_write_b64 v2, v[4:5] offset:3072
.LBB225_102:                            ;   in Loop: Header=BB225_31 Depth=1
	s_or_b64 exec, exec, s[2:3]
	s_lshl_b32 s0, s0, 3
	v_mov_b32_e32 v2, s0
	s_waitcnt lgkmcnt(0)
	s_barrier
	ds_read_b128 v[4:7], v2 offset:3072
	ds_read_b128 v[8:11], v2 offset:3088
	v_readlane_b32 s4, v59, 14
	s_lshl_b32 s0, 3, s67
	v_cmp_eq_u64_e64 s[18:19], 1, v[29:30]
	v_readlane_b32 s5, v59, 15
	s_waitcnt lgkmcnt(1)
	v_readfirstlane_b32 s23, v5
	v_readfirstlane_b32 s22, v4
	;; [unrolled: 1-line block ×4, first 2 shown]
	s_waitcnt lgkmcnt(0)
	v_readfirstlane_b32 s17, v9
	v_readfirstlane_b32 s16, v8
	;; [unrolled: 1-line block ×4, first 2 shown]
	s_not_b32 s1, s0
	s_mov_b64 s[74:75], -1
	s_mov_b64 s[24:25], 0
	s_andn2_b64 vcc, exec, s[4:5]
	s_mov_b64 s[40:41], 0
	s_mov_b64 s[14:15], 0
                                        ; implicit-def: $sgpr42_sgpr43
                                        ; implicit-def: $sgpr20_sgpr21
                                        ; implicit-def: $vgpr4_vgpr5
                                        ; implicit-def: $vgpr2
                                        ; implicit-def: $vgpr11
                                        ; implicit-def: $vgpr10
                                        ; implicit-def: $vgpr8
	s_cbranch_vccnz .LBB225_298
; %bb.103:                              ;   in Loop: Header=BB225_31 Depth=1
	s_cmp_eq_u64 s[22:23], 1
	s_cselect_b64 s[4:5], -1, 0
	s_and_b64 s[6:7], s[4:5], s[18:19]
	s_mov_b64 s[4:5], -1
	v_mov_b32_e32 v11, v47
	v_mov_b32_e32 v10, v56
	;; [unrolled: 1-line block ×3, first 2 shown]
                                        ; implicit-def: $sgpr20_sgpr21
                                        ; implicit-def: $sgpr42_sgpr43
	s_and_saveexec_b64 s[8:9], s[6:7]
	s_cbranch_execz .LBB225_138
; %bb.104:                              ;   in Loop: Header=BB225_31 Depth=1
	ds_read_b64 v[4:5], v3 offset:5120
	s_waitcnt lgkmcnt(0)
	s_barrier
	v_readfirstlane_b32 s10, v4
	v_readfirstlane_b32 s11, v5
	s_mov_b64 s[4:5], exec
	v_readlane_b32 s12, v59, 24
	v_readlane_b32 s13, v59, 25
	s_and_b64 s[12:13], s[4:5], s[12:13]
	s_mov_b64 exec, s[12:13]
; %bb.105:                              ;   in Loop: Header=BB225_31 Depth=1
	ds_write_b16 v50, v3
; %bb.106:                              ;   in Loop: Header=BB225_31 Depth=1
	s_or_b64 exec, exec, s[4:5]
	v_and_b32_e32 v11, s1, v47
	v_or_b32_e32 v10, s0, v56
	s_mov_b64 s[42:43], -1
	s_mov_b64 s[20:21], 0
	s_cmp_eq_u64 s[10:11], 0
	s_mov_b64 s[4:5], 0
	s_mov_b64 s[12:13], -1
	s_waitcnt lgkmcnt(0)
	s_barrier
                                        ; implicit-def: $vgpr8
	s_cbranch_scc1 .LBB225_123
; %bb.107:                              ;   in Loop: Header=BB225_31 Depth=1
	v_readlane_b32 s4, v59, 28
	s_add_u32 s40, s10, s4
	v_readlane_b32 s4, v59, 30
	s_addc_u32 s5, s11, s4
	s_mov_b32 s4, s59
	s_cmp_lg_u64 s[4:5], 0
	s_cbranch_scc0 .LBB225_164
; %bb.108:                              ;   in Loop: Header=BB225_31 Depth=1
	v_cvt_f32_u32_e32 v2, s33
	s_sub_u32 s4, 0, s33
	s_subb_u32 s14, 0, 0
	v_mac_f32_e32 v2, 0, v53
	v_rcp_f32_e32 v2, v2
	v_mul_f32_e32 v2, 0x5f7ffffc, v2
	v_mul_f32_e32 v4, 0x2f800000, v2
	v_trunc_f32_e32 v4, v4
	v_mac_f32_e32 v2, 0xcf800000, v4
	v_cvt_u32_f32_e32 v4, v4
	v_cvt_u32_f32_e32 v2, v2
	v_readfirstlane_b32 s15, v4
	v_readfirstlane_b32 s12, v2
	s_mul_i32 s13, s4, s15
	s_mul_hi_u32 s58, s4, s12
	s_mul_i32 s41, s14, s12
	s_add_i32 s13, s58, s13
	s_mul_i32 s60, s4, s12
	s_add_i32 s13, s13, s41
	s_mul_hi_u32 s58, s12, s60
	s_mul_i32 s61, s12, s13
	s_mul_hi_u32 s41, s12, s13
	s_add_u32 s58, s58, s61
	s_addc_u32 s41, 0, s41
	s_mul_hi_u32 s62, s15, s60
	s_mul_i32 s60, s15, s60
	s_add_u32 s58, s58, s60
	s_mul_hi_u32 s61, s15, s13
	s_addc_u32 s41, s41, s62
	s_addc_u32 s58, s61, 0
	s_mul_i32 s13, s15, s13
	s_add_u32 s13, s41, s13
	s_addc_u32 s41, 0, s58
	s_add_u32 s58, s12, s13
	s_cselect_b64 s[12:13], -1, 0
	s_cmp_lg_u64 s[12:13], 0
	s_addc_u32 s15, s15, s41
	s_mul_i32 s12, s4, s15
	s_mul_hi_u32 s13, s4, s58
	s_add_i32 s12, s13, s12
	s_mul_i32 s14, s14, s58
	s_add_i32 s12, s12, s14
	s_mul_i32 s4, s4, s58
	s_mul_hi_u32 s14, s15, s4
	s_mul_i32 s41, s15, s4
	s_mul_i32 s61, s58, s12
	s_mul_hi_u32 s4, s58, s4
	s_mul_hi_u32 s60, s58, s12
	s_add_u32 s4, s4, s61
	s_addc_u32 s60, 0, s60
	s_add_u32 s4, s4, s41
	s_mul_hi_u32 s13, s15, s12
	s_addc_u32 s4, s60, s14
	s_addc_u32 s13, s13, 0
	s_mul_i32 s12, s15, s12
	s_add_u32 s4, s4, s12
	s_addc_u32 s14, 0, s13
	s_add_u32 s4, s58, s4
	s_cselect_b64 s[12:13], -1, 0
	s_cmp_lg_u64 s[12:13], 0
	s_addc_u32 s12, s15, s14
	s_mul_i32 s14, s40, s12
	s_mul_hi_u32 s15, s40, s4
	s_mul_hi_u32 s13, s40, s12
	s_add_u32 s14, s15, s14
	s_addc_u32 s13, 0, s13
	s_mul_hi_u32 s41, s5, s4
	s_mul_i32 s4, s5, s4
	s_add_u32 s4, s14, s4
	s_mul_hi_u32 s15, s5, s12
	s_addc_u32 s4, s13, s41
	s_addc_u32 s13, s15, 0
	s_mul_i32 s12, s5, s12
	s_add_u32 s4, s4, s12
	s_addc_u32 s12, 0, s13
	s_mul_i32 s12, s33, s12
	s_mul_hi_u32 s13, s33, s4
	s_add_i32 s14, s13, s12
	s_mul_i32 s4, s33, s4
	s_sub_u32 s4, s40, s4
	s_cselect_b64 s[12:13], -1, 0
	s_cmp_lg_u64 s[12:13], 0
	s_subb_u32 s14, s5, s14
	s_sub_u32 s15, s4, s33
	s_cselect_b64 s[12:13], -1, 0
	s_cmp_lg_u64 s[12:13], 0
	s_subb_u32 s41, s14, 0
	s_sub_u32 s58, s15, s33
	s_cselect_b64 s[12:13], -1, 0
	s_cmp_lg_u64 s[12:13], 0
	s_subb_u32 s12, s41, 0
	s_cmp_ge_u32 s15, s33
	s_cselect_b32 s13, -1, 0
	s_cmp_eq_u32 s41, 0
	s_cselect_b32 s13, s13, -1
	s_cmp_lg_u32 s13, 0
	s_cselect_b32 s12, s12, s41
	s_cselect_b32 s15, s58, s15
	s_cmp_ge_u32 s4, s33
	s_cselect_b32 s13, -1, 0
	s_cmp_eq_u32 s14, 0
	s_cselect_b32 s13, s13, -1
	s_cmp_lg_u32 s13, 0
	s_cselect_b32 s13, s12, s14
	s_cselect_b32 s12, s15, s4
	s_cbranch_execnz .LBB225_110
.LBB225_109:                            ;   in Loop: Header=BB225_31 Depth=1
	v_cvt_f32_u32_e32 v2, s33
	s_sub_i32 s4, 0, s33
	v_rcp_iflag_f32_e32 v2, v2
	v_mul_f32_e32 v2, 0x4f7ffffe, v2
	v_cvt_u32_f32_e32 v2, v2
	v_readfirstlane_b32 s12, v2
	s_mul_i32 s4, s4, s12
	s_mul_hi_u32 s4, s12, s4
	s_add_i32 s12, s12, s4
	s_mul_hi_u32 s4, s40, s12
	s_mul_i32 s4, s4, s33
	s_sub_i32 s4, s40, s4
	s_sub_i32 s12, s4, s33
	s_cmp_ge_u32 s4, s33
	s_cselect_b32 s4, s12, s4
	s_sub_i32 s12, s4, s33
	s_cmp_ge_u32 s4, s33
	s_cselect_b32 s58, s12, s4
	s_mov_b64 s[12:13], s[58:59]
.LBB225_110:                            ;   in Loop: Header=BB225_31 Depth=1
	s_sub_u32 s40, s40, s12
	s_subb_u32 s41, s5, s13
	v_cmp_gt_u64_e32 vcc, s[40:41], v[0:1]
	s_mov_b64 s[12:13], 0
	s_mov_b64 s[4:5], 0
                                        ; implicit-def: $vgpr8
	s_and_saveexec_b64 s[14:15], vcc
	v_readlane_b32 s58, v59, 57
	s_cbranch_execz .LBB225_122
; %bb.111:                              ;   in Loop: Header=BB225_31 Depth=1
	v_mov_b32_e32 v5, v1
	v_mov_b32_e32 v2, v49
	;; [unrolled: 1-line block ×3, first 2 shown]
                                        ; implicit-def: $sgpr60_sgpr61
	s_branch .LBB225_114
.LBB225_112:                            ;   in Loop: Header=BB225_114 Depth=2
	s_or_b64 exec, exec, s[62:63]
	s_waitcnt lgkmcnt(0)
	s_barrier
	ds_read_b32 v6, v3 offset:3072
	s_mov_b64 s[62:63], -1
	s_mov_b64 s[64:65], -1
	s_waitcnt lgkmcnt(0)
	s_barrier
	v_and_b32_e32 v7, 0x7fff, v6
	v_cmp_ne_u32_e32 vcc, 0, v7
	s_cbranch_vccz .LBB225_117
.LBB225_113:                            ;   in Loop: Header=BB225_114 Depth=2
	s_and_b64 s[62:63], exec, s[62:63]
	s_or_b64 s[4:5], s[62:63], s[4:5]
	s_andn2_b64 s[60:61], s[60:61], exec
	s_and_b64 s[62:63], s[64:65], exec
	s_or_b64 s[60:61], s[60:61], s[62:63]
	s_andn2_b64 exec, exec, s[4:5]
	s_cbranch_execz .LBB225_121
.LBB225_114:                            ;   Parent Loop BB225_31 Depth=1
                                        ; =>  This Inner Loop Header: Depth=2
	v_cmp_gt_u64_e32 vcc, s[10:11], v[4:5]
	s_and_saveexec_b64 s[62:63], vcc
	s_cbranch_execz .LBB225_112
; %bb.115:                              ;   in Loop: Header=BB225_114 Depth=2
	ds_read_u16 v6, v2
	s_waitcnt lgkmcnt(0)
	v_cmp_lt_i16_e32 vcc, -1, v6
	v_cndmask_b32_e32 v7, v51, v52, vcc
	v_lshlrev_b32_e32 v8, 16, v6
	v_cmp_o_f32_e32 vcc, v8, v8
	v_xor_b32_sdwa v7, v7, v6 dst_sel:DWORD dst_unused:UNUSED_PAD src0_sel:DWORD src1_sel:WORD_0
	v_cndmask_b32_e32 v7, v51, v7, vcc
	v_and_b32_e32 v7, v7, v10
	v_cmp_eq_u32_e32 vcc, v7, v11
	s_and_b64 exec, exec, vcc
	s_cbranch_execz .LBB225_112
; %bb.116:                              ;   in Loop: Header=BB225_114 Depth=2
	s_movk_i32 s64, 0x3f80
	v_perm_b32 v6, v6, s64, v55
	ds_write_b32 v3, v6 offset:3072
	s_branch .LBB225_112
.LBB225_117:                            ;   in Loop: Header=BB225_114 Depth=2
	v_add_co_u32_e32 v4, vcc, s33, v4
	v_addc_co_u32_e32 v5, vcc, 0, v5, vcc
	v_cmp_le_u64_e32 vcc, s[40:41], v[4:5]
	v_readlane_b32 s58, v59, 48
	v_add_u32_e32 v2, s58, v2
	v_readlane_b32 s58, v59, 57
	s_mov_b64 s[64:65], 0
	s_orn2_b64 s[62:63], vcc, exec
	s_branch .LBB225_113
.LBB225_118:                            ;   in Loop: Header=BB225_31 Depth=1
	s_or_b64 exec, exec, s[4:5]
	s_waitcnt lgkmcnt(0)
	s_barrier
	s_mov_b64 s[4:5], exec
	v_readlane_b32 s0, v59, 8
	v_readlane_b32 s1, v59, 9
	s_and_b64 s[0:1], s[4:5], s[0:1]
	s_mov_b64 exec, s[0:1]
	s_cbranch_execz .LBB225_120
; %bb.119:                              ;   in Loop: Header=BB225_31 Depth=1
	ds_read_b32 v4, v3 offset:5144
	s_waitcnt lgkmcnt(0)
	v_ashrrev_i32_e32 v5, 31, v4
	ds_write_b64 v3, v[4:5] offset:5120
.LBB225_120:                            ;   in Loop: Header=BB225_31 Depth=1
	s_or_b64 exec, exec, s[4:5]
	s_waitcnt lgkmcnt(0)
	s_barrier
	s_mov_b64 s[4:5], -1
	s_and_b64 vcc, exec, s[2:3]
	s_cbranch_vccnz .LBB225_46
	s_branch .LBB225_61
.LBB225_121:                            ;   in Loop: Header=BB225_31 Depth=1
	s_or_b64 exec, exec, s[4:5]
	v_lshrrev_b32_e32 v8, 16, v6
	s_and_b64 s[4:5], s[60:61], exec
.LBB225_122:                            ;   in Loop: Header=BB225_31 Depth=1
	s_or_b64 exec, exec, s[14:15]
.LBB225_123:                            ;   in Loop: Header=BB225_31 Depth=1
	s_and_b64 vcc, exec, s[12:13]
	s_cbranch_vccz .LBB225_137
; %bb.124:                              ;   in Loop: Header=BB225_31 Depth=1
	v_readlane_b32 s42, v59, 31
	v_readlane_b32 s43, v59, 32
	s_mov_b32 s42, s59
	s_cmp_lg_u64 s[42:43], 0
	v_writelane_b32 v59, s42, 31
	v_writelane_b32 v59, s43, 32
	s_cbranch_scc0 .LBB225_165
; %bb.125:                              ;   in Loop: Header=BB225_31 Depth=1
	v_cvt_f32_u32_e32 v2, s33
	s_sub_u32 s12, 0, s33
	s_subb_u32 s13, 0, 0
	v_mac_f32_e32 v2, 0, v53
	v_rcp_f32_e32 v2, v2
	v_mul_f32_e32 v2, 0x5f7ffffc, v2
	v_mul_f32_e32 v4, 0x2f800000, v2
	v_trunc_f32_e32 v4, v4
	v_mac_f32_e32 v2, 0xcf800000, v4
	v_cvt_u32_f32_e32 v4, v4
	v_cvt_u32_f32_e32 v2, v2
	v_readfirstlane_b32 s14, v4
	v_readfirstlane_b32 s10, v2
	s_mul_i32 s11, s12, s14
	s_mul_hi_u32 s20, s12, s10
	s_mul_i32 s15, s13, s10
	s_add_i32 s11, s20, s11
	s_mul_i32 s21, s12, s10
	s_add_i32 s11, s11, s15
	s_mul_hi_u32 s20, s10, s21
	s_mul_i32 s40, s10, s11
	s_mul_hi_u32 s15, s10, s11
	s_add_u32 s20, s20, s40
	s_addc_u32 s15, 0, s15
	s_mul_hi_u32 s41, s14, s21
	s_mul_i32 s21, s14, s21
	s_add_u32 s20, s20, s21
	s_mul_hi_u32 s40, s14, s11
	s_addc_u32 s15, s15, s41
	s_addc_u32 s20, s40, 0
	s_mul_i32 s11, s14, s11
	s_add_u32 s11, s15, s11
	s_addc_u32 s15, 0, s20
	s_add_u32 s20, s10, s11
	s_cselect_b64 s[10:11], -1, 0
	s_cmp_lg_u64 s[10:11], 0
	s_addc_u32 s14, s14, s15
	s_mul_i32 s10, s12, s14
	s_mul_hi_u32 s11, s12, s20
	s_add_i32 s10, s11, s10
	s_mul_i32 s13, s13, s20
	s_add_i32 s10, s10, s13
	s_mul_i32 s12, s12, s20
	s_mul_hi_u32 s13, s14, s12
	s_mul_i32 s15, s14, s12
	s_mul_i32 s40, s20, s10
	s_mul_hi_u32 s12, s20, s12
	s_mul_hi_u32 s21, s20, s10
	s_add_u32 s12, s12, s40
	s_addc_u32 s21, 0, s21
	s_add_u32 s12, s12, s15
	s_mul_hi_u32 s11, s14, s10
	s_addc_u32 s12, s21, s13
	s_addc_u32 s11, s11, 0
	s_mul_i32 s10, s14, s10
	s_add_u32 s10, s12, s10
	s_addc_u32 s12, 0, s11
	s_add_u32 s13, s20, s10
	s_cselect_b64 s[10:11], -1, 0
	s_cmp_lg_u64 s[10:11], 0
	s_addc_u32 s10, s14, s12
	v_readlane_b32 s20, v59, 29
	s_mul_i32 s12, s20, s10
	s_mul_hi_u32 s14, s20, s13
	s_mul_hi_u32 s11, s20, s10
	s_add_u32 s12, s14, s12
	s_addc_u32 s11, 0, s11
	s_mul_hi_u32 s15, s43, s13
	s_mul_i32 s13, s43, s13
	s_add_u32 s12, s12, s13
	s_mul_hi_u32 s14, s43, s10
	s_addc_u32 s11, s11, s15
	s_addc_u32 s12, s14, 0
	s_mul_i32 s10, s43, s10
	s_add_u32 s10, s11, s10
	s_addc_u32 s11, 0, s12
	s_mul_i32 s11, s33, s11
	s_mul_hi_u32 s12, s33, s10
	s_add_i32 s12, s12, s11
	s_mul_i32 s10, s33, s10
	s_sub_u32 s13, s20, s10
	s_cselect_b64 s[10:11], -1, 0
	s_cmp_lg_u64 s[10:11], 0
	s_subb_u32 s12, s43, s12
	s_sub_u32 s14, s13, s33
	s_cselect_b64 s[10:11], -1, 0
	s_cmp_lg_u64 s[10:11], 0
	s_subb_u32 s15, s12, 0
	;; [unrolled: 4-line block ×3, first 2 shown]
	s_cmp_ge_u32 s14, s33
	s_cselect_b32 s11, -1, 0
	s_cmp_eq_u32 s15, 0
	s_cselect_b32 s11, s11, -1
	s_cmp_lg_u32 s11, 0
	s_cselect_b32 s10, s10, s15
	s_cselect_b32 s14, s20, s14
	s_cmp_ge_u32 s13, s33
	s_cselect_b32 s11, -1, 0
	s_cmp_eq_u32 s12, 0
	s_cselect_b32 s11, s11, -1
	s_cmp_lg_u32 s11, 0
	s_cselect_b32 s11, s10, s12
	s_cselect_b32 s10, s14, s13
	s_cbranch_execnz .LBB225_127
.LBB225_126:                            ;   in Loop: Header=BB225_31 Depth=1
	v_cvt_f32_u32_e32 v2, s33
	s_sub_i32 s10, 0, s33
	v_readlane_b32 s12, v59, 29
	v_rcp_iflag_f32_e32 v2, v2
	v_mul_f32_e32 v2, 0x4f7ffffe, v2
	v_cvt_u32_f32_e32 v2, v2
	v_readfirstlane_b32 s11, v2
	s_mul_i32 s10, s10, s11
	s_mul_hi_u32 s10, s11, s10
	s_add_i32 s11, s11, s10
	s_mul_hi_u32 s10, s12, s11
	s_mul_i32 s10, s10, s33
	s_sub_i32 s10, s12, s10
	s_sub_i32 s11, s10, s33
	s_cmp_ge_u32 s10, s33
	s_cselect_b32 s10, s11, s10
	s_sub_i32 s11, s10, s33
	s_cmp_ge_u32 s10, s33
	s_cselect_b32 s58, s11, s10
	s_mov_b64 s[10:11], s[58:59]
	v_readlane_b32 s58, v59, 57
.LBB225_127:                            ;   in Loop: Header=BB225_31 Depth=1
	v_readlane_b32 s12, v59, 29
	v_readlane_b32 s14, v59, 31
	s_sub_u32 s12, s12, s10
	v_readlane_b32 s15, v59, 32
	s_subb_u32 s13, s15, s11
	v_cmp_gt_u64_e32 vcc, s[12:13], v[0:1]
                                        ; implicit-def: $vgpr8
	s_and_saveexec_b64 s[10:11], vcc
	s_cbranch_execz .LBB225_136
; %bb.128:                              ;   in Loop: Header=BB225_31 Depth=1
	v_mov_b32_e32 v4, v26
	v_mov_b32_e32 v7, v1
	s_mov_b64 s[14:15], 0
	v_mov_b32_e32 v5, v27
	v_mov_b32_e32 v6, v0
                                        ; implicit-def: $sgpr20_sgpr21
	s_branch .LBB225_131
.LBB225_129:                            ;   in Loop: Header=BB225_131 Depth=2
	s_or_b64 exec, exec, s[40:41]
	s_waitcnt lgkmcnt(0)
	s_barrier
	ds_read_b32 v2, v3 offset:3072
	s_mov_b64 s[40:41], -1
	s_mov_b64 s[42:43], -1
	s_waitcnt lgkmcnt(0)
	s_barrier
	v_and_b32_e32 v8, 0x7fff, v2
	v_cmp_ne_u32_e32 vcc, 0, v8
	s_cbranch_vccz .LBB225_134
.LBB225_130:                            ;   in Loop: Header=BB225_131 Depth=2
	s_and_b64 s[40:41], exec, s[40:41]
	s_or_b64 s[14:15], s[40:41], s[14:15]
	s_andn2_b64 s[20:21], s[20:21], exec
	s_and_b64 s[40:41], s[42:43], exec
	s_or_b64 s[20:21], s[20:21], s[40:41]
	s_andn2_b64 exec, exec, s[14:15]
	s_cbranch_execz .LBB225_135
.LBB225_131:                            ;   Parent Loop BB225_31 Depth=1
                                        ; =>  This Inner Loop Header: Depth=2
	v_cmp_gt_u64_e32 vcc, s[28:29], v[6:7]
	s_and_saveexec_b64 s[40:41], vcc
	s_cbranch_execz .LBB225_129
; %bb.132:                              ;   in Loop: Header=BB225_131 Depth=2
	global_load_ushort v2, v[4:5], off
	s_waitcnt vmcnt(0)
	v_cmp_lt_i16_e32 vcc, -1, v2
	v_cndmask_b32_e32 v8, v51, v52, vcc
	v_lshlrev_b32_e32 v9, 16, v2
	v_cmp_o_f32_e32 vcc, v9, v9
	v_xor_b32_sdwa v8, v8, v2 dst_sel:DWORD dst_unused:UNUSED_PAD src0_sel:DWORD src1_sel:WORD_0
	v_cndmask_b32_e32 v8, v51, v8, vcc
	v_and_b32_e32 v8, v8, v10
	v_cmp_eq_u32_e32 vcc, v8, v11
	s_and_b64 exec, exec, vcc
	s_cbranch_execz .LBB225_129
; %bb.133:                              ;   in Loop: Header=BB225_131 Depth=2
	s_movk_i32 s42, 0x3f80
	v_perm_b32 v2, v2, s42, v55
	ds_write_b32 v3, v2 offset:3072
	s_branch .LBB225_129
.LBB225_134:                            ;   in Loop: Header=BB225_131 Depth=2
	v_add_co_u32_e32 v6, vcc, s33, v6
	v_addc_co_u32_e32 v7, vcc, 0, v7, vcc
	v_mov_b32_e32 v8, s37
	v_add_co_u32_e32 v4, vcc, s36, v4
	v_addc_co_u32_e32 v5, vcc, v5, v8, vcc
	v_cmp_le_u64_e32 vcc, s[12:13], v[6:7]
	s_mov_b64 s[42:43], 0
	s_orn2_b64 s[40:41], vcc, exec
	s_branch .LBB225_130
.LBB225_135:                            ;   in Loop: Header=BB225_31 Depth=1
	s_or_b64 exec, exec, s[14:15]
	s_andn2_b64 s[4:5], s[4:5], exec
	s_and_b64 s[12:13], s[20:21], exec
	v_lshrrev_b32_e32 v8, 16, v2
	s_or_b64 s[4:5], s[4:5], s[12:13]
.LBB225_136:                            ;   in Loop: Header=BB225_31 Depth=1
	s_or_b64 exec, exec, s[10:11]
	s_mov_b64 s[42:43], 0
	s_mov_b64 s[20:21], -1
.LBB225_137:                            ;   in Loop: Header=BB225_31 Depth=1
	s_orn2_b64 s[4:5], s[4:5], exec
.LBB225_138:                            ;   in Loop: Header=BB225_31 Depth=1
	s_or_b64 exec, exec, s[8:9]
	s_mov_b64 s[74:75], 0
	s_mov_b64 s[40:41], 0
	;; [unrolled: 1-line block ×3, first 2 shown]
                                        ; implicit-def: $vgpr4_vgpr5
                                        ; implicit-def: $vgpr2
	s_and_saveexec_b64 s[70:71], s[4:5]
	s_cbranch_execz .LBB225_297
; %bb.139:                              ;   in Loop: Header=BB225_31 Depth=1
	v_mov_b32_e32 v4, 1
	s_xor_b64 s[8:9], s[6:7], -1
	v_mov_b32_e32 v2, 1
	v_mov_b32_e32 v5, 0
	s_mov_b64 s[6:7], 0
	s_and_saveexec_b64 s[4:5], s[8:9]
	s_cbranch_execz .LBB225_148
; %bb.140:                              ;   in Loop: Header=BB225_31 Depth=1
	v_cmp_ge_u64_e32 vcc, s[22:23], v[29:30]
	s_and_saveexec_b64 s[6:7], vcc
	s_xor_b64 s[6:7], exec, s[6:7]
	s_cbranch_execz .LBB225_145
; %bb.141:                              ;   in Loop: Header=BB225_31 Depth=1
	ds_read_b64 v[4:5], v3 offset:5120
	v_and_b32_e32 v11, s1, v11
	v_or_b32_e32 v10, s0, v10
	s_waitcnt lgkmcnt(0)
	v_cmp_ne_u64_e32 vcc, 0, v[4:5]
	s_cbranch_vccnz .LBB225_145
; %bb.142:                              ;   in Loop: Header=BB225_31 Depth=1
	s_mov_b64 s[8:9], exec
	v_readlane_b32 s10, v59, 8
	v_readlane_b32 s11, v59, 9
	s_and_b64 s[10:11], s[8:9], s[10:11]
	s_mov_b64 exec, s[10:11]
; %bb.143:                              ;   in Loop: Header=BB225_31 Depth=1
	v_mov_b32_e32 v4, s22
	v_mov_b32_e32 v5, s23
	ds_write_b64 v3, v[4:5] offset:5128
; %bb.144:                              ;   in Loop: Header=BB225_31 Depth=1
	s_or_b64 exec, exec, s[8:9]
	s_waitcnt lgkmcnt(0)
	s_barrier
.LBB225_145:                            ;   in Loop: Header=BB225_31 Depth=1
	s_or_saveexec_b64 s[6:7], s[6:7]
	v_mov_b32_e32 v4, v29
	s_mov_b64 s[8:9], 0
	v_mov_b32_e32 v2, 8
	v_mov_b32_e32 v5, v30
	s_xor_b64 exec, exec, s[6:7]
; %bb.146:                              ;   in Loop: Header=BB225_31 Depth=1
	v_subrev_co_u32_e32 v4, vcc, s22, v29
	v_mov_b32_e32 v2, s23
	v_subb_co_u32_e32 v5, vcc, v30, v2, vcc
	v_mov_b32_e32 v2, 0
	s_mov_b64 s[8:9], exec
; %bb.147:                              ;   in Loop: Header=BB225_31 Depth=1
	s_or_b64 exec, exec, s[6:7]
	s_and_b64 s[6:7], s[8:9], exec
.LBB225_148:                            ;   in Loop: Header=BB225_31 Depth=1
	s_or_b64 exec, exec, s[4:5]
	s_mov_b64 s[4:5], -1
                                        ; implicit-def: $sgpr14_sgpr15
                                        ; implicit-def: $sgpr40_sgpr41
	s_and_saveexec_b64 s[8:9], s[6:7]
	s_xor_b64 s[6:7], exec, s[8:9]
	s_cbranch_execz .LBB225_294
; %bb.149:                              ;   in Loop: Header=BB225_31 Depth=1
	s_cmp_eq_u64 s[48:49], 1
	v_cmp_eq_u64_e32 vcc, 1, v[4:5]
	s_cselect_b64 s[4:5], -1, 0
	s_and_b64 s[8:9], s[4:5], vcc
	s_mov_b64 s[4:5], -1
                                        ; implicit-def: $sgpr40_sgpr41
                                        ; implicit-def: $sgpr14_sgpr15
	s_and_saveexec_b64 s[10:11], s[8:9]
	s_cbranch_execz .LBB225_183
; %bb.150:                              ;   in Loop: Header=BB225_31 Depth=1
	ds_read_b64 v[6:7], v3 offset:5120
	s_waitcnt lgkmcnt(0)
	s_barrier
	v_readfirstlane_b32 s4, v6
	v_readfirstlane_b32 s5, v7
	s_mov_b64 s[12:13], exec
	v_readlane_b32 s14, v59, 24
	v_readlane_b32 s15, v59, 25
	s_and_b64 s[14:15], s[12:13], s[14:15]
	s_mov_b64 exec, s[14:15]
; %bb.151:                              ;   in Loop: Header=BB225_31 Depth=1
	ds_write_b16 v50, v3
; %bb.152:                              ;   in Loop: Header=BB225_31 Depth=1
	s_or_b64 exec, exec, s[12:13]
	v_and_b32_e32 v6, s1, v11
	v_lshl_or_b32 v11, 1, s67, v6
	v_or_b32_e32 v10, s0, v10
	s_mov_b64 s[14:15], -1
	s_mov_b64 s[40:41], 0
	s_cmp_eq_u64 s[4:5], 0
	s_mov_b64 s[12:13], 0
	s_mov_b64 s[64:65], -1
	s_waitcnt lgkmcnt(0)
	s_barrier
                                        ; implicit-def: $vgpr8
	s_cbranch_scc1 .LBB225_168
; %bb.153:                              ;   in Loop: Header=BB225_31 Depth=1
	v_readlane_b32 s12, v59, 28
	s_add_u32 s64, s4, s12
	v_readlane_b32 s12, v59, 30
	s_addc_u32 s13, s5, s12
	s_mov_b32 s12, s59
	s_cmp_lg_u64 s[12:13], 0
	s_cbranch_scc0 .LBB225_209
; %bb.154:                              ;   in Loop: Header=BB225_31 Depth=1
	v_cvt_f32_u32_e32 v6, s33
	s_sub_u32 s12, 0, s33
	s_subb_u32 s58, 0, 0
	v_mac_f32_e32 v6, 0, v53
	v_rcp_f32_e32 v6, v6
	v_mul_f32_e32 v6, 0x5f7ffffc, v6
	v_mul_f32_e32 v7, 0x2f800000, v6
	v_trunc_f32_e32 v7, v7
	v_mac_f32_e32 v6, 0xcf800000, v7
	v_cvt_u32_f32_e32 v7, v7
	v_cvt_u32_f32_e32 v6, v6
	v_readfirstlane_b32 s62, v7
	v_readfirstlane_b32 s60, v6
	s_mul_i32 s61, s12, s62
	s_mul_hi_u32 s65, s12, s60
	s_mul_i32 s63, s58, s60
	s_add_i32 s61, s65, s61
	s_mul_i32 s68, s12, s60
	s_add_i32 s61, s61, s63
	s_mul_hi_u32 s65, s60, s68
	s_mul_i32 s69, s60, s61
	s_mul_hi_u32 s63, s60, s61
	s_add_u32 s65, s65, s69
	s_addc_u32 s63, 0, s63
	s_mul_hi_u32 s72, s62, s68
	s_mul_i32 s68, s62, s68
	s_add_u32 s65, s65, s68
	s_mul_hi_u32 s69, s62, s61
	s_addc_u32 s63, s63, s72
	s_addc_u32 s65, s69, 0
	s_mul_i32 s61, s62, s61
	s_add_u32 s61, s63, s61
	s_addc_u32 s63, 0, s65
	s_add_u32 s65, s60, s61
	s_cselect_b64 s[60:61], -1, 0
	s_cmp_lg_u64 s[60:61], 0
	s_addc_u32 s62, s62, s63
	s_mul_i32 s60, s12, s62
	s_mul_hi_u32 s61, s12, s65
	s_add_i32 s60, s61, s60
	s_mul_i32 s58, s58, s65
	s_add_i32 s60, s60, s58
	s_mul_i32 s12, s12, s65
	s_mul_hi_u32 s61, s62, s12
	s_mul_i32 s63, s62, s12
	s_mul_i32 s69, s65, s60
	s_mul_hi_u32 s12, s65, s12
	s_mul_hi_u32 s68, s65, s60
	s_add_u32 s12, s12, s69
	s_addc_u32 s68, 0, s68
	s_add_u32 s12, s12, s63
	s_mul_hi_u32 s58, s62, s60
	s_addc_u32 s12, s68, s61
	s_addc_u32 s58, s58, 0
	s_mul_i32 s60, s62, s60
	s_add_u32 s12, s12, s60
	s_addc_u32 s58, 0, s58
	s_add_u32 s12, s65, s12
	s_cselect_b64 s[60:61], -1, 0
	s_cmp_lg_u64 s[60:61], 0
	s_addc_u32 s58, s62, s58
	s_mul_i32 s61, s64, s58
	s_mul_hi_u32 s62, s64, s12
	s_mul_hi_u32 s60, s64, s58
	s_add_u32 s61, s62, s61
	s_addc_u32 s60, 0, s60
	s_mul_hi_u32 s63, s13, s12
	s_mul_i32 s12, s13, s12
	s_add_u32 s12, s61, s12
	s_mul_hi_u32 s62, s13, s58
	s_addc_u32 s12, s60, s63
	s_addc_u32 s60, s62, 0
	s_mul_i32 s58, s13, s58
	s_add_u32 s12, s12, s58
	s_addc_u32 s58, 0, s60
	s_mul_i32 s58, s33, s58
	s_mul_hi_u32 s60, s33, s12
	s_add_i32 s58, s60, s58
	s_mul_i32 s12, s33, s12
	s_sub_u32 s12, s64, s12
	s_cselect_b64 s[60:61], -1, 0
	s_cmp_lg_u64 s[60:61], 0
	s_subb_u32 s58, s13, s58
	s_sub_u32 s62, s12, s33
	s_cselect_b64 s[60:61], -1, 0
	s_cmp_lg_u64 s[60:61], 0
	s_subb_u32 s63, s58, 0
	;; [unrolled: 4-line block ×3, first 2 shown]
	s_cmp_ge_u32 s62, s33
	s_cselect_b32 s61, -1, 0
	s_cmp_eq_u32 s63, 0
	s_cselect_b32 s61, s61, -1
	s_cmp_lg_u32 s61, 0
	s_cselect_b32 s60, s60, s63
	s_cselect_b32 s62, s65, s62
	s_cmp_ge_u32 s12, s33
	s_cselect_b32 s61, -1, 0
	s_cmp_eq_u32 s58, 0
	s_cselect_b32 s61, s61, -1
	s_cmp_lg_u32 s61, 0
	s_cselect_b32 s61, s60, s58
	s_cselect_b32 s60, s62, s12
	s_cbranch_execnz .LBB225_156
.LBB225_155:                            ;   in Loop: Header=BB225_31 Depth=1
	v_cvt_f32_u32_e32 v6, s33
	s_sub_i32 s12, 0, s33
	v_rcp_iflag_f32_e32 v6, v6
	v_mul_f32_e32 v6, 0x4f7ffffe, v6
	v_cvt_u32_f32_e32 v6, v6
	v_readfirstlane_b32 s58, v6
	s_mul_i32 s12, s12, s58
	s_mul_hi_u32 s12, s58, s12
	s_add_i32 s58, s58, s12
	s_mul_hi_u32 s12, s64, s58
	s_mul_i32 s12, s12, s33
	s_sub_i32 s12, s64, s12
	s_sub_i32 s58, s12, s33
	s_cmp_ge_u32 s12, s33
	s_cselect_b32 s12, s58, s12
	s_sub_i32 s58, s12, s33
	s_cmp_ge_u32 s12, s33
	s_cselect_b32 s58, s58, s12
	s_mov_b64 s[60:61], s[58:59]
.LBB225_156:                            ;   in Loop: Header=BB225_31 Depth=1
	s_sub_u32 s60, s64, s60
	s_subb_u32 s61, s13, s61
	v_cmp_gt_u64_e32 vcc, s[60:61], v[0:1]
	s_mov_b64 s[64:65], 0
	s_mov_b64 s[12:13], 0
                                        ; implicit-def: $vgpr8
	s_and_saveexec_b64 s[72:73], vcc
	v_readlane_b32 s58, v59, 57
	s_cbranch_execz .LBB225_167
; %bb.157:                              ;   in Loop: Header=BB225_31 Depth=1
	v_mov_b32_e32 v7, v1
	v_mov_b32_e32 v8, v49
	;; [unrolled: 1-line block ×3, first 2 shown]
                                        ; implicit-def: $sgpr62_sgpr63
	s_branch .LBB225_160
.LBB225_158:                            ;   in Loop: Header=BB225_160 Depth=2
	s_or_b64 exec, exec, s[68:69]
	s_waitcnt lgkmcnt(0)
	s_barrier
	ds_read_b32 v9, v3 offset:3072
	s_mov_b64 s[68:69], -1
	s_mov_b64 s[78:79], -1
	s_waitcnt lgkmcnt(0)
	s_barrier
	v_and_b32_e32 v31, 0x7fff, v9
	v_cmp_ne_u32_e32 vcc, 0, v31
	s_cbranch_vccz .LBB225_163
.LBB225_159:                            ;   in Loop: Header=BB225_160 Depth=2
	s_and_b64 s[68:69], exec, s[68:69]
	s_or_b64 s[12:13], s[68:69], s[12:13]
	s_andn2_b64 s[62:63], s[62:63], exec
	s_and_b64 s[68:69], s[78:79], exec
	s_or_b64 s[62:63], s[62:63], s[68:69]
	s_andn2_b64 exec, exec, s[12:13]
	s_cbranch_execz .LBB225_166
.LBB225_160:                            ;   Parent Loop BB225_31 Depth=1
                                        ; =>  This Inner Loop Header: Depth=2
	v_cmp_gt_u64_e32 vcc, s[4:5], v[6:7]
	s_and_saveexec_b64 s[68:69], vcc
	s_cbranch_execz .LBB225_158
; %bb.161:                              ;   in Loop: Header=BB225_160 Depth=2
	ds_read_u16 v9, v8
	s_waitcnt lgkmcnt(0)
	v_cmp_lt_i16_e32 vcc, -1, v9
	v_cndmask_b32_e32 v31, v51, v52, vcc
	v_lshlrev_b32_e32 v32, 16, v9
	v_cmp_o_f32_e32 vcc, v32, v32
	v_xor_b32_sdwa v31, v31, v9 dst_sel:DWORD dst_unused:UNUSED_PAD src0_sel:DWORD src1_sel:WORD_0
	v_cndmask_b32_e32 v31, v51, v31, vcc
	v_and_b32_e32 v31, v31, v10
	v_cmp_eq_u32_e32 vcc, v31, v11
	s_and_b64 exec, exec, vcc
	s_cbranch_execz .LBB225_158
; %bb.162:                              ;   in Loop: Header=BB225_160 Depth=2
	s_movk_i32 s78, 0x3f80
	v_perm_b32 v9, v9, s78, v55
	ds_write_b32 v3, v9 offset:3072
	s_branch .LBB225_158
.LBB225_163:                            ;   in Loop: Header=BB225_160 Depth=2
	v_add_co_u32_e32 v6, vcc, s33, v6
	v_addc_co_u32_e32 v7, vcc, 0, v7, vcc
	v_cmp_le_u64_e32 vcc, s[60:61], v[6:7]
	v_readlane_b32 s58, v59, 48
	v_add_u32_e32 v8, s58, v8
	v_readlane_b32 s58, v59, 57
	s_mov_b64 s[78:79], 0
	s_orn2_b64 s[68:69], vcc, exec
	s_branch .LBB225_159
.LBB225_164:                            ;   in Loop: Header=BB225_31 Depth=1
                                        ; implicit-def: $sgpr12_sgpr13
	s_branch .LBB225_109
.LBB225_165:                            ;   in Loop: Header=BB225_31 Depth=1
                                        ; implicit-def: $sgpr10_sgpr11
	s_branch .LBB225_126
.LBB225_166:                            ;   in Loop: Header=BB225_31 Depth=1
	s_or_b64 exec, exec, s[12:13]
	v_lshrrev_b32_e32 v8, 16, v9
	s_and_b64 s[12:13], s[62:63], exec
.LBB225_167:                            ;   in Loop: Header=BB225_31 Depth=1
	s_or_b64 exec, exec, s[72:73]
.LBB225_168:                            ;   in Loop: Header=BB225_31 Depth=1
	s_and_b64 vcc, exec, s[64:65]
	s_cbranch_vccz .LBB225_182
; %bb.169:                              ;   in Loop: Header=BB225_31 Depth=1
	v_readlane_b32 s62, v59, 31
	v_readlane_b32 s63, v59, 32
	s_mov_b32 s62, s59
	s_cmp_lg_u64 s[62:63], 0
	v_writelane_b32 v59, s62, 31
	v_writelane_b32 v59, s63, 32
	s_cbranch_scc0 .LBB225_210
; %bb.170:                              ;   in Loop: Header=BB225_31 Depth=1
	v_cvt_f32_u32_e32 v6, s33
	s_sub_u32 s14, 0, s33
	s_subb_u32 s15, 0, 0
	v_mac_f32_e32 v6, 0, v53
	v_rcp_f32_e32 v6, v6
	v_mul_f32_e32 v6, 0x5f7ffffc, v6
	v_mul_f32_e32 v7, 0x2f800000, v6
	v_trunc_f32_e32 v7, v7
	v_mac_f32_e32 v6, 0xcf800000, v7
	v_cvt_u32_f32_e32 v7, v7
	v_cvt_u32_f32_e32 v6, v6
	v_readfirstlane_b32 s40, v7
	v_readfirstlane_b32 s4, v6
	s_mul_i32 s5, s14, s40
	s_mul_hi_u32 s58, s14, s4
	s_mul_i32 s41, s15, s4
	s_add_i32 s5, s58, s5
	s_mul_i32 s60, s14, s4
	s_add_i32 s5, s5, s41
	s_mul_hi_u32 s58, s4, s60
	s_mul_i32 s61, s4, s5
	s_mul_hi_u32 s41, s4, s5
	s_add_u32 s58, s58, s61
	s_addc_u32 s41, 0, s41
	s_mul_hi_u32 s62, s40, s60
	s_mul_i32 s60, s40, s60
	s_add_u32 s58, s58, s60
	s_mul_hi_u32 s61, s40, s5
	s_addc_u32 s41, s41, s62
	s_addc_u32 s58, s61, 0
	s_mul_i32 s5, s40, s5
	s_add_u32 s5, s41, s5
	s_addc_u32 s41, 0, s58
	s_add_u32 s58, s4, s5
	s_cselect_b64 s[4:5], -1, 0
	s_cmp_lg_u64 s[4:5], 0
	s_addc_u32 s40, s40, s41
	s_mul_i32 s4, s14, s40
	s_mul_hi_u32 s5, s14, s58
	s_add_i32 s4, s5, s4
	s_mul_i32 s15, s15, s58
	s_add_i32 s4, s4, s15
	s_mul_i32 s14, s14, s58
	s_mul_hi_u32 s15, s40, s14
	s_mul_i32 s41, s40, s14
	s_mul_i32 s61, s58, s4
	s_mul_hi_u32 s14, s58, s14
	s_mul_hi_u32 s60, s58, s4
	s_add_u32 s14, s14, s61
	s_addc_u32 s60, 0, s60
	s_add_u32 s14, s14, s41
	s_mul_hi_u32 s5, s40, s4
	s_addc_u32 s14, s60, s15
	s_addc_u32 s5, s5, 0
	s_mul_i32 s4, s40, s4
	s_add_u32 s4, s14, s4
	s_addc_u32 s14, 0, s5
	s_add_u32 s15, s58, s4
	s_cselect_b64 s[4:5], -1, 0
	s_cmp_lg_u64 s[4:5], 0
	s_addc_u32 s4, s40, s14
	v_readlane_b32 s58, v59, 29
	s_mul_i32 s14, s58, s4
	s_mul_hi_u32 s40, s58, s15
	s_mul_hi_u32 s5, s58, s4
	s_add_u32 s14, s40, s14
	s_addc_u32 s5, 0, s5
	s_mul_hi_u32 s41, s63, s15
	s_mul_i32 s15, s63, s15
	s_add_u32 s14, s14, s15
	s_mul_hi_u32 s40, s63, s4
	s_addc_u32 s5, s5, s41
	s_addc_u32 s14, s40, 0
	s_mul_i32 s4, s63, s4
	s_add_u32 s4, s5, s4
	s_addc_u32 s5, 0, s14
	s_mul_i32 s5, s33, s5
	s_mul_hi_u32 s14, s33, s4
	s_add_i32 s14, s14, s5
	s_mul_i32 s4, s33, s4
	s_sub_u32 s15, s58, s4
	s_cselect_b64 s[4:5], -1, 0
	s_cmp_lg_u64 s[4:5], 0
	s_subb_u32 s14, s63, s14
	s_sub_u32 s40, s15, s33
	s_cselect_b64 s[4:5], -1, 0
	s_cmp_lg_u64 s[4:5], 0
	s_subb_u32 s41, s14, 0
	;; [unrolled: 4-line block ×3, first 2 shown]
	s_cmp_ge_u32 s40, s33
	s_cselect_b32 s5, -1, 0
	s_cmp_eq_u32 s41, 0
	s_cselect_b32 s5, s5, -1
	s_cmp_lg_u32 s5, 0
	s_cselect_b32 s4, s4, s41
	s_cselect_b32 s40, s58, s40
	s_cmp_ge_u32 s15, s33
	s_cselect_b32 s5, -1, 0
	s_cmp_eq_u32 s14, 0
	s_cselect_b32 s5, s5, -1
	s_cmp_lg_u32 s5, 0
	s_cselect_b32 s5, s4, s14
	s_cselect_b32 s4, s40, s15
	s_cbranch_execnz .LBB225_172
.LBB225_171:                            ;   in Loop: Header=BB225_31 Depth=1
	v_cvt_f32_u32_e32 v6, s33
	s_sub_i32 s4, 0, s33
	v_readlane_b32 s14, v59, 29
	v_rcp_iflag_f32_e32 v6, v6
	v_mul_f32_e32 v6, 0x4f7ffffe, v6
	v_cvt_u32_f32_e32 v6, v6
	v_readfirstlane_b32 s5, v6
	s_mul_i32 s4, s4, s5
	s_mul_hi_u32 s4, s5, s4
	s_add_i32 s5, s5, s4
	s_mul_hi_u32 s4, s14, s5
	s_mul_i32 s4, s4, s33
	s_sub_i32 s4, s14, s4
	s_sub_i32 s5, s4, s33
	s_cmp_ge_u32 s4, s33
	s_cselect_b32 s4, s5, s4
	s_sub_i32 s5, s4, s33
	s_cmp_ge_u32 s4, s33
	s_cselect_b32 s58, s5, s4
	s_mov_b64 s[4:5], s[58:59]
.LBB225_172:                            ;   in Loop: Header=BB225_31 Depth=1
	v_readlane_b32 s14, v59, 29
	v_readlane_b32 s40, v59, 31
	s_sub_u32 s14, s14, s4
	v_readlane_b32 s41, v59, 32
	s_subb_u32 s15, s41, s5
	v_cmp_gt_u64_e32 vcc, s[14:15], v[0:1]
                                        ; implicit-def: $vgpr8
	s_and_saveexec_b64 s[4:5], vcc
	v_readlane_b32 s58, v59, 57
	s_cbranch_execz .LBB225_181
; %bb.173:                              ;   in Loop: Header=BB225_31 Depth=1
	v_mov_b32_e32 v6, v26
	v_mov_b32_e32 v9, v1
	s_mov_b64 s[40:41], 0
	v_mov_b32_e32 v7, v27
	v_mov_b32_e32 v8, v0
                                        ; implicit-def: $sgpr60_sgpr61
	s_branch .LBB225_176
.LBB225_174:                            ;   in Loop: Header=BB225_176 Depth=2
	s_or_b64 exec, exec, s[62:63]
	s_waitcnt lgkmcnt(0)
	s_barrier
	ds_read_b32 v31, v3 offset:3072
	s_mov_b64 s[62:63], -1
	s_mov_b64 s[64:65], -1
	s_waitcnt lgkmcnt(0)
	s_barrier
	v_and_b32_e32 v32, 0x7fff, v31
	v_cmp_eq_u32_e32 vcc, 0, v32
	s_cbranch_vccnz .LBB225_179
.LBB225_175:                            ;   in Loop: Header=BB225_176 Depth=2
	s_and_b64 s[62:63], exec, s[62:63]
	s_or_b64 s[40:41], s[62:63], s[40:41]
	s_andn2_b64 s[60:61], s[60:61], exec
	s_and_b64 s[62:63], s[64:65], exec
	s_or_b64 s[60:61], s[60:61], s[62:63]
	s_andn2_b64 exec, exec, s[40:41]
	s_cbranch_execz .LBB225_180
.LBB225_176:                            ;   Parent Loop BB225_31 Depth=1
                                        ; =>  This Inner Loop Header: Depth=2
	v_cmp_gt_u64_e32 vcc, s[28:29], v[8:9]
	s_and_saveexec_b64 s[62:63], vcc
	s_cbranch_execz .LBB225_174
; %bb.177:                              ;   in Loop: Header=BB225_176 Depth=2
	global_load_ushort v31, v[6:7], off
	s_waitcnt vmcnt(0)
	v_cmp_lt_i16_e32 vcc, -1, v31
	v_cndmask_b32_e32 v32, v51, v52, vcc
	v_lshlrev_b32_e32 v33, 16, v31
	v_cmp_o_f32_e32 vcc, v33, v33
	v_xor_b32_sdwa v32, v32, v31 dst_sel:DWORD dst_unused:UNUSED_PAD src0_sel:DWORD src1_sel:WORD_0
	v_cndmask_b32_e32 v32, v51, v32, vcc
	v_and_b32_e32 v32, v32, v10
	v_cmp_eq_u32_e32 vcc, v32, v11
	s_and_b64 exec, exec, vcc
	s_cbranch_execz .LBB225_174
; %bb.178:                              ;   in Loop: Header=BB225_176 Depth=2
	s_movk_i32 s64, 0x3f80
	v_perm_b32 v31, v31, s64, v55
	ds_write_b32 v3, v31 offset:3072
	s_branch .LBB225_174
.LBB225_179:                            ;   in Loop: Header=BB225_176 Depth=2
	v_add_co_u32_e32 v8, vcc, s33, v8
	v_addc_co_u32_e32 v9, vcc, 0, v9, vcc
	v_mov_b32_e32 v32, s37
	v_add_co_u32_e32 v6, vcc, s36, v6
	v_addc_co_u32_e32 v7, vcc, v7, v32, vcc
	v_cmp_le_u64_e32 vcc, s[14:15], v[8:9]
	s_mov_b64 s[64:65], 0
	s_orn2_b64 s[62:63], vcc, exec
	s_branch .LBB225_175
.LBB225_180:                            ;   in Loop: Header=BB225_31 Depth=1
	s_or_b64 exec, exec, s[40:41]
	s_andn2_b64 s[12:13], s[12:13], exec
	s_and_b64 s[14:15], s[60:61], exec
	v_lshrrev_b32_e32 v8, 16, v31
	s_or_b64 s[12:13], s[12:13], s[14:15]
.LBB225_181:                            ;   in Loop: Header=BB225_31 Depth=1
	s_or_b64 exec, exec, s[4:5]
	s_mov_b64 s[14:15], 0
	s_mov_b64 s[40:41], -1
.LBB225_182:                            ;   in Loop: Header=BB225_31 Depth=1
	s_orn2_b64 s[4:5], s[12:13], exec
.LBB225_183:                            ;   in Loop: Header=BB225_31 Depth=1
	s_or_b64 exec, exec, s[10:11]
	s_mov_b64 s[10:11], 0
	s_and_saveexec_b64 s[72:73], s[4:5]
	s_cbranch_execz .LBB225_293
; %bb.184:                              ;   in Loop: Header=BB225_31 Depth=1
	v_mov_b32_e32 v6, 1
	s_xor_b64 s[8:9], s[8:9], -1
	v_mov_b32_e32 v2, 1
	v_mov_b32_e32 v7, 0
	s_and_saveexec_b64 s[4:5], s[8:9]
	s_cbranch_execz .LBB225_193
; %bb.185:                              ;   in Loop: Header=BB225_31 Depth=1
	v_cmp_ge_u64_e32 vcc, s[48:49], v[4:5]
	s_and_saveexec_b64 s[8:9], vcc
	s_xor_b64 s[8:9], exec, s[8:9]
	s_cbranch_execz .LBB225_190
; %bb.186:                              ;   in Loop: Header=BB225_31 Depth=1
	ds_read_b64 v[6:7], v3 offset:5120
	v_and_b32_e32 v2, s1, v11
	v_lshl_or_b32 v11, 1, s67, v2
	v_or_b32_e32 v10, s0, v10
	s_waitcnt lgkmcnt(0)
	v_cmp_ne_u64_e32 vcc, 0, v[6:7]
	s_cbranch_vccnz .LBB225_190
; %bb.187:                              ;   in Loop: Header=BB225_31 Depth=1
	s_mov_b64 s[10:11], exec
	v_readlane_b32 s12, v59, 8
	v_readlane_b32 s13, v59, 9
	s_and_b64 s[12:13], s[10:11], s[12:13]
	s_mov_b64 exec, s[12:13]
; %bb.188:                              ;   in Loop: Header=BB225_31 Depth=1
	v_mov_b32_e32 v6, s48
	v_mov_b32_e32 v7, s49
	ds_write_b64 v3, v[6:7] offset:5128
; %bb.189:                              ;   in Loop: Header=BB225_31 Depth=1
	s_or_b64 exec, exec, s[10:11]
	s_waitcnt lgkmcnt(0)
	s_barrier
.LBB225_190:                            ;   in Loop: Header=BB225_31 Depth=1
	s_or_saveexec_b64 s[8:9], s[8:9]
	s_mov_b64 s[10:11], 0
	v_mov_b32_e32 v2, 8
	s_xor_b64 exec, exec, s[8:9]
; %bb.191:                              ;   in Loop: Header=BB225_31 Depth=1
	v_subrev_co_u32_e32 v4, vcc, s48, v4
	v_mov_b32_e32 v2, s49
	v_subb_co_u32_e32 v5, vcc, v5, v2, vcc
	v_mov_b32_e32 v2, 0
	s_mov_b64 s[10:11], exec
; %bb.192:                              ;   in Loop: Header=BB225_31 Depth=1
	s_or_b64 exec, exec, s[8:9]
	v_mov_b32_e32 v7, v5
	s_and_b64 s[10:11], s[10:11], exec
	v_mov_b32_e32 v6, v4
.LBB225_193:                            ;   in Loop: Header=BB225_31 Depth=1
	s_or_b64 exec, exec, s[4:5]
	s_mov_b64 s[4:5], -1
                                        ; implicit-def: $sgpr8_sgpr9
                                        ; kill: killed $sgpr8_sgpr9
                                        ; implicit-def: $sgpr8_sgpr9
                                        ; kill: killed $sgpr8_sgpr9
	s_and_saveexec_b64 s[78:79], s[10:11]
	s_cbranch_execz .LBB225_292
; %bb.194:                              ;   in Loop: Header=BB225_31 Depth=1
	s_cmp_eq_u64 s[16:17], 1
	v_cmp_eq_u64_e32 vcc, 1, v[6:7]
	s_cselect_b64 s[4:5], -1, 0
	s_and_b64 s[10:11], s[4:5], vcc
	s_mov_b64 s[4:5], -1
                                        ; implicit-def: $sgpr8_sgpr9
	v_writelane_b32 v59, s10, 62
                                        ; kill: killed $sgpr8_sgpr9
                                        ; implicit-def: $sgpr8_sgpr9
                                        ; kill: killed $sgpr8_sgpr9
	v_writelane_b32 v59, s11, 63
	s_and_saveexec_b64 s[12:13], s[10:11]
                                        ; implicit-def: $vgpr58 : SGPR spill to VGPR lane
	s_cbranch_execz .LBB225_228
; %bb.195:                              ;   in Loop: Header=BB225_31 Depth=1
	ds_read_b64 v[4:5], v3 offset:5120
	s_waitcnt lgkmcnt(0)
	s_barrier
	v_readfirstlane_b32 s10, v4
	v_readfirstlane_b32 s11, v5
	s_mov_b64 s[4:5], exec
	v_readlane_b32 s8, v59, 24
	v_readlane_b32 s9, v59, 25
	s_and_b64 s[8:9], s[4:5], s[8:9]
	s_mov_b64 exec, s[8:9]
; %bb.196:                              ;   in Loop: Header=BB225_31 Depth=1
	ds_write_b16 v50, v3
; %bb.197:                              ;   in Loop: Header=BB225_31 Depth=1
	s_or_b64 exec, exec, s[4:5]
	s_mov_b64 s[4:5], -1
	v_writelane_b32 v59, s4, 60
	v_writelane_b32 v59, s5, 61
	s_mov_b64 s[4:5], 0
	v_and_b32_e32 v4, s1, v11
	v_writelane_b32 v59, s4, 58
	v_lshl_or_b32 v11, 2, s67, v4
	v_or_b32_e32 v10, s0, v10
	v_writelane_b32 v59, s5, 59
	s_cmp_eq_u64 s[10:11], 0
	s_mov_b64 s[4:5], 0
	s_mov_b64 s[64:65], -1
	s_waitcnt lgkmcnt(0)
	s_barrier
                                        ; implicit-def: $vgpr8
	s_cbranch_scc1 .LBB225_213
; %bb.198:                              ;   in Loop: Header=BB225_31 Depth=1
	v_readlane_b32 s4, v59, 28
	s_add_u32 s62, s10, s4
	v_readlane_b32 s4, v59, 30
	s_addc_u32 s5, s11, s4
	s_mov_b32 s4, s59
	s_cmp_lg_u64 s[4:5], 0
	s_cbranch_scc0 .LBB225_245
; %bb.199:                              ;   in Loop: Header=BB225_31 Depth=1
	v_cvt_f32_u32_e32 v4, s33
	s_sub_u32 s4, 0, s33
	s_subb_u32 s58, 0, 0
	v_mac_f32_e32 v4, 0, v53
	v_rcp_f32_e32 v4, v4
	v_mul_f32_e32 v4, 0x5f7ffffc, v4
	v_mul_f32_e32 v5, 0x2f800000, v4
	v_trunc_f32_e32 v5, v5
	v_mac_f32_e32 v4, 0xcf800000, v5
	v_cvt_u32_f32_e32 v5, v5
	v_cvt_u32_f32_e32 v4, v4
	v_readfirstlane_b32 s60, v5
	v_readfirstlane_b32 s8, v4
	s_mul_i32 s9, s4, s60
	s_mul_hi_u32 s63, s4, s8
	s_mul_i32 s61, s58, s8
	s_add_i32 s9, s63, s9
	s_mul_i32 s64, s4, s8
	s_add_i32 s9, s9, s61
	s_mul_hi_u32 s63, s8, s64
	s_mul_i32 s65, s8, s9
	s_mul_hi_u32 s61, s8, s9
	s_add_u32 s63, s63, s65
	s_addc_u32 s61, 0, s61
	s_mul_hi_u32 s68, s60, s64
	s_mul_i32 s64, s60, s64
	s_add_u32 s63, s63, s64
	s_mul_hi_u32 s65, s60, s9
	s_addc_u32 s61, s61, s68
	s_addc_u32 s63, s65, 0
	s_mul_i32 s9, s60, s9
	s_add_u32 s9, s61, s9
	s_addc_u32 s61, 0, s63
	s_add_u32 s63, s8, s9
	s_cselect_b64 s[8:9], -1, 0
	s_cmp_lg_u64 s[8:9], 0
	s_addc_u32 s60, s60, s61
	s_mul_i32 s8, s4, s60
	s_mul_hi_u32 s9, s4, s63
	s_add_i32 s8, s9, s8
	s_mul_i32 s58, s58, s63
	s_add_i32 s8, s8, s58
	s_mul_i32 s4, s4, s63
	s_mul_hi_u32 s58, s60, s4
	s_mul_i32 s61, s60, s4
	s_mul_i32 s65, s63, s8
	s_mul_hi_u32 s4, s63, s4
	s_mul_hi_u32 s64, s63, s8
	s_add_u32 s4, s4, s65
	s_addc_u32 s64, 0, s64
	s_add_u32 s4, s4, s61
	s_mul_hi_u32 s9, s60, s8
	s_addc_u32 s4, s64, s58
	s_addc_u32 s9, s9, 0
	s_mul_i32 s8, s60, s8
	s_add_u32 s4, s4, s8
	s_addc_u32 s58, 0, s9
	s_add_u32 s4, s63, s4
	s_cselect_b64 s[8:9], -1, 0
	s_cmp_lg_u64 s[8:9], 0
	s_addc_u32 s8, s60, s58
	s_mul_i32 s58, s62, s8
	s_mul_hi_u32 s60, s62, s4
	s_mul_hi_u32 s9, s62, s8
	s_add_u32 s58, s60, s58
	s_addc_u32 s9, 0, s9
	s_mul_hi_u32 s61, s5, s4
	s_mul_i32 s4, s5, s4
	s_add_u32 s4, s58, s4
	s_mul_hi_u32 s60, s5, s8
	s_addc_u32 s4, s9, s61
	s_addc_u32 s9, s60, 0
	s_mul_i32 s8, s5, s8
	s_add_u32 s4, s4, s8
	s_addc_u32 s8, 0, s9
	s_mul_i32 s8, s33, s8
	s_mul_hi_u32 s9, s33, s4
	s_add_i32 s58, s9, s8
	s_mul_i32 s4, s33, s4
	s_sub_u32 s4, s62, s4
	s_cselect_b64 s[8:9], -1, 0
	s_cmp_lg_u64 s[8:9], 0
	s_subb_u32 s58, s5, s58
	s_sub_u32 s60, s4, s33
	s_cselect_b64 s[8:9], -1, 0
	s_cmp_lg_u64 s[8:9], 0
	s_subb_u32 s61, s58, 0
	;; [unrolled: 4-line block ×3, first 2 shown]
	s_cmp_ge_u32 s60, s33
	s_cselect_b32 s9, -1, 0
	s_cmp_eq_u32 s61, 0
	s_cselect_b32 s9, s9, -1
	s_cmp_lg_u32 s9, 0
	s_cselect_b32 s8, s8, s61
	s_cselect_b32 s60, s63, s60
	s_cmp_ge_u32 s4, s33
	s_cselect_b32 s9, -1, 0
	s_cmp_eq_u32 s58, 0
	s_cselect_b32 s9, s9, -1
	s_cmp_lg_u32 s9, 0
	s_cselect_b32 s9, s8, s58
	s_cselect_b32 s8, s60, s4
	s_cbranch_execnz .LBB225_201
.LBB225_200:                            ;   in Loop: Header=BB225_31 Depth=1
	v_cvt_f32_u32_e32 v4, s33
	s_sub_i32 s4, 0, s33
	v_rcp_iflag_f32_e32 v4, v4
	v_mul_f32_e32 v4, 0x4f7ffffe, v4
	v_cvt_u32_f32_e32 v4, v4
	v_readfirstlane_b32 s8, v4
	s_mul_i32 s4, s4, s8
	s_mul_hi_u32 s4, s8, s4
	s_add_i32 s8, s8, s4
	s_mul_hi_u32 s4, s62, s8
	s_mul_i32 s4, s4, s33
	s_sub_i32 s4, s62, s4
	s_sub_i32 s8, s4, s33
	s_cmp_ge_u32 s4, s33
	s_cselect_b32 s4, s8, s4
	s_sub_i32 s8, s4, s33
	s_cmp_ge_u32 s4, s33
	s_cselect_b32 s58, s8, s4
	s_mov_b64 s[8:9], s[58:59]
.LBB225_201:                            ;   in Loop: Header=BB225_31 Depth=1
	s_sub_u32 s62, s62, s8
	s_subb_u32 s63, s5, s9
	v_cmp_gt_u64_e32 vcc, s[62:63], v[0:1]
	s_mov_b64 s[64:65], 0
	s_mov_b64 s[4:5], 0
                                        ; implicit-def: $vgpr8
	s_and_saveexec_b64 s[60:61], vcc
	v_readlane_b32 s58, v59, 57
	s_cbranch_execz .LBB225_212
; %bb.202:                              ;   in Loop: Header=BB225_31 Depth=1
	v_mov_b32_e32 v5, v1
	v_writelane_b32 v58, s78, 0
	v_mov_b32_e32 v8, v49
	v_mov_b32_e32 v4, v0
	v_writelane_b32 v58, s79, 1
                                        ; implicit-def: $sgpr68_sgpr69
	s_branch .LBB225_205
.LBB225_203:                            ;   in Loop: Header=BB225_205 Depth=2
	s_or_b64 exec, exec, s[8:9]
	s_waitcnt lgkmcnt(0)
	s_barrier
	ds_read_b32 v9, v3 offset:3072
	s_mov_b64 s[8:9], -1
	s_mov_b64 s[78:79], -1
	s_waitcnt lgkmcnt(0)
	s_barrier
	v_and_b32_e32 v31, 0x7fff, v9
	v_cmp_ne_u32_e32 vcc, 0, v31
	s_cbranch_vccz .LBB225_208
.LBB225_204:                            ;   in Loop: Header=BB225_205 Depth=2
	s_and_b64 s[8:9], exec, s[8:9]
	s_or_b64 s[4:5], s[8:9], s[4:5]
	s_andn2_b64 s[8:9], s[68:69], exec
	s_and_b64 s[68:69], s[78:79], exec
	s_or_b64 s[68:69], s[8:9], s[68:69]
	s_andn2_b64 exec, exec, s[4:5]
	s_cbranch_execz .LBB225_211
.LBB225_205:                            ;   Parent Loop BB225_31 Depth=1
                                        ; =>  This Inner Loop Header: Depth=2
	v_cmp_gt_u64_e32 vcc, s[10:11], v[4:5]
	s_and_saveexec_b64 s[8:9], vcc
	s_cbranch_execz .LBB225_203
; %bb.206:                              ;   in Loop: Header=BB225_205 Depth=2
	ds_read_u16 v9, v8
	s_waitcnt lgkmcnt(0)
	v_cmp_lt_i16_e32 vcc, -1, v9
	v_cndmask_b32_e32 v31, v51, v52, vcc
	v_lshlrev_b32_e32 v32, 16, v9
	v_cmp_o_f32_e32 vcc, v32, v32
	v_xor_b32_sdwa v31, v31, v9 dst_sel:DWORD dst_unused:UNUSED_PAD src0_sel:DWORD src1_sel:WORD_0
	v_cndmask_b32_e32 v31, v51, v31, vcc
	v_and_b32_e32 v31, v31, v10
	v_cmp_eq_u32_e32 vcc, v31, v11
	s_and_b64 exec, exec, vcc
	s_cbranch_execz .LBB225_203
; %bb.207:                              ;   in Loop: Header=BB225_205 Depth=2
	s_movk_i32 s78, 0x3f80
	v_perm_b32 v9, v9, s78, v55
	ds_write_b32 v3, v9 offset:3072
	s_branch .LBB225_203
.LBB225_208:                            ;   in Loop: Header=BB225_205 Depth=2
	v_add_co_u32_e32 v4, vcc, s33, v4
	v_addc_co_u32_e32 v5, vcc, 0, v5, vcc
	v_cmp_le_u64_e32 vcc, s[62:63], v[4:5]
	v_readlane_b32 s8, v59, 48
	v_add_u32_e32 v8, s8, v8
	s_mov_b64 s[78:79], 0
	s_orn2_b64 s[8:9], vcc, exec
	s_branch .LBB225_204
.LBB225_209:                            ;   in Loop: Header=BB225_31 Depth=1
                                        ; implicit-def: $sgpr60_sgpr61
	s_branch .LBB225_155
.LBB225_210:                            ;   in Loop: Header=BB225_31 Depth=1
                                        ; implicit-def: $sgpr4_sgpr5
	s_branch .LBB225_171
.LBB225_211:                            ;   in Loop: Header=BB225_31 Depth=1
	s_or_b64 exec, exec, s[4:5]
	v_readlane_b32 s78, v58, 0
	v_lshrrev_b32_e32 v8, 16, v9
	s_and_b64 s[4:5], s[68:69], exec
	v_readlane_b32 s79, v58, 1
.LBB225_212:                            ;   in Loop: Header=BB225_31 Depth=1
	s_or_b64 exec, exec, s[60:61]
.LBB225_213:                            ;   in Loop: Header=BB225_31 Depth=1
	s_and_b64 vcc, exec, s[64:65]
	s_cbranch_vccz .LBB225_227
; %bb.214:                              ;   in Loop: Header=BB225_31 Depth=1
	v_readlane_b32 s64, v59, 31
	v_readlane_b32 s65, v59, 32
	s_mov_b32 s64, s59
	s_cmp_lg_u64 s[64:65], 0
	v_writelane_b32 v59, s64, 31
	v_writelane_b32 v59, s65, 32
	s_cbranch_scc0 .LBB225_246
; %bb.215:                              ;   in Loop: Header=BB225_31 Depth=1
	v_cvt_f32_u32_e32 v4, s33
	s_sub_u32 s10, 0, s33
	s_subb_u32 s11, 0, 0
	v_mac_f32_e32 v4, 0, v53
	v_rcp_f32_e32 v4, v4
	v_mul_f32_e32 v4, 0x5f7ffffc, v4
	v_mul_f32_e32 v5, 0x2f800000, v4
	v_trunc_f32_e32 v5, v5
	v_mac_f32_e32 v4, 0xcf800000, v5
	v_cvt_u32_f32_e32 v5, v5
	v_cvt_u32_f32_e32 v4, v4
	v_readfirstlane_b32 s58, v5
	v_readfirstlane_b32 s8, v4
	s_mul_i32 s9, s10, s58
	s_mul_hi_u32 s61, s10, s8
	s_mul_i32 s60, s11, s8
	s_add_i32 s9, s61, s9
	s_mul_i32 s62, s10, s8
	s_add_i32 s9, s9, s60
	s_mul_hi_u32 s61, s8, s62
	s_mul_i32 s63, s8, s9
	s_mul_hi_u32 s60, s8, s9
	s_add_u32 s61, s61, s63
	s_addc_u32 s60, 0, s60
	s_mul_hi_u32 s64, s58, s62
	s_mul_i32 s62, s58, s62
	s_add_u32 s61, s61, s62
	s_mul_hi_u32 s63, s58, s9
	s_addc_u32 s60, s60, s64
	s_addc_u32 s61, s63, 0
	s_mul_i32 s9, s58, s9
	s_add_u32 s9, s60, s9
	s_addc_u32 s60, 0, s61
	s_add_u32 s61, s8, s9
	s_cselect_b64 s[8:9], -1, 0
	s_cmp_lg_u64 s[8:9], 0
	s_addc_u32 s58, s58, s60
	s_mul_i32 s8, s10, s58
	s_mul_hi_u32 s9, s10, s61
	s_add_i32 s8, s9, s8
	s_mul_i32 s11, s11, s61
	s_add_i32 s8, s8, s11
	s_mul_i32 s10, s10, s61
	s_mul_hi_u32 s11, s58, s10
	s_mul_i32 s60, s58, s10
	s_mul_i32 s63, s61, s8
	s_mul_hi_u32 s10, s61, s10
	s_mul_hi_u32 s62, s61, s8
	s_add_u32 s10, s10, s63
	s_addc_u32 s62, 0, s62
	s_add_u32 s10, s10, s60
	s_mul_hi_u32 s9, s58, s8
	s_addc_u32 s10, s62, s11
	s_addc_u32 s9, s9, 0
	s_mul_i32 s8, s58, s8
	s_add_u32 s8, s10, s8
	s_addc_u32 s10, 0, s9
	s_add_u32 s11, s61, s8
	s_cselect_b64 s[8:9], -1, 0
	s_cmp_lg_u64 s[8:9], 0
	s_addc_u32 s8, s58, s10
	v_readlane_b32 s61, v59, 29
	s_mul_i32 s10, s61, s8
	s_mul_hi_u32 s58, s61, s11
	s_mul_hi_u32 s9, s61, s8
	s_add_u32 s10, s58, s10
	s_addc_u32 s9, 0, s9
	s_mul_hi_u32 s60, s65, s11
	s_mul_i32 s11, s65, s11
	s_add_u32 s10, s10, s11
	s_mul_hi_u32 s58, s65, s8
	s_addc_u32 s9, s9, s60
	s_addc_u32 s10, s58, 0
	s_mul_i32 s8, s65, s8
	s_add_u32 s8, s9, s8
	s_addc_u32 s9, 0, s10
	s_mul_i32 s9, s33, s9
	s_mul_hi_u32 s10, s33, s8
	s_add_i32 s10, s10, s9
	s_mul_i32 s8, s33, s8
	s_sub_u32 s11, s61, s8
	s_cselect_b64 s[8:9], -1, 0
	s_cmp_lg_u64 s[8:9], 0
	s_subb_u32 s10, s65, s10
	s_sub_u32 s58, s11, s33
	s_cselect_b64 s[8:9], -1, 0
	s_cmp_lg_u64 s[8:9], 0
	s_subb_u32 s60, s10, 0
	;; [unrolled: 4-line block ×3, first 2 shown]
	s_cmp_ge_u32 s58, s33
	s_cselect_b32 s9, -1, 0
	s_cmp_eq_u32 s60, 0
	s_cselect_b32 s9, s9, -1
	s_cmp_lg_u32 s9, 0
	s_cselect_b32 s8, s8, s60
	s_cselect_b32 s58, s61, s58
	s_cmp_ge_u32 s11, s33
	s_cselect_b32 s9, -1, 0
	s_cmp_eq_u32 s10, 0
	s_cselect_b32 s9, s9, -1
	s_cmp_lg_u32 s9, 0
	s_cselect_b32 s9, s8, s10
	s_cselect_b32 s8, s58, s11
	s_cbranch_execnz .LBB225_217
.LBB225_216:                            ;   in Loop: Header=BB225_31 Depth=1
	v_cvt_f32_u32_e32 v4, s33
	s_sub_i32 s8, 0, s33
	v_readlane_b32 s10, v59, 29
	v_rcp_iflag_f32_e32 v4, v4
	v_mul_f32_e32 v4, 0x4f7ffffe, v4
	v_cvt_u32_f32_e32 v4, v4
	v_readfirstlane_b32 s9, v4
	s_mul_i32 s8, s8, s9
	s_mul_hi_u32 s8, s9, s8
	s_add_i32 s9, s9, s8
	s_mul_hi_u32 s8, s10, s9
	s_mul_i32 s8, s8, s33
	s_sub_i32 s8, s10, s8
	s_sub_i32 s9, s8, s33
	s_cmp_ge_u32 s8, s33
	s_cselect_b32 s8, s9, s8
	s_sub_i32 s9, s8, s33
	s_cmp_ge_u32 s8, s33
	s_cselect_b32 s58, s9, s8
	s_mov_b64 s[8:9], s[58:59]
.LBB225_217:                            ;   in Loop: Header=BB225_31 Depth=1
	v_readlane_b32 s10, v59, 29
	s_sub_u32 s64, s10, s8
	v_readlane_b32 s10, v59, 31
	v_readlane_b32 s11, v59, 32
	s_subb_u32 s65, s11, s9
	v_cmp_gt_u64_e32 vcc, s[64:65], v[0:1]
                                        ; implicit-def: $vgpr8
	s_and_saveexec_b64 s[10:11], vcc
	v_readlane_b32 s58, v59, 57
	s_cbranch_execz .LBB225_226
; %bb.218:                              ;   in Loop: Header=BB225_31 Depth=1
	v_mov_b32_e32 v4, v26
	v_mov_b32_e32 v9, v1
	s_mov_b64 s[60:61], 0
	v_mov_b32_e32 v5, v27
	v_mov_b32_e32 v8, v0
                                        ; implicit-def: $sgpr62_sgpr63
	s_branch .LBB225_221
.LBB225_219:                            ;   in Loop: Header=BB225_221 Depth=2
	s_or_b64 exec, exec, s[8:9]
	s_waitcnt lgkmcnt(0)
	s_barrier
	ds_read_b32 v31, v3 offset:3072
	s_mov_b64 s[8:9], -1
	s_mov_b64 s[68:69], -1
	s_waitcnt lgkmcnt(0)
	s_barrier
	v_and_b32_e32 v32, 0x7fff, v31
	v_cmp_eq_u32_e32 vcc, 0, v32
	s_cbranch_vccnz .LBB225_224
.LBB225_220:                            ;   in Loop: Header=BB225_221 Depth=2
	s_and_b64 s[8:9], exec, s[8:9]
	s_or_b64 s[60:61], s[8:9], s[60:61]
	s_andn2_b64 s[8:9], s[62:63], exec
	s_and_b64 s[62:63], s[68:69], exec
	s_or_b64 s[62:63], s[8:9], s[62:63]
	s_andn2_b64 exec, exec, s[60:61]
	s_cbranch_execz .LBB225_225
.LBB225_221:                            ;   Parent Loop BB225_31 Depth=1
                                        ; =>  This Inner Loop Header: Depth=2
	v_cmp_gt_u64_e32 vcc, s[28:29], v[8:9]
	s_and_saveexec_b64 s[8:9], vcc
	s_cbranch_execz .LBB225_219
; %bb.222:                              ;   in Loop: Header=BB225_221 Depth=2
	global_load_ushort v31, v[4:5], off
	s_waitcnt vmcnt(0)
	v_cmp_lt_i16_e32 vcc, -1, v31
	v_cndmask_b32_e32 v32, v51, v52, vcc
	v_lshlrev_b32_e32 v33, 16, v31
	v_cmp_o_f32_e32 vcc, v33, v33
	v_xor_b32_sdwa v32, v32, v31 dst_sel:DWORD dst_unused:UNUSED_PAD src0_sel:DWORD src1_sel:WORD_0
	v_cndmask_b32_e32 v32, v51, v32, vcc
	v_and_b32_e32 v32, v32, v10
	v_cmp_eq_u32_e32 vcc, v32, v11
	s_and_b64 exec, exec, vcc
	s_cbranch_execz .LBB225_219
; %bb.223:                              ;   in Loop: Header=BB225_221 Depth=2
	s_movk_i32 s68, 0x3f80
	v_perm_b32 v31, v31, s68, v55
	ds_write_b32 v3, v31 offset:3072
	s_branch .LBB225_219
.LBB225_224:                            ;   in Loop: Header=BB225_221 Depth=2
	v_add_co_u32_e32 v8, vcc, s33, v8
	v_addc_co_u32_e32 v9, vcc, 0, v9, vcc
	v_mov_b32_e32 v32, s37
	v_add_co_u32_e32 v4, vcc, s36, v4
	v_addc_co_u32_e32 v5, vcc, v5, v32, vcc
	v_cmp_le_u64_e32 vcc, s[64:65], v[8:9]
	s_mov_b64 s[68:69], 0
	s_orn2_b64 s[8:9], vcc, exec
	s_branch .LBB225_220
.LBB225_225:                            ;   in Loop: Header=BB225_31 Depth=1
	s_or_b64 exec, exec, s[60:61]
	s_andn2_b64 s[4:5], s[4:5], exec
	s_and_b64 s[8:9], s[62:63], exec
	v_lshrrev_b32_e32 v8, 16, v31
	s_or_b64 s[4:5], s[4:5], s[8:9]
.LBB225_226:                            ;   in Loop: Header=BB225_31 Depth=1
	s_or_b64 exec, exec, s[10:11]
	s_mov_b64 s[8:9], 0
	v_writelane_b32 v59, s8, 60
	v_writelane_b32 v59, s9, 61
	s_mov_b64 s[8:9], -1
	v_writelane_b32 v59, s8, 58
	v_writelane_b32 v59, s9, 59
.LBB225_227:                            ;   in Loop: Header=BB225_31 Depth=1
	s_orn2_b64 s[4:5], s[4:5], exec
.LBB225_228:                            ;   in Loop: Header=BB225_31 Depth=1
	s_or_b64 exec, exec, s[12:13]
	s_mov_b64 s[10:11], 0
	s_and_saveexec_b64 s[12:13], s[4:5]
	s_cbranch_execz .LBB225_291
; %bb.229:                              ;   in Loop: Header=BB225_31 Depth=1
	v_readlane_b32 s4, v59, 62
	v_readlane_b32 s5, v59, 63
	v_mov_b32_e32 v4, 1
	s_xor_b64 s[8:9], s[4:5], -1
	v_mov_b32_e32 v2, 1
	v_mov_b32_e32 v5, 0
	s_and_saveexec_b64 s[4:5], s[8:9]
	s_cbranch_execz .LBB225_238
; %bb.230:                              ;   in Loop: Header=BB225_31 Depth=1
	v_cmp_ge_u64_e32 vcc, s[16:17], v[6:7]
	s_and_saveexec_b64 s[8:9], vcc
	s_xor_b64 s[10:11], exec, s[8:9]
	s_cbranch_execz .LBB225_235
; %bb.231:                              ;   in Loop: Header=BB225_31 Depth=1
	ds_read_b64 v[4:5], v3 offset:5120
	v_and_b32_e32 v2, s1, v11
	v_lshl_or_b32 v11, 2, s67, v2
	v_or_b32_e32 v10, s0, v10
	s_waitcnt lgkmcnt(0)
	v_cmp_ne_u64_e32 vcc, 0, v[4:5]
	s_cbranch_vccnz .LBB225_235
; %bb.232:                              ;   in Loop: Header=BB225_31 Depth=1
	s_mov_b64 s[8:9], exec
	v_readlane_b32 s60, v59, 8
	v_readlane_b32 s61, v59, 9
	s_and_b64 s[60:61], s[8:9], s[60:61]
	s_mov_b64 exec, s[60:61]
; %bb.233:                              ;   in Loop: Header=BB225_31 Depth=1
	v_mov_b32_e32 v4, s16
	v_mov_b32_e32 v5, s17
	ds_write_b64 v3, v[4:5] offset:5128
; %bb.234:                              ;   in Loop: Header=BB225_31 Depth=1
	s_or_b64 exec, exec, s[8:9]
	s_waitcnt lgkmcnt(0)
	s_barrier
.LBB225_235:                            ;   in Loop: Header=BB225_31 Depth=1
	s_or_saveexec_b64 s[10:11], s[10:11]
	s_mov_b64 s[60:61], 0
	v_mov_b32_e32 v2, 8
	s_xor_b64 exec, exec, s[10:11]
; %bb.236:                              ;   in Loop: Header=BB225_31 Depth=1
	v_subrev_co_u32_e32 v6, vcc, s16, v6
	v_mov_b32_e32 v2, s17
	v_subb_co_u32_e32 v7, vcc, v7, v2, vcc
	v_mov_b32_e32 v2, 0
	s_mov_b64 s[60:61], exec
; %bb.237:                              ;   in Loop: Header=BB225_31 Depth=1
	s_or_b64 exec, exec, s[10:11]
	v_mov_b32_e32 v4, v6
	s_and_b64 s[10:11], s[60:61], exec
	v_mov_b32_e32 v5, v7
.LBB225_238:                            ;   in Loop: Header=BB225_31 Depth=1
	s_or_b64 exec, exec, s[4:5]
	s_mov_b64 s[4:5], -1
                                        ; implicit-def: $sgpr8_sgpr9
                                        ; kill: killed $sgpr8_sgpr9
                                        ; implicit-def: $sgpr64_sgpr65
	s_and_saveexec_b64 s[60:61], s[10:11]
	s_cbranch_execz .LBB225_290
; %bb.239:                              ;   in Loop: Header=BB225_31 Depth=1
	s_cmp_eq_u64 s[2:3], 1
	v_cmp_eq_u64_e32 vcc, 1, v[4:5]
	v_writelane_b32 v58, s60, 2
	s_cselect_b64 s[4:5], -1, 0
	s_mov_b64 s[10:11], -1
	v_writelane_b32 v58, s61, 3
	s_and_b64 s[4:5], s[4:5], vcc
                                        ; implicit-def: $sgpr8_sgpr9
                                        ; kill: killed $sgpr8_sgpr9
                                        ; implicit-def: $sgpr64_sgpr65
	s_mov_b64 s[8:9], exec
	v_writelane_b32 v58, s4, 4
	v_writelane_b32 v58, s5, 5
	;; [unrolled: 1-line block ×3, first 2 shown]
	s_and_b64 s[4:5], s[8:9], s[4:5]
	v_writelane_b32 v58, s9, 7
	s_mov_b64 exec, s[4:5]
	s_cbranch_execz .LBB225_278
; %bb.240:                              ;   in Loop: Header=BB225_31 Depth=1
	ds_read_b64 v[6:7], v3 offset:5120
	s_waitcnt lgkmcnt(0)
	s_barrier
	v_readfirstlane_b32 s10, v6
	v_readfirstlane_b32 s11, v7
	s_mov_b64 s[4:5], exec
	v_readlane_b32 s8, v59, 24
	v_readlane_b32 s9, v59, 25
	s_and_b64 s[8:9], s[4:5], s[8:9]
	s_mov_b64 exec, s[8:9]
; %bb.241:                              ;   in Loop: Header=BB225_31 Depth=1
	ds_write_b16 v50, v3
; %bb.242:                              ;   in Loop: Header=BB225_31 Depth=1
	s_or_b64 exec, exec, s[4:5]
	s_mov_b64 s[4:5], 0
	v_writelane_b32 v59, s4, 62
	v_or_b32_e32 v11, s0, v11
	v_or_b32_e32 v10, s0, v10
	v_writelane_b32 v59, s5, 63
	s_cmp_eq_u64 s[10:11], 0
	s_mov_b64 s[4:5], 0
	s_mov_b64 s[64:65], -1
	s_waitcnt lgkmcnt(0)
	s_barrier
                                        ; implicit-def: $vgpr8
	s_cbranch_scc1 .LBB225_260
; %bb.243:                              ;   in Loop: Header=BB225_31 Depth=1
	v_readlane_b32 s4, v59, 28
	s_add_u32 s62, s10, s4
	v_readlane_b32 s4, v59, 30
	s_addc_u32 s5, s11, s4
	s_mov_b32 s4, s59
	s_cmp_lg_u64 s[4:5], 0
	s_cbranch_scc0 .LBB225_247
; %bb.244:                              ;   in Loop: Header=BB225_31 Depth=1
	v_cvt_f32_u32_e32 v6, s33
	s_sub_u32 s4, 0, s33
	s_subb_u32 s58, 0, 0
	v_mac_f32_e32 v6, 0, v53
	v_rcp_f32_e32 v6, v6
	v_mul_f32_e32 v6, 0x5f7ffffc, v6
	v_mul_f32_e32 v7, 0x2f800000, v6
	v_trunc_f32_e32 v7, v7
	v_mac_f32_e32 v6, 0xcf800000, v7
	v_cvt_u32_f32_e32 v7, v7
	v_cvt_u32_f32_e32 v6, v6
	v_readfirstlane_b32 s60, v7
	v_readfirstlane_b32 s8, v6
	s_mul_i32 s9, s4, s60
	s_mul_hi_u32 s63, s4, s8
	s_mul_i32 s61, s58, s8
	s_add_i32 s9, s63, s9
	s_mul_i32 s64, s4, s8
	s_add_i32 s9, s9, s61
	s_mul_hi_u32 s63, s8, s64
	s_mul_i32 s65, s8, s9
	s_mul_hi_u32 s61, s8, s9
	s_add_u32 s63, s63, s65
	s_addc_u32 s61, 0, s61
	s_mul_hi_u32 s68, s60, s64
	s_mul_i32 s64, s60, s64
	s_add_u32 s63, s63, s64
	s_mul_hi_u32 s65, s60, s9
	s_addc_u32 s61, s61, s68
	s_addc_u32 s63, s65, 0
	s_mul_i32 s9, s60, s9
	s_add_u32 s9, s61, s9
	s_addc_u32 s61, 0, s63
	s_add_u32 s63, s8, s9
	s_cselect_b64 s[8:9], -1, 0
	s_cmp_lg_u64 s[8:9], 0
	s_addc_u32 s60, s60, s61
	s_mul_i32 s8, s4, s60
	s_mul_hi_u32 s9, s4, s63
	s_add_i32 s8, s9, s8
	s_mul_i32 s58, s58, s63
	s_add_i32 s8, s8, s58
	s_mul_i32 s4, s4, s63
	s_mul_hi_u32 s58, s60, s4
	s_mul_i32 s61, s60, s4
	s_mul_i32 s65, s63, s8
	s_mul_hi_u32 s4, s63, s4
	s_mul_hi_u32 s64, s63, s8
	s_add_u32 s4, s4, s65
	s_addc_u32 s64, 0, s64
	s_add_u32 s4, s4, s61
	s_mul_hi_u32 s9, s60, s8
	s_addc_u32 s4, s64, s58
	s_addc_u32 s9, s9, 0
	s_mul_i32 s8, s60, s8
	s_add_u32 s4, s4, s8
	s_addc_u32 s58, 0, s9
	s_add_u32 s4, s63, s4
	s_cselect_b64 s[8:9], -1, 0
	s_cmp_lg_u64 s[8:9], 0
	s_addc_u32 s8, s60, s58
	s_mul_i32 s58, s62, s8
	s_mul_hi_u32 s60, s62, s4
	s_mul_hi_u32 s9, s62, s8
	s_add_u32 s58, s60, s58
	s_addc_u32 s9, 0, s9
	s_mul_hi_u32 s61, s5, s4
	s_mul_i32 s4, s5, s4
	s_add_u32 s4, s58, s4
	s_mul_hi_u32 s60, s5, s8
	s_addc_u32 s4, s9, s61
	s_addc_u32 s9, s60, 0
	s_mul_i32 s8, s5, s8
	s_add_u32 s4, s4, s8
	s_addc_u32 s8, 0, s9
	s_mul_i32 s8, s33, s8
	s_mul_hi_u32 s9, s33, s4
	s_add_i32 s58, s9, s8
	s_mul_i32 s4, s33, s4
	s_sub_u32 s4, s62, s4
	s_cselect_b64 s[8:9], -1, 0
	s_cmp_lg_u64 s[8:9], 0
	s_subb_u32 s58, s5, s58
	s_sub_u32 s60, s4, s33
	s_cselect_b64 s[8:9], -1, 0
	s_cmp_lg_u64 s[8:9], 0
	s_subb_u32 s61, s58, 0
	;; [unrolled: 4-line block ×3, first 2 shown]
	s_cmp_ge_u32 s60, s33
	s_cselect_b32 s9, -1, 0
	s_cmp_eq_u32 s61, 0
	s_cselect_b32 s9, s9, -1
	s_cmp_lg_u32 s9, 0
	s_cselect_b32 s8, s8, s61
	s_cselect_b32 s60, s63, s60
	s_cmp_ge_u32 s4, s33
	s_cselect_b32 s9, -1, 0
	s_cmp_eq_u32 s58, 0
	s_cselect_b32 s9, s9, -1
	s_cmp_lg_u32 s9, 0
	s_cselect_b32 s9, s8, s58
	v_readlane_b32 s58, v59, 57
	s_cselect_b32 s8, s60, s4
	s_mov_b64 s[60:61], 0
	s_branch .LBB225_248
.LBB225_245:                            ;   in Loop: Header=BB225_31 Depth=1
                                        ; implicit-def: $sgpr8_sgpr9
	s_branch .LBB225_200
.LBB225_246:                            ;   in Loop: Header=BB225_31 Depth=1
                                        ; implicit-def: $sgpr8_sgpr9
	s_branch .LBB225_216
.LBB225_247:                            ;   in Loop: Header=BB225_31 Depth=1
	s_mov_b64 s[60:61], -1
                                        ; implicit-def: $sgpr8_sgpr9
.LBB225_248:                            ;   in Loop: Header=BB225_31 Depth=1
	s_andn2_b64 vcc, exec, s[60:61]
	s_cbranch_vccnz .LBB225_250
; %bb.249:                              ;   in Loop: Header=BB225_31 Depth=1
	v_cvt_f32_u32_e32 v6, s33
	s_sub_i32 s4, 0, s33
	v_rcp_iflag_f32_e32 v6, v6
	v_mul_f32_e32 v6, 0x4f7ffffe, v6
	v_cvt_u32_f32_e32 v6, v6
	v_readfirstlane_b32 s8, v6
	s_mul_i32 s4, s4, s8
	s_mul_hi_u32 s4, s8, s4
	s_add_i32 s8, s8, s4
	s_mul_hi_u32 s4, s62, s8
	s_mul_i32 s4, s4, s33
	s_sub_i32 s4, s62, s4
	s_sub_i32 s8, s4, s33
	s_cmp_ge_u32 s4, s33
	s_cselect_b32 s4, s8, s4
	s_sub_i32 s8, s4, s33
	s_cmp_ge_u32 s4, s33
	s_cselect_b32 s58, s8, s4
	s_mov_b64 s[8:9], s[58:59]
	v_readlane_b32 s58, v59, 57
.LBB225_250:                            ;   in Loop: Header=BB225_31 Depth=1
	s_sub_u32 s62, s62, s8
	s_subb_u32 s63, s5, s9
	v_cmp_gt_u64_e32 vcc, s[62:63], v[0:1]
	s_mov_b64 s[64:65], 0
	s_mov_b64 s[4:5], 0
                                        ; implicit-def: $vgpr8
	s_and_saveexec_b64 s[60:61], vcc
	s_cbranch_execz .LBB225_259
; %bb.251:                              ;   in Loop: Header=BB225_31 Depth=1
	v_mov_b32_e32 v7, v1
	v_writelane_b32 v58, s78, 0
	v_mov_b32_e32 v8, v49
	v_mov_b32_e32 v6, v0
	v_writelane_b32 v58, s79, 1
                                        ; implicit-def: $sgpr68_sgpr69
	s_branch .LBB225_254
.LBB225_252:                            ;   in Loop: Header=BB225_254 Depth=2
	s_or_b64 exec, exec, s[8:9]
	s_waitcnt lgkmcnt(0)
	s_barrier
	ds_read_b32 v9, v3 offset:3072
	s_mov_b64 s[8:9], -1
	s_mov_b64 s[78:79], -1
	s_waitcnt lgkmcnt(0)
	s_barrier
	v_and_b32_e32 v31, 0x7fff, v9
	v_cmp_ne_u32_e32 vcc, 0, v31
	s_cbranch_vccz .LBB225_257
.LBB225_253:                            ;   in Loop: Header=BB225_254 Depth=2
	s_and_b64 s[8:9], exec, s[8:9]
	s_or_b64 s[4:5], s[8:9], s[4:5]
	s_andn2_b64 s[8:9], s[68:69], exec
	s_and_b64 s[68:69], s[78:79], exec
	s_or_b64 s[68:69], s[8:9], s[68:69]
	s_andn2_b64 exec, exec, s[4:5]
	s_cbranch_execz .LBB225_258
.LBB225_254:                            ;   Parent Loop BB225_31 Depth=1
                                        ; =>  This Inner Loop Header: Depth=2
	v_cmp_gt_u64_e32 vcc, s[10:11], v[6:7]
	s_and_saveexec_b64 s[8:9], vcc
	s_cbranch_execz .LBB225_252
; %bb.255:                              ;   in Loop: Header=BB225_254 Depth=2
	ds_read_u16 v9, v8
	s_waitcnt lgkmcnt(0)
	v_cmp_lt_i16_e32 vcc, -1, v9
	v_cndmask_b32_e32 v31, v51, v52, vcc
	v_lshlrev_b32_e32 v32, 16, v9
	v_cmp_o_f32_e32 vcc, v32, v32
	v_xor_b32_sdwa v31, v31, v9 dst_sel:DWORD dst_unused:UNUSED_PAD src0_sel:DWORD src1_sel:WORD_0
	v_cndmask_b32_e32 v31, v51, v31, vcc
	v_and_b32_e32 v31, v31, v10
	v_cmp_eq_u32_e32 vcc, v31, v11
	s_and_b64 exec, exec, vcc
	s_cbranch_execz .LBB225_252
; %bb.256:                              ;   in Loop: Header=BB225_254 Depth=2
	s_movk_i32 s78, 0x3f80
	v_perm_b32 v9, v9, s78, v55
	ds_write_b32 v3, v9 offset:3072
	s_branch .LBB225_252
.LBB225_257:                            ;   in Loop: Header=BB225_254 Depth=2
	v_add_co_u32_e32 v6, vcc, s33, v6
	v_addc_co_u32_e32 v7, vcc, 0, v7, vcc
	v_cmp_le_u64_e32 vcc, s[62:63], v[6:7]
	v_readlane_b32 s8, v59, 48
	v_add_u32_e32 v8, s8, v8
	s_mov_b64 s[78:79], 0
	s_orn2_b64 s[8:9], vcc, exec
	s_branch .LBB225_253
.LBB225_258:                            ;   in Loop: Header=BB225_31 Depth=1
	s_or_b64 exec, exec, s[4:5]
	v_readlane_b32 s78, v58, 0
	v_lshrrev_b32_e32 v8, 16, v9
	s_and_b64 s[4:5], s[68:69], exec
	v_readlane_b32 s79, v58, 1
.LBB225_259:                            ;   in Loop: Header=BB225_31 Depth=1
	s_or_b64 exec, exec, s[60:61]
.LBB225_260:                            ;   in Loop: Header=BB225_31 Depth=1
	s_and_b64 vcc, exec, s[64:65]
	s_cbranch_vccz .LBB225_263
; %bb.261:                              ;   in Loop: Header=BB225_31 Depth=1
	v_readlane_b32 s64, v59, 31
	v_readlane_b32 s65, v59, 32
	s_mov_b32 s64, s59
	s_cmp_lg_u64 s[64:65], 0
	v_writelane_b32 v59, s64, 31
	v_writelane_b32 v59, s65, 32
	s_cbranch_scc0 .LBB225_264
; %bb.262:                              ;   in Loop: Header=BB225_31 Depth=1
	v_cvt_f32_u32_e32 v6, s33
	s_sub_u32 s10, 0, s33
	s_subb_u32 s11, 0, 0
	v_mac_f32_e32 v6, 0, v53
	v_rcp_f32_e32 v6, v6
	v_mul_f32_e32 v6, 0x5f7ffffc, v6
	v_mul_f32_e32 v7, 0x2f800000, v6
	v_trunc_f32_e32 v7, v7
	v_mac_f32_e32 v6, 0xcf800000, v7
	v_cvt_u32_f32_e32 v7, v7
	v_cvt_u32_f32_e32 v6, v6
	v_readfirstlane_b32 s58, v7
	v_readfirstlane_b32 s8, v6
	s_mul_i32 s9, s10, s58
	s_mul_hi_u32 s61, s10, s8
	s_mul_i32 s60, s11, s8
	s_add_i32 s9, s61, s9
	s_mul_i32 s62, s10, s8
	s_add_i32 s9, s9, s60
	s_mul_hi_u32 s61, s8, s62
	s_mul_i32 s63, s8, s9
	s_mul_hi_u32 s60, s8, s9
	s_add_u32 s61, s61, s63
	s_addc_u32 s60, 0, s60
	s_mul_hi_u32 s64, s58, s62
	s_mul_i32 s62, s58, s62
	s_add_u32 s61, s61, s62
	s_mul_hi_u32 s63, s58, s9
	s_addc_u32 s60, s60, s64
	s_addc_u32 s61, s63, 0
	s_mul_i32 s9, s58, s9
	s_add_u32 s9, s60, s9
	s_addc_u32 s60, 0, s61
	s_add_u32 s61, s8, s9
	s_cselect_b64 s[8:9], -1, 0
	s_cmp_lg_u64 s[8:9], 0
	s_addc_u32 s58, s58, s60
	s_mul_i32 s8, s10, s58
	s_mul_hi_u32 s9, s10, s61
	s_add_i32 s8, s9, s8
	s_mul_i32 s11, s11, s61
	s_add_i32 s8, s8, s11
	s_mul_i32 s10, s10, s61
	s_mul_hi_u32 s11, s58, s10
	s_mul_i32 s60, s58, s10
	s_mul_i32 s63, s61, s8
	s_mul_hi_u32 s10, s61, s10
	s_mul_hi_u32 s62, s61, s8
	s_add_u32 s10, s10, s63
	s_addc_u32 s62, 0, s62
	s_add_u32 s10, s10, s60
	s_mul_hi_u32 s9, s58, s8
	s_addc_u32 s10, s62, s11
	s_addc_u32 s9, s9, 0
	s_mul_i32 s8, s58, s8
	s_add_u32 s8, s10, s8
	s_addc_u32 s10, 0, s9
	s_add_u32 s11, s61, s8
	s_cselect_b64 s[8:9], -1, 0
	s_cmp_lg_u64 s[8:9], 0
	s_addc_u32 s8, s58, s10
	v_readlane_b32 s61, v59, 29
	s_mul_i32 s10, s61, s8
	s_mul_hi_u32 s58, s61, s11
	s_mul_hi_u32 s9, s61, s8
	s_add_u32 s10, s58, s10
	s_addc_u32 s9, 0, s9
	s_mul_hi_u32 s60, s65, s11
	s_mul_i32 s11, s65, s11
	s_add_u32 s10, s10, s11
	s_mul_hi_u32 s58, s65, s8
	s_addc_u32 s9, s9, s60
	s_addc_u32 s10, s58, 0
	s_mul_i32 s8, s65, s8
	s_add_u32 s8, s9, s8
	s_addc_u32 s9, 0, s10
	s_mul_i32 s9, s33, s9
	s_mul_hi_u32 s10, s33, s8
	s_add_i32 s10, s10, s9
	s_mul_i32 s8, s33, s8
	s_sub_u32 s11, s61, s8
	s_cselect_b64 s[8:9], -1, 0
	s_cmp_lg_u64 s[8:9], 0
	s_subb_u32 s10, s65, s10
	s_sub_u32 s58, s11, s33
	s_cselect_b64 s[8:9], -1, 0
	s_cmp_lg_u64 s[8:9], 0
	s_subb_u32 s60, s10, 0
	;; [unrolled: 4-line block ×3, first 2 shown]
	s_cmp_ge_u32 s58, s33
	s_cselect_b32 s9, -1, 0
	s_cmp_eq_u32 s60, 0
	s_cselect_b32 s9, s9, -1
	s_cmp_lg_u32 s9, 0
	s_cselect_b32 s8, s8, s60
	s_cselect_b32 s58, s61, s58
	s_cmp_ge_u32 s11, s33
	s_cselect_b32 s9, -1, 0
	s_cmp_eq_u32 s10, 0
	s_cselect_b32 s9, s9, -1
	s_cmp_lg_u32 s9, 0
	s_cselect_b32 s9, s8, s10
	s_cselect_b32 s8, s58, s11
	s_mov_b64 s[10:11], 0
	s_branch .LBB225_265
.LBB225_263:                            ;   in Loop: Header=BB225_31 Depth=1
	s_mov_b64 s[64:65], -1
	s_branch .LBB225_277
.LBB225_264:                            ;   in Loop: Header=BB225_31 Depth=1
	s_mov_b64 s[10:11], -1
                                        ; implicit-def: $sgpr8_sgpr9
.LBB225_265:                            ;   in Loop: Header=BB225_31 Depth=1
	s_andn2_b64 vcc, exec, s[10:11]
	s_cbranch_vccnz .LBB225_267
; %bb.266:                              ;   in Loop: Header=BB225_31 Depth=1
	v_cvt_f32_u32_e32 v6, s33
	s_sub_i32 s8, 0, s33
	v_readlane_b32 s10, v59, 29
	v_rcp_iflag_f32_e32 v6, v6
	v_mul_f32_e32 v6, 0x4f7ffffe, v6
	v_cvt_u32_f32_e32 v6, v6
	v_readfirstlane_b32 s9, v6
	s_mul_i32 s8, s8, s9
	s_mul_hi_u32 s8, s9, s8
	s_add_i32 s9, s9, s8
	s_mul_hi_u32 s8, s10, s9
	s_mul_i32 s8, s8, s33
	s_sub_i32 s8, s10, s8
	s_sub_i32 s9, s8, s33
	s_cmp_ge_u32 s8, s33
	s_cselect_b32 s8, s9, s8
	s_sub_i32 s9, s8, s33
	s_cmp_ge_u32 s8, s33
	s_cselect_b32 s58, s9, s8
	s_mov_b64 s[8:9], s[58:59]
.LBB225_267:                            ;   in Loop: Header=BB225_31 Depth=1
	v_readlane_b32 s10, v59, 29
	s_sub_u32 s64, s10, s8
	v_readlane_b32 s10, v59, 31
	v_readlane_b32 s11, v59, 32
	s_subb_u32 s65, s11, s9
	v_cmp_gt_u64_e32 vcc, s[64:65], v[0:1]
                                        ; implicit-def: $vgpr8
	s_and_saveexec_b64 s[10:11], vcc
	v_readlane_b32 s58, v59, 57
	s_cbranch_execz .LBB225_276
; %bb.268:                              ;   in Loop: Header=BB225_31 Depth=1
	v_mov_b32_e32 v6, v26
	v_mov_b32_e32 v9, v1
	s_mov_b64 s[60:61], 0
	v_mov_b32_e32 v7, v27
	v_mov_b32_e32 v8, v0
                                        ; implicit-def: $sgpr62_sgpr63
	s_branch .LBB225_271
.LBB225_269:                            ;   in Loop: Header=BB225_271 Depth=2
	s_or_b64 exec, exec, s[8:9]
	s_waitcnt lgkmcnt(0)
	s_barrier
	ds_read_b32 v31, v3 offset:3072
	s_mov_b64 s[8:9], -1
	s_mov_b64 s[68:69], -1
	s_waitcnt lgkmcnt(0)
	s_barrier
	v_and_b32_e32 v32, 0x7fff, v31
	v_cmp_eq_u32_e32 vcc, 0, v32
	s_cbranch_vccnz .LBB225_274
.LBB225_270:                            ;   in Loop: Header=BB225_271 Depth=2
	s_and_b64 s[8:9], exec, s[8:9]
	s_or_b64 s[60:61], s[8:9], s[60:61]
	s_andn2_b64 s[8:9], s[62:63], exec
	s_and_b64 s[62:63], s[68:69], exec
	s_or_b64 s[62:63], s[8:9], s[62:63]
	s_andn2_b64 exec, exec, s[60:61]
	s_cbranch_execz .LBB225_275
.LBB225_271:                            ;   Parent Loop BB225_31 Depth=1
                                        ; =>  This Inner Loop Header: Depth=2
	v_cmp_gt_u64_e32 vcc, s[28:29], v[8:9]
	s_and_saveexec_b64 s[8:9], vcc
	s_cbranch_execz .LBB225_269
; %bb.272:                              ;   in Loop: Header=BB225_271 Depth=2
	global_load_ushort v31, v[6:7], off
	s_waitcnt vmcnt(0)
	v_cmp_lt_i16_e32 vcc, -1, v31
	v_cndmask_b32_e32 v32, v51, v52, vcc
	v_lshlrev_b32_e32 v33, 16, v31
	v_cmp_o_f32_e32 vcc, v33, v33
	v_xor_b32_sdwa v32, v32, v31 dst_sel:DWORD dst_unused:UNUSED_PAD src0_sel:DWORD src1_sel:WORD_0
	v_cndmask_b32_e32 v32, v51, v32, vcc
	v_and_b32_e32 v32, v32, v10
	v_cmp_eq_u32_e32 vcc, v32, v11
	s_and_b64 exec, exec, vcc
	s_cbranch_execz .LBB225_269
; %bb.273:                              ;   in Loop: Header=BB225_271 Depth=2
	s_movk_i32 s68, 0x3f80
	v_perm_b32 v31, v31, s68, v55
	ds_write_b32 v3, v31 offset:3072
	s_branch .LBB225_269
.LBB225_274:                            ;   in Loop: Header=BB225_271 Depth=2
	v_add_co_u32_e32 v8, vcc, s33, v8
	v_addc_co_u32_e32 v9, vcc, 0, v9, vcc
	v_mov_b32_e32 v32, s37
	v_add_co_u32_e32 v6, vcc, s36, v6
	v_addc_co_u32_e32 v7, vcc, v7, v32, vcc
	v_cmp_le_u64_e32 vcc, s[64:65], v[8:9]
	s_mov_b64 s[68:69], 0
	s_orn2_b64 s[8:9], vcc, exec
	s_branch .LBB225_270
.LBB225_275:                            ;   in Loop: Header=BB225_31 Depth=1
	s_or_b64 exec, exec, s[60:61]
	s_andn2_b64 s[4:5], s[4:5], exec
	s_and_b64 s[8:9], s[62:63], exec
	v_lshrrev_b32_e32 v8, 16, v31
	s_or_b64 s[4:5], s[4:5], s[8:9]
.LBB225_276:                            ;   in Loop: Header=BB225_31 Depth=1
	s_or_b64 exec, exec, s[10:11]
	s_mov_b64 s[8:9], -1
	v_writelane_b32 v59, s8, 62
	s_mov_b64 s[64:65], 0
	v_writelane_b32 v59, s9, 63
.LBB225_277:                            ;   in Loop: Header=BB225_31 Depth=1
	s_orn2_b64 s[10:11], s[4:5], exec
.LBB225_278:                            ;   in Loop: Header=BB225_31 Depth=1
	v_readlane_b32 s4, v58, 6
	v_readlane_b32 s5, v58, 7
	s_or_b64 exec, exec, s[4:5]
	s_mov_b64 s[8:9], 0
	s_and_saveexec_b64 s[4:5], s[10:11]
	v_readlane_b32 s60, v58, 2
	v_readlane_b32 s61, v58, 3
	s_cbranch_execz .LBB225_289
; %bb.279:                              ;   in Loop: Header=BB225_31 Depth=1
	v_readlane_b32 s8, v58, 4
	v_readlane_b32 s9, v58, 5
	v_mov_b32_e32 v6, 1
	s_xor_b64 s[8:9], s[8:9], -1
	v_mov_b32_e32 v7, 0
	v_mov_b32_e32 v2, 1
	s_and_saveexec_b64 s[10:11], s[8:9]
	s_cbranch_execz .LBB225_288
; %bb.280:                              ;   in Loop: Header=BB225_31 Depth=1
	v_cmp_ge_u64_e32 vcc, s[2:3], v[4:5]
	s_and_saveexec_b64 s[8:9], vcc
	s_xor_b64 s[60:61], exec, s[8:9]
	s_cbranch_execz .LBB225_285
; %bb.281:                              ;   in Loop: Header=BB225_31 Depth=1
	ds_read_b64 v[6:7], v3 offset:5120
	v_or_b32_e32 v11, s0, v11
	v_or_b32_e32 v10, s0, v10
	s_waitcnt lgkmcnt(0)
	v_cmp_ne_u64_e32 vcc, 0, v[6:7]
	s_cbranch_vccnz .LBB225_285
; %bb.282:                              ;   in Loop: Header=BB225_31 Depth=1
	s_mov_b64 s[8:9], exec
	v_readlane_b32 s62, v59, 8
	v_readlane_b32 s63, v59, 9
	s_and_b64 s[62:63], s[8:9], s[62:63]
	s_mov_b64 exec, s[62:63]
; %bb.283:                              ;   in Loop: Header=BB225_31 Depth=1
	v_mov_b32_e32 v7, s3
	v_mov_b32_e32 v6, s2
	ds_write_b64 v3, v[6:7] offset:5128
; %bb.284:                              ;   in Loop: Header=BB225_31 Depth=1
	s_or_b64 exec, exec, s[8:9]
	s_waitcnt lgkmcnt(0)
	s_barrier
.LBB225_285:                            ;   in Loop: Header=BB225_31 Depth=1
	s_andn2_saveexec_b64 s[8:9], s[60:61]
; %bb.286:                              ;   in Loop: Header=BB225_31 Depth=1
	v_mov_b32_e32 v2, s3
	v_subrev_co_u32_e32 v4, vcc, s2, v4
	v_subb_co_u32_e32 v5, vcc, v5, v2, vcc
; %bb.287:                              ;   in Loop: Header=BB225_31 Depth=1
	s_or_b64 exec, exec, s[8:9]
	v_mov_b32_e32 v7, v5
	v_readlane_b32 s60, v58, 2
	v_mov_b32_e32 v2, 8
	v_mov_b32_e32 v6, v4
	v_readlane_b32 s61, v58, 3
.LBB225_288:                            ;   in Loop: Header=BB225_31 Depth=1
	s_or_b64 exec, exec, s[10:11]
	v_mov_b32_e32 v4, v6
	s_mov_b64 s[8:9], exec
	v_mov_b32_e32 v5, v7
.LBB225_289:                            ;   in Loop: Header=BB225_31 Depth=1
	s_or_b64 exec, exec, s[4:5]
	s_orn2_b64 s[4:5], s[8:9], exec
.LBB225_290:                            ;   in Loop: Header=BB225_31 Depth=1
	s_or_b64 exec, exec, s[60:61]
	v_readlane_b32 s8, v59, 58
	v_readlane_b32 s10, v59, 62
	;; [unrolled: 1-line block ×4, first 2 shown]
	s_andn2_b64 s[8:9], s[8:9], exec
	s_and_b64 s[10:11], s[10:11], exec
	s_or_b64 s[8:9], s[8:9], s[10:11]
	v_writelane_b32 v59, s8, 58
	v_writelane_b32 v59, s9, 59
	v_readlane_b32 s8, v59, 60
	v_readlane_b32 s9, v59, 61
	s_andn2_b64 s[8:9], s[8:9], exec
	s_and_b64 s[10:11], s[64:65], exec
	s_or_b64 s[8:9], s[8:9], s[10:11]
	v_mov_b32_e32 v7, v5
	v_writelane_b32 v59, s8, 60
	s_and_b64 s[10:11], s[4:5], exec
	v_mov_b32_e32 v6, v4
	v_writelane_b32 v59, s9, 61
.LBB225_291:                            ;   in Loop: Header=BB225_31 Depth=1
	s_or_b64 exec, exec, s[12:13]
	s_orn2_b64 s[4:5], s[10:11], exec
.LBB225_292:                            ;   in Loop: Header=BB225_31 Depth=1
	s_or_b64 exec, exec, s[78:79]
	v_readlane_b32 s10, v59, 58
	v_readlane_b32 s11, v59, 59
	s_andn2_b64 s[8:9], s[40:41], exec
	s_and_b64 s[10:11], s[10:11], exec
	s_or_b64 s[40:41], s[8:9], s[10:11]
	v_readlane_b32 s10, v59, 60
	v_readlane_b32 s11, v59, 61
	s_andn2_b64 s[8:9], s[14:15], exec
	s_and_b64 s[10:11], s[10:11], exec
	v_mov_b32_e32 v4, v6
	s_or_b64 s[14:15], s[8:9], s[10:11]
	s_and_b64 s[10:11], s[4:5], exec
	v_mov_b32_e32 v5, v7
.LBB225_293:                            ;   in Loop: Header=BB225_31 Depth=1
	s_or_b64 exec, exec, s[72:73]
	s_orn2_b64 s[4:5], s[10:11], exec
.LBB225_294:                            ;   in Loop: Header=BB225_31 Depth=1
	s_or_b64 exec, exec, s[6:7]
	s_mov_b64 s[6:7], 0
	s_mov_b64 s[8:9], 0
	s_and_saveexec_b64 s[10:11], s[4:5]
	s_xor_b64 s[4:5], exec, s[10:11]
; %bb.295:                              ;   in Loop: Header=BB225_31 Depth=1
	v_cmp_eq_u32_e32 vcc, 8, v2
	v_cmp_ne_u32_e64 s[6:7], 8, v2
	s_and_b64 s[8:9], s[6:7], exec
	s_and_b64 s[6:7], vcc, exec
; %bb.296:                              ;   in Loop: Header=BB225_31 Depth=1
	s_or_b64 exec, exec, s[4:5]
	s_andn2_b64 s[4:5], s[20:21], exec
	s_and_b64 s[10:11], s[40:41], exec
	s_or_b64 s[20:21], s[4:5], s[10:11]
	s_andn2_b64 s[4:5], s[42:43], exec
	s_and_b64 s[10:11], s[14:15], exec
	s_or_b64 s[42:43], s[4:5], s[10:11]
	s_and_b64 s[14:15], s[8:9], exec
	s_and_b64 s[40:41], s[6:7], exec
.LBB225_297:                            ;   in Loop: Header=BB225_31 Depth=1
	s_or_b64 exec, exec, s[70:71]
.LBB225_298:                            ;   in Loop: Header=BB225_31 Depth=1
	s_and_b64 vcc, exec, s[74:75]
	s_cbranch_vccz .LBB225_314
; %bb.299:                              ;   in Loop: Header=BB225_31 Depth=1
	s_cmp_eq_u64 s[2:3], 1
	s_cselect_b64 s[4:5], -1, 0
	s_and_b64 s[6:7], s[4:5], s[18:19]
	s_mov_b64 s[4:5], -1
                                        ; implicit-def: $sgpr18_sgpr19
                                        ; implicit-def: $sgpr24_sgpr25
	s_and_saveexec_b64 s[8:9], s[6:7]
	s_cbranch_execz .LBB225_332
; %bb.300:                              ;   in Loop: Header=BB225_31 Depth=1
	ds_read_b64 v[4:5], v3 offset:5120
	s_waitcnt lgkmcnt(0)
	s_barrier
	v_readfirstlane_b32 s4, v4
	v_readfirstlane_b32 s5, v5
	s_mov_b64 s[10:11], exec
	v_readlane_b32 s12, v59, 24
	v_readlane_b32 s13, v59, 25
	s_and_b64 s[12:13], s[10:11], s[12:13]
	s_mov_b64 exec, s[12:13]
; %bb.301:                              ;   in Loop: Header=BB225_31 Depth=1
	ds_write_b16 v50, v3
; %bb.302:                              ;   in Loop: Header=BB225_31 Depth=1
	s_or_b64 exec, exec, s[10:11]
	v_or_b32_e32 v47, s0, v47
	v_or_b32_e32 v56, s0, v56
	s_mov_b64 s[24:25], -1
	s_mov_b64 s[18:19], 0
	s_cmp_eq_u64 s[4:5], 0
	s_mov_b64 s[10:11], 0
	s_mov_b64 s[12:13], -1
	s_waitcnt lgkmcnt(0)
	s_barrier
                                        ; implicit-def: $vgpr57
	s_cbranch_scc1 .LBB225_317
; %bb.303:                              ;   in Loop: Header=BB225_31 Depth=1
	v_readlane_b32 s10, v59, 28
	s_add_u32 s42, s4, s10
	v_readlane_b32 s10, v59, 30
	s_addc_u32 s11, s5, s10
	s_mov_b32 s10, s59
	s_cmp_lg_u64 s[10:11], 0
	s_cbranch_scc0 .LBB225_358
; %bb.304:                              ;   in Loop: Header=BB225_31 Depth=1
	v_cvt_f32_u32_e32 v2, s33
	s_sub_u32 s10, 0, s33
	s_subb_u32 s20, 0, 0
	v_mac_f32_e32 v2, 0, v53
	v_rcp_f32_e32 v2, v2
	v_mul_f32_e32 v2, 0x5f7ffffc, v2
	v_mul_f32_e32 v4, 0x2f800000, v2
	v_trunc_f32_e32 v4, v4
	v_mac_f32_e32 v2, 0xcf800000, v4
	v_cvt_u32_f32_e32 v4, v4
	v_cvt_u32_f32_e32 v2, v2
	v_readfirstlane_b32 s21, v4
	v_readfirstlane_b32 s12, v2
	s_mul_i32 s13, s10, s21
	s_mul_hi_u32 s58, s10, s12
	s_mul_i32 s43, s20, s12
	s_add_i32 s13, s58, s13
	s_mul_i32 s60, s10, s12
	s_add_i32 s13, s13, s43
	s_mul_hi_u32 s58, s12, s60
	s_mul_i32 s61, s12, s13
	s_mul_hi_u32 s43, s12, s13
	s_add_u32 s58, s58, s61
	s_addc_u32 s43, 0, s43
	s_mul_hi_u32 s62, s21, s60
	s_mul_i32 s60, s21, s60
	s_add_u32 s58, s58, s60
	s_mul_hi_u32 s61, s21, s13
	s_addc_u32 s43, s43, s62
	s_addc_u32 s58, s61, 0
	s_mul_i32 s13, s21, s13
	s_add_u32 s13, s43, s13
	s_addc_u32 s43, 0, s58
	s_add_u32 s58, s12, s13
	s_cselect_b64 s[12:13], -1, 0
	s_cmp_lg_u64 s[12:13], 0
	s_addc_u32 s21, s21, s43
	s_mul_i32 s12, s10, s21
	s_mul_hi_u32 s13, s10, s58
	s_add_i32 s12, s13, s12
	s_mul_i32 s20, s20, s58
	s_add_i32 s12, s12, s20
	s_mul_i32 s10, s10, s58
	s_mul_hi_u32 s20, s21, s10
	s_mul_i32 s43, s21, s10
	s_mul_i32 s61, s58, s12
	s_mul_hi_u32 s10, s58, s10
	s_mul_hi_u32 s60, s58, s12
	s_add_u32 s10, s10, s61
	s_addc_u32 s60, 0, s60
	s_add_u32 s10, s10, s43
	s_mul_hi_u32 s13, s21, s12
	s_addc_u32 s10, s60, s20
	s_addc_u32 s13, s13, 0
	s_mul_i32 s12, s21, s12
	s_add_u32 s10, s10, s12
	s_addc_u32 s20, 0, s13
	s_add_u32 s10, s58, s10
	s_cselect_b64 s[12:13], -1, 0
	s_cmp_lg_u64 s[12:13], 0
	s_addc_u32 s12, s21, s20
	s_mul_i32 s20, s42, s12
	s_mul_hi_u32 s21, s42, s10
	s_mul_hi_u32 s13, s42, s12
	s_add_u32 s20, s21, s20
	s_addc_u32 s13, 0, s13
	s_mul_hi_u32 s43, s11, s10
	s_mul_i32 s10, s11, s10
	s_add_u32 s10, s20, s10
	s_mul_hi_u32 s21, s11, s12
	s_addc_u32 s10, s13, s43
	s_addc_u32 s13, s21, 0
	s_mul_i32 s12, s11, s12
	s_add_u32 s10, s10, s12
	s_addc_u32 s12, 0, s13
	s_mul_i32 s12, s33, s12
	s_mul_hi_u32 s13, s33, s10
	s_add_i32 s20, s13, s12
	s_mul_i32 s10, s33, s10
	s_sub_u32 s10, s42, s10
	s_cselect_b64 s[12:13], -1, 0
	s_cmp_lg_u64 s[12:13], 0
	s_subb_u32 s20, s11, s20
	s_sub_u32 s21, s10, s33
	s_cselect_b64 s[12:13], -1, 0
	s_cmp_lg_u64 s[12:13], 0
	s_subb_u32 s43, s20, 0
	;; [unrolled: 4-line block ×3, first 2 shown]
	s_cmp_ge_u32 s21, s33
	s_cselect_b32 s13, -1, 0
	s_cmp_eq_u32 s43, 0
	s_cselect_b32 s13, s13, -1
	s_cmp_lg_u32 s13, 0
	s_cselect_b32 s12, s12, s43
	s_cselect_b32 s21, s58, s21
	s_cmp_ge_u32 s10, s33
	s_cselect_b32 s13, -1, 0
	s_cmp_eq_u32 s20, 0
	s_cselect_b32 s13, s13, -1
	s_cmp_lg_u32 s13, 0
	s_cselect_b32 s13, s12, s20
	s_cselect_b32 s12, s21, s10
	s_cbranch_execnz .LBB225_306
.LBB225_305:                            ;   in Loop: Header=BB225_31 Depth=1
	v_cvt_f32_u32_e32 v2, s33
	s_sub_i32 s10, 0, s33
	v_rcp_iflag_f32_e32 v2, v2
	v_mul_f32_e32 v2, 0x4f7ffffe, v2
	v_cvt_u32_f32_e32 v2, v2
	v_readfirstlane_b32 s12, v2
	s_mul_i32 s10, s10, s12
	s_mul_hi_u32 s10, s12, s10
	s_add_i32 s12, s12, s10
	s_mul_hi_u32 s10, s42, s12
	s_mul_i32 s10, s10, s33
	s_sub_i32 s10, s42, s10
	s_sub_i32 s12, s10, s33
	s_cmp_ge_u32 s10, s33
	s_cselect_b32 s10, s12, s10
	s_sub_i32 s12, s10, s33
	s_cmp_ge_u32 s10, s33
	s_cselect_b32 s58, s12, s10
	s_mov_b64 s[12:13], s[58:59]
.LBB225_306:                            ;   in Loop: Header=BB225_31 Depth=1
	s_sub_u32 s42, s42, s12
	s_subb_u32 s43, s11, s13
	v_cmp_gt_u64_e32 vcc, s[42:43], v[0:1]
	s_mov_b64 s[12:13], 0
	s_mov_b64 s[10:11], 0
                                        ; implicit-def: $vgpr57
	s_and_saveexec_b64 s[20:21], vcc
	v_readlane_b32 s58, v59, 57
	s_cbranch_execz .LBB225_316
; %bb.307:                              ;   in Loop: Header=BB225_31 Depth=1
	v_mov_b32_e32 v5, v1
	v_mov_b32_e32 v2, v49
	;; [unrolled: 1-line block ×3, first 2 shown]
                                        ; implicit-def: $sgpr60_sgpr61
	s_branch .LBB225_310
.LBB225_308:                            ;   in Loop: Header=BB225_310 Depth=2
	s_or_b64 exec, exec, s[62:63]
	s_waitcnt lgkmcnt(0)
	s_barrier
	ds_read_b32 v6, v3 offset:3072
	s_mov_b64 s[62:63], -1
	s_mov_b64 s[64:65], -1
	s_waitcnt lgkmcnt(0)
	s_barrier
	v_and_b32_e32 v7, 0x7fff, v6
	v_cmp_ne_u32_e32 vcc, 0, v7
	s_cbranch_vccz .LBB225_313
.LBB225_309:                            ;   in Loop: Header=BB225_310 Depth=2
	s_and_b64 s[62:63], exec, s[62:63]
	s_or_b64 s[10:11], s[62:63], s[10:11]
	s_andn2_b64 s[60:61], s[60:61], exec
	s_and_b64 s[62:63], s[64:65], exec
	s_or_b64 s[60:61], s[60:61], s[62:63]
	s_andn2_b64 exec, exec, s[10:11]
	s_cbranch_execz .LBB225_315
.LBB225_310:                            ;   Parent Loop BB225_31 Depth=1
                                        ; =>  This Inner Loop Header: Depth=2
	v_cmp_gt_u64_e32 vcc, s[4:5], v[4:5]
	s_and_saveexec_b64 s[62:63], vcc
	s_cbranch_execz .LBB225_308
; %bb.311:                              ;   in Loop: Header=BB225_310 Depth=2
	ds_read_u16 v6, v2
	s_waitcnt lgkmcnt(0)
	v_cmp_lt_i16_e32 vcc, -1, v6
	v_cndmask_b32_e32 v7, v51, v52, vcc
	v_lshlrev_b32_e32 v8, 16, v6
	v_cmp_o_f32_e32 vcc, v8, v8
	v_xor_b32_sdwa v7, v7, v6 dst_sel:DWORD dst_unused:UNUSED_PAD src0_sel:DWORD src1_sel:WORD_0
	v_cndmask_b32_e32 v7, v51, v7, vcc
	v_and_b32_e32 v7, v7, v56
	v_cmp_eq_u32_e32 vcc, v7, v47
	s_and_b64 exec, exec, vcc
	s_cbranch_execz .LBB225_308
; %bb.312:                              ;   in Loop: Header=BB225_310 Depth=2
	s_movk_i32 s64, 0x3f80
	v_perm_b32 v6, v6, s64, v55
	ds_write_b32 v3, v6 offset:3072
	s_branch .LBB225_308
.LBB225_313:                            ;   in Loop: Header=BB225_310 Depth=2
	v_add_co_u32_e32 v4, vcc, s33, v4
	v_addc_co_u32_e32 v5, vcc, 0, v5, vcc
	v_cmp_le_u64_e32 vcc, s[42:43], v[4:5]
	v_readlane_b32 s58, v59, 48
	v_add_u32_e32 v2, s58, v2
	v_readlane_b32 s58, v59, 57
	s_mov_b64 s[64:65], 0
	s_orn2_b64 s[62:63], vcc, exec
	s_branch .LBB225_309
.LBB225_314:                            ;   in Loop: Header=BB225_31 Depth=1
	s_mov_b64 s[18:19], 0
	v_mov_b32_e32 v47, v11
	v_mov_b32_e32 v56, v10
	;; [unrolled: 1-line block ×3, first 2 shown]
	s_and_saveexec_b64 s[2:3], s[40:41]
	s_cbranch_execnz .LBB225_492
	s_branch .LBB225_493
.LBB225_315:                            ;   in Loop: Header=BB225_31 Depth=1
	s_or_b64 exec, exec, s[10:11]
	v_lshrrev_b32_e32 v57, 16, v6
	s_and_b64 s[10:11], s[60:61], exec
.LBB225_316:                            ;   in Loop: Header=BB225_31 Depth=1
	s_or_b64 exec, exec, s[20:21]
.LBB225_317:                            ;   in Loop: Header=BB225_31 Depth=1
	s_and_b64 vcc, exec, s[12:13]
	s_cbranch_vccz .LBB225_331
; %bb.318:                              ;   in Loop: Header=BB225_31 Depth=1
	v_readlane_b32 s42, v59, 31
	v_readlane_b32 s43, v59, 32
	s_mov_b32 s42, s59
	s_cmp_lg_u64 s[42:43], 0
	v_writelane_b32 v59, s42, 31
	v_writelane_b32 v59, s43, 32
	s_cbranch_scc0 .LBB225_359
; %bb.319:                              ;   in Loop: Header=BB225_31 Depth=1
	v_cvt_f32_u32_e32 v2, s33
	s_sub_u32 s12, 0, s33
	s_subb_u32 s13, 0, 0
	v_mac_f32_e32 v2, 0, v53
	v_rcp_f32_e32 v2, v2
	v_mul_f32_e32 v2, 0x5f7ffffc, v2
	v_mul_f32_e32 v4, 0x2f800000, v2
	v_trunc_f32_e32 v4, v4
	v_mac_f32_e32 v2, 0xcf800000, v4
	v_cvt_u32_f32_e32 v4, v4
	v_cvt_u32_f32_e32 v2, v2
	v_readfirstlane_b32 s18, v4
	v_readfirstlane_b32 s4, v2
	s_mul_i32 s5, s12, s18
	s_mul_hi_u32 s20, s12, s4
	s_mul_i32 s19, s13, s4
	s_add_i32 s5, s20, s5
	s_mul_i32 s21, s12, s4
	s_add_i32 s5, s5, s19
	s_mul_hi_u32 s20, s4, s21
	s_mul_i32 s24, s4, s5
	s_mul_hi_u32 s19, s4, s5
	s_add_u32 s20, s20, s24
	s_addc_u32 s19, 0, s19
	s_mul_hi_u32 s25, s18, s21
	s_mul_i32 s21, s18, s21
	s_add_u32 s20, s20, s21
	s_mul_hi_u32 s24, s18, s5
	s_addc_u32 s19, s19, s25
	s_addc_u32 s20, s24, 0
	s_mul_i32 s5, s18, s5
	s_add_u32 s5, s19, s5
	s_addc_u32 s19, 0, s20
	s_add_u32 s20, s4, s5
	s_cselect_b64 s[4:5], -1, 0
	s_cmp_lg_u64 s[4:5], 0
	s_addc_u32 s18, s18, s19
	s_mul_i32 s4, s12, s18
	s_mul_hi_u32 s5, s12, s20
	s_add_i32 s4, s5, s4
	s_mul_i32 s13, s13, s20
	s_add_i32 s4, s4, s13
	s_mul_i32 s12, s12, s20
	s_mul_hi_u32 s13, s18, s12
	s_mul_i32 s19, s18, s12
	s_mul_i32 s24, s20, s4
	s_mul_hi_u32 s12, s20, s12
	s_mul_hi_u32 s21, s20, s4
	s_add_u32 s12, s12, s24
	s_addc_u32 s21, 0, s21
	s_add_u32 s12, s12, s19
	s_mul_hi_u32 s5, s18, s4
	s_addc_u32 s12, s21, s13
	s_addc_u32 s5, s5, 0
	s_mul_i32 s4, s18, s4
	s_add_u32 s4, s12, s4
	s_addc_u32 s12, 0, s5
	s_add_u32 s13, s20, s4
	s_cselect_b64 s[4:5], -1, 0
	s_cmp_lg_u64 s[4:5], 0
	s_addc_u32 s4, s18, s12
	v_readlane_b32 s20, v59, 29
	s_mul_i32 s12, s20, s4
	s_mul_hi_u32 s18, s20, s13
	s_mul_hi_u32 s5, s20, s4
	s_add_u32 s12, s18, s12
	s_addc_u32 s5, 0, s5
	s_mul_hi_u32 s19, s43, s13
	s_mul_i32 s13, s43, s13
	s_add_u32 s12, s12, s13
	s_mul_hi_u32 s18, s43, s4
	s_addc_u32 s5, s5, s19
	s_addc_u32 s12, s18, 0
	s_mul_i32 s4, s43, s4
	s_add_u32 s4, s5, s4
	s_addc_u32 s5, 0, s12
	s_mul_i32 s5, s33, s5
	s_mul_hi_u32 s12, s33, s4
	s_add_i32 s12, s12, s5
	s_mul_i32 s4, s33, s4
	s_sub_u32 s13, s20, s4
	s_cselect_b64 s[4:5], -1, 0
	s_cmp_lg_u64 s[4:5], 0
	s_subb_u32 s12, s43, s12
	s_sub_u32 s18, s13, s33
	s_cselect_b64 s[4:5], -1, 0
	s_cmp_lg_u64 s[4:5], 0
	s_subb_u32 s19, s12, 0
	;; [unrolled: 4-line block ×3, first 2 shown]
	s_cmp_ge_u32 s18, s33
	s_cselect_b32 s5, -1, 0
	s_cmp_eq_u32 s19, 0
	s_cselect_b32 s5, s5, -1
	s_cmp_lg_u32 s5, 0
	s_cselect_b32 s4, s4, s19
	s_cselect_b32 s18, s20, s18
	s_cmp_ge_u32 s13, s33
	s_cselect_b32 s5, -1, 0
	s_cmp_eq_u32 s12, 0
	s_cselect_b32 s5, s5, -1
	s_cmp_lg_u32 s5, 0
	s_cselect_b32 s5, s4, s12
	s_cselect_b32 s4, s18, s13
	s_cbranch_execnz .LBB225_321
.LBB225_320:                            ;   in Loop: Header=BB225_31 Depth=1
	v_cvt_f32_u32_e32 v2, s33
	s_sub_i32 s4, 0, s33
	v_readlane_b32 s12, v59, 29
	v_rcp_iflag_f32_e32 v2, v2
	v_mul_f32_e32 v2, 0x4f7ffffe, v2
	v_cvt_u32_f32_e32 v2, v2
	v_readfirstlane_b32 s5, v2
	s_mul_i32 s4, s4, s5
	s_mul_hi_u32 s4, s5, s4
	s_add_i32 s5, s5, s4
	s_mul_hi_u32 s4, s12, s5
	s_mul_i32 s4, s4, s33
	s_sub_i32 s4, s12, s4
	s_sub_i32 s5, s4, s33
	s_cmp_ge_u32 s4, s33
	s_cselect_b32 s4, s5, s4
	s_sub_i32 s5, s4, s33
	s_cmp_ge_u32 s4, s33
	s_cselect_b32 s58, s5, s4
	s_mov_b64 s[4:5], s[58:59]
	v_readlane_b32 s58, v59, 57
.LBB225_321:                            ;   in Loop: Header=BB225_31 Depth=1
	v_readlane_b32 s12, v59, 29
	v_readlane_b32 s18, v59, 31
	s_sub_u32 s12, s12, s4
	v_readlane_b32 s19, v59, 32
	s_subb_u32 s13, s19, s5
	v_cmp_gt_u64_e32 vcc, s[12:13], v[0:1]
                                        ; implicit-def: $vgpr57
	s_and_saveexec_b64 s[4:5], vcc
	s_cbranch_execz .LBB225_330
; %bb.322:                              ;   in Loop: Header=BB225_31 Depth=1
	v_mov_b32_e32 v4, v26
	v_mov_b32_e32 v7, v1
	s_mov_b64 s[18:19], 0
	v_mov_b32_e32 v5, v27
	v_mov_b32_e32 v6, v0
                                        ; implicit-def: $sgpr20_sgpr21
	s_branch .LBB225_325
.LBB225_323:                            ;   in Loop: Header=BB225_325 Depth=2
	s_or_b64 exec, exec, s[24:25]
	s_waitcnt lgkmcnt(0)
	s_barrier
	ds_read_b32 v2, v3 offset:3072
	s_mov_b64 s[24:25], -1
	s_mov_b64 s[42:43], -1
	s_waitcnt lgkmcnt(0)
	s_barrier
	v_and_b32_e32 v8, 0x7fff, v2
	v_cmp_ne_u32_e32 vcc, 0, v8
	s_cbranch_vccz .LBB225_328
.LBB225_324:                            ;   in Loop: Header=BB225_325 Depth=2
	s_and_b64 s[24:25], exec, s[24:25]
	s_or_b64 s[18:19], s[24:25], s[18:19]
	s_andn2_b64 s[20:21], s[20:21], exec
	s_and_b64 s[24:25], s[42:43], exec
	s_or_b64 s[20:21], s[20:21], s[24:25]
	s_andn2_b64 exec, exec, s[18:19]
	s_cbranch_execz .LBB225_329
.LBB225_325:                            ;   Parent Loop BB225_31 Depth=1
                                        ; =>  This Inner Loop Header: Depth=2
	v_cmp_gt_u64_e32 vcc, s[28:29], v[6:7]
	s_and_saveexec_b64 s[24:25], vcc
	s_cbranch_execz .LBB225_323
; %bb.326:                              ;   in Loop: Header=BB225_325 Depth=2
	global_load_ushort v2, v[4:5], off
	s_waitcnt vmcnt(0)
	v_cmp_lt_i16_e32 vcc, -1, v2
	v_cndmask_b32_e32 v8, v51, v52, vcc
	v_lshlrev_b32_e32 v9, 16, v2
	v_cmp_o_f32_e32 vcc, v9, v9
	v_xor_b32_sdwa v8, v8, v2 dst_sel:DWORD dst_unused:UNUSED_PAD src0_sel:DWORD src1_sel:WORD_0
	v_cndmask_b32_e32 v8, v51, v8, vcc
	v_and_b32_e32 v8, v8, v56
	v_cmp_eq_u32_e32 vcc, v8, v47
	s_and_b64 exec, exec, vcc
	s_cbranch_execz .LBB225_323
; %bb.327:                              ;   in Loop: Header=BB225_325 Depth=2
	s_movk_i32 s42, 0x3f80
	v_perm_b32 v2, v2, s42, v55
	ds_write_b32 v3, v2 offset:3072
	s_branch .LBB225_323
.LBB225_328:                            ;   in Loop: Header=BB225_325 Depth=2
	v_add_co_u32_e32 v6, vcc, s33, v6
	v_addc_co_u32_e32 v7, vcc, 0, v7, vcc
	v_mov_b32_e32 v8, s37
	v_add_co_u32_e32 v4, vcc, s36, v4
	v_addc_co_u32_e32 v5, vcc, v5, v8, vcc
	v_cmp_le_u64_e32 vcc, s[12:13], v[6:7]
	s_mov_b64 s[42:43], 0
	s_orn2_b64 s[24:25], vcc, exec
	s_branch .LBB225_324
.LBB225_329:                            ;   in Loop: Header=BB225_31 Depth=1
	s_or_b64 exec, exec, s[18:19]
	s_andn2_b64 s[10:11], s[10:11], exec
	s_and_b64 s[12:13], s[20:21], exec
	v_lshrrev_b32_e32 v57, 16, v2
	s_or_b64 s[10:11], s[10:11], s[12:13]
.LBB225_330:                            ;   in Loop: Header=BB225_31 Depth=1
	s_or_b64 exec, exec, s[4:5]
	s_mov_b64 s[24:25], 0
	s_mov_b64 s[18:19], -1
.LBB225_331:                            ;   in Loop: Header=BB225_31 Depth=1
	s_orn2_b64 s[4:5], s[10:11], exec
.LBB225_332:                            ;   in Loop: Header=BB225_31 Depth=1
	s_or_b64 exec, exec, s[8:9]
                                        ; implicit-def: $vgpr4_vgpr5
                                        ; implicit-def: $vgpr2
	s_and_saveexec_b64 s[20:21], s[4:5]
	s_cbranch_execz .LBB225_491
; %bb.333:                              ;   in Loop: Header=BB225_31 Depth=1
	v_mov_b32_e32 v4, 1
	s_xor_b64 s[8:9], s[6:7], -1
	v_mov_b32_e32 v2, 1
	v_mov_b32_e32 v5, 0
	s_mov_b64 s[6:7], 0
	s_and_saveexec_b64 s[4:5], s[8:9]
	s_cbranch_execz .LBB225_342
; %bb.334:                              ;   in Loop: Header=BB225_31 Depth=1
	v_cmp_ge_u64_e32 vcc, s[2:3], v[29:30]
	s_and_saveexec_b64 s[6:7], vcc
	s_xor_b64 s[6:7], exec, s[6:7]
	s_cbranch_execz .LBB225_339
; %bb.335:                              ;   in Loop: Header=BB225_31 Depth=1
	ds_read_b64 v[4:5], v3 offset:5120
	v_or_b32_e32 v47, s0, v47
	v_or_b32_e32 v56, s0, v56
	s_waitcnt lgkmcnt(0)
	v_cmp_ne_u64_e32 vcc, 0, v[4:5]
	s_cbranch_vccnz .LBB225_339
; %bb.336:                              ;   in Loop: Header=BB225_31 Depth=1
	s_mov_b64 s[8:9], exec
	v_readlane_b32 s10, v59, 8
	v_readlane_b32 s11, v59, 9
	s_and_b64 s[10:11], s[8:9], s[10:11]
	s_mov_b64 exec, s[10:11]
; %bb.337:                              ;   in Loop: Header=BB225_31 Depth=1
	v_mov_b32_e32 v5, s3
	v_mov_b32_e32 v4, s2
	ds_write_b64 v3, v[4:5] offset:5128
; %bb.338:                              ;   in Loop: Header=BB225_31 Depth=1
	s_or_b64 exec, exec, s[8:9]
	s_waitcnt lgkmcnt(0)
	s_barrier
.LBB225_339:                            ;   in Loop: Header=BB225_31 Depth=1
	s_or_saveexec_b64 s[6:7], s[6:7]
	s_mov_b64 s[8:9], 0
	v_mov_b32_e32 v2, 5
	s_xor_b64 exec, exec, s[6:7]
; %bb.340:                              ;   in Loop: Header=BB225_31 Depth=1
	v_subrev_co_u32_e32 v29, vcc, s2, v29
	v_mov_b32_e32 v2, s3
	v_subb_co_u32_e32 v30, vcc, v30, v2, vcc
	v_mov_b32_e32 v2, 0
	s_mov_b64 s[8:9], exec
; %bb.341:                              ;   in Loop: Header=BB225_31 Depth=1
	s_or_b64 exec, exec, s[6:7]
	v_mov_b32_e32 v4, v29
	s_and_b64 s[6:7], s[8:9], exec
	v_mov_b32_e32 v5, v30
.LBB225_342:                            ;   in Loop: Header=BB225_31 Depth=1
	s_or_b64 exec, exec, s[4:5]
	s_mov_b64 s[4:5], -1
                                        ; implicit-def: $sgpr42_sgpr43
                                        ; implicit-def: $sgpr70_sgpr71
	s_and_saveexec_b64 s[2:3], s[6:7]
	s_xor_b64 s[2:3], exec, s[2:3]
	s_cbranch_execz .LBB225_488
; %bb.343:                              ;   in Loop: Header=BB225_31 Depth=1
	s_cmp_eq_u64 s[16:17], 1
	v_cmp_eq_u64_e32 vcc, 1, v[4:5]
	s_cselect_b64 s[4:5], -1, 0
	s_and_b64 s[8:9], s[4:5], vcc
	s_mov_b64 s[4:5], -1
                                        ; implicit-def: $sgpr70_sgpr71
                                        ; implicit-def: $sgpr42_sgpr43
	s_and_saveexec_b64 s[6:7], s[8:9]
	s_cbranch_execz .LBB225_377
; %bb.344:                              ;   in Loop: Header=BB225_31 Depth=1
	ds_read_b64 v[6:7], v3 offset:5120
	s_waitcnt lgkmcnt(0)
	s_barrier
	v_readfirstlane_b32 s4, v6
	v_readfirstlane_b32 s5, v7
	s_mov_b64 s[10:11], exec
	v_readlane_b32 s12, v59, 24
	v_readlane_b32 s13, v59, 25
	s_and_b64 s[12:13], s[10:11], s[12:13]
	s_mov_b64 exec, s[12:13]
; %bb.345:                              ;   in Loop: Header=BB225_31 Depth=1
	ds_write_b16 v50, v3
; %bb.346:                              ;   in Loop: Header=BB225_31 Depth=1
	s_or_b64 exec, exec, s[10:11]
	v_and_b32_e32 v6, s1, v47
	v_lshl_or_b32 v47, 2, s67, v6
	v_or_b32_e32 v56, s0, v56
	s_mov_b64 s[42:43], -1
	s_mov_b64 s[70:71], 0
	s_cmp_eq_u64 s[4:5], 0
	s_mov_b64 s[10:11], 0
	s_mov_b64 s[12:13], -1
	s_waitcnt lgkmcnt(0)
	s_barrier
                                        ; implicit-def: $vgpr57
	s_cbranch_scc1 .LBB225_362
; %bb.347:                              ;   in Loop: Header=BB225_31 Depth=1
	v_readlane_b32 s10, v59, 28
	s_add_u32 s62, s4, s10
	v_readlane_b32 s10, v59, 30
	s_addc_u32 s11, s5, s10
	s_mov_b32 s10, s59
	s_cmp_lg_u64 s[10:11], 0
	s_cbranch_scc0 .LBB225_403
; %bb.348:                              ;   in Loop: Header=BB225_31 Depth=1
	v_cvt_f32_u32_e32 v6, s33
	s_sub_u32 s10, 0, s33
	s_subb_u32 s58, 0, 0
	v_mac_f32_e32 v6, 0, v53
	v_rcp_f32_e32 v6, v6
	v_mul_f32_e32 v6, 0x5f7ffffc, v6
	v_mul_f32_e32 v7, 0x2f800000, v6
	v_trunc_f32_e32 v7, v7
	v_mac_f32_e32 v6, 0xcf800000, v7
	v_cvt_u32_f32_e32 v7, v7
	v_cvt_u32_f32_e32 v6, v6
	v_readfirstlane_b32 s60, v7
	v_readfirstlane_b32 s12, v6
	s_mul_i32 s13, s10, s60
	s_mul_hi_u32 s63, s10, s12
	s_mul_i32 s61, s58, s12
	s_add_i32 s13, s63, s13
	s_mul_i32 s64, s10, s12
	s_add_i32 s13, s13, s61
	s_mul_hi_u32 s63, s12, s64
	s_mul_i32 s65, s12, s13
	s_mul_hi_u32 s61, s12, s13
	s_add_u32 s63, s63, s65
	s_addc_u32 s61, 0, s61
	s_mul_hi_u32 s68, s60, s64
	s_mul_i32 s64, s60, s64
	s_add_u32 s63, s63, s64
	s_mul_hi_u32 s65, s60, s13
	s_addc_u32 s61, s61, s68
	s_addc_u32 s63, s65, 0
	s_mul_i32 s13, s60, s13
	s_add_u32 s13, s61, s13
	s_addc_u32 s61, 0, s63
	s_add_u32 s63, s12, s13
	s_cselect_b64 s[12:13], -1, 0
	s_cmp_lg_u64 s[12:13], 0
	s_addc_u32 s60, s60, s61
	s_mul_i32 s12, s10, s60
	s_mul_hi_u32 s13, s10, s63
	s_add_i32 s12, s13, s12
	s_mul_i32 s58, s58, s63
	s_add_i32 s12, s12, s58
	s_mul_i32 s10, s10, s63
	s_mul_hi_u32 s58, s60, s10
	s_mul_i32 s61, s60, s10
	s_mul_i32 s65, s63, s12
	s_mul_hi_u32 s10, s63, s10
	s_mul_hi_u32 s64, s63, s12
	s_add_u32 s10, s10, s65
	s_addc_u32 s64, 0, s64
	s_add_u32 s10, s10, s61
	s_mul_hi_u32 s13, s60, s12
	s_addc_u32 s10, s64, s58
	s_addc_u32 s13, s13, 0
	s_mul_i32 s12, s60, s12
	s_add_u32 s10, s10, s12
	s_addc_u32 s58, 0, s13
	s_add_u32 s10, s63, s10
	s_cselect_b64 s[12:13], -1, 0
	s_cmp_lg_u64 s[12:13], 0
	s_addc_u32 s12, s60, s58
	s_mul_i32 s58, s62, s12
	s_mul_hi_u32 s60, s62, s10
	s_mul_hi_u32 s13, s62, s12
	s_add_u32 s58, s60, s58
	s_addc_u32 s13, 0, s13
	s_mul_hi_u32 s61, s11, s10
	s_mul_i32 s10, s11, s10
	s_add_u32 s10, s58, s10
	s_mul_hi_u32 s60, s11, s12
	s_addc_u32 s10, s13, s61
	s_addc_u32 s13, s60, 0
	s_mul_i32 s12, s11, s12
	s_add_u32 s10, s10, s12
	s_addc_u32 s12, 0, s13
	s_mul_i32 s12, s33, s12
	s_mul_hi_u32 s13, s33, s10
	s_add_i32 s58, s13, s12
	s_mul_i32 s10, s33, s10
	s_sub_u32 s10, s62, s10
	s_cselect_b64 s[12:13], -1, 0
	s_cmp_lg_u64 s[12:13], 0
	s_subb_u32 s58, s11, s58
	s_sub_u32 s60, s10, s33
	s_cselect_b64 s[12:13], -1, 0
	s_cmp_lg_u64 s[12:13], 0
	s_subb_u32 s61, s58, 0
	;; [unrolled: 4-line block ×3, first 2 shown]
	s_cmp_ge_u32 s60, s33
	s_cselect_b32 s13, -1, 0
	s_cmp_eq_u32 s61, 0
	s_cselect_b32 s13, s13, -1
	s_cmp_lg_u32 s13, 0
	s_cselect_b32 s12, s12, s61
	s_cselect_b32 s60, s63, s60
	s_cmp_ge_u32 s10, s33
	s_cselect_b32 s13, -1, 0
	s_cmp_eq_u32 s58, 0
	s_cselect_b32 s13, s13, -1
	s_cmp_lg_u32 s13, 0
	s_cselect_b32 s13, s12, s58
	s_cselect_b32 s12, s60, s10
	s_cbranch_execnz .LBB225_350
.LBB225_349:                            ;   in Loop: Header=BB225_31 Depth=1
	v_cvt_f32_u32_e32 v6, s33
	s_sub_i32 s10, 0, s33
	v_rcp_iflag_f32_e32 v6, v6
	v_mul_f32_e32 v6, 0x4f7ffffe, v6
	v_cvt_u32_f32_e32 v6, v6
	v_readfirstlane_b32 s12, v6
	s_mul_i32 s10, s10, s12
	s_mul_hi_u32 s10, s12, s10
	s_add_i32 s12, s12, s10
	s_mul_hi_u32 s10, s62, s12
	s_mul_i32 s10, s10, s33
	s_sub_i32 s10, s62, s10
	s_sub_i32 s12, s10, s33
	s_cmp_ge_u32 s10, s33
	s_cselect_b32 s10, s12, s10
	s_sub_i32 s12, s10, s33
	s_cmp_ge_u32 s10, s33
	s_cselect_b32 s58, s12, s10
	s_mov_b64 s[12:13], s[58:59]
.LBB225_350:                            ;   in Loop: Header=BB225_31 Depth=1
	s_sub_u32 s60, s62, s12
	s_subb_u32 s61, s11, s13
	v_cmp_gt_u64_e32 vcc, s[60:61], v[0:1]
	s_mov_b64 s[12:13], 0
	s_mov_b64 s[10:11], 0
                                        ; implicit-def: $vgpr57
	s_and_saveexec_b64 s[64:65], vcc
	v_readlane_b32 s58, v59, 57
	s_cbranch_execz .LBB225_361
; %bb.351:                              ;   in Loop: Header=BB225_31 Depth=1
	v_mov_b32_e32 v7, v1
	v_mov_b32_e32 v8, v49
	;; [unrolled: 1-line block ×3, first 2 shown]
                                        ; implicit-def: $sgpr62_sgpr63
	s_branch .LBB225_354
.LBB225_352:                            ;   in Loop: Header=BB225_354 Depth=2
	s_or_b64 exec, exec, s[68:69]
	s_waitcnt lgkmcnt(0)
	s_barrier
	ds_read_b32 v9, v3 offset:3072
	s_mov_b64 s[68:69], -1
	s_mov_b64 s[72:73], -1
	s_waitcnt lgkmcnt(0)
	s_barrier
	v_and_b32_e32 v10, 0x7fff, v9
	v_cmp_ne_u32_e32 vcc, 0, v10
	s_cbranch_vccz .LBB225_357
.LBB225_353:                            ;   in Loop: Header=BB225_354 Depth=2
	s_and_b64 s[68:69], exec, s[68:69]
	s_or_b64 s[10:11], s[68:69], s[10:11]
	s_andn2_b64 s[62:63], s[62:63], exec
	s_and_b64 s[68:69], s[72:73], exec
	s_or_b64 s[62:63], s[62:63], s[68:69]
	s_andn2_b64 exec, exec, s[10:11]
	s_cbranch_execz .LBB225_360
.LBB225_354:                            ;   Parent Loop BB225_31 Depth=1
                                        ; =>  This Inner Loop Header: Depth=2
	v_cmp_gt_u64_e32 vcc, s[4:5], v[6:7]
	s_and_saveexec_b64 s[68:69], vcc
	s_cbranch_execz .LBB225_352
; %bb.355:                              ;   in Loop: Header=BB225_354 Depth=2
	ds_read_u16 v9, v8
	s_waitcnt lgkmcnt(0)
	v_cmp_lt_i16_e32 vcc, -1, v9
	v_cndmask_b32_e32 v10, v51, v52, vcc
	v_lshlrev_b32_e32 v11, 16, v9
	v_cmp_o_f32_e32 vcc, v11, v11
	v_xor_b32_sdwa v10, v10, v9 dst_sel:DWORD dst_unused:UNUSED_PAD src0_sel:DWORD src1_sel:WORD_0
	v_cndmask_b32_e32 v10, v51, v10, vcc
	v_and_b32_e32 v10, v10, v56
	v_cmp_eq_u32_e32 vcc, v10, v47
	s_and_b64 exec, exec, vcc
	s_cbranch_execz .LBB225_352
; %bb.356:                              ;   in Loop: Header=BB225_354 Depth=2
	s_movk_i32 s72, 0x3f80
	v_perm_b32 v9, v9, s72, v55
	ds_write_b32 v3, v9 offset:3072
	s_branch .LBB225_352
.LBB225_357:                            ;   in Loop: Header=BB225_354 Depth=2
	v_add_co_u32_e32 v6, vcc, s33, v6
	v_addc_co_u32_e32 v7, vcc, 0, v7, vcc
	v_cmp_le_u64_e32 vcc, s[60:61], v[6:7]
	v_readlane_b32 s58, v59, 48
	v_add_u32_e32 v8, s58, v8
	v_readlane_b32 s58, v59, 57
	s_mov_b64 s[72:73], 0
	s_orn2_b64 s[68:69], vcc, exec
	s_branch .LBB225_353
.LBB225_358:                            ;   in Loop: Header=BB225_31 Depth=1
                                        ; implicit-def: $sgpr12_sgpr13
	s_branch .LBB225_305
.LBB225_359:                            ;   in Loop: Header=BB225_31 Depth=1
                                        ; implicit-def: $sgpr4_sgpr5
	s_branch .LBB225_320
.LBB225_360:                            ;   in Loop: Header=BB225_31 Depth=1
	s_or_b64 exec, exec, s[10:11]
	v_lshrrev_b32_e32 v57, 16, v9
	s_and_b64 s[10:11], s[62:63], exec
.LBB225_361:                            ;   in Loop: Header=BB225_31 Depth=1
	s_or_b64 exec, exec, s[64:65]
.LBB225_362:                            ;   in Loop: Header=BB225_31 Depth=1
	s_and_b64 vcc, exec, s[12:13]
	s_cbranch_vccz .LBB225_376
; %bb.363:                              ;   in Loop: Header=BB225_31 Depth=1
	v_readlane_b32 s62, v59, 31
	v_readlane_b32 s63, v59, 32
	s_mov_b32 s62, s59
	s_cmp_lg_u64 s[62:63], 0
	v_writelane_b32 v59, s62, 31
	v_writelane_b32 v59, s63, 32
	s_cbranch_scc0 .LBB225_404
; %bb.364:                              ;   in Loop: Header=BB225_31 Depth=1
	v_cvt_f32_u32_e32 v6, s33
	s_sub_u32 s12, 0, s33
	s_subb_u32 s13, 0, 0
	v_mac_f32_e32 v6, 0, v53
	v_rcp_f32_e32 v6, v6
	v_mul_f32_e32 v6, 0x5f7ffffc, v6
	v_mul_f32_e32 v7, 0x2f800000, v6
	v_trunc_f32_e32 v7, v7
	v_mac_f32_e32 v6, 0xcf800000, v7
	v_cvt_u32_f32_e32 v7, v7
	v_cvt_u32_f32_e32 v6, v6
	v_readfirstlane_b32 s42, v7
	v_readfirstlane_b32 s4, v6
	s_mul_i32 s5, s12, s42
	s_mul_hi_u32 s58, s12, s4
	s_mul_i32 s43, s13, s4
	s_add_i32 s5, s58, s5
	s_mul_i32 s60, s12, s4
	s_add_i32 s5, s5, s43
	s_mul_hi_u32 s58, s4, s60
	s_mul_i32 s61, s4, s5
	s_mul_hi_u32 s43, s4, s5
	s_add_u32 s58, s58, s61
	s_addc_u32 s43, 0, s43
	s_mul_hi_u32 s62, s42, s60
	s_mul_i32 s60, s42, s60
	s_add_u32 s58, s58, s60
	s_mul_hi_u32 s61, s42, s5
	s_addc_u32 s43, s43, s62
	s_addc_u32 s58, s61, 0
	s_mul_i32 s5, s42, s5
	s_add_u32 s5, s43, s5
	s_addc_u32 s43, 0, s58
	s_add_u32 s58, s4, s5
	s_cselect_b64 s[4:5], -1, 0
	s_cmp_lg_u64 s[4:5], 0
	s_addc_u32 s42, s42, s43
	s_mul_i32 s4, s12, s42
	s_mul_hi_u32 s5, s12, s58
	s_add_i32 s4, s5, s4
	s_mul_i32 s13, s13, s58
	s_add_i32 s4, s4, s13
	s_mul_i32 s12, s12, s58
	s_mul_hi_u32 s13, s42, s12
	s_mul_i32 s43, s42, s12
	s_mul_i32 s61, s58, s4
	s_mul_hi_u32 s12, s58, s12
	s_mul_hi_u32 s60, s58, s4
	s_add_u32 s12, s12, s61
	s_addc_u32 s60, 0, s60
	s_add_u32 s12, s12, s43
	s_mul_hi_u32 s5, s42, s4
	s_addc_u32 s12, s60, s13
	s_addc_u32 s5, s5, 0
	s_mul_i32 s4, s42, s4
	s_add_u32 s4, s12, s4
	s_addc_u32 s12, 0, s5
	s_add_u32 s13, s58, s4
	s_cselect_b64 s[4:5], -1, 0
	s_cmp_lg_u64 s[4:5], 0
	s_addc_u32 s4, s42, s12
	v_readlane_b32 s58, v59, 29
	s_mul_i32 s12, s58, s4
	s_mul_hi_u32 s42, s58, s13
	s_mul_hi_u32 s5, s58, s4
	s_add_u32 s12, s42, s12
	s_addc_u32 s5, 0, s5
	s_mul_hi_u32 s43, s63, s13
	s_mul_i32 s13, s63, s13
	s_add_u32 s12, s12, s13
	s_mul_hi_u32 s42, s63, s4
	s_addc_u32 s5, s5, s43
	s_addc_u32 s12, s42, 0
	s_mul_i32 s4, s63, s4
	s_add_u32 s4, s5, s4
	s_addc_u32 s5, 0, s12
	s_mul_i32 s5, s33, s5
	s_mul_hi_u32 s12, s33, s4
	s_add_i32 s12, s12, s5
	s_mul_i32 s4, s33, s4
	s_sub_u32 s13, s58, s4
	s_cselect_b64 s[4:5], -1, 0
	s_cmp_lg_u64 s[4:5], 0
	s_subb_u32 s12, s63, s12
	s_sub_u32 s42, s13, s33
	s_cselect_b64 s[4:5], -1, 0
	s_cmp_lg_u64 s[4:5], 0
	s_subb_u32 s43, s12, 0
	s_sub_u32 s58, s42, s33
	s_cselect_b64 s[4:5], -1, 0
	s_cmp_lg_u64 s[4:5], 0
	s_subb_u32 s4, s43, 0
	s_cmp_ge_u32 s42, s33
	s_cselect_b32 s5, -1, 0
	s_cmp_eq_u32 s43, 0
	s_cselect_b32 s5, s5, -1
	s_cmp_lg_u32 s5, 0
	s_cselect_b32 s4, s4, s43
	s_cselect_b32 s42, s58, s42
	s_cmp_ge_u32 s13, s33
	s_cselect_b32 s5, -1, 0
	s_cmp_eq_u32 s12, 0
	s_cselect_b32 s5, s5, -1
	s_cmp_lg_u32 s5, 0
	s_cselect_b32 s5, s4, s12
	s_cselect_b32 s4, s42, s13
	s_cbranch_execnz .LBB225_366
.LBB225_365:                            ;   in Loop: Header=BB225_31 Depth=1
	v_cvt_f32_u32_e32 v6, s33
	s_sub_i32 s4, 0, s33
	v_readlane_b32 s12, v59, 29
	v_rcp_iflag_f32_e32 v6, v6
	v_mul_f32_e32 v6, 0x4f7ffffe, v6
	v_cvt_u32_f32_e32 v6, v6
	v_readfirstlane_b32 s5, v6
	s_mul_i32 s4, s4, s5
	s_mul_hi_u32 s4, s5, s4
	s_add_i32 s5, s5, s4
	s_mul_hi_u32 s4, s12, s5
	s_mul_i32 s4, s4, s33
	s_sub_i32 s4, s12, s4
	s_sub_i32 s5, s4, s33
	s_cmp_ge_u32 s4, s33
	s_cselect_b32 s4, s5, s4
	s_sub_i32 s5, s4, s33
	s_cmp_ge_u32 s4, s33
	s_cselect_b32 s58, s5, s4
	s_mov_b64 s[4:5], s[58:59]
.LBB225_366:                            ;   in Loop: Header=BB225_31 Depth=1
	v_readlane_b32 s12, v59, 29
	v_readlane_b32 s42, v59, 31
	s_sub_u32 s12, s12, s4
	v_readlane_b32 s43, v59, 32
	s_subb_u32 s13, s43, s5
	v_cmp_gt_u64_e32 vcc, s[12:13], v[0:1]
                                        ; implicit-def: $vgpr57
	s_and_saveexec_b64 s[4:5], vcc
	v_readlane_b32 s58, v59, 57
	s_cbranch_execz .LBB225_375
; %bb.367:                              ;   in Loop: Header=BB225_31 Depth=1
	v_mov_b32_e32 v6, v26
	v_mov_b32_e32 v9, v1
	s_mov_b64 s[42:43], 0
	v_mov_b32_e32 v7, v27
	v_mov_b32_e32 v8, v0
                                        ; implicit-def: $sgpr60_sgpr61
	s_branch .LBB225_370
.LBB225_368:                            ;   in Loop: Header=BB225_370 Depth=2
	s_or_b64 exec, exec, s[62:63]
	s_waitcnt lgkmcnt(0)
	s_barrier
	ds_read_b32 v10, v3 offset:3072
	s_mov_b64 s[62:63], -1
	s_mov_b64 s[64:65], -1
	s_waitcnt lgkmcnt(0)
	s_barrier
	v_and_b32_e32 v11, 0x7fff, v10
	v_cmp_eq_u32_e32 vcc, 0, v11
	s_cbranch_vccnz .LBB225_373
.LBB225_369:                            ;   in Loop: Header=BB225_370 Depth=2
	s_and_b64 s[62:63], exec, s[62:63]
	s_or_b64 s[42:43], s[62:63], s[42:43]
	s_andn2_b64 s[60:61], s[60:61], exec
	s_and_b64 s[62:63], s[64:65], exec
	s_or_b64 s[60:61], s[60:61], s[62:63]
	s_andn2_b64 exec, exec, s[42:43]
	s_cbranch_execz .LBB225_374
.LBB225_370:                            ;   Parent Loop BB225_31 Depth=1
                                        ; =>  This Inner Loop Header: Depth=2
	v_cmp_gt_u64_e32 vcc, s[28:29], v[8:9]
	s_and_saveexec_b64 s[62:63], vcc
	s_cbranch_execz .LBB225_368
; %bb.371:                              ;   in Loop: Header=BB225_370 Depth=2
	global_load_ushort v10, v[6:7], off
	s_waitcnt vmcnt(0)
	v_cmp_lt_i16_e32 vcc, -1, v10
	v_cndmask_b32_e32 v11, v51, v52, vcc
	v_lshlrev_b32_e32 v29, 16, v10
	v_cmp_o_f32_e32 vcc, v29, v29
	v_xor_b32_sdwa v11, v11, v10 dst_sel:DWORD dst_unused:UNUSED_PAD src0_sel:DWORD src1_sel:WORD_0
	v_cndmask_b32_e32 v11, v51, v11, vcc
	v_and_b32_e32 v11, v11, v56
	v_cmp_eq_u32_e32 vcc, v11, v47
	s_and_b64 exec, exec, vcc
	s_cbranch_execz .LBB225_368
; %bb.372:                              ;   in Loop: Header=BB225_370 Depth=2
	s_movk_i32 s64, 0x3f80
	v_perm_b32 v10, v10, s64, v55
	ds_write_b32 v3, v10 offset:3072
	s_branch .LBB225_368
.LBB225_373:                            ;   in Loop: Header=BB225_370 Depth=2
	v_add_co_u32_e32 v8, vcc, s33, v8
	v_addc_co_u32_e32 v9, vcc, 0, v9, vcc
	v_mov_b32_e32 v11, s37
	v_add_co_u32_e32 v6, vcc, s36, v6
	v_addc_co_u32_e32 v7, vcc, v7, v11, vcc
	v_cmp_le_u64_e32 vcc, s[12:13], v[8:9]
	s_mov_b64 s[64:65], 0
	s_orn2_b64 s[62:63], vcc, exec
	s_branch .LBB225_369
.LBB225_374:                            ;   in Loop: Header=BB225_31 Depth=1
	s_or_b64 exec, exec, s[42:43]
	s_andn2_b64 s[10:11], s[10:11], exec
	s_and_b64 s[12:13], s[60:61], exec
	v_lshrrev_b32_e32 v57, 16, v10
	s_or_b64 s[10:11], s[10:11], s[12:13]
.LBB225_375:                            ;   in Loop: Header=BB225_31 Depth=1
	s_or_b64 exec, exec, s[4:5]
	s_mov_b64 s[42:43], 0
	s_mov_b64 s[70:71], -1
.LBB225_376:                            ;   in Loop: Header=BB225_31 Depth=1
	s_orn2_b64 s[4:5], s[10:11], exec
.LBB225_377:                            ;   in Loop: Header=BB225_31 Depth=1
	s_or_b64 exec, exec, s[6:7]
	s_mov_b64 s[10:11], 0
	s_and_saveexec_b64 s[6:7], s[4:5]
	s_cbranch_execz .LBB225_487
; %bb.378:                              ;   in Loop: Header=BB225_31 Depth=1
	v_mov_b32_e32 v6, 1
	s_xor_b64 s[8:9], s[8:9], -1
	v_mov_b32_e32 v2, 1
	v_mov_b32_e32 v7, 0
	s_and_saveexec_b64 s[4:5], s[8:9]
	s_cbranch_execz .LBB225_387
; %bb.379:                              ;   in Loop: Header=BB225_31 Depth=1
	v_cmp_ge_u64_e32 vcc, s[16:17], v[4:5]
	s_and_saveexec_b64 s[8:9], vcc
	s_xor_b64 s[8:9], exec, s[8:9]
	s_cbranch_execz .LBB225_384
; %bb.380:                              ;   in Loop: Header=BB225_31 Depth=1
	ds_read_b64 v[6:7], v3 offset:5120
	v_and_b32_e32 v2, s1, v47
	v_lshl_or_b32 v47, 2, s67, v2
	v_or_b32_e32 v56, s0, v56
	s_waitcnt lgkmcnt(0)
	v_cmp_ne_u64_e32 vcc, 0, v[6:7]
	s_cbranch_vccnz .LBB225_384
; %bb.381:                              ;   in Loop: Header=BB225_31 Depth=1
	s_mov_b64 s[10:11], exec
	v_readlane_b32 s12, v59, 8
	v_readlane_b32 s13, v59, 9
	s_and_b64 s[12:13], s[10:11], s[12:13]
	s_mov_b64 exec, s[12:13]
; %bb.382:                              ;   in Loop: Header=BB225_31 Depth=1
	v_mov_b32_e32 v6, s16
	v_mov_b32_e32 v7, s17
	ds_write_b64 v3, v[6:7] offset:5128
; %bb.383:                              ;   in Loop: Header=BB225_31 Depth=1
	s_or_b64 exec, exec, s[10:11]
	s_waitcnt lgkmcnt(0)
	s_barrier
.LBB225_384:                            ;   in Loop: Header=BB225_31 Depth=1
	s_or_saveexec_b64 s[8:9], s[8:9]
	s_mov_b64 s[10:11], 0
	v_mov_b32_e32 v2, 5
	s_xor_b64 exec, exec, s[8:9]
; %bb.385:                              ;   in Loop: Header=BB225_31 Depth=1
	v_subrev_co_u32_e32 v4, vcc, s16, v4
	v_mov_b32_e32 v2, s17
	v_subb_co_u32_e32 v5, vcc, v5, v2, vcc
	v_mov_b32_e32 v2, 0
	s_mov_b64 s[10:11], exec
; %bb.386:                              ;   in Loop: Header=BB225_31 Depth=1
	s_or_b64 exec, exec, s[8:9]
	v_mov_b32_e32 v7, v5
	s_and_b64 s[10:11], s[10:11], exec
	v_mov_b32_e32 v6, v4
.LBB225_387:                            ;   in Loop: Header=BB225_31 Depth=1
	s_or_b64 exec, exec, s[4:5]
	s_mov_b64 s[4:5], -1
                                        ; implicit-def: $sgpr68_sgpr69
                                        ; implicit-def: $sgpr72_sgpr73
	s_and_saveexec_b64 s[16:17], s[10:11]
	s_cbranch_execz .LBB225_486
; %bb.388:                              ;   in Loop: Header=BB225_31 Depth=1
	s_cmp_eq_u64 s[48:49], 1
	v_cmp_eq_u64_e32 vcc, 1, v[6:7]
	s_cselect_b64 s[4:5], -1, 0
	s_and_b64 s[12:13], s[4:5], vcc
	s_mov_b64 s[4:5], -1
                                        ; implicit-def: $sgpr72_sgpr73
                                        ; implicit-def: $sgpr68_sgpr69
	s_and_saveexec_b64 s[10:11], s[12:13]
	s_cbranch_execz .LBB225_422
; %bb.389:                              ;   in Loop: Header=BB225_31 Depth=1
	ds_read_b64 v[4:5], v3 offset:5120
	s_waitcnt lgkmcnt(0)
	s_barrier
	v_readfirstlane_b32 s4, v4
	v_readfirstlane_b32 s5, v5
	s_mov_b64 s[8:9], exec
	v_readlane_b32 s60, v59, 24
	v_readlane_b32 s61, v59, 25
	s_and_b64 s[60:61], s[8:9], s[60:61]
	s_mov_b64 exec, s[60:61]
; %bb.390:                              ;   in Loop: Header=BB225_31 Depth=1
	ds_write_b16 v50, v3
; %bb.391:                              ;   in Loop: Header=BB225_31 Depth=1
	s_or_b64 exec, exec, s[8:9]
	v_and_b32_e32 v4, s1, v47
	v_lshl_or_b32 v47, 1, s67, v4
	v_or_b32_e32 v56, s0, v56
	s_mov_b64 s[68:69], -1
	s_mov_b64 s[72:73], 0
	s_cmp_eq_u64 s[4:5], 0
	s_mov_b64 s[64:65], 0
	s_mov_b64 s[74:75], -1
	s_waitcnt lgkmcnt(0)
	s_barrier
                                        ; implicit-def: $vgpr57
	s_cbranch_scc1 .LBB225_407
; %bb.392:                              ;   in Loop: Header=BB225_31 Depth=1
	v_readlane_b32 s8, v59, 28
	s_add_u32 s62, s4, s8
	v_readlane_b32 s8, v59, 30
	s_addc_u32 s65, s5, s8
	s_mov_b32 s64, s59
	s_cmp_lg_u64 s[64:65], 0
	s_cbranch_scc0 .LBB225_439
; %bb.393:                              ;   in Loop: Header=BB225_31 Depth=1
	v_cvt_f32_u32_e32 v4, s33
	s_sub_u32 s58, 0, s33
	s_subb_u32 s60, 0, 0
	v_mac_f32_e32 v4, 0, v53
	v_rcp_f32_e32 v4, v4
	v_mul_f32_e32 v4, 0x5f7ffffc, v4
	v_mul_f32_e32 v5, 0x2f800000, v4
	v_trunc_f32_e32 v5, v5
	v_mac_f32_e32 v4, 0xcf800000, v5
	v_cvt_u32_f32_e32 v5, v5
	v_cvt_u32_f32_e32 v4, v4
	v_readfirstlane_b32 s61, v5
	v_readfirstlane_b32 s8, v4
	s_mul_i32 s9, s58, s61
	s_mul_hi_u32 s64, s58, s8
	s_mul_i32 s63, s60, s8
	s_add_i32 s9, s64, s9
	s_mul_i32 s68, s58, s8
	s_add_i32 s9, s9, s63
	s_mul_hi_u32 s64, s8, s68
	s_mul_i32 s69, s8, s9
	s_mul_hi_u32 s63, s8, s9
	s_add_u32 s64, s64, s69
	s_addc_u32 s63, 0, s63
	s_mul_hi_u32 s74, s61, s68
	s_mul_i32 s68, s61, s68
	s_add_u32 s64, s64, s68
	s_mul_hi_u32 s69, s61, s9
	s_addc_u32 s63, s63, s74
	s_addc_u32 s64, s69, 0
	s_mul_i32 s9, s61, s9
	s_add_u32 s9, s63, s9
	s_addc_u32 s63, 0, s64
	s_add_u32 s64, s8, s9
	s_cselect_b64 s[8:9], -1, 0
	s_cmp_lg_u64 s[8:9], 0
	s_addc_u32 s61, s61, s63
	s_mul_i32 s8, s58, s61
	s_mul_hi_u32 s9, s58, s64
	s_add_i32 s8, s9, s8
	s_mul_i32 s60, s60, s64
	s_add_i32 s8, s8, s60
	s_mul_i32 s58, s58, s64
	s_mul_hi_u32 s60, s61, s58
	s_mul_i32 s63, s61, s58
	s_mul_i32 s69, s64, s8
	s_mul_hi_u32 s58, s64, s58
	s_mul_hi_u32 s68, s64, s8
	s_add_u32 s58, s58, s69
	s_addc_u32 s68, 0, s68
	s_add_u32 s58, s58, s63
	s_mul_hi_u32 s9, s61, s8
	s_addc_u32 s58, s68, s60
	s_addc_u32 s9, s9, 0
	s_mul_i32 s8, s61, s8
	s_add_u32 s8, s58, s8
	s_addc_u32 s58, 0, s9
	s_add_u32 s60, s64, s8
	s_cselect_b64 s[8:9], -1, 0
	s_cmp_lg_u64 s[8:9], 0
	s_addc_u32 s8, s61, s58
	s_mul_i32 s58, s62, s8
	s_mul_hi_u32 s61, s62, s60
	s_mul_hi_u32 s9, s62, s8
	s_add_u32 s58, s61, s58
	s_addc_u32 s9, 0, s9
	s_mul_hi_u32 s63, s65, s60
	s_mul_i32 s60, s65, s60
	s_add_u32 s58, s58, s60
	s_mul_hi_u32 s61, s65, s8
	s_addc_u32 s9, s9, s63
	s_addc_u32 s58, s61, 0
	s_mul_i32 s8, s65, s8
	s_add_u32 s8, s9, s8
	s_addc_u32 s9, 0, s58
	s_mul_i32 s9, s33, s9
	s_mul_hi_u32 s58, s33, s8
	s_add_i32 s58, s58, s9
	s_mul_i32 s8, s33, s8
	s_sub_u32 s60, s62, s8
	s_cselect_b64 s[8:9], -1, 0
	s_cmp_lg_u64 s[8:9], 0
	s_subb_u32 s58, s65, s58
	s_sub_u32 s61, s60, s33
	s_cselect_b64 s[8:9], -1, 0
	s_cmp_lg_u64 s[8:9], 0
	s_subb_u32 s63, s58, 0
	;; [unrolled: 4-line block ×3, first 2 shown]
	s_cmp_ge_u32 s61, s33
	s_cselect_b32 s9, -1, 0
	s_cmp_eq_u32 s63, 0
	s_cselect_b32 s9, s9, -1
	s_cmp_lg_u32 s9, 0
	s_cselect_b32 s8, s8, s63
	s_cselect_b32 s9, s64, s61
	s_cmp_ge_u32 s60, s33
	s_cselect_b32 s61, -1, 0
	s_cmp_eq_u32 s58, 0
	s_cselect_b32 s61, s61, -1
	s_cmp_lg_u32 s61, 0
	s_cselect_b32 s61, s8, s58
	s_cselect_b32 s60, s9, s60
	s_cbranch_execnz .LBB225_395
.LBB225_394:                            ;   in Loop: Header=BB225_31 Depth=1
	v_cvt_f32_u32_e32 v4, s33
	s_sub_i32 s8, 0, s33
	v_rcp_iflag_f32_e32 v4, v4
	v_mul_f32_e32 v4, 0x4f7ffffe, v4
	v_cvt_u32_f32_e32 v4, v4
	v_readfirstlane_b32 s9, v4
	s_mul_i32 s8, s8, s9
	s_mul_hi_u32 s8, s9, s8
	s_add_i32 s9, s9, s8
	s_mul_hi_u32 s8, s62, s9
	s_mul_i32 s8, s8, s33
	s_sub_i32 s8, s62, s8
	s_sub_i32 s9, s8, s33
	s_cmp_ge_u32 s8, s33
	s_cselect_b32 s8, s9, s8
	s_sub_i32 s9, s8, s33
	s_cmp_ge_u32 s8, s33
	s_cselect_b32 s58, s9, s8
	s_mov_b64 s[60:61], s[58:59]
.LBB225_395:                            ;   in Loop: Header=BB225_31 Depth=1
	s_sub_u32 s60, s62, s60
	s_subb_u32 s61, s65, s61
	v_cmp_gt_u64_e32 vcc, s[60:61], v[0:1]
	s_mov_b64 s[74:75], 0
	s_mov_b64 s[64:65], 0
                                        ; implicit-def: $vgpr57
	s_and_saveexec_b64 s[78:79], vcc
	v_readlane_b32 s58, v59, 57
	s_cbranch_execz .LBB225_406
; %bb.396:                              ;   in Loop: Header=BB225_31 Depth=1
	v_mov_b32_e32 v5, v1
	s_mov_b64 s[62:63], 0
	v_mov_b32_e32 v8, v49
	v_mov_b32_e32 v4, v0
                                        ; implicit-def: $sgpr64_sgpr65
	s_branch .LBB225_399
.LBB225_397:                            ;   in Loop: Header=BB225_399 Depth=2
	s_or_b64 exec, exec, s[68:69]
	s_waitcnt lgkmcnt(0)
	s_barrier
	ds_read_b32 v9, v3 offset:3072
	s_mov_b64 s[68:69], -1
	s_mov_b64 s[8:9], -1
	s_waitcnt lgkmcnt(0)
	s_barrier
	v_and_b32_e32 v10, 0x7fff, v9
	v_cmp_ne_u32_e32 vcc, 0, v10
	s_cbranch_vccz .LBB225_402
.LBB225_398:                            ;   in Loop: Header=BB225_399 Depth=2
	s_and_b64 s[68:69], exec, s[68:69]
	s_or_b64 s[62:63], s[68:69], s[62:63]
	s_andn2_b64 s[64:65], s[64:65], exec
	s_and_b64 s[8:9], s[8:9], exec
	s_or_b64 s[64:65], s[64:65], s[8:9]
	s_andn2_b64 exec, exec, s[62:63]
	s_cbranch_execz .LBB225_405
.LBB225_399:                            ;   Parent Loop BB225_31 Depth=1
                                        ; =>  This Inner Loop Header: Depth=2
	v_cmp_gt_u64_e32 vcc, s[4:5], v[4:5]
	s_and_saveexec_b64 s[68:69], vcc
	s_cbranch_execz .LBB225_397
; %bb.400:                              ;   in Loop: Header=BB225_399 Depth=2
	ds_read_u16 v9, v8
	s_waitcnt lgkmcnt(0)
	v_cmp_lt_i16_e32 vcc, -1, v9
	v_cndmask_b32_e32 v10, v51, v52, vcc
	v_lshlrev_b32_e32 v11, 16, v9
	v_cmp_o_f32_e32 vcc, v11, v11
	v_xor_b32_sdwa v10, v10, v9 dst_sel:DWORD dst_unused:UNUSED_PAD src0_sel:DWORD src1_sel:WORD_0
	v_cndmask_b32_e32 v10, v51, v10, vcc
	v_and_b32_e32 v10, v10, v56
	v_cmp_eq_u32_e32 vcc, v10, v47
	s_and_b64 exec, exec, vcc
	s_cbranch_execz .LBB225_397
; %bb.401:                              ;   in Loop: Header=BB225_399 Depth=2
	s_movk_i32 s8, 0x3f80
	v_perm_b32 v9, v9, s8, v55
	ds_write_b32 v3, v9 offset:3072
	s_branch .LBB225_397
.LBB225_402:                            ;   in Loop: Header=BB225_399 Depth=2
	v_add_co_u32_e32 v4, vcc, s33, v4
	v_addc_co_u32_e32 v5, vcc, 0, v5, vcc
	v_cmp_le_u64_e32 vcc, s[60:61], v[4:5]
	v_readlane_b32 s8, v59, 48
	v_add_u32_e32 v8, s8, v8
	s_mov_b64 s[8:9], 0
	s_orn2_b64 s[68:69], vcc, exec
	s_branch .LBB225_398
.LBB225_403:                            ;   in Loop: Header=BB225_31 Depth=1
                                        ; implicit-def: $sgpr12_sgpr13
	s_branch .LBB225_349
.LBB225_404:                            ;   in Loop: Header=BB225_31 Depth=1
                                        ; implicit-def: $sgpr4_sgpr5
	s_branch .LBB225_365
.LBB225_405:                            ;   in Loop: Header=BB225_31 Depth=1
	s_or_b64 exec, exec, s[62:63]
	v_lshrrev_b32_e32 v57, 16, v9
	s_and_b64 s[64:65], s[64:65], exec
.LBB225_406:                            ;   in Loop: Header=BB225_31 Depth=1
	s_or_b64 exec, exec, s[78:79]
	s_mov_b64 s[68:69], -1
.LBB225_407:                            ;   in Loop: Header=BB225_31 Depth=1
	s_and_b64 vcc, exec, s[74:75]
	s_cbranch_vccz .LBB225_421
; %bb.408:                              ;   in Loop: Header=BB225_31 Depth=1
	v_readlane_b32 s68, v59, 31
	v_readlane_b32 s69, v59, 32
	s_mov_b32 s68, s59
	s_cmp_lg_u64 s[68:69], 0
	v_writelane_b32 v59, s68, 31
	v_writelane_b32 v59, s69, 32
	s_cbranch_scc0 .LBB225_440
; %bb.409:                              ;   in Loop: Header=BB225_31 Depth=1
	v_cvt_f32_u32_e32 v4, s33
	s_sub_u32 s8, 0, s33
	s_subb_u32 s9, 0, 0
	v_mac_f32_e32 v4, 0, v53
	v_rcp_f32_e32 v4, v4
	v_mul_f32_e32 v4, 0x5f7ffffc, v4
	v_mul_f32_e32 v5, 0x2f800000, v4
	v_trunc_f32_e32 v5, v5
	v_mac_f32_e32 v4, 0xcf800000, v5
	v_cvt_u32_f32_e32 v5, v5
	v_cvt_u32_f32_e32 v4, v4
	v_readfirstlane_b32 s58, v5
	v_readfirstlane_b32 s4, v4
	s_mul_i32 s5, s8, s58
	s_mul_hi_u32 s61, s8, s4
	s_mul_i32 s60, s9, s4
	s_add_i32 s5, s61, s5
	s_mul_i32 s62, s8, s4
	s_add_i32 s5, s5, s60
	s_mul_hi_u32 s61, s4, s62
	s_mul_i32 s63, s4, s5
	s_mul_hi_u32 s60, s4, s5
	s_add_u32 s61, s61, s63
	s_addc_u32 s60, 0, s60
	s_mul_hi_u32 s68, s58, s62
	s_mul_i32 s62, s58, s62
	s_add_u32 s61, s61, s62
	s_mul_hi_u32 s63, s58, s5
	s_addc_u32 s60, s60, s68
	s_addc_u32 s61, s63, 0
	s_mul_i32 s5, s58, s5
	s_add_u32 s5, s60, s5
	s_addc_u32 s60, 0, s61
	s_add_u32 s61, s4, s5
	s_cselect_b64 s[4:5], -1, 0
	s_cmp_lg_u64 s[4:5], 0
	s_addc_u32 s58, s58, s60
	s_mul_i32 s4, s8, s58
	s_mul_hi_u32 s5, s8, s61
	s_add_i32 s4, s5, s4
	s_mul_i32 s9, s9, s61
	s_add_i32 s4, s4, s9
	s_mul_i32 s8, s8, s61
	s_mul_hi_u32 s9, s58, s8
	s_mul_i32 s60, s58, s8
	s_mul_i32 s63, s61, s4
	s_mul_hi_u32 s8, s61, s8
	s_mul_hi_u32 s62, s61, s4
	s_add_u32 s8, s8, s63
	s_addc_u32 s62, 0, s62
	s_add_u32 s8, s8, s60
	s_mul_hi_u32 s5, s58, s4
	s_addc_u32 s8, s62, s9
	s_addc_u32 s5, s5, 0
	s_mul_i32 s4, s58, s4
	s_add_u32 s4, s8, s4
	s_addc_u32 s8, 0, s5
	s_add_u32 s9, s61, s4
	s_cselect_b64 s[4:5], -1, 0
	s_cmp_lg_u64 s[4:5], 0
	s_addc_u32 s4, s58, s8
	v_readlane_b32 s61, v59, 29
	s_mul_i32 s8, s61, s4
	s_mul_hi_u32 s58, s61, s9
	s_mul_hi_u32 s5, s61, s4
	s_add_u32 s8, s58, s8
	s_addc_u32 s5, 0, s5
	s_mul_hi_u32 s60, s69, s9
	s_mul_i32 s9, s69, s9
	s_add_u32 s8, s8, s9
	s_mul_hi_u32 s58, s69, s4
	s_addc_u32 s5, s5, s60
	s_addc_u32 s8, s58, 0
	s_mul_i32 s4, s69, s4
	s_add_u32 s4, s5, s4
	s_addc_u32 s5, 0, s8
	s_mul_i32 s5, s33, s5
	s_mul_hi_u32 s8, s33, s4
	s_add_i32 s8, s8, s5
	s_mul_i32 s4, s33, s4
	s_sub_u32 s9, s61, s4
	s_cselect_b64 s[4:5], -1, 0
	s_cmp_lg_u64 s[4:5], 0
	s_subb_u32 s8, s69, s8
	s_sub_u32 s58, s9, s33
	s_cselect_b64 s[4:5], -1, 0
	s_cmp_lg_u64 s[4:5], 0
	s_subb_u32 s60, s8, 0
	;; [unrolled: 4-line block ×3, first 2 shown]
	s_cmp_ge_u32 s58, s33
	s_cselect_b32 s5, -1, 0
	s_cmp_eq_u32 s60, 0
	s_cselect_b32 s5, s5, -1
	s_cmp_lg_u32 s5, 0
	s_cselect_b32 s4, s4, s60
	s_cselect_b32 s58, s61, s58
	s_cmp_ge_u32 s9, s33
	s_cselect_b32 s5, -1, 0
	s_cmp_eq_u32 s8, 0
	s_cselect_b32 s5, s5, -1
	s_cmp_lg_u32 s5, 0
	s_cselect_b32 s5, s4, s8
	s_cselect_b32 s4, s58, s9
	s_cbranch_execnz .LBB225_411
.LBB225_410:                            ;   in Loop: Header=BB225_31 Depth=1
	v_cvt_f32_u32_e32 v4, s33
	s_sub_i32 s4, 0, s33
	v_readlane_b32 s8, v59, 29
	v_rcp_iflag_f32_e32 v4, v4
	v_mul_f32_e32 v4, 0x4f7ffffe, v4
	v_cvt_u32_f32_e32 v4, v4
	v_readfirstlane_b32 s5, v4
	s_mul_i32 s4, s4, s5
	s_mul_hi_u32 s4, s5, s4
	s_add_i32 s5, s5, s4
	s_mul_hi_u32 s4, s8, s5
	s_mul_i32 s4, s4, s33
	s_sub_i32 s4, s8, s4
	s_sub_i32 s5, s4, s33
	s_cmp_ge_u32 s4, s33
	s_cselect_b32 s4, s5, s4
	s_sub_i32 s5, s4, s33
	s_cmp_ge_u32 s4, s33
	s_cselect_b32 s58, s5, s4
	s_mov_b64 s[4:5], s[58:59]
.LBB225_411:                            ;   in Loop: Header=BB225_31 Depth=1
	v_readlane_b32 s8, v59, 29
	v_readlane_b32 s60, v59, 31
	s_sub_u32 s8, s8, s4
	v_readlane_b32 s61, v59, 32
	s_subb_u32 s9, s61, s5
	v_cmp_gt_u64_e32 vcc, s[8:9], v[0:1]
                                        ; implicit-def: $vgpr57
	s_and_saveexec_b64 s[4:5], vcc
	v_readlane_b32 s58, v59, 57
	s_cbranch_execz .LBB225_420
; %bb.412:                              ;   in Loop: Header=BB225_31 Depth=1
	v_mov_b32_e32 v4, v26
	v_mov_b32_e32 v9, v1
	s_mov_b64 s[60:61], 0
	v_mov_b32_e32 v5, v27
	v_mov_b32_e32 v8, v0
                                        ; implicit-def: $sgpr62_sgpr63
	s_branch .LBB225_415
.LBB225_413:                            ;   in Loop: Header=BB225_415 Depth=2
	s_or_b64 exec, exec, s[68:69]
	s_waitcnt lgkmcnt(0)
	s_barrier
	ds_read_b32 v10, v3 offset:3072
	s_mov_b64 s[68:69], -1
	s_mov_b64 s[72:73], -1
	s_waitcnt lgkmcnt(0)
	s_barrier
	v_and_b32_e32 v11, 0x7fff, v10
	v_cmp_eq_u32_e32 vcc, 0, v11
	s_cbranch_vccnz .LBB225_418
.LBB225_414:                            ;   in Loop: Header=BB225_415 Depth=2
	s_and_b64 s[68:69], exec, s[68:69]
	s_or_b64 s[60:61], s[68:69], s[60:61]
	s_andn2_b64 s[62:63], s[62:63], exec
	s_and_b64 s[68:69], s[72:73], exec
	s_or_b64 s[62:63], s[62:63], s[68:69]
	s_andn2_b64 exec, exec, s[60:61]
	s_cbranch_execz .LBB225_419
.LBB225_415:                            ;   Parent Loop BB225_31 Depth=1
                                        ; =>  This Inner Loop Header: Depth=2
	v_cmp_gt_u64_e32 vcc, s[28:29], v[8:9]
	s_and_saveexec_b64 s[68:69], vcc
	s_cbranch_execz .LBB225_413
; %bb.416:                              ;   in Loop: Header=BB225_415 Depth=2
	global_load_ushort v10, v[4:5], off
	s_waitcnt vmcnt(0)
	v_cmp_lt_i16_e32 vcc, -1, v10
	v_cndmask_b32_e32 v11, v51, v52, vcc
	v_lshlrev_b32_e32 v29, 16, v10
	v_cmp_o_f32_e32 vcc, v29, v29
	v_xor_b32_sdwa v11, v11, v10 dst_sel:DWORD dst_unused:UNUSED_PAD src0_sel:DWORD src1_sel:WORD_0
	v_cndmask_b32_e32 v11, v51, v11, vcc
	v_and_b32_e32 v11, v11, v56
	v_cmp_eq_u32_e32 vcc, v11, v47
	s_and_b64 exec, exec, vcc
	s_cbranch_execz .LBB225_413
; %bb.417:                              ;   in Loop: Header=BB225_415 Depth=2
	s_movk_i32 s72, 0x3f80
	v_perm_b32 v10, v10, s72, v55
	ds_write_b32 v3, v10 offset:3072
	s_branch .LBB225_413
.LBB225_418:                            ;   in Loop: Header=BB225_415 Depth=2
	v_add_co_u32_e32 v8, vcc, s33, v8
	v_addc_co_u32_e32 v9, vcc, 0, v9, vcc
	v_mov_b32_e32 v11, s37
	v_add_co_u32_e32 v4, vcc, s36, v4
	v_addc_co_u32_e32 v5, vcc, v5, v11, vcc
	v_cmp_le_u64_e32 vcc, s[8:9], v[8:9]
	s_mov_b64 s[72:73], 0
	s_orn2_b64 s[68:69], vcc, exec
	s_branch .LBB225_414
.LBB225_419:                            ;   in Loop: Header=BB225_31 Depth=1
	s_or_b64 exec, exec, s[60:61]
	s_andn2_b64 s[8:9], s[64:65], exec
	s_and_b64 s[60:61], s[62:63], exec
	v_lshrrev_b32_e32 v57, 16, v10
	s_or_b64 s[64:65], s[8:9], s[60:61]
.LBB225_420:                            ;   in Loop: Header=BB225_31 Depth=1
	s_or_b64 exec, exec, s[4:5]
	s_mov_b64 s[68:69], 0
	s_mov_b64 s[72:73], -1
.LBB225_421:                            ;   in Loop: Header=BB225_31 Depth=1
	s_orn2_b64 s[4:5], s[64:65], exec
.LBB225_422:                            ;   in Loop: Header=BB225_31 Depth=1
	s_or_b64 exec, exec, s[10:11]
	s_mov_b64 s[60:61], 0
	s_and_saveexec_b64 s[10:11], s[4:5]
	s_cbranch_execz .LBB225_485
; %bb.423:                              ;   in Loop: Header=BB225_31 Depth=1
	v_mov_b32_e32 v4, 1
	s_xor_b64 s[8:9], s[12:13], -1
	v_mov_b32_e32 v2, 1
	v_mov_b32_e32 v5, 0
	s_and_saveexec_b64 s[4:5], s[8:9]
	s_cbranch_execz .LBB225_432
; %bb.424:                              ;   in Loop: Header=BB225_31 Depth=1
	v_cmp_ge_u64_e32 vcc, s[48:49], v[6:7]
	s_and_saveexec_b64 s[8:9], vcc
	s_xor_b64 s[12:13], exec, s[8:9]
	s_cbranch_execz .LBB225_429
; %bb.425:                              ;   in Loop: Header=BB225_31 Depth=1
	ds_read_b64 v[4:5], v3 offset:5120
	v_and_b32_e32 v2, s1, v47
	v_lshl_or_b32 v47, 1, s67, v2
	v_or_b32_e32 v56, s0, v56
	s_waitcnt lgkmcnt(0)
	v_cmp_ne_u64_e32 vcc, 0, v[4:5]
	s_cbranch_vccnz .LBB225_429
; %bb.426:                              ;   in Loop: Header=BB225_31 Depth=1
	s_mov_b64 s[8:9], exec
	v_readlane_b32 s60, v59, 8
	v_readlane_b32 s61, v59, 9
	s_and_b64 s[60:61], s[8:9], s[60:61]
	s_mov_b64 exec, s[60:61]
; %bb.427:                              ;   in Loop: Header=BB225_31 Depth=1
	v_mov_b32_e32 v4, s48
	v_mov_b32_e32 v5, s49
	ds_write_b64 v3, v[4:5] offset:5128
; %bb.428:                              ;   in Loop: Header=BB225_31 Depth=1
	s_or_b64 exec, exec, s[8:9]
	s_waitcnt lgkmcnt(0)
	s_barrier
.LBB225_429:                            ;   in Loop: Header=BB225_31 Depth=1
	s_or_saveexec_b64 s[12:13], s[12:13]
	s_mov_b64 s[60:61], 0
	v_mov_b32_e32 v2, 5
	s_xor_b64 exec, exec, s[12:13]
; %bb.430:                              ;   in Loop: Header=BB225_31 Depth=1
	v_subrev_co_u32_e32 v6, vcc, s48, v6
	v_mov_b32_e32 v2, s49
	v_subb_co_u32_e32 v7, vcc, v7, v2, vcc
	v_mov_b32_e32 v2, 0
	s_mov_b64 s[60:61], exec
; %bb.431:                              ;   in Loop: Header=BB225_31 Depth=1
	s_or_b64 exec, exec, s[12:13]
	v_mov_b32_e32 v4, v6
	s_and_b64 s[60:61], s[60:61], exec
	v_mov_b32_e32 v5, v7
.LBB225_432:                            ;   in Loop: Header=BB225_31 Depth=1
	s_or_b64 exec, exec, s[4:5]
	s_mov_b64 s[4:5], -1
                                        ; implicit-def: $sgpr78_sgpr79
                                        ; implicit-def: $sgpr64_sgpr65
	s_and_saveexec_b64 s[12:13], s[60:61]
	s_cbranch_execz .LBB225_484
; %bb.433:                              ;   in Loop: Header=BB225_31 Depth=1
	s_cmp_eq_u64 s[22:23], 1
	v_cmp_eq_u64_e32 vcc, 1, v[4:5]
	s_cselect_b64 s[4:5], -1, 0
	s_mov_b64 s[48:49], -1
	s_and_b64 s[4:5], s[4:5], vcc
                                        ; implicit-def: $sgpr78_sgpr79
                                        ; implicit-def: $sgpr64_sgpr65
	s_mov_b64 s[8:9], exec
	v_writelane_b32 v59, s4, 58
	v_writelane_b32 v59, s5, 59
	;; [unrolled: 1-line block ×3, first 2 shown]
	s_and_b64 s[4:5], s[8:9], s[4:5]
	v_writelane_b32 v59, s9, 61
	s_mov_b64 exec, s[4:5]
	s_cbranch_execz .LBB225_472
; %bb.434:                              ;   in Loop: Header=BB225_31 Depth=1
	ds_read_b64 v[6:7], v3 offset:5120
	s_waitcnt lgkmcnt(0)
	s_barrier
	v_readfirstlane_b32 s4, v6
	v_readfirstlane_b32 s5, v7
	s_mov_b64 s[8:9], exec
	v_readlane_b32 s48, v59, 24
	v_readlane_b32 s49, v59, 25
	s_and_b64 s[48:49], s[8:9], s[48:49]
	s_mov_b64 exec, s[48:49]
; %bb.435:                              ;   in Loop: Header=BB225_31 Depth=1
	ds_write_b16 v50, v3
; %bb.436:                              ;   in Loop: Header=BB225_31 Depth=1
	s_or_b64 exec, exec, s[8:9]
	v_and_b32_e32 v47, s1, v47
	v_or_b32_e32 v56, s0, v56
	s_mov_b64 s[78:79], 0
	s_cmp_eq_u64 s[4:5], 0
	s_mov_b64 s[74:75], 0
	s_mov_b64 s[64:65], -1
	s_waitcnt lgkmcnt(0)
	s_barrier
                                        ; implicit-def: $vgpr57
	s_cbranch_scc1 .LBB225_454
; %bb.437:                              ;   in Loop: Header=BB225_31 Depth=1
	v_writelane_b32 v59, s68, 62
	v_writelane_b32 v59, s69, 63
	v_readlane_b32 s8, v59, 28
	s_add_u32 s62, s4, s8
	v_readlane_b32 s8, v59, 30
	s_addc_u32 s49, s5, s8
	s_mov_b32 s48, s59
	s_cmp_lg_u64 s[48:49], 0
	s_cbranch_scc0 .LBB225_441
; %bb.438:                              ;   in Loop: Header=BB225_31 Depth=1
	v_cvt_f32_u32_e32 v6, s33
	s_sub_u32 s48, 0, s33
	s_subb_u32 s58, 0, 0
	v_mac_f32_e32 v6, 0, v53
	v_rcp_f32_e32 v6, v6
	v_mul_f32_e32 v6, 0x5f7ffffc, v6
	v_mul_f32_e32 v7, 0x2f800000, v6
	v_trunc_f32_e32 v7, v7
	v_mac_f32_e32 v6, 0xcf800000, v7
	v_cvt_u32_f32_e32 v7, v7
	v_cvt_u32_f32_e32 v6, v6
	v_readfirstlane_b32 s60, v7
	v_readfirstlane_b32 s8, v6
	s_mul_i32 s9, s48, s60
	s_mul_hi_u32 s63, s48, s8
	s_mul_i32 s61, s58, s8
	s_add_i32 s9, s63, s9
	s_mul_i32 s64, s48, s8
	s_add_i32 s9, s9, s61
	s_mul_hi_u32 s63, s8, s64
	s_mul_i32 s65, s8, s9
	s_mul_hi_u32 s61, s8, s9
	s_add_u32 s63, s63, s65
	s_addc_u32 s61, 0, s61
	s_mul_hi_u32 s68, s60, s64
	s_mul_i32 s64, s60, s64
	s_add_u32 s63, s63, s64
	s_mul_hi_u32 s65, s60, s9
	s_addc_u32 s61, s61, s68
	s_addc_u32 s63, s65, 0
	s_mul_i32 s9, s60, s9
	s_add_u32 s9, s61, s9
	s_addc_u32 s61, 0, s63
	s_add_u32 s63, s8, s9
	s_cselect_b64 s[8:9], -1, 0
	s_cmp_lg_u64 s[8:9], 0
	s_addc_u32 s60, s60, s61
	s_mul_i32 s8, s48, s60
	s_mul_hi_u32 s9, s48, s63
	s_add_i32 s8, s9, s8
	s_mul_i32 s58, s58, s63
	s_add_i32 s8, s8, s58
	s_mul_i32 s48, s48, s63
	s_mul_hi_u32 s58, s60, s48
	s_mul_i32 s61, s60, s48
	s_mul_i32 s65, s63, s8
	s_mul_hi_u32 s48, s63, s48
	s_mul_hi_u32 s64, s63, s8
	s_add_u32 s48, s48, s65
	s_addc_u32 s64, 0, s64
	s_add_u32 s48, s48, s61
	s_mul_hi_u32 s9, s60, s8
	s_addc_u32 s48, s64, s58
	s_addc_u32 s9, s9, 0
	s_mul_i32 s8, s60, s8
	s_add_u32 s8, s48, s8
	s_addc_u32 s48, 0, s9
	s_add_u32 s58, s63, s8
	s_cselect_b64 s[8:9], -1, 0
	s_cmp_lg_u64 s[8:9], 0
	s_addc_u32 s8, s60, s48
	s_mul_i32 s48, s62, s8
	s_mul_hi_u32 s60, s62, s58
	s_mul_hi_u32 s9, s62, s8
	s_add_u32 s48, s60, s48
	s_addc_u32 s9, 0, s9
	s_mul_hi_u32 s61, s49, s58
	s_mul_i32 s58, s49, s58
	s_add_u32 s48, s48, s58
	s_mul_hi_u32 s60, s49, s8
	s_addc_u32 s9, s9, s61
	s_addc_u32 s48, s60, 0
	s_mul_i32 s8, s49, s8
	s_add_u32 s8, s9, s8
	s_addc_u32 s9, 0, s48
	s_mul_i32 s9, s33, s9
	s_mul_hi_u32 s48, s33, s8
	s_add_i32 s48, s48, s9
	s_mul_i32 s8, s33, s8
	s_sub_u32 s58, s62, s8
	s_cselect_b64 s[8:9], -1, 0
	s_cmp_lg_u64 s[8:9], 0
	s_subb_u32 s48, s49, s48
	s_sub_u32 s60, s58, s33
	s_cselect_b64 s[8:9], -1, 0
	s_cmp_lg_u64 s[8:9], 0
	s_subb_u32 s61, s48, 0
	s_sub_u32 s63, s60, s33
	s_cselect_b64 s[8:9], -1, 0
	s_cmp_lg_u64 s[8:9], 0
	s_subb_u32 s8, s61, 0
	s_cmp_ge_u32 s60, s33
	s_cselect_b32 s9, -1, 0
	s_cmp_eq_u32 s61, 0
	s_cselect_b32 s9, s9, -1
	s_cmp_lg_u32 s9, 0
	s_cselect_b32 s8, s8, s61
	s_cselect_b32 s9, s63, s60
	s_cmp_ge_u32 s58, s33
	s_cselect_b32 s60, -1, 0
	s_cmp_eq_u32 s48, 0
	s_cselect_b32 s60, s60, -1
	s_cmp_lg_u32 s60, 0
	s_cselect_b32 s61, s8, s48
	s_cselect_b32 s60, s9, s58
	s_mov_b64 s[8:9], 0
	s_branch .LBB225_442
.LBB225_439:                            ;   in Loop: Header=BB225_31 Depth=1
                                        ; implicit-def: $sgpr60_sgpr61
	s_branch .LBB225_394
.LBB225_440:                            ;   in Loop: Header=BB225_31 Depth=1
                                        ; implicit-def: $sgpr4_sgpr5
	s_branch .LBB225_410
.LBB225_441:                            ;   in Loop: Header=BB225_31 Depth=1
	s_mov_b64 s[8:9], -1
                                        ; implicit-def: $sgpr60_sgpr61
.LBB225_442:                            ;   in Loop: Header=BB225_31 Depth=1
	s_andn2_b64 vcc, exec, s[8:9]
	s_cbranch_vccnz .LBB225_444
; %bb.443:                              ;   in Loop: Header=BB225_31 Depth=1
	v_cvt_f32_u32_e32 v6, s33
	s_sub_i32 s8, 0, s33
	v_rcp_iflag_f32_e32 v6, v6
	v_mul_f32_e32 v6, 0x4f7ffffe, v6
	v_cvt_u32_f32_e32 v6, v6
	v_readfirstlane_b32 s9, v6
	s_mul_i32 s8, s8, s9
	s_mul_hi_u32 s8, s9, s8
	s_add_i32 s9, s9, s8
	s_mul_hi_u32 s8, s62, s9
	s_mul_i32 s8, s8, s33
	s_sub_i32 s8, s62, s8
	s_sub_i32 s9, s8, s33
	s_cmp_ge_u32 s8, s33
	s_cselect_b32 s8, s9, s8
	s_sub_i32 s9, s8, s33
	s_cmp_ge_u32 s8, s33
	s_cselect_b32 s58, s9, s8
	s_mov_b64 s[60:61], s[58:59]
.LBB225_444:                            ;   in Loop: Header=BB225_31 Depth=1
	s_sub_u32 s60, s62, s60
	s_subb_u32 s61, s49, s61
	v_cmp_gt_u64_e32 vcc, s[60:61], v[0:1]
	s_mov_b64 s[64:65], 0
                                        ; implicit-def: $vgpr57
	s_and_saveexec_b64 s[48:49], vcc
	v_readlane_b32 s58, v59, 57
	s_cbranch_execz .LBB225_453
; %bb.445:                              ;   in Loop: Header=BB225_31 Depth=1
	v_mov_b32_e32 v7, v1
	s_mov_b64 s[62:63], 0
	v_mov_b32_e32 v8, v49
	v_mov_b32_e32 v6, v0
                                        ; implicit-def: $sgpr74_sgpr75
	s_branch .LBB225_448
.LBB225_446:                            ;   in Loop: Header=BB225_448 Depth=2
	s_or_b64 exec, exec, s[68:69]
	s_waitcnt lgkmcnt(0)
	s_barrier
	ds_read_b32 v9, v3 offset:3072
	s_mov_b64 s[68:69], -1
	s_mov_b64 s[8:9], -1
	s_waitcnt lgkmcnt(0)
	s_barrier
	v_and_b32_e32 v10, 0x7fff, v9
	v_cmp_ne_u32_e32 vcc, 0, v10
	s_cbranch_vccz .LBB225_451
.LBB225_447:                            ;   in Loop: Header=BB225_448 Depth=2
	s_and_b64 s[68:69], exec, s[68:69]
	s_or_b64 s[62:63], s[68:69], s[62:63]
	s_andn2_b64 s[68:69], s[74:75], exec
	s_and_b64 s[8:9], s[8:9], exec
	s_or_b64 s[74:75], s[68:69], s[8:9]
	s_andn2_b64 exec, exec, s[62:63]
	s_cbranch_execz .LBB225_452
.LBB225_448:                            ;   Parent Loop BB225_31 Depth=1
                                        ; =>  This Inner Loop Header: Depth=2
	v_cmp_gt_u64_e32 vcc, s[4:5], v[6:7]
	s_and_saveexec_b64 s[68:69], vcc
	s_cbranch_execz .LBB225_446
; %bb.449:                              ;   in Loop: Header=BB225_448 Depth=2
	ds_read_u16 v9, v8
	s_waitcnt lgkmcnt(0)
	v_cmp_lt_i16_e32 vcc, -1, v9
	v_cndmask_b32_e32 v10, v51, v52, vcc
	v_lshlrev_b32_e32 v11, 16, v9
	v_cmp_o_f32_e32 vcc, v11, v11
	v_xor_b32_sdwa v10, v10, v9 dst_sel:DWORD dst_unused:UNUSED_PAD src0_sel:DWORD src1_sel:WORD_0
	v_cndmask_b32_e32 v10, v51, v10, vcc
	v_and_b32_e32 v10, v10, v56
	v_cmp_eq_u32_e32 vcc, v10, v47
	s_and_b64 exec, exec, vcc
	s_cbranch_execz .LBB225_446
; %bb.450:                              ;   in Loop: Header=BB225_448 Depth=2
	s_movk_i32 s8, 0x3f80
	v_perm_b32 v9, v9, s8, v55
	ds_write_b32 v3, v9 offset:3072
	s_branch .LBB225_446
.LBB225_451:                            ;   in Loop: Header=BB225_448 Depth=2
	v_add_co_u32_e32 v6, vcc, s33, v6
	v_addc_co_u32_e32 v7, vcc, 0, v7, vcc
	v_cmp_le_u64_e32 vcc, s[60:61], v[6:7]
	v_readlane_b32 s8, v59, 48
	v_add_u32_e32 v8, s8, v8
	s_mov_b64 s[8:9], 0
	s_orn2_b64 s[68:69], vcc, exec
	s_branch .LBB225_447
.LBB225_452:                            ;   in Loop: Header=BB225_31 Depth=1
	s_or_b64 exec, exec, s[62:63]
	v_lshrrev_b32_e32 v57, 16, v9
	s_and_b64 s[74:75], s[74:75], exec
.LBB225_453:                            ;   in Loop: Header=BB225_31 Depth=1
	s_or_b64 exec, exec, s[48:49]
	v_readlane_b32 s68, v59, 62
	v_readlane_b32 s69, v59, 63
.LBB225_454:                            ;   in Loop: Header=BB225_31 Depth=1
	s_and_b64 vcc, exec, s[64:65]
	s_cbranch_vccz .LBB225_457
; %bb.455:                              ;   in Loop: Header=BB225_31 Depth=1
	v_readlane_b32 s62, v59, 31
	v_readlane_b32 s63, v59, 32
	s_mov_b32 s62, s59
	s_cmp_lg_u64 s[62:63], 0
	v_writelane_b32 v59, s62, 31
	v_writelane_b32 v59, s63, 32
	s_cbranch_scc0 .LBB225_458
; %bb.456:                              ;   in Loop: Header=BB225_31 Depth=1
	v_cvt_f32_u32_e32 v6, s33
	s_sub_u32 s8, 0, s33
	s_subb_u32 s9, 0, 0
	v_mac_f32_e32 v6, 0, v53
	v_rcp_f32_e32 v6, v6
	v_mul_f32_e32 v6, 0x5f7ffffc, v6
	v_mul_f32_e32 v7, 0x2f800000, v6
	v_trunc_f32_e32 v7, v7
	v_mac_f32_e32 v6, 0xcf800000, v7
	v_cvt_u32_f32_e32 v7, v7
	v_cvt_u32_f32_e32 v6, v6
	v_readfirstlane_b32 s48, v7
	v_readfirstlane_b32 s4, v6
	s_mul_i32 s5, s8, s48
	s_mul_hi_u32 s58, s8, s4
	s_mul_i32 s49, s9, s4
	s_add_i32 s5, s58, s5
	s_mul_i32 s60, s8, s4
	s_add_i32 s5, s5, s49
	s_mul_hi_u32 s58, s4, s60
	s_mul_i32 s61, s4, s5
	s_mul_hi_u32 s49, s4, s5
	s_add_u32 s58, s58, s61
	s_addc_u32 s49, 0, s49
	s_mul_hi_u32 s62, s48, s60
	s_mul_i32 s60, s48, s60
	s_add_u32 s58, s58, s60
	s_mul_hi_u32 s61, s48, s5
	s_addc_u32 s49, s49, s62
	s_addc_u32 s58, s61, 0
	s_mul_i32 s5, s48, s5
	s_add_u32 s5, s49, s5
	s_addc_u32 s49, 0, s58
	s_add_u32 s58, s4, s5
	s_cselect_b64 s[4:5], -1, 0
	s_cmp_lg_u64 s[4:5], 0
	s_addc_u32 s48, s48, s49
	s_mul_i32 s4, s8, s48
	s_mul_hi_u32 s5, s8, s58
	s_add_i32 s4, s5, s4
	s_mul_i32 s9, s9, s58
	s_add_i32 s4, s4, s9
	s_mul_i32 s8, s8, s58
	s_mul_hi_u32 s9, s48, s8
	s_mul_i32 s49, s48, s8
	s_mul_i32 s61, s58, s4
	s_mul_hi_u32 s8, s58, s8
	s_mul_hi_u32 s60, s58, s4
	s_add_u32 s8, s8, s61
	s_addc_u32 s60, 0, s60
	s_add_u32 s8, s8, s49
	s_mul_hi_u32 s5, s48, s4
	s_addc_u32 s8, s60, s9
	s_addc_u32 s5, s5, 0
	s_mul_i32 s4, s48, s4
	s_add_u32 s4, s8, s4
	s_addc_u32 s8, 0, s5
	s_add_u32 s9, s58, s4
	s_cselect_b64 s[4:5], -1, 0
	s_cmp_lg_u64 s[4:5], 0
	s_addc_u32 s4, s48, s8
	v_readlane_b32 s58, v59, 29
	s_mul_i32 s8, s58, s4
	s_mul_hi_u32 s48, s58, s9
	s_mul_hi_u32 s5, s58, s4
	s_add_u32 s8, s48, s8
	s_addc_u32 s5, 0, s5
	s_mul_hi_u32 s49, s63, s9
	s_mul_i32 s9, s63, s9
	s_add_u32 s8, s8, s9
	s_mul_hi_u32 s48, s63, s4
	s_addc_u32 s5, s5, s49
	s_addc_u32 s8, s48, 0
	s_mul_i32 s4, s63, s4
	s_add_u32 s4, s5, s4
	s_addc_u32 s5, 0, s8
	s_mul_i32 s5, s33, s5
	s_mul_hi_u32 s8, s33, s4
	s_add_i32 s8, s8, s5
	s_mul_i32 s4, s33, s4
	s_sub_u32 s9, s58, s4
	s_cselect_b64 s[4:5], -1, 0
	s_cmp_lg_u64 s[4:5], 0
	s_subb_u32 s8, s63, s8
	s_sub_u32 s48, s9, s33
	s_cselect_b64 s[4:5], -1, 0
	s_cmp_lg_u64 s[4:5], 0
	s_subb_u32 s49, s8, 0
	;; [unrolled: 4-line block ×3, first 2 shown]
	s_cmp_ge_u32 s48, s33
	s_cselect_b32 s5, -1, 0
	s_cmp_eq_u32 s49, 0
	s_cselect_b32 s5, s5, -1
	s_cmp_lg_u32 s5, 0
	s_cselect_b32 s4, s4, s49
	s_cselect_b32 s48, s58, s48
	s_cmp_ge_u32 s9, s33
	s_cselect_b32 s5, -1, 0
	s_cmp_eq_u32 s8, 0
	s_cselect_b32 s5, s5, -1
	s_cmp_lg_u32 s5, 0
	s_cselect_b32 s5, s4, s8
	s_cselect_b32 s4, s48, s9
	s_mov_b64 s[8:9], 0
	s_branch .LBB225_459
.LBB225_457:                            ;   in Loop: Header=BB225_31 Depth=1
	s_mov_b64 s[64:65], -1
	s_branch .LBB225_471
.LBB225_458:                            ;   in Loop: Header=BB225_31 Depth=1
	s_mov_b64 s[8:9], -1
                                        ; implicit-def: $sgpr4_sgpr5
.LBB225_459:                            ;   in Loop: Header=BB225_31 Depth=1
	s_andn2_b64 vcc, exec, s[8:9]
	s_cbranch_vccnz .LBB225_461
; %bb.460:                              ;   in Loop: Header=BB225_31 Depth=1
	v_cvt_f32_u32_e32 v6, s33
	s_sub_i32 s4, 0, s33
	v_readlane_b32 s8, v59, 29
	v_rcp_iflag_f32_e32 v6, v6
	v_mul_f32_e32 v6, 0x4f7ffffe, v6
	v_cvt_u32_f32_e32 v6, v6
	v_readfirstlane_b32 s5, v6
	s_mul_i32 s4, s4, s5
	s_mul_hi_u32 s4, s5, s4
	s_add_i32 s5, s5, s4
	s_mul_hi_u32 s4, s8, s5
	s_mul_i32 s4, s4, s33
	s_sub_i32 s4, s8, s4
	s_sub_i32 s5, s4, s33
	s_cmp_ge_u32 s4, s33
	s_cselect_b32 s4, s5, s4
	s_sub_i32 s5, s4, s33
	s_cmp_ge_u32 s4, s33
	s_cselect_b32 s58, s5, s4
	s_mov_b64 s[4:5], s[58:59]
.LBB225_461:                            ;   in Loop: Header=BB225_31 Depth=1
	v_readlane_b32 s8, v59, 29
	s_sub_u32 s64, s8, s4
	v_readlane_b32 s8, v59, 31
	v_readlane_b32 s9, v59, 32
	s_subb_u32 s65, s9, s5
	v_cmp_gt_u64_e32 vcc, s[64:65], v[0:1]
                                        ; implicit-def: $vgpr57
	s_and_saveexec_b64 s[4:5], vcc
	v_readlane_b32 s58, v59, 57
	s_cbranch_execz .LBB225_470
; %bb.462:                              ;   in Loop: Header=BB225_31 Depth=1
	v_mov_b32_e32 v6, v26
	v_mov_b32_e32 v9, v1
	s_mov_b64 s[48:49], 0
	v_mov_b32_e32 v7, v27
	v_mov_b32_e32 v8, v0
                                        ; implicit-def: $sgpr60_sgpr61
	s_branch .LBB225_465
.LBB225_463:                            ;   in Loop: Header=BB225_465 Depth=2
	s_or_b64 exec, exec, s[62:63]
	s_waitcnt lgkmcnt(0)
	s_barrier
	ds_read_b32 v10, v3 offset:3072
	s_mov_b64 s[62:63], -1
	s_mov_b64 s[8:9], -1
	s_waitcnt lgkmcnt(0)
	s_barrier
	v_and_b32_e32 v11, 0x7fff, v10
	v_cmp_eq_u32_e32 vcc, 0, v11
	s_cbranch_vccnz .LBB225_468
.LBB225_464:                            ;   in Loop: Header=BB225_465 Depth=2
	s_and_b64 s[62:63], exec, s[62:63]
	s_or_b64 s[48:49], s[62:63], s[48:49]
	s_andn2_b64 s[60:61], s[60:61], exec
	s_and_b64 s[8:9], s[8:9], exec
	s_or_b64 s[60:61], s[60:61], s[8:9]
	s_andn2_b64 exec, exec, s[48:49]
	s_cbranch_execz .LBB225_469
.LBB225_465:                            ;   Parent Loop BB225_31 Depth=1
                                        ; =>  This Inner Loop Header: Depth=2
	v_cmp_gt_u64_e32 vcc, s[28:29], v[8:9]
	s_and_saveexec_b64 s[62:63], vcc
	s_cbranch_execz .LBB225_463
; %bb.466:                              ;   in Loop: Header=BB225_465 Depth=2
	global_load_ushort v10, v[6:7], off
	s_waitcnt vmcnt(0)
	v_cmp_lt_i16_e32 vcc, -1, v10
	v_cndmask_b32_e32 v11, v51, v52, vcc
	v_lshlrev_b32_e32 v29, 16, v10
	v_cmp_o_f32_e32 vcc, v29, v29
	v_xor_b32_sdwa v11, v11, v10 dst_sel:DWORD dst_unused:UNUSED_PAD src0_sel:DWORD src1_sel:WORD_0
	v_cndmask_b32_e32 v11, v51, v11, vcc
	v_and_b32_e32 v11, v11, v56
	v_cmp_eq_u32_e32 vcc, v11, v47
	s_and_b64 exec, exec, vcc
	s_cbranch_execz .LBB225_463
; %bb.467:                              ;   in Loop: Header=BB225_465 Depth=2
	s_movk_i32 s8, 0x3f80
	v_perm_b32 v10, v10, s8, v55
	ds_write_b32 v3, v10 offset:3072
	s_branch .LBB225_463
.LBB225_468:                            ;   in Loop: Header=BB225_465 Depth=2
	v_add_co_u32_e32 v8, vcc, s33, v8
	v_addc_co_u32_e32 v9, vcc, 0, v9, vcc
	v_mov_b32_e32 v11, s37
	v_add_co_u32_e32 v6, vcc, s36, v6
	v_addc_co_u32_e32 v7, vcc, v7, v11, vcc
	v_cmp_le_u64_e32 vcc, s[64:65], v[8:9]
	s_mov_b64 s[8:9], 0
	s_orn2_b64 s[62:63], vcc, exec
	s_branch .LBB225_464
.LBB225_469:                            ;   in Loop: Header=BB225_31 Depth=1
	s_or_b64 exec, exec, s[48:49]
	s_andn2_b64 s[8:9], s[74:75], exec
	s_and_b64 s[48:49], s[60:61], exec
	v_lshrrev_b32_e32 v57, 16, v10
	s_or_b64 s[74:75], s[8:9], s[48:49]
.LBB225_470:                            ;   in Loop: Header=BB225_31 Depth=1
	s_or_b64 exec, exec, s[4:5]
	s_mov_b64 s[64:65], 0
	s_mov_b64 s[78:79], -1
.LBB225_471:                            ;   in Loop: Header=BB225_31 Depth=1
	s_orn2_b64 s[48:49], s[74:75], exec
.LBB225_472:                            ;   in Loop: Header=BB225_31 Depth=1
	v_readlane_b32 s4, v59, 60
	v_readlane_b32 s5, v59, 61
	s_or_b64 exec, exec, s[4:5]
	s_mov_b64 s[60:61], 0
	s_and_saveexec_b64 s[4:5], s[48:49]
	s_cbranch_execz .LBB225_483
; %bb.473:                              ;   in Loop: Header=BB225_31 Depth=1
	v_readlane_b32 s8, v59, 58
	v_readlane_b32 s9, v59, 59
	v_mov_b32_e32 v6, 1
	s_xor_b64 s[8:9], s[8:9], -1
	v_mov_b32_e32 v7, 0
	v_mov_b32_e32 v2, 1
	s_and_saveexec_b64 s[48:49], s[8:9]
	s_cbranch_execz .LBB225_482
; %bb.474:                              ;   in Loop: Header=BB225_31 Depth=1
	v_cmp_ge_u64_e32 vcc, s[22:23], v[4:5]
	s_and_saveexec_b64 s[8:9], vcc
	s_xor_b64 s[60:61], exec, s[8:9]
	s_cbranch_execz .LBB225_479
; %bb.475:                              ;   in Loop: Header=BB225_31 Depth=1
	ds_read_b64 v[6:7], v3 offset:5120
	v_and_b32_e32 v47, s1, v47
	v_or_b32_e32 v56, s0, v56
	s_waitcnt lgkmcnt(0)
	v_cmp_ne_u64_e32 vcc, 0, v[6:7]
	s_cbranch_vccnz .LBB225_479
; %bb.476:                              ;   in Loop: Header=BB225_31 Depth=1
	s_mov_b64 s[8:9], exec
	v_readlane_b32 s0, v59, 8
	v_readlane_b32 s1, v59, 9
	s_and_b64 s[0:1], s[8:9], s[0:1]
	s_mov_b64 exec, s[0:1]
; %bb.477:                              ;   in Loop: Header=BB225_31 Depth=1
	v_mov_b32_e32 v6, s22
	v_mov_b32_e32 v7, s23
	ds_write_b64 v3, v[6:7] offset:5128
; %bb.478:                              ;   in Loop: Header=BB225_31 Depth=1
	s_or_b64 exec, exec, s[8:9]
	s_waitcnt lgkmcnt(0)
	s_barrier
.LBB225_479:                            ;   in Loop: Header=BB225_31 Depth=1
	s_andn2_saveexec_b64 s[60:61], s[60:61]
; %bb.480:                              ;   in Loop: Header=BB225_31 Depth=1
	v_mov_b32_e32 v2, s23
	v_subrev_co_u32_e32 v4, vcc, s22, v4
	v_subb_co_u32_e32 v5, vcc, v5, v2, vcc
; %bb.481:                              ;   in Loop: Header=BB225_31 Depth=1
	s_or_b64 exec, exec, s[60:61]
	v_mov_b32_e32 v7, v5
	v_mov_b32_e32 v2, 5
	;; [unrolled: 1-line block ×3, first 2 shown]
.LBB225_482:                            ;   in Loop: Header=BB225_31 Depth=1
	s_or_b64 exec, exec, s[48:49]
	v_mov_b32_e32 v4, v6
	s_mov_b64 s[60:61], exec
	v_mov_b32_e32 v5, v7
.LBB225_483:                            ;   in Loop: Header=BB225_31 Depth=1
	s_or_b64 exec, exec, s[4:5]
	s_orn2_b64 s[4:5], s[60:61], exec
.LBB225_484:                            ;   in Loop: Header=BB225_31 Depth=1
	s_or_b64 exec, exec, s[12:13]
	s_andn2_b64 s[0:1], s[72:73], exec
	s_and_b64 s[8:9], s[78:79], exec
	s_or_b64 s[72:73], s[0:1], s[8:9]
	s_andn2_b64 s[0:1], s[68:69], exec
	s_and_b64 s[8:9], s[64:65], exec
	v_mov_b32_e32 v7, v5
	s_or_b64 s[68:69], s[0:1], s[8:9]
	s_and_b64 s[60:61], s[4:5], exec
	v_mov_b32_e32 v6, v4
.LBB225_485:                            ;   in Loop: Header=BB225_31 Depth=1
	s_or_b64 exec, exec, s[10:11]
	s_orn2_b64 s[4:5], s[60:61], exec
.LBB225_486:                            ;   in Loop: Header=BB225_31 Depth=1
	s_or_b64 exec, exec, s[16:17]
	s_andn2_b64 s[0:1], s[70:71], exec
	s_and_b64 s[8:9], s[72:73], exec
	s_or_b64 s[70:71], s[0:1], s[8:9]
	s_andn2_b64 s[0:1], s[42:43], exec
	s_and_b64 s[8:9], s[68:69], exec
	v_mov_b32_e32 v4, v6
	s_or_b64 s[42:43], s[0:1], s[8:9]
	s_and_b64 s[10:11], s[4:5], exec
	v_mov_b32_e32 v5, v7
.LBB225_487:                            ;   in Loop: Header=BB225_31 Depth=1
	s_or_b64 exec, exec, s[6:7]
	s_orn2_b64 s[4:5], s[10:11], exec
.LBB225_488:                            ;   in Loop: Header=BB225_31 Depth=1
	s_or_b64 exec, exec, s[2:3]
	s_mov_b64 s[2:3], s[40:41]
	s_mov_b64 s[6:7], s[14:15]
	s_and_saveexec_b64 s[8:9], s[4:5]
; %bb.489:                              ;   in Loop: Header=BB225_31 Depth=1
	v_cmp_ne_u32_e64 s[6:7], 5, v2
	v_cmp_eq_u32_e32 vcc, 5, v2
	s_andn2_b64 s[0:1], s[14:15], exec
	s_and_b64 s[2:3], s[6:7], exec
	s_or_b64 s[6:7], s[0:1], s[2:3]
	s_andn2_b64 s[0:1], s[40:41], exec
	s_and_b64 s[2:3], vcc, exec
	s_or_b64 s[2:3], s[0:1], s[2:3]
; %bb.490:                              ;   in Loop: Header=BB225_31 Depth=1
	s_or_b64 exec, exec, s[8:9]
	s_andn2_b64 s[0:1], s[18:19], exec
	s_and_b64 s[4:5], s[70:71], exec
	s_or_b64 s[18:19], s[0:1], s[4:5]
	s_andn2_b64 s[0:1], s[24:25], exec
	s_and_b64 s[4:5], s[42:43], exec
	s_or_b64 s[24:25], s[0:1], s[4:5]
	;; [unrolled: 3-line block ×4, first 2 shown]
.LBB225_491:                            ;   in Loop: Header=BB225_31 Depth=1
	s_or_b64 exec, exec, s[20:21]
	s_mov_b64 s[42:43], 0
	s_mov_b64 s[20:21], 0
	s_and_saveexec_b64 s[2:3], s[40:41]
.LBB225_492:                            ;   in Loop: Header=BB225_31 Depth=1
	v_mov_b32_e32 v2, 0
	s_or_b64 s[14:15], s[14:15], exec
.LBB225_493:                            ;   in Loop: Header=BB225_31 Depth=1
	s_or_b64 exec, exec, s[2:3]
	s_andn2_b64 s[0:1], s[54:55], exec
	s_and_b64 s[2:3], s[18:19], exec
	s_or_b64 s[54:55], s[0:1], s[2:3]
	s_andn2_b64 s[0:1], s[52:53], exec
	s_and_b64 s[2:3], s[24:25], exec
	s_or_b64 s[52:53], s[0:1], s[2:3]
	;; [unrolled: 3-line block ×3, first 2 shown]
	s_andn2_b64 s[0:1], s[92:93], exec
	s_and_b64 s[2:3], s[42:43], exec
	v_mov_b32_e32 v30, v5
	s_mov_b64 s[4:5], -1
	s_andn2_b64 s[56:57], s[56:57], exec
	s_or_b64 s[92:93], s[0:1], s[2:3]
	v_mov_b32_e32 v29, v4
	s_and_saveexec_b64 s[0:1], s[14:15]
	v_readlane_b32 s20, v59, 55
	s_xor_b64 s[2:3], exec, s[0:1]
	v_readlane_b32 s21, v59, 56
	s_cbranch_execz .LBB225_30
; %bb.494:                              ;   in Loop: Header=BB225_31 Depth=1
	v_cmp_eq_u32_e32 vcc, 0, v2
	s_mov_b64 s[6:7], -1
	s_and_saveexec_b64 s[8:9], vcc
	s_cbranch_execz .LBB225_29
; %bb.495:                              ;   in Loop: Header=BB225_31 Depth=1
	v_readlane_b32 s0, v59, 54
	s_xor_b32 s0, s0, 1
	s_add_i32 s10, s67, -2
	s_cmp_eq_u32 s67, 0
	v_writelane_b32 v59, s0, 54
	s_cselect_b64 s[0:1], -1, 0
	s_xor_b64 s[6:7], exec, -1
	s_orn2_b64 s[4:5], s[0:1], exec
	s_mov_b32 s67, s10
	s_branch .LBB225_29
.LBB225_496:
	s_or_b64 exec, exec, s[80:81]
	s_xor_b64 s[4:5], s[90:91], -1
	s_xor_b64 s[12:13], s[86:87], -1
	;; [unrolled: 1-line block ×5, first 2 shown]
	s_mov_b64 s[6:7], 0
	s_and_saveexec_b64 s[8:9], s[0:1]
	s_xor_b64 s[8:9], exec, s[8:9]
	s_cbranch_execnz .LBB225_501
; %bb.497:
	s_andn2_saveexec_b64 s[0:1], s[8:9]
	s_cbranch_execnz .LBB225_520
.LBB225_498:
	s_or_b64 exec, exec, s[0:1]
	s_and_saveexec_b64 s[0:1], s[6:7]
.LBB225_499:
	; divergent unreachable
.LBB225_500:
	s_endpgm
.LBB225_501:
	s_and_saveexec_b64 s[0:1], s[10:11]
	s_xor_b64 s[10:11], exec, s[0:1]
	s_cbranch_execz .LBB225_518
; %bb.502:
	s_and_saveexec_b64 s[0:1], s[12:13]
	s_xor_b64 s[12:13], exec, s[0:1]
	s_cbranch_execz .LBB225_516
; %bb.503:
	;; [unrolled: 4-line block ×3, first 2 shown]
	s_and_saveexec_b64 s[0:1], s[2:3]
	s_xor_b64 s[2:3], exec, s[0:1]
; %bb.505:
	v_and_b32_e32 v2, 0x8000, v47
	v_mov_b32_e32 v3, 0x8000
	v_mov_b32_e32 v4, 0xffff
	v_cmp_eq_u32_e32 vcc, 0, v2
	v_cndmask_b32_e32 v2, v3, v4, vcc
	v_xor_b32_e32 v57, v2, v47
; %bb.506:
	s_or_b64 exec, exec, s[2:3]
	s_mov_b64 s[2:3], exec
	v_readlane_b32 s0, v59, 8
	v_readlane_b32 s1, v59, 9
	;; [unrolled: 1-line block ×4, first 2 shown]
	s_and_b64 s[0:1], s[2:3], s[0:1]
	v_readlane_b32 s53, v59, 50
	v_readlane_b32 s55, v59, 13
	s_mov_b64 exec, s[0:1]
; %bb.507:
	v_mov_b32_e32 v2, 0
	v_mov_b32_e32 v3, v2
	ds_write_b64 v2, v[2:3] offset:5136
; %bb.508:
	s_or_b64 exec, exec, s[2:3]
	v_mov_b32_e32 v19, 0
	s_waitcnt lgkmcnt(0)
	s_barrier
	s_mov_b64 s[2:3], exec
	v_readlane_b32 s0, v59, 22
	v_readlane_b32 s1, v59, 23
	s_and_b64 s[0:1], s[2:3], s[0:1]
	s_mov_b64 exec, s[0:1]
	s_cbranch_execz .LBB225_510
; %bb.509:
	global_load_ushort v19, v[12:13], off
.LBB225_510:
	s_or_b64 exec, exec, s[2:3]
	s_add_u32 s0, s28, 63
	v_readlane_b32 s2, v59, 0
	s_addc_u32 s17, s29, 0
	s_and_b32 s16, s0, 0xffffffc0
	v_readlane_b32 s3, v59, 1
	s_mul_i32 s0, s2, s39
	s_mul_hi_u32 s1, s2, s38
	s_add_i32 s0, s1, s0
	s_mul_i32 s1, s3, s38
	v_readlane_b32 s4, v59, 2
	s_add_i32 s1, s0, s1
	s_mul_i32 s0, s2, s38
	v_readlane_b32 s5, v59, 3
	s_mul_i32 s2, s4, s51
	s_mul_hi_u32 s3, s4, s50
	s_add_i32 s2, s3, s2
	s_mul_i32 s3, s5, s50
	s_add_i32 s3, s2, s3
	s_mul_i32 s2, s4, s50
	s_lshl_b64 s[0:1], s[0:1], 1
	v_readlane_b32 s4, v59, 4
	v_readlane_b32 s5, v59, 5
	s_add_u32 s4, s4, s0
	s_addc_u32 s5, s5, s1
	s_lshl_b64 s[0:1], s[34:35], 1
	s_add_u32 s0, s4, s0
	s_addc_u32 s1, s5, s1
	s_lshl_b64 s[2:3], s[2:3], 3
	v_readlane_b32 s4, v59, 6
	v_readlane_b32 s5, v59, 7
	s_add_u32 s4, s4, s2
	s_addc_u32 s5, s5, s3
	s_lshl_b64 s[2:3], s[46:47], 3
	s_add_u32 s48, s4, s2
	s_addc_u32 s49, s5, s3
	v_readlane_b32 s2, v59, 10
	v_readlane_b32 s3, v59, 11
	v_mov_b32_e32 v17, 0xffff
	v_mov_b32_e32 v18, 0x8000
	v_cmp_lt_i16_e32 vcc, -1, v57
	s_load_dwordx2 s[18:19], s[2:3], 0x368
	s_load_dwordx2 s[20:21], s[2:3], 0x510
	v_cndmask_b32_e32 v2, v17, v18, vcc
	v_lshlrev_b32_e32 v3, 16, v57
	v_xor_b32_sdwa v2, v2, v57 dst_sel:DWORD dst_unused:UNUSED_PAD src0_sel:DWORD src1_sel:WORD_0
	v_cmp_o_f32_e32 vcc, v3, v3
	v_cndmask_b32_e32 v16, v17, v2, vcc
	v_cmp_gt_u64_e32 vcc, s[16:17], v[0:1]
	s_mov_b64 s[24:25], -1
	s_mov_b64 s[2:3], 0
	s_mov_b64 s[4:5], 0
	s_and_saveexec_b64 s[22:23], vcc
	s_cbranch_execnz .LBB225_521
; %bb.511:
	s_or_b64 exec, exec, s[22:23]
	s_and_saveexec_b64 s[6:7], s[24:25]
	s_cbranch_execnz .LBB225_538
.LBB225_512:
	s_or_b64 exec, exec, s[6:7]
	s_and_saveexec_b64 s[0:1], s[4:5]
	s_xor_b64 s[0:1], exec, s[0:1]
	s_cbranch_execnz .LBB225_563
.LBB225_513:
	s_or_b64 exec, exec, s[0:1]
	s_and_b64 s[6:7], s[2:3], exec
.LBB225_514:
	s_andn2_saveexec_b64 s[0:1], s[14:15]
	s_cbranch_execnz .LBB225_565
.LBB225_515:
	s_or_b64 exec, exec, s[0:1]
	s_and_b64 s[6:7], s[6:7], exec
.LBB225_516:
	s_andn2_saveexec_b64 s[0:1], s[12:13]
	s_cbranch_execnz .LBB225_564
.LBB225_517:
	s_or_b64 exec, exec, s[0:1]
	s_and_b64 s[6:7], s[6:7], exec
.LBB225_518:
	s_andn2_saveexec_b64 s[0:1], s[10:11]
	s_cbranch_execnz .LBB225_559
.LBB225_519:
	s_or_b64 exec, exec, s[0:1]
	s_and_b64 s[6:7], s[6:7], exec
	s_andn2_saveexec_b64 s[0:1], s[8:9]
	s_cbranch_execz .LBB225_498
.LBB225_520:
	s_or_b64 s[6:7], s[6:7], exec
	s_trap 2
	s_or_b64 exec, exec, s[0:1]
	s_and_saveexec_b64 s[0:1], s[6:7]
	s_cbranch_execnz .LBB225_499
	s_branch .LBB225_500
.LBB225_521:
	v_add_co_u32_e64 v2, s[4:5], s33, v0
	v_addc_co_u32_e64 v3, s[4:5], 0, 0, s[4:5]
	v_mul_lo_u32 v4, s27, v2
	v_mul_lo_u32 v5, s26, v3
	v_mad_u64_u32 v[2:3], s[4:5], s26, v2, 0
	s_add_u32 s4, s52, s44
	s_addc_u32 s5, s53, s45
	v_add3_u32 v3, v3, v5, v4
	v_readlane_b32 s6, v59, 51
	v_lshlrev_b64 v[2:3], 1, v[2:3]
	v_readlane_b32 s7, v59, 52
	s_add_u32 s4, s4, s6
	s_addc_u32 s5, s5, s7
	v_mov_b32_e32 v4, s5
	v_add_co_u32_e64 v2, s[4:5], s4, v2
	v_mov_b32_e32 v11, v1
	v_addc_co_u32_e64 v3, s[4:5], v4, v3, s[4:5]
	s_mov_b64 s[24:25], 0
	v_mov_b32_e32 v5, 0
	v_mov_b32_e32 v10, v0
                                        ; implicit-def: $sgpr34_sgpr35
                                        ; implicit-def: $vgpr8_vgpr9
	s_branch .LBB225_523
.LBB225_522:                            ;   in Loop: Header=BB225_523 Depth=1
	s_or_b64 exec, exec, s[38:39]
	s_xor_b64 s[4:5], s[40:41], -1
	s_and_b64 s[6:7], exec, s[6:7]
	s_or_b64 s[24:25], s[6:7], s[24:25]
	s_andn2_b64 s[6:7], s[34:35], exec
	s_and_b64 s[4:5], s[4:5], exec
	v_mov_b32_e32 v11, v7
	s_or_b64 s[34:35], s[6:7], s[4:5]
	v_mov_b32_e32 v10, v6
	s_waitcnt vmcnt(0)
	v_mov_b32_e32 v19, v20
	s_andn2_b64 exec, exec, s[24:25]
	s_cbranch_execz .LBB225_537
.LBB225_523:                            ; =>This Inner Loop Header: Depth=1
	v_add_co_u32_e64 v6, s[4:5], s33, v10
	v_addc_co_u32_e64 v7, s[4:5], 0, v11, s[4:5]
	v_cmp_gt_u64_e64 s[4:5], s[28:29], v[6:7]
	v_mov_b32_e32 v20, 0
	s_and_saveexec_b64 s[6:7], s[4:5]
	s_cbranch_execz .LBB225_525
; %bb.524:                              ;   in Loop: Header=BB225_523 Depth=1
	global_load_ushort v20, v[2:3], off
.LBB225_525:                            ;   in Loop: Header=BB225_523 Depth=1
	s_or_b64 exec, exec, s[6:7]
	v_cmp_gt_u64_e64 s[4:5], s[28:29], v[10:11]
	s_mov_b64 s[38:39], 0
	s_and_saveexec_b64 s[6:7], s[4:5]
	s_cbranch_execz .LBB225_527
; %bb.526:                              ;   in Loop: Header=BB225_523 Depth=1
	s_waitcnt vmcnt(0)
	v_cmp_lt_i16_e64 s[4:5], -1, v19
	v_cndmask_b32_e64 v4, v17, v18, s[4:5]
	v_lshlrev_b32_e32 v14, 16, v19
	v_xor_b32_sdwa v4, v4, v19 dst_sel:DWORD dst_unused:UNUSED_PAD src0_sel:DWORD src1_sel:WORD_0
	v_cmp_o_f32_e64 s[4:5], v14, v14
	v_cndmask_b32_e64 v4, v17, v4, s[4:5]
	v_cmp_gt_u32_e64 s[4:5], v4, v16
	v_cndmask_b32_e64 v14, 0, 1, s[4:5]
	v_cmp_lt_u32_e64 s[4:5], v4, v16
	v_cndmask_b32_e64 v4, 0, 1, s[4:5]
	v_cndmask_b32_e64 v4, v4, v14, s[54:55]
	v_and_b32_e32 v4, 1, v4
	v_cmp_eq_u32_e64 s[4:5], 1, v4
	s_and_b64 s[38:39], s[4:5], exec
.LBB225_527:                            ;   in Loop: Header=BB225_523 Depth=1
	s_or_b64 exec, exec, s[6:7]
	v_cndmask_b32_e64 v4, 0, 1, s[38:39]
	v_cmp_ne_u32_e64 s[4:5], 0, v4
	s_cmp_lg_u64 s[4:5], 0
	v_readlane_b32 s40, v59, 16
	s_cselect_b64 s[6:7], -1, 0
	v_readlane_b32 s41, v59, 17
	s_and_b64 s[6:7], s[40:41], s[6:7]
	s_and_saveexec_b64 s[40:41], s[6:7]
	s_cbranch_execz .LBB225_531
; %bb.528:                              ;   in Loop: Header=BB225_523 Depth=1
	s_mov_b64 s[46:47], exec
	v_mbcnt_lo_u32_b32 v4, s46, 0
	v_mbcnt_hi_u32_b32 v14, s47, v4
	s_bcnt1_i32_b64 s50, s[4:5]
	v_cmp_eq_u32_e64 s[6:7], 0, v14
                                        ; implicit-def: $vgpr8_vgpr9
	s_and_saveexec_b64 s[42:43], s[6:7]
	s_cbranch_execz .LBB225_530
; %bb.529:                              ;   in Loop: Header=BB225_523 Depth=1
	s_bcnt1_i32_b64 s6, s[46:47]
	s_mul_i32 s6, s50, s6
	v_mov_b32_e32 v4, s6
	s_waitcnt lgkmcnt(0)
	ds_add_rtn_u64 v[8:9], v5, v[4:5] offset:5136
.LBB225_530:                            ;   in Loop: Header=BB225_523 Depth=1
	s_or_b64 exec, exec, s[42:43]
	s_waitcnt lgkmcnt(0)
	v_readfirstlane_b32 s6, v9
	v_readfirstlane_b32 s7, v8
	v_mov_b32_e32 v8, s7
	v_mov_b32_e32 v9, s6
	v_mad_u64_u32 v[8:9], s[6:7], s50, v14, v[8:9]
.LBB225_531:                            ;   in Loop: Header=BB225_523 Depth=1
	s_or_b64 exec, exec, s[40:41]
	s_waitcnt lgkmcnt(0)
	ds_bpermute_b32 v8, v41, v8
	ds_bpermute_b32 v9, v41, v9
	s_mov_b64 s[6:7], -1
	s_mov_b64 s[42:43], -1
	s_and_saveexec_b64 s[40:41], s[38:39]
	s_cbranch_execz .LBB225_535
; %bb.532:                              ;   in Loop: Header=BB225_523 Depth=1
	v_and_b32_e32 v14, s4, v43
	v_and_b32_e32 v4, s5, v42
	v_bcnt_u32_b32 v14, v14, 0
	v_bcnt_u32_b32 v4, v4, v14
	s_waitcnt lgkmcnt(0)
	v_add_co_u32_e64 v14, s[4:5], v8, v4
	v_addc_co_u32_e64 v15, s[4:5], 0, v9, s[4:5]
	v_cmp_gt_u64_e64 s[4:5], s[30:31], v[14:15]
	s_mov_b64 s[38:39], 0
	s_and_saveexec_b64 s[42:43], s[4:5]
	s_cbranch_execz .LBB225_534
; %bb.533:                              ;   in Loop: Header=BB225_523 Depth=1
	v_mul_lo_u32 v4, v15, s18
	v_mul_lo_u32 v23, v14, s19
	v_mad_u64_u32 v[21:22], s[4:5], v14, s18, 0
	v_mul_lo_u32 v24, v15, s20
	v_mul_lo_u32 v25, v14, s21
	v_mad_u64_u32 v[14:15], s[4:5], v14, s20, 0
	v_add3_u32 v22, v22, v23, v4
	v_lshlrev_b64 v[21:22], 1, v[21:22]
	v_add3_u32 v15, v15, v25, v24
	v_mov_b32_e32 v4, s1
	v_add_co_u32_e64 v21, s[4:5], s0, v21
	v_lshlrev_b64 v[14:15], 3, v[14:15]
	v_addc_co_u32_e64 v22, s[4:5], v4, v22, s[4:5]
	v_mov_b32_e32 v4, s49
	v_add_co_u32_e64 v14, s[4:5], s48, v14
	s_mov_b64 s[38:39], exec
	v_addc_co_u32_e64 v15, s[4:5], v4, v15, s[4:5]
	s_waitcnt vmcnt(0)
	global_store_short v[21:22], v19, off
	global_store_dwordx2 v[14:15], v[10:11], off
.LBB225_534:                            ;   in Loop: Header=BB225_523 Depth=1
	s_or_b64 exec, exec, s[42:43]
	s_orn2_b64 s[42:43], s[38:39], exec
.LBB225_535:                            ;   in Loop: Header=BB225_523 Depth=1
	s_or_b64 exec, exec, s[40:41]
	s_mov_b64 s[40:41], -1
	s_and_saveexec_b64 s[38:39], s[42:43]
	s_cbranch_execz .LBB225_522
; %bb.536:                              ;   in Loop: Header=BB225_523 Depth=1
	v_mov_b32_e32 v4, s37
	v_add_co_u32_e64 v2, s[4:5], s36, v2
	v_addc_co_u32_e64 v3, s[4:5], v3, v4, s[4:5]
	v_cmp_le_u64_e64 s[4:5], s[16:17], v[6:7]
	s_xor_b64 s[40:41], exec, -1
	s_orn2_b64 s[6:7], s[4:5], exec
	s_branch .LBB225_522
.LBB225_537:
	s_or_b64 exec, exec, s[24:25]
	s_mov_b64 s[4:5], exec
	s_orn2_b64 s[24:25], s[34:35], exec
	s_or_b64 exec, exec, s[22:23]
	s_and_saveexec_b64 s[6:7], s[24:25]
	s_cbranch_execz .LBB225_512
.LBB225_538:
	v_mov_b32_e32 v15, 0
	s_waitcnt vmcnt(0) lgkmcnt(0)
	s_barrier
	s_mov_b64 s[2:3], exec
	v_readlane_b32 s22, v59, 22
	v_readlane_b32 s23, v59, 23
	s_and_b64 s[22:23], s[2:3], s[22:23]
	s_mov_b64 exec, s[22:23]
	s_cbranch_execz .LBB225_540
; %bb.539:
	global_load_ushort v15, v[12:13], off
.LBB225_540:
	s_or_b64 exec, exec, s[2:3]
	s_mov_b64 s[2:3], 0
	s_and_saveexec_b64 s[22:23], vcc
	s_cbranch_execz .LBB225_562
; %bb.541:
	v_add_co_u32_e32 v2, vcc, s33, v0
	v_addc_co_u32_e64 v3, s[2:3], 0, 0, vcc
	v_mul_lo_u32 v4, s27, v2
	v_mul_lo_u32 v5, s26, v3
	v_mad_u64_u32 v[2:3], s[2:3], s26, v2, 0
	s_add_u32 s2, s52, s44
	s_addc_u32 s3, s53, s45
	v_add3_u32 v3, v3, v5, v4
	v_readlane_b32 s24, v59, 51
	v_lshlrev_b64 v[2:3], 1, v[2:3]
	v_readlane_b32 s25, v59, 52
	s_add_u32 s2, s2, s24
	s_addc_u32 s3, s3, s25
	v_mov_b32_e32 v4, s3
	v_add_co_u32_e32 v2, vcc, s2, v2
	v_addc_co_u32_e32 v3, vcc, v4, v3, vcc
	s_mov_b64 s[24:25], 0
	v_mov_b32_e32 v5, 0
	v_mov_b32_e32 v12, 0xffff
	;; [unrolled: 1-line block ×3, first 2 shown]
                                        ; implicit-def: $sgpr26_sgpr27
                                        ; implicit-def: $vgpr8_vgpr9
	s_branch .LBB225_544
.LBB225_542:                            ;   in Loop: Header=BB225_544 Depth=1
	s_or_b64 exec, exec, s[38:39]
	s_orn2_b64 s[40:41], s[42:43], exec
	s_orn2_b64 s[38:39], s[34:35], exec
.LBB225_543:                            ;   in Loop: Header=BB225_544 Depth=1
	s_or_b64 exec, exec, s[2:3]
	s_xor_b64 s[2:3], s[40:41], -1
	s_and_b64 s[34:35], exec, s[38:39]
	s_or_b64 s[24:25], s[34:35], s[24:25]
	s_andn2_b64 s[26:27], s[26:27], exec
	s_and_b64 s[2:3], s[2:3], exec
	v_mov_b32_e32 v0, v6
	s_or_b64 s[26:27], s[26:27], s[2:3]
	v_mov_b32_e32 v1, v7
	s_waitcnt vmcnt(0)
	v_mov_b32_e32 v15, v14
	s_andn2_b64 exec, exec, s[24:25]
	s_cbranch_execz .LBB225_560
.LBB225_544:                            ; =>This Inner Loop Header: Depth=1
	v_add_co_u32_e32 v6, vcc, s33, v0
	v_addc_co_u32_e32 v7, vcc, 0, v1, vcc
	v_cmp_gt_u64_e32 vcc, s[28:29], v[6:7]
	v_mov_b32_e32 v14, 0
	s_and_saveexec_b64 s[2:3], vcc
	s_cbranch_execz .LBB225_546
; %bb.545:                              ;   in Loop: Header=BB225_544 Depth=1
	global_load_ushort v14, v[2:3], off
.LBB225_546:                            ;   in Loop: Header=BB225_544 Depth=1
	s_or_b64 exec, exec, s[2:3]
	v_cmp_gt_u64_e32 vcc, s[28:29], v[0:1]
	s_mov_b64 s[34:35], 0
	s_and_saveexec_b64 s[2:3], vcc
	s_cbranch_execz .LBB225_548
; %bb.547:                              ;   in Loop: Header=BB225_544 Depth=1
	s_waitcnt vmcnt(0)
	v_cmp_lt_i16_e32 vcc, -1, v15
	v_cndmask_b32_e32 v4, v12, v13, vcc
	v_lshlrev_b32_e32 v10, 16, v15
	v_xor_b32_sdwa v4, v4, v15 dst_sel:DWORD dst_unused:UNUSED_PAD src0_sel:DWORD src1_sel:WORD_0
	v_cmp_o_f32_e32 vcc, v10, v10
	v_cndmask_b32_e32 v4, v12, v4, vcc
	v_cmp_eq_u32_e32 vcc, v4, v16
	s_and_b64 s[34:35], vcc, exec
.LBB225_548:                            ;   in Loop: Header=BB225_544 Depth=1
	s_or_b64 exec, exec, s[2:3]
	v_cndmask_b32_e64 v4, 0, 1, s[34:35]
	v_cmp_ne_u32_e32 vcc, 0, v4
	s_cmp_lg_u64 vcc, 0
	v_readlane_b32 s38, v59, 16
	s_cselect_b64 s[2:3], -1, 0
	v_readlane_b32 s39, v59, 17
	s_and_b64 s[2:3], s[38:39], s[2:3]
	s_and_saveexec_b64 s[38:39], s[2:3]
	s_cbranch_execz .LBB225_552
; %bb.549:                              ;   in Loop: Header=BB225_544 Depth=1
	s_mov_b64 s[42:43], exec
	v_mbcnt_lo_u32_b32 v4, s42, 0
	v_mbcnt_hi_u32_b32 v10, s43, v4
	s_bcnt1_i32_b64 s44, vcc
	v_cmp_eq_u32_e64 s[2:3], 0, v10
                                        ; implicit-def: $vgpr8_vgpr9
	s_and_saveexec_b64 s[40:41], s[2:3]
; %bb.550:                              ;   in Loop: Header=BB225_544 Depth=1
	s_bcnt1_i32_b64 s2, s[42:43]
	s_mul_i32 s2, s44, s2
	v_mov_b32_e32 v4, s2
	ds_add_rtn_u64 v[8:9], v5, v[4:5] offset:5136
; %bb.551:                              ;   in Loop: Header=BB225_544 Depth=1
	s_or_b64 exec, exec, s[40:41]
	s_waitcnt lgkmcnt(0)
	v_readfirstlane_b32 s2, v9
	v_readfirstlane_b32 s3, v8
	v_mov_b32_e32 v8, s3
	v_mov_b32_e32 v9, s2
	v_mad_u64_u32 v[8:9], s[2:3], s44, v10, v[8:9]
.LBB225_552:                            ;   in Loop: Header=BB225_544 Depth=1
	s_or_b64 exec, exec, s[38:39]
	ds_bpermute_b32 v8, v41, v8
	ds_bpermute_b32 v9, v41, v9
	s_cmp_eq_u64 vcc, 0
	s_cselect_b64 s[40:41], -1, 0
	s_mov_b64 s[38:39], -1
	s_waitcnt lgkmcnt(0)
	v_cmp_gt_u64_e64 s[2:3], s[30:31], v[8:9]
	s_or_b64 s[42:43], s[40:41], s[2:3]
	s_mov_b64 s[40:41], -1
	s_and_saveexec_b64 s[2:3], s[42:43]
	s_cbranch_execz .LBB225_543
; %bb.553:                              ;   in Loop: Header=BB225_544 Depth=1
	v_and_b32_e32 v10, vcc_lo, v43
	v_and_b32_e32 v4, vcc_hi, v42
	v_bcnt_u32_b32 v10, v10, 0
	v_bcnt_u32_b32 v4, v4, v10
	v_mov_b32_e32 v11, s31
	v_sub_co_u32_e32 v10, vcc, s30, v8
	v_subb_co_u32_e32 v11, vcc, v11, v9, vcc
	v_cmp_gt_u64_e32 vcc, v[10:11], v[4:5]
	s_mov_b64 s[42:43], -1
	s_and_b64 s[44:45], s[34:35], vcc
	s_mov_b64 s[34:35], -1
	s_and_saveexec_b64 s[38:39], s[44:45]
	s_cbranch_execz .LBB225_557
; %bb.554:                              ;   in Loop: Header=BB225_544 Depth=1
	v_add_co_u32_e32 v10, vcc, v8, v4
	v_addc_co_u32_e32 v11, vcc, 0, v9, vcc
	v_cmp_gt_u64_e32 vcc, s[30:31], v[10:11]
	s_mov_b64 s[40:41], 0
	s_and_saveexec_b64 s[42:43], vcc
	s_cbranch_execz .LBB225_556
; %bb.555:                              ;   in Loop: Header=BB225_544 Depth=1
	v_mul_lo_u32 v4, v11, s18
	v_mul_lo_u32 v19, v10, s19
	v_mad_u64_u32 v[17:18], s[44:45], v10, s18, 0
	v_mul_lo_u32 v20, v11, s20
	v_mul_lo_u32 v21, v10, s21
	v_mad_u64_u32 v[10:11], s[44:45], v10, s20, 0
	v_add3_u32 v18, v18, v19, v4
	v_lshlrev_b64 v[17:18], 1, v[17:18]
	v_add3_u32 v11, v11, v21, v20
	v_mov_b32_e32 v4, s1
	v_add_co_u32_e32 v17, vcc, s0, v17
	v_lshlrev_b64 v[10:11], 3, v[10:11]
	v_addc_co_u32_e32 v18, vcc, v4, v18, vcc
	v_mov_b32_e32 v4, s49
	v_add_co_u32_e32 v10, vcc, s48, v10
	s_mov_b64 s[40:41], exec
	v_addc_co_u32_e32 v11, vcc, v4, v11, vcc
	s_waitcnt vmcnt(0)
	global_store_short v[17:18], v15, off
	global_store_dwordx2 v[10:11], v[0:1], off
.LBB225_556:                            ;   in Loop: Header=BB225_544 Depth=1
	s_or_b64 exec, exec, s[42:43]
	s_xor_b64 s[42:43], exec, -1
	s_orn2_b64 s[40:41], s[40:41], exec
.LBB225_557:                            ;   in Loop: Header=BB225_544 Depth=1
	s_or_b64 exec, exec, s[38:39]
	s_and_saveexec_b64 s[38:39], s[40:41]
	s_cbranch_execz .LBB225_542
; %bb.558:                              ;   in Loop: Header=BB225_544 Depth=1
	v_mov_b32_e32 v0, s37
	v_add_co_u32_e32 v2, vcc, s36, v2
	v_addc_co_u32_e32 v3, vcc, v3, v0, vcc
	v_cmp_le_u64_e32 vcc, s[16:17], v[6:7]
	s_or_b64 s[42:43], s[42:43], exec
	s_orn2_b64 s[34:35], vcc, exec
	s_branch .LBB225_542
.LBB225_559:
	s_or_b64 s[6:7], s[6:7], exec
	s_trap 2
	s_branch .LBB225_519
.LBB225_560:
	s_or_b64 exec, exec, s[24:25]
	s_mov_b64 s[0:1], 0
	s_and_saveexec_b64 s[2:3], s[26:27]
	s_xor_b64 s[2:3], exec, s[2:3]
	s_cbranch_execnz .LBB225_566
.LBB225_561:
	s_or_b64 exec, exec, s[2:3]
	s_and_b64 s[2:3], s[0:1], exec
.LBB225_562:
	s_or_b64 exec, exec, s[22:23]
	s_and_b64 s[2:3], s[2:3], exec
	s_andn2_b64 s[4:5], s[4:5], exec
	s_or_b64 exec, exec, s[6:7]
	s_and_saveexec_b64 s[0:1], s[4:5]
	s_xor_b64 s[0:1], exec, s[0:1]
	s_cbranch_execz .LBB225_513
.LBB225_563:
	s_trap 2
	s_or_b64 s[2:3], s[2:3], exec
	s_branch .LBB225_513
.LBB225_564:
	s_or_b64 s[6:7], s[6:7], exec
	s_trap 2
	s_branch .LBB225_517
.LBB225_565:
	s_trap 2
	s_or_b64 s[6:7], s[6:7], exec
	s_branch .LBB225_515
.LBB225_566:
	s_mov_b64 s[0:1], exec
	s_trap 2
	s_branch .LBB225_561
	.section	.rodata,"a",@progbits
	.p2align	6, 0x0
	.amdhsa_kernel _ZN2at6native6sbtopk10gatherTopKIN3c108BFloat16EmLin1ELb0EEEvNS_4cuda6detail10TensorInfoIKT_T0_EESA_SA_bSA_SA_NS7_IS8_SA_EESA_NS7_IlSA_EESA_PS8_
		.amdhsa_group_segment_fixed_size 5152
		.amdhsa_private_segment_fixed_size 0
		.amdhsa_kernarg_size 1568
		.amdhsa_user_sgpr_count 6
		.amdhsa_user_sgpr_private_segment_buffer 1
		.amdhsa_user_sgpr_dispatch_ptr 0
		.amdhsa_user_sgpr_queue_ptr 0
		.amdhsa_user_sgpr_kernarg_segment_ptr 1
		.amdhsa_user_sgpr_dispatch_id 0
		.amdhsa_user_sgpr_flat_scratch_init 0
		.amdhsa_user_sgpr_private_segment_size 0
		.amdhsa_uses_dynamic_stack 0
		.amdhsa_system_sgpr_private_segment_wavefront_offset 0
		.amdhsa_system_sgpr_workgroup_id_x 1
		.amdhsa_system_sgpr_workgroup_id_y 1
		.amdhsa_system_sgpr_workgroup_id_z 1
		.amdhsa_system_sgpr_workgroup_info 0
		.amdhsa_system_vgpr_workitem_id 0
		.amdhsa_next_free_vgpr 60
		.amdhsa_next_free_sgpr 96
		.amdhsa_reserve_vcc 1
		.amdhsa_reserve_flat_scratch 0
		.amdhsa_float_round_mode_32 0
		.amdhsa_float_round_mode_16_64 0
		.amdhsa_float_denorm_mode_32 3
		.amdhsa_float_denorm_mode_16_64 3
		.amdhsa_dx10_clamp 1
		.amdhsa_ieee_mode 1
		.amdhsa_fp16_overflow 0
		.amdhsa_exception_fp_ieee_invalid_op 0
		.amdhsa_exception_fp_denorm_src 0
		.amdhsa_exception_fp_ieee_div_zero 0
		.amdhsa_exception_fp_ieee_overflow 0
		.amdhsa_exception_fp_ieee_underflow 0
		.amdhsa_exception_fp_ieee_inexact 0
		.amdhsa_exception_int_div_zero 0
	.end_amdhsa_kernel
	.section	.text._ZN2at6native6sbtopk10gatherTopKIN3c108BFloat16EmLin1ELb0EEEvNS_4cuda6detail10TensorInfoIKT_T0_EESA_SA_bSA_SA_NS7_IS8_SA_EESA_NS7_IlSA_EESA_PS8_,"axG",@progbits,_ZN2at6native6sbtopk10gatherTopKIN3c108BFloat16EmLin1ELb0EEEvNS_4cuda6detail10TensorInfoIKT_T0_EESA_SA_bSA_SA_NS7_IS8_SA_EESA_NS7_IlSA_EESA_PS8_,comdat
.Lfunc_end225:
	.size	_ZN2at6native6sbtopk10gatherTopKIN3c108BFloat16EmLin1ELb0EEEvNS_4cuda6detail10TensorInfoIKT_T0_EESA_SA_bSA_SA_NS7_IS8_SA_EESA_NS7_IlSA_EESA_PS8_, .Lfunc_end225-_ZN2at6native6sbtopk10gatherTopKIN3c108BFloat16EmLin1ELb0EEEvNS_4cuda6detail10TensorInfoIKT_T0_EESA_SA_bSA_SA_NS7_IS8_SA_EESA_NS7_IlSA_EESA_PS8_
                                        ; -- End function
	.set _ZN2at6native6sbtopk10gatherTopKIN3c108BFloat16EmLin1ELb0EEEvNS_4cuda6detail10TensorInfoIKT_T0_EESA_SA_bSA_SA_NS7_IS8_SA_EESA_NS7_IlSA_EESA_PS8_.num_vgpr, 60
	.set _ZN2at6native6sbtopk10gatherTopKIN3c108BFloat16EmLin1ELb0EEEvNS_4cuda6detail10TensorInfoIKT_T0_EESA_SA_bSA_SA_NS7_IS8_SA_EESA_NS7_IlSA_EESA_PS8_.num_agpr, 0
	.set _ZN2at6native6sbtopk10gatherTopKIN3c108BFloat16EmLin1ELb0EEEvNS_4cuda6detail10TensorInfoIKT_T0_EESA_SA_bSA_SA_NS7_IS8_SA_EESA_NS7_IlSA_EESA_PS8_.numbered_sgpr, 96
	.set _ZN2at6native6sbtopk10gatherTopKIN3c108BFloat16EmLin1ELb0EEEvNS_4cuda6detail10TensorInfoIKT_T0_EESA_SA_bSA_SA_NS7_IS8_SA_EESA_NS7_IlSA_EESA_PS8_.num_named_barrier, 0
	.set _ZN2at6native6sbtopk10gatherTopKIN3c108BFloat16EmLin1ELb0EEEvNS_4cuda6detail10TensorInfoIKT_T0_EESA_SA_bSA_SA_NS7_IS8_SA_EESA_NS7_IlSA_EESA_PS8_.private_seg_size, 0
	.set _ZN2at6native6sbtopk10gatherTopKIN3c108BFloat16EmLin1ELb0EEEvNS_4cuda6detail10TensorInfoIKT_T0_EESA_SA_bSA_SA_NS7_IS8_SA_EESA_NS7_IlSA_EESA_PS8_.uses_vcc, 1
	.set _ZN2at6native6sbtopk10gatherTopKIN3c108BFloat16EmLin1ELb0EEEvNS_4cuda6detail10TensorInfoIKT_T0_EESA_SA_bSA_SA_NS7_IS8_SA_EESA_NS7_IlSA_EESA_PS8_.uses_flat_scratch, 0
	.set _ZN2at6native6sbtopk10gatherTopKIN3c108BFloat16EmLin1ELb0EEEvNS_4cuda6detail10TensorInfoIKT_T0_EESA_SA_bSA_SA_NS7_IS8_SA_EESA_NS7_IlSA_EESA_PS8_.has_dyn_sized_stack, 0
	.set _ZN2at6native6sbtopk10gatherTopKIN3c108BFloat16EmLin1ELb0EEEvNS_4cuda6detail10TensorInfoIKT_T0_EESA_SA_bSA_SA_NS7_IS8_SA_EESA_NS7_IlSA_EESA_PS8_.has_recursion, 0
	.set _ZN2at6native6sbtopk10gatherTopKIN3c108BFloat16EmLin1ELb0EEEvNS_4cuda6detail10TensorInfoIKT_T0_EESA_SA_bSA_SA_NS7_IS8_SA_EESA_NS7_IlSA_EESA_PS8_.has_indirect_call, 0
	.section	.AMDGPU.csdata,"",@progbits
; Kernel info:
; codeLenInByte = 29936
; TotalNumSgprs: 100
; NumVgprs: 60
; ScratchSize: 0
; MemoryBound: 0
; FloatMode: 240
; IeeeMode: 1
; LDSByteSize: 5152 bytes/workgroup (compile time only)
; SGPRBlocks: 12
; VGPRBlocks: 14
; NumSGPRsForWavesPerEU: 100
; NumVGPRsForWavesPerEU: 60
; Occupancy: 4
; WaveLimiterHint : 1
; COMPUTE_PGM_RSRC2:SCRATCH_EN: 0
; COMPUTE_PGM_RSRC2:USER_SGPR: 6
; COMPUTE_PGM_RSRC2:TRAP_HANDLER: 0
; COMPUTE_PGM_RSRC2:TGID_X_EN: 1
; COMPUTE_PGM_RSRC2:TGID_Y_EN: 1
; COMPUTE_PGM_RSRC2:TGID_Z_EN: 1
; COMPUTE_PGM_RSRC2:TIDIG_COMP_CNT: 0
	.section	.AMDGPU.gpr_maximums,"",@progbits
	.set amdgpu.max_num_vgpr, 0
	.set amdgpu.max_num_agpr, 0
	.set amdgpu.max_num_sgpr, 0
	.section	.AMDGPU.csdata,"",@progbits
	.type	__hip_cuid_b156bfccbd3c2f5d,@object ; @__hip_cuid_b156bfccbd3c2f5d
	.section	.bss,"aw",@nobits
	.globl	__hip_cuid_b156bfccbd3c2f5d
__hip_cuid_b156bfccbd3c2f5d:
	.byte	0                               ; 0x0
	.size	__hip_cuid_b156bfccbd3c2f5d, 1

	.ident	"AMD clang version 22.0.0git (https://github.com/RadeonOpenCompute/llvm-project roc-7.2.4 26084 f58b06dce1f9c15707c5f808fd002e18c2accf7e)"
	.section	".note.GNU-stack","",@progbits
	.addrsig
	.addrsig_sym __hip_cuid_b156bfccbd3c2f5d
	.amdgpu_metadata
---
amdhsa.kernels:
  - .args:
      - .address_space:  global
        .offset:         0
        .size:           8
        .value_kind:     global_buffer
      - .offset:         8
        .size:           4
        .value_kind:     by_value
      - .offset:         12
        .size:           4
        .value_kind:     by_value
      - .offset:         16
        .size:           4
        .value_kind:     hidden_block_count_x
      - .offset:         20
        .size:           4
        .value_kind:     hidden_block_count_y
      - .offset:         24
        .size:           4
        .value_kind:     hidden_block_count_z
      - .offset:         28
        .size:           2
        .value_kind:     hidden_group_size_x
      - .offset:         30
        .size:           2
        .value_kind:     hidden_group_size_y
      - .offset:         32
        .size:           2
        .value_kind:     hidden_group_size_z
      - .offset:         34
        .size:           2
        .value_kind:     hidden_remainder_x
      - .offset:         36
        .size:           2
        .value_kind:     hidden_remainder_y
      - .offset:         38
        .size:           2
        .value_kind:     hidden_remainder_z
      - .offset:         56
        .size:           8
        .value_kind:     hidden_global_offset_x
      - .offset:         64
        .size:           8
        .value_kind:     hidden_global_offset_y
      - .offset:         72
        .size:           8
        .value_kind:     hidden_global_offset_z
      - .offset:         80
        .size:           2
        .value_kind:     hidden_grid_dims
    .group_segment_fixed_size: 0
    .kernarg_segment_align: 8
    .kernarg_segment_size: 272
    .language:       OpenCL C
    .language_version:
      - 2
      - 0
    .max_flat_workgroup_size: 1024
    .name:           _ZN2at6native6mbtopk4fillIjjEEvPT_S3_T0_
    .private_segment_fixed_size: 0
    .sgpr_count:     14
    .sgpr_spill_count: 0
    .symbol:         _ZN2at6native6mbtopk4fillIjjEEvPT_S3_T0_.kd
    .uniform_work_group_size: 1
    .uses_dynamic_stack: false
    .vgpr_count:     6
    .vgpr_spill_count: 0
    .wavefront_size: 64
  - .args:
      - .offset:         0
        .size:           216
        .value_kind:     by_value
      - .offset:         216
        .size:           4
        .value_kind:     by_value
      - .address_space:  global
        .offset:         224
        .size:           8
        .value_kind:     global_buffer
      - .offset:         232
        .size:           4
        .value_kind:     by_value
      - .offset:         236
        .size:           4
        .value_kind:     by_value
      - .offset:         240
        .size:           4
        .value_kind:     by_value
      - .offset:         244
        .size:           4
        .value_kind:     by_value
      - .offset:         248
        .size:           4
        .value_kind:     by_value
      - .offset:         252
        .size:           4
        .value_kind:     by_value
      - .address_space:  global
        .offset:         256
        .size:           8
        .value_kind:     global_buffer
      - .address_space:  global
        .offset:         264
        .size:           8
        .value_kind:     global_buffer
      - .offset:         272
        .size:           4
        .value_kind:     hidden_block_count_x
      - .offset:         276
        .size:           4
        .value_kind:     hidden_block_count_y
      - .offset:         280
        .size:           4
        .value_kind:     hidden_block_count_z
      - .offset:         284
        .size:           2
        .value_kind:     hidden_group_size_x
      - .offset:         286
        .size:           2
        .value_kind:     hidden_group_size_y
      - .offset:         288
        .size:           2
        .value_kind:     hidden_group_size_z
      - .offset:         290
        .size:           2
        .value_kind:     hidden_remainder_x
      - .offset:         292
        .size:           2
        .value_kind:     hidden_remainder_y
      - .offset:         294
        .size:           2
        .value_kind:     hidden_remainder_z
      - .offset:         312
        .size:           8
        .value_kind:     hidden_global_offset_x
      - .offset:         320
        .size:           8
        .value_kind:     hidden_global_offset_y
      - .offset:         328
        .size:           8
        .value_kind:     hidden_global_offset_z
      - .offset:         336
        .size:           2
        .value_kind:     hidden_grid_dims
    .group_segment_fixed_size: 1024
    .kernarg_segment_align: 8
    .kernarg_segment_size: 528
    .language:       OpenCL C
    .language_version:
      - 2
      - 0
    .max_flat_workgroup_size: 256
    .name:           _ZN2at6native6mbtopk23computeBlockDigitCountsIhjjLi1EEEvNS_4cuda6detail10TensorInfoIKT_T0_EEjPjjS8_iijT1_PSB_Ps
    .private_segment_fixed_size: 0
    .sgpr_count:     24
    .sgpr_spill_count: 0
    .symbol:         _ZN2at6native6mbtopk23computeBlockDigitCountsIhjjLi1EEEvNS_4cuda6detail10TensorInfoIKT_T0_EEjPjjS8_iijT1_PSB_Ps.kd
    .uniform_work_group_size: 1
    .uses_dynamic_stack: false
    .vgpr_count:     10
    .vgpr_spill_count: 0
    .wavefront_size: 64
  - .args:
      - .address_space:  global
        .offset:         0
        .size:           8
        .value_kind:     global_buffer
      - .address_space:  global
        .offset:         8
        .size:           8
        .value_kind:     global_buffer
      - .address_space:  global
        .offset:         16
        .size:           8
        .value_kind:     global_buffer
      - .offset:         24
        .size:           4
        .value_kind:     by_value
      - .offset:         28
        .size:           4
        .value_kind:     by_value
      - .offset:         32
        .size:           1
        .value_kind:     by_value
      - .address_space:  global
        .offset:         40
        .size:           8
        .value_kind:     global_buffer
      - .address_space:  global
        .offset:         48
        .size:           8
        .value_kind:     global_buffer
      - .address_space:  global
        .offset:         56
        .size:           8
        .value_kind:     global_buffer
      - .address_space:  global
        .offset:         64
        .size:           8
        .value_kind:     global_buffer
      - .address_space:  global
        .offset:         72
        .size:           8
        .value_kind:     global_buffer
      - .offset:         80
        .size:           4
        .value_kind:     by_value
      - .offset:         88
        .size:           4
        .value_kind:     hidden_block_count_x
      - .offset:         92
        .size:           4
        .value_kind:     hidden_block_count_y
      - .offset:         96
        .size:           4
        .value_kind:     hidden_block_count_z
      - .offset:         100
        .size:           2
        .value_kind:     hidden_group_size_x
      - .offset:         102
        .size:           2
        .value_kind:     hidden_group_size_y
      - .offset:         104
        .size:           2
        .value_kind:     hidden_group_size_z
      - .offset:         106
        .size:           2
        .value_kind:     hidden_remainder_x
      - .offset:         108
        .size:           2
        .value_kind:     hidden_remainder_y
      - .offset:         110
        .size:           2
        .value_kind:     hidden_remainder_z
      - .offset:         128
        .size:           8
        .value_kind:     hidden_global_offset_x
      - .offset:         136
        .size:           8
        .value_kind:     hidden_global_offset_y
      - .offset:         144
        .size:           8
        .value_kind:     hidden_global_offset_z
      - .offset:         152
        .size:           2
        .value_kind:     hidden_grid_dims
    .group_segment_fixed_size: 2100
    .kernarg_segment_align: 8
    .kernarg_segment_size: 344
    .language:       OpenCL C
    .language_version:
      - 2
      - 0
    .max_flat_workgroup_size: 256
    .name:           _ZN2at6native6mbtopk29computeBlockwiseWithinKCountsIjhEEvPT_PsPjjibS6_PT0_S6_S4_S6_j
    .private_segment_fixed_size: 0
    .sgpr_count:     34
    .sgpr_spill_count: 0
    .symbol:         _ZN2at6native6mbtopk29computeBlockwiseWithinKCountsIjhEEvPT_PsPjjibS6_PT0_S6_S4_S6_j.kd
    .uniform_work_group_size: 1
    .uses_dynamic_stack: false
    .vgpr_count:     11
    .vgpr_spill_count: 0
    .wavefront_size: 64
  - .args:
      - .offset:         0
        .size:           216
        .value_kind:     by_value
      - .offset:         216
        .size:           4
        .value_kind:     by_value
      - .offset:         220
        .size:           4
        .value_kind:     by_value
      - .offset:         224
        .size:           1
        .value_kind:     by_value
      - .offset:         228
        .size:           4
        .value_kind:     by_value
      - .offset:         232
        .size:           4
        .value_kind:     by_value
      - .offset:         240
        .size:           216
        .value_kind:     by_value
      - .offset:         456
        .size:           4
        .value_kind:     by_value
      - .offset:         464
        .size:           216
        .value_kind:     by_value
      - .offset:         680
        .size:           4
        .value_kind:     by_value
      - .offset:         684
        .size:           4
        .value_kind:     by_value
      - .offset:         688
        .size:           4
        .value_kind:     by_value
      - .address_space:  global
        .offset:         696
        .size:           8
        .value_kind:     global_buffer
      - .address_space:  global
        .offset:         704
        .size:           8
        .value_kind:     global_buffer
      - .address_space:  global
        .offset:         712
        .size:           8
        .value_kind:     global_buffer
      - .offset:         720
        .size:           4
        .value_kind:     by_value
      - .offset:         728
        .size:           4
        .value_kind:     hidden_block_count_x
      - .offset:         732
        .size:           4
        .value_kind:     hidden_block_count_y
      - .offset:         736
        .size:           4
        .value_kind:     hidden_block_count_z
      - .offset:         740
        .size:           2
        .value_kind:     hidden_group_size_x
      - .offset:         742
        .size:           2
        .value_kind:     hidden_group_size_y
      - .offset:         744
        .size:           2
        .value_kind:     hidden_group_size_z
      - .offset:         746
        .size:           2
        .value_kind:     hidden_remainder_x
      - .offset:         748
        .size:           2
        .value_kind:     hidden_remainder_y
      - .offset:         750
        .size:           2
        .value_kind:     hidden_remainder_z
      - .offset:         768
        .size:           8
        .value_kind:     hidden_global_offset_x
      - .offset:         776
        .size:           8
        .value_kind:     hidden_global_offset_y
      - .offset:         784
        .size:           8
        .value_kind:     hidden_global_offset_z
      - .offset:         792
        .size:           2
        .value_kind:     hidden_grid_dims
    .group_segment_fixed_size: 1068
    .kernarg_segment_align: 8
    .kernarg_segment_size: 984
    .language:       OpenCL C
    .language_version:
      - 2
      - 0
    .max_flat_workgroup_size: 256
    .name:           _ZN2at6native6mbtopk10gatherTopKIhjLi1EEEvNS_4cuda6detail10TensorInfoIKT_T0_EES8_S8_bjS8_NS5_IS6_S8_EES8_NS5_IlS8_EES8_jjPS6_PjSD_j
    .private_segment_fixed_size: 0
    .sgpr_count:     42
    .sgpr_spill_count: 0
    .symbol:         _ZN2at6native6mbtopk10gatherTopKIhjLi1EEEvNS_4cuda6detail10TensorInfoIKT_T0_EES8_S8_bjS8_NS5_IS6_S8_EES8_NS5_IlS8_EES8_jjPS6_PjSD_j.kd
    .uniform_work_group_size: 1
    .uses_dynamic_stack: false
    .vgpr_count:     20
    .vgpr_spill_count: 0
    .wavefront_size: 64
  - .args:
      - .offset:         0
        .size:           216
        .value_kind:     by_value
      - .offset:         216
        .size:           4
        .value_kind:     by_value
      - .offset:         220
        .size:           4
        .value_kind:     by_value
      - .offset:         224
        .size:           1
        .value_kind:     by_value
      - .offset:         228
        .size:           4
        .value_kind:     by_value
      - .offset:         232
        .size:           4
        .value_kind:     by_value
      - .offset:         240
        .size:           216
        .value_kind:     by_value
      - .offset:         456
        .size:           4
        .value_kind:     by_value
      - .offset:         464
        .size:           216
        .value_kind:     by_value
      - .offset:         680
        .size:           4
        .value_kind:     by_value
      - .address_space:  global
        .offset:         688
        .size:           8
        .value_kind:     global_buffer
      - .offset:         696
        .size:           4
        .value_kind:     hidden_block_count_x
      - .offset:         700
        .size:           4
        .value_kind:     hidden_block_count_y
      - .offset:         704
        .size:           4
        .value_kind:     hidden_block_count_z
      - .offset:         708
        .size:           2
        .value_kind:     hidden_group_size_x
      - .offset:         710
        .size:           2
        .value_kind:     hidden_group_size_y
      - .offset:         712
        .size:           2
        .value_kind:     hidden_group_size_z
      - .offset:         714
        .size:           2
        .value_kind:     hidden_remainder_x
      - .offset:         716
        .size:           2
        .value_kind:     hidden_remainder_y
      - .offset:         718
        .size:           2
        .value_kind:     hidden_remainder_z
      - .offset:         736
        .size:           8
        .value_kind:     hidden_global_offset_x
      - .offset:         744
        .size:           8
        .value_kind:     hidden_global_offset_y
      - .offset:         752
        .size:           8
        .value_kind:     hidden_global_offset_z
      - .offset:         760
        .size:           2
        .value_kind:     hidden_grid_dims
    .group_segment_fixed_size: 4112
    .kernarg_segment_align: 8
    .kernarg_segment_size: 952
    .language:       OpenCL C
    .language_version:
      - 2
      - 0
    .max_flat_workgroup_size: 1024
    .name:           _ZN2at6native6sbtopk10gatherTopKIhjLi1ELb0EEEvNS_4cuda6detail10TensorInfoIKT_T0_EES8_S8_bS8_S8_NS5_IS6_S8_EES8_NS5_IlS8_EES8_PS6_
    .private_segment_fixed_size: 0
    .sgpr_count:     100
    .sgpr_spill_count: 52
    .symbol:         _ZN2at6native6sbtopk10gatherTopKIhjLi1ELb0EEEvNS_4cuda6detail10TensorInfoIKT_T0_EES8_S8_bS8_S8_NS5_IS6_S8_EES8_NS5_IlS8_EES8_PS6_.kd
    .uniform_work_group_size: 1
    .uses_dynamic_stack: false
    .vgpr_count:     52
    .vgpr_spill_count: 0
    .wavefront_size: 64
  - .args:
      - .offset:         0
        .size:           216
        .value_kind:     by_value
      - .offset:         216
        .size:           4
        .value_kind:     by_value
      - .address_space:  global
        .offset:         224
        .size:           8
        .value_kind:     global_buffer
      - .offset:         232
        .size:           4
        .value_kind:     by_value
      - .offset:         236
        .size:           4
        .value_kind:     by_value
      - .offset:         240
        .size:           4
        .value_kind:     by_value
      - .offset:         244
        .size:           4
        .value_kind:     by_value
      - .offset:         248
        .size:           4
        .value_kind:     by_value
      - .offset:         252
        .size:           4
        .value_kind:     by_value
      - .address_space:  global
        .offset:         256
        .size:           8
        .value_kind:     global_buffer
      - .address_space:  global
        .offset:         264
        .size:           8
        .value_kind:     global_buffer
      - .offset:         272
        .size:           4
        .value_kind:     hidden_block_count_x
      - .offset:         276
        .size:           4
        .value_kind:     hidden_block_count_y
      - .offset:         280
        .size:           4
        .value_kind:     hidden_block_count_z
      - .offset:         284
        .size:           2
        .value_kind:     hidden_group_size_x
      - .offset:         286
        .size:           2
        .value_kind:     hidden_group_size_y
      - .offset:         288
        .size:           2
        .value_kind:     hidden_group_size_z
      - .offset:         290
        .size:           2
        .value_kind:     hidden_remainder_x
      - .offset:         292
        .size:           2
        .value_kind:     hidden_remainder_y
      - .offset:         294
        .size:           2
        .value_kind:     hidden_remainder_z
      - .offset:         312
        .size:           8
        .value_kind:     hidden_global_offset_x
      - .offset:         320
        .size:           8
        .value_kind:     hidden_global_offset_y
      - .offset:         328
        .size:           8
        .value_kind:     hidden_global_offset_z
      - .offset:         336
        .size:           2
        .value_kind:     hidden_grid_dims
    .group_segment_fixed_size: 1024
    .kernarg_segment_align: 8
    .kernarg_segment_size: 528
    .language:       OpenCL C
    .language_version:
      - 2
      - 0
    .max_flat_workgroup_size: 256
    .name:           _ZN2at6native6mbtopk23computeBlockDigitCountsIhjjLi2EEEvNS_4cuda6detail10TensorInfoIKT_T0_EEjPjjS8_iijT1_PSB_Ps
    .private_segment_fixed_size: 0
    .sgpr_count:     28
    .sgpr_spill_count: 0
    .symbol:         _ZN2at6native6mbtopk23computeBlockDigitCountsIhjjLi2EEEvNS_4cuda6detail10TensorInfoIKT_T0_EEjPjjS8_iijT1_PSB_Ps.kd
    .uniform_work_group_size: 1
    .uses_dynamic_stack: false
    .vgpr_count:     10
    .vgpr_spill_count: 0
    .wavefront_size: 64
  - .args:
      - .offset:         0
        .size:           216
        .value_kind:     by_value
      - .offset:         216
        .size:           4
        .value_kind:     by_value
      - .offset:         220
        .size:           4
        .value_kind:     by_value
      - .offset:         224
        .size:           1
        .value_kind:     by_value
      - .offset:         228
        .size:           4
        .value_kind:     by_value
      - .offset:         232
        .size:           4
        .value_kind:     by_value
      - .offset:         240
        .size:           216
        .value_kind:     by_value
      - .offset:         456
        .size:           4
        .value_kind:     by_value
      - .offset:         464
        .size:           216
        .value_kind:     by_value
      - .offset:         680
        .size:           4
        .value_kind:     by_value
      - .offset:         684
        .size:           4
        .value_kind:     by_value
      - .offset:         688
        .size:           4
        .value_kind:     by_value
      - .address_space:  global
        .offset:         696
        .size:           8
        .value_kind:     global_buffer
      - .address_space:  global
        .offset:         704
        .size:           8
        .value_kind:     global_buffer
      - .address_space:  global
        .offset:         712
        .size:           8
        .value_kind:     global_buffer
      - .offset:         720
        .size:           4
        .value_kind:     by_value
      - .offset:         728
        .size:           4
        .value_kind:     hidden_block_count_x
      - .offset:         732
        .size:           4
        .value_kind:     hidden_block_count_y
      - .offset:         736
        .size:           4
        .value_kind:     hidden_block_count_z
      - .offset:         740
        .size:           2
        .value_kind:     hidden_group_size_x
      - .offset:         742
        .size:           2
        .value_kind:     hidden_group_size_y
      - .offset:         744
        .size:           2
        .value_kind:     hidden_group_size_z
      - .offset:         746
        .size:           2
        .value_kind:     hidden_remainder_x
      - .offset:         748
        .size:           2
        .value_kind:     hidden_remainder_y
      - .offset:         750
        .size:           2
        .value_kind:     hidden_remainder_z
      - .offset:         768
        .size:           8
        .value_kind:     hidden_global_offset_x
      - .offset:         776
        .size:           8
        .value_kind:     hidden_global_offset_y
      - .offset:         784
        .size:           8
        .value_kind:     hidden_global_offset_z
      - .offset:         792
        .size:           2
        .value_kind:     hidden_grid_dims
    .group_segment_fixed_size: 1068
    .kernarg_segment_align: 8
    .kernarg_segment_size: 984
    .language:       OpenCL C
    .language_version:
      - 2
      - 0
    .max_flat_workgroup_size: 256
    .name:           _ZN2at6native6mbtopk10gatherTopKIhjLi2EEEvNS_4cuda6detail10TensorInfoIKT_T0_EES8_S8_bjS8_NS5_IS6_S8_EES8_NS5_IlS8_EES8_jjPS6_PjSD_j
    .private_segment_fixed_size: 0
    .sgpr_count:     54
    .sgpr_spill_count: 0
    .symbol:         _ZN2at6native6mbtopk10gatherTopKIhjLi2EEEvNS_4cuda6detail10TensorInfoIKT_T0_EES8_S8_bjS8_NS5_IS6_S8_EES8_NS5_IlS8_EES8_jjPS6_PjSD_j.kd
    .uniform_work_group_size: 1
    .uses_dynamic_stack: false
    .vgpr_count:     20
    .vgpr_spill_count: 0
    .wavefront_size: 64
  - .args:
      - .offset:         0
        .size:           216
        .value_kind:     by_value
      - .offset:         216
        .size:           4
        .value_kind:     by_value
      - .offset:         220
        .size:           4
        .value_kind:     by_value
      - .offset:         224
        .size:           1
        .value_kind:     by_value
      - .offset:         228
        .size:           4
        .value_kind:     by_value
      - .offset:         232
        .size:           4
        .value_kind:     by_value
      - .offset:         240
        .size:           216
        .value_kind:     by_value
      - .offset:         456
        .size:           4
        .value_kind:     by_value
      - .offset:         464
        .size:           216
        .value_kind:     by_value
      - .offset:         680
        .size:           4
        .value_kind:     by_value
      - .address_space:  global
        .offset:         688
        .size:           8
        .value_kind:     global_buffer
      - .offset:         696
        .size:           4
        .value_kind:     hidden_block_count_x
      - .offset:         700
        .size:           4
        .value_kind:     hidden_block_count_y
      - .offset:         704
        .size:           4
        .value_kind:     hidden_block_count_z
      - .offset:         708
        .size:           2
        .value_kind:     hidden_group_size_x
      - .offset:         710
        .size:           2
        .value_kind:     hidden_group_size_y
      - .offset:         712
        .size:           2
        .value_kind:     hidden_group_size_z
      - .offset:         714
        .size:           2
        .value_kind:     hidden_remainder_x
      - .offset:         716
        .size:           2
        .value_kind:     hidden_remainder_y
      - .offset:         718
        .size:           2
        .value_kind:     hidden_remainder_z
      - .offset:         736
        .size:           8
        .value_kind:     hidden_global_offset_x
      - .offset:         744
        .size:           8
        .value_kind:     hidden_global_offset_y
      - .offset:         752
        .size:           8
        .value_kind:     hidden_global_offset_z
      - .offset:         760
        .size:           2
        .value_kind:     hidden_grid_dims
    .group_segment_fixed_size: 4112
    .kernarg_segment_align: 8
    .kernarg_segment_size: 952
    .language:       OpenCL C
    .language_version:
      - 2
      - 0
    .max_flat_workgroup_size: 1024
    .name:           _ZN2at6native6sbtopk10gatherTopKIhjLi2ELb0EEEvNS_4cuda6detail10TensorInfoIKT_T0_EES8_S8_bS8_S8_NS5_IS6_S8_EES8_NS5_IlS8_EES8_PS6_
    .private_segment_fixed_size: 0
    .sgpr_count:     100
    .sgpr_spill_count: 60
    .symbol:         _ZN2at6native6sbtopk10gatherTopKIhjLi2ELb0EEEvNS_4cuda6detail10TensorInfoIKT_T0_EES8_S8_bS8_S8_NS5_IS6_S8_EES8_NS5_IlS8_EES8_PS6_.kd
    .uniform_work_group_size: 1
    .uses_dynamic_stack: false
    .vgpr_count:     52
    .vgpr_spill_count: 0
    .wavefront_size: 64
  - .args:
      - .offset:         0
        .size:           216
        .value_kind:     by_value
      - .offset:         216
        .size:           4
        .value_kind:     by_value
      - .address_space:  global
        .offset:         224
        .size:           8
        .value_kind:     global_buffer
      - .offset:         232
        .size:           4
        .value_kind:     by_value
      - .offset:         236
        .size:           4
        .value_kind:     by_value
      - .offset:         240
        .size:           4
        .value_kind:     by_value
      - .offset:         244
        .size:           4
        .value_kind:     by_value
      - .offset:         248
        .size:           4
        .value_kind:     by_value
      - .offset:         252
        .size:           4
        .value_kind:     by_value
      - .address_space:  global
        .offset:         256
        .size:           8
        .value_kind:     global_buffer
      - .address_space:  global
        .offset:         264
        .size:           8
        .value_kind:     global_buffer
      - .offset:         272
        .size:           4
        .value_kind:     hidden_block_count_x
      - .offset:         276
        .size:           4
        .value_kind:     hidden_block_count_y
      - .offset:         280
        .size:           4
        .value_kind:     hidden_block_count_z
      - .offset:         284
        .size:           2
        .value_kind:     hidden_group_size_x
      - .offset:         286
        .size:           2
        .value_kind:     hidden_group_size_y
      - .offset:         288
        .size:           2
        .value_kind:     hidden_group_size_z
      - .offset:         290
        .size:           2
        .value_kind:     hidden_remainder_x
      - .offset:         292
        .size:           2
        .value_kind:     hidden_remainder_y
      - .offset:         294
        .size:           2
        .value_kind:     hidden_remainder_z
      - .offset:         312
        .size:           8
        .value_kind:     hidden_global_offset_x
      - .offset:         320
        .size:           8
        .value_kind:     hidden_global_offset_y
      - .offset:         328
        .size:           8
        .value_kind:     hidden_global_offset_z
      - .offset:         336
        .size:           2
        .value_kind:     hidden_grid_dims
    .group_segment_fixed_size: 1024
    .kernarg_segment_align: 8
    .kernarg_segment_size: 528
    .language:       OpenCL C
    .language_version:
      - 2
      - 0
    .max_flat_workgroup_size: 256
    .name:           _ZN2at6native6mbtopk23computeBlockDigitCountsIhjjLi3EEEvNS_4cuda6detail10TensorInfoIKT_T0_EEjPjjS8_iijT1_PSB_Ps
    .private_segment_fixed_size: 0
    .sgpr_count:     30
    .sgpr_spill_count: 0
    .symbol:         _ZN2at6native6mbtopk23computeBlockDigitCountsIhjjLi3EEEvNS_4cuda6detail10TensorInfoIKT_T0_EEjPjjS8_iijT1_PSB_Ps.kd
    .uniform_work_group_size: 1
    .uses_dynamic_stack: false
    .vgpr_count:     10
    .vgpr_spill_count: 0
    .wavefront_size: 64
  - .args:
      - .offset:         0
        .size:           216
        .value_kind:     by_value
      - .offset:         216
        .size:           4
        .value_kind:     by_value
      - .offset:         220
        .size:           4
        .value_kind:     by_value
      - .offset:         224
        .size:           1
        .value_kind:     by_value
      - .offset:         228
        .size:           4
        .value_kind:     by_value
      - .offset:         232
        .size:           4
        .value_kind:     by_value
      - .offset:         240
        .size:           216
        .value_kind:     by_value
      - .offset:         456
        .size:           4
        .value_kind:     by_value
      - .offset:         464
        .size:           216
        .value_kind:     by_value
      - .offset:         680
        .size:           4
        .value_kind:     by_value
      - .offset:         684
        .size:           4
        .value_kind:     by_value
      - .offset:         688
        .size:           4
        .value_kind:     by_value
      - .address_space:  global
        .offset:         696
        .size:           8
        .value_kind:     global_buffer
      - .address_space:  global
        .offset:         704
        .size:           8
        .value_kind:     global_buffer
      - .address_space:  global
        .offset:         712
        .size:           8
        .value_kind:     global_buffer
      - .offset:         720
        .size:           4
        .value_kind:     by_value
      - .offset:         728
        .size:           4
        .value_kind:     hidden_block_count_x
      - .offset:         732
        .size:           4
        .value_kind:     hidden_block_count_y
      - .offset:         736
        .size:           4
        .value_kind:     hidden_block_count_z
      - .offset:         740
        .size:           2
        .value_kind:     hidden_group_size_x
      - .offset:         742
        .size:           2
        .value_kind:     hidden_group_size_y
      - .offset:         744
        .size:           2
        .value_kind:     hidden_group_size_z
      - .offset:         746
        .size:           2
        .value_kind:     hidden_remainder_x
      - .offset:         748
        .size:           2
        .value_kind:     hidden_remainder_y
      - .offset:         750
        .size:           2
        .value_kind:     hidden_remainder_z
      - .offset:         768
        .size:           8
        .value_kind:     hidden_global_offset_x
      - .offset:         776
        .size:           8
        .value_kind:     hidden_global_offset_y
      - .offset:         784
        .size:           8
        .value_kind:     hidden_global_offset_z
      - .offset:         792
        .size:           2
        .value_kind:     hidden_grid_dims
    .group_segment_fixed_size: 1068
    .kernarg_segment_align: 8
    .kernarg_segment_size: 984
    .language:       OpenCL C
    .language_version:
      - 2
      - 0
    .max_flat_workgroup_size: 256
    .name:           _ZN2at6native6mbtopk10gatherTopKIhjLi3EEEvNS_4cuda6detail10TensorInfoIKT_T0_EES8_S8_bjS8_NS5_IS6_S8_EES8_NS5_IlS8_EES8_jjPS6_PjSD_j
    .private_segment_fixed_size: 0
    .sgpr_count:     63
    .sgpr_spill_count: 0
    .symbol:         _ZN2at6native6mbtopk10gatherTopKIhjLi3EEEvNS_4cuda6detail10TensorInfoIKT_T0_EES8_S8_bjS8_NS5_IS6_S8_EES8_NS5_IlS8_EES8_jjPS6_PjSD_j.kd
    .uniform_work_group_size: 1
    .uses_dynamic_stack: false
    .vgpr_count:     20
    .vgpr_spill_count: 0
    .wavefront_size: 64
  - .args:
      - .offset:         0
        .size:           216
        .value_kind:     by_value
      - .offset:         216
        .size:           4
        .value_kind:     by_value
      - .offset:         220
        .size:           4
        .value_kind:     by_value
      - .offset:         224
        .size:           1
        .value_kind:     by_value
      - .offset:         228
        .size:           4
        .value_kind:     by_value
      - .offset:         232
        .size:           4
        .value_kind:     by_value
      - .offset:         240
        .size:           216
        .value_kind:     by_value
      - .offset:         456
        .size:           4
        .value_kind:     by_value
      - .offset:         464
        .size:           216
        .value_kind:     by_value
      - .offset:         680
        .size:           4
        .value_kind:     by_value
      - .address_space:  global
        .offset:         688
        .size:           8
        .value_kind:     global_buffer
      - .offset:         696
        .size:           4
        .value_kind:     hidden_block_count_x
      - .offset:         700
        .size:           4
        .value_kind:     hidden_block_count_y
      - .offset:         704
        .size:           4
        .value_kind:     hidden_block_count_z
      - .offset:         708
        .size:           2
        .value_kind:     hidden_group_size_x
      - .offset:         710
        .size:           2
        .value_kind:     hidden_group_size_y
      - .offset:         712
        .size:           2
        .value_kind:     hidden_group_size_z
      - .offset:         714
        .size:           2
        .value_kind:     hidden_remainder_x
      - .offset:         716
        .size:           2
        .value_kind:     hidden_remainder_y
      - .offset:         718
        .size:           2
        .value_kind:     hidden_remainder_z
      - .offset:         736
        .size:           8
        .value_kind:     hidden_global_offset_x
      - .offset:         744
        .size:           8
        .value_kind:     hidden_global_offset_y
      - .offset:         752
        .size:           8
        .value_kind:     hidden_global_offset_z
      - .offset:         760
        .size:           2
        .value_kind:     hidden_grid_dims
    .group_segment_fixed_size: 4112
    .kernarg_segment_align: 8
    .kernarg_segment_size: 952
    .language:       OpenCL C
    .language_version:
      - 2
      - 0
    .max_flat_workgroup_size: 1024
    .name:           _ZN2at6native6sbtopk10gatherTopKIhjLi3ELb0EEEvNS_4cuda6detail10TensorInfoIKT_T0_EES8_S8_bS8_S8_NS5_IS6_S8_EES8_NS5_IlS8_EES8_PS6_
    .private_segment_fixed_size: 0
    .sgpr_count:     100
    .sgpr_spill_count: 67
    .symbol:         _ZN2at6native6sbtopk10gatherTopKIhjLi3ELb0EEEvNS_4cuda6detail10TensorInfoIKT_T0_EES8_S8_bS8_S8_NS5_IS6_S8_EES8_NS5_IlS8_EES8_PS6_.kd
    .uniform_work_group_size: 1
    .uses_dynamic_stack: false
    .vgpr_count:     53
    .vgpr_spill_count: 0
    .wavefront_size: 64
  - .args:
      - .offset:         0
        .size:           216
        .value_kind:     by_value
      - .offset:         216
        .size:           4
        .value_kind:     by_value
      - .address_space:  global
        .offset:         224
        .size:           8
        .value_kind:     global_buffer
      - .offset:         232
        .size:           4
        .value_kind:     by_value
      - .offset:         236
        .size:           4
        .value_kind:     by_value
      - .offset:         240
        .size:           4
        .value_kind:     by_value
      - .offset:         244
        .size:           4
        .value_kind:     by_value
      - .offset:         248
        .size:           4
        .value_kind:     by_value
      - .offset:         252
        .size:           4
        .value_kind:     by_value
      - .address_space:  global
        .offset:         256
        .size:           8
        .value_kind:     global_buffer
      - .address_space:  global
        .offset:         264
        .size:           8
        .value_kind:     global_buffer
      - .offset:         272
        .size:           4
        .value_kind:     hidden_block_count_x
      - .offset:         276
        .size:           4
        .value_kind:     hidden_block_count_y
      - .offset:         280
        .size:           4
        .value_kind:     hidden_block_count_z
      - .offset:         284
        .size:           2
        .value_kind:     hidden_group_size_x
      - .offset:         286
        .size:           2
        .value_kind:     hidden_group_size_y
      - .offset:         288
        .size:           2
        .value_kind:     hidden_group_size_z
      - .offset:         290
        .size:           2
        .value_kind:     hidden_remainder_x
      - .offset:         292
        .size:           2
        .value_kind:     hidden_remainder_y
      - .offset:         294
        .size:           2
        .value_kind:     hidden_remainder_z
      - .offset:         312
        .size:           8
        .value_kind:     hidden_global_offset_x
      - .offset:         320
        .size:           8
        .value_kind:     hidden_global_offset_y
      - .offset:         328
        .size:           8
        .value_kind:     hidden_global_offset_z
      - .offset:         336
        .size:           2
        .value_kind:     hidden_grid_dims
    .group_segment_fixed_size: 1024
    .kernarg_segment_align: 8
    .kernarg_segment_size: 528
    .language:       OpenCL C
    .language_version:
      - 2
      - 0
    .max_flat_workgroup_size: 256
    .name:           _ZN2at6native6mbtopk23computeBlockDigitCountsIhjjLin1EEEvNS_4cuda6detail10TensorInfoIKT_T0_EEjPjjS8_iijT1_PSB_Ps
    .private_segment_fixed_size: 0
    .sgpr_count:     28
    .sgpr_spill_count: 0
    .symbol:         _ZN2at6native6mbtopk23computeBlockDigitCountsIhjjLin1EEEvNS_4cuda6detail10TensorInfoIKT_T0_EEjPjjS8_iijT1_PSB_Ps.kd
    .uniform_work_group_size: 1
    .uses_dynamic_stack: false
    .vgpr_count:     10
    .vgpr_spill_count: 0
    .wavefront_size: 64
  - .args:
      - .offset:         0
        .size:           216
        .value_kind:     by_value
      - .offset:         216
        .size:           4
        .value_kind:     by_value
      - .offset:         220
        .size:           4
        .value_kind:     by_value
      - .offset:         224
        .size:           1
        .value_kind:     by_value
      - .offset:         228
        .size:           4
        .value_kind:     by_value
      - .offset:         232
        .size:           4
        .value_kind:     by_value
      - .offset:         240
        .size:           216
        .value_kind:     by_value
      - .offset:         456
        .size:           4
        .value_kind:     by_value
      - .offset:         464
        .size:           216
        .value_kind:     by_value
      - .offset:         680
        .size:           4
        .value_kind:     by_value
      - .offset:         684
        .size:           4
        .value_kind:     by_value
      - .offset:         688
        .size:           4
        .value_kind:     by_value
      - .address_space:  global
        .offset:         696
        .size:           8
        .value_kind:     global_buffer
      - .address_space:  global
        .offset:         704
        .size:           8
        .value_kind:     global_buffer
      - .address_space:  global
        .offset:         712
        .size:           8
        .value_kind:     global_buffer
      - .offset:         720
        .size:           4
        .value_kind:     by_value
      - .offset:         728
        .size:           4
        .value_kind:     hidden_block_count_x
      - .offset:         732
        .size:           4
        .value_kind:     hidden_block_count_y
      - .offset:         736
        .size:           4
        .value_kind:     hidden_block_count_z
      - .offset:         740
        .size:           2
        .value_kind:     hidden_group_size_x
      - .offset:         742
        .size:           2
        .value_kind:     hidden_group_size_y
      - .offset:         744
        .size:           2
        .value_kind:     hidden_group_size_z
      - .offset:         746
        .size:           2
        .value_kind:     hidden_remainder_x
      - .offset:         748
        .size:           2
        .value_kind:     hidden_remainder_y
      - .offset:         750
        .size:           2
        .value_kind:     hidden_remainder_z
      - .offset:         768
        .size:           8
        .value_kind:     hidden_global_offset_x
      - .offset:         776
        .size:           8
        .value_kind:     hidden_global_offset_y
      - .offset:         784
        .size:           8
        .value_kind:     hidden_global_offset_z
      - .offset:         792
        .size:           2
        .value_kind:     hidden_grid_dims
    .group_segment_fixed_size: 1068
    .kernarg_segment_align: 8
    .kernarg_segment_size: 984
    .language:       OpenCL C
    .language_version:
      - 2
      - 0
    .max_flat_workgroup_size: 256
    .name:           _ZN2at6native6mbtopk10gatherTopKIhjLin1EEEvNS_4cuda6detail10TensorInfoIKT_T0_EES8_S8_bjS8_NS5_IS6_S8_EES8_NS5_IlS8_EES8_jjPS6_PjSD_j
    .private_segment_fixed_size: 0
    .sgpr_count:     49
    .sgpr_spill_count: 0
    .symbol:         _ZN2at6native6mbtopk10gatherTopKIhjLin1EEEvNS_4cuda6detail10TensorInfoIKT_T0_EES8_S8_bjS8_NS5_IS6_S8_EES8_NS5_IlS8_EES8_jjPS6_PjSD_j.kd
    .uniform_work_group_size: 1
    .uses_dynamic_stack: false
    .vgpr_count:     20
    .vgpr_spill_count: 0
    .wavefront_size: 64
  - .args:
      - .offset:         0
        .size:           216
        .value_kind:     by_value
      - .offset:         216
        .size:           4
        .value_kind:     by_value
      - .offset:         220
        .size:           4
        .value_kind:     by_value
      - .offset:         224
        .size:           1
        .value_kind:     by_value
      - .offset:         228
        .size:           4
        .value_kind:     by_value
      - .offset:         232
        .size:           4
        .value_kind:     by_value
      - .offset:         240
        .size:           216
        .value_kind:     by_value
      - .offset:         456
        .size:           4
        .value_kind:     by_value
      - .offset:         464
        .size:           216
        .value_kind:     by_value
      - .offset:         680
        .size:           4
        .value_kind:     by_value
      - .address_space:  global
        .offset:         688
        .size:           8
        .value_kind:     global_buffer
      - .offset:         696
        .size:           4
        .value_kind:     hidden_block_count_x
      - .offset:         700
        .size:           4
        .value_kind:     hidden_block_count_y
      - .offset:         704
        .size:           4
        .value_kind:     hidden_block_count_z
      - .offset:         708
        .size:           2
        .value_kind:     hidden_group_size_x
      - .offset:         710
        .size:           2
        .value_kind:     hidden_group_size_y
      - .offset:         712
        .size:           2
        .value_kind:     hidden_group_size_z
      - .offset:         714
        .size:           2
        .value_kind:     hidden_remainder_x
      - .offset:         716
        .size:           2
        .value_kind:     hidden_remainder_y
      - .offset:         718
        .size:           2
        .value_kind:     hidden_remainder_z
      - .offset:         736
        .size:           8
        .value_kind:     hidden_global_offset_x
      - .offset:         744
        .size:           8
        .value_kind:     hidden_global_offset_y
      - .offset:         752
        .size:           8
        .value_kind:     hidden_global_offset_z
      - .offset:         760
        .size:           2
        .value_kind:     hidden_grid_dims
    .group_segment_fixed_size: 4112
    .kernarg_segment_align: 8
    .kernarg_segment_size: 952
    .language:       OpenCL C
    .language_version:
      - 2
      - 0
    .max_flat_workgroup_size: 1024
    .name:           _ZN2at6native6sbtopk10gatherTopKIhjLin1ELb0EEEvNS_4cuda6detail10TensorInfoIKT_T0_EES8_S8_bS8_S8_NS5_IS6_S8_EES8_NS5_IlS8_EES8_PS6_
    .private_segment_fixed_size: 0
    .sgpr_count:     100
    .sgpr_spill_count: 54
    .symbol:         _ZN2at6native6sbtopk10gatherTopKIhjLin1ELb0EEEvNS_4cuda6detail10TensorInfoIKT_T0_EES8_S8_bS8_S8_NS5_IS6_S8_EES8_NS5_IlS8_EES8_PS6_.kd
    .uniform_work_group_size: 1
    .uses_dynamic_stack: false
    .vgpr_count:     52
    .vgpr_spill_count: 0
    .wavefront_size: 64
  - .args:
      - .offset:         0
        .size:           216
        .value_kind:     by_value
      - .offset:         216
        .size:           4
        .value_kind:     by_value
      - .address_space:  global
        .offset:         224
        .size:           8
        .value_kind:     global_buffer
      - .offset:         232
        .size:           4
        .value_kind:     by_value
      - .offset:         236
        .size:           4
        .value_kind:     by_value
      - .offset:         240
        .size:           4
        .value_kind:     by_value
      - .offset:         244
        .size:           4
        .value_kind:     by_value
      - .offset:         248
        .size:           4
        .value_kind:     by_value
      - .offset:         252
        .size:           4
        .value_kind:     by_value
      - .address_space:  global
        .offset:         256
        .size:           8
        .value_kind:     global_buffer
      - .address_space:  global
        .offset:         264
        .size:           8
        .value_kind:     global_buffer
      - .offset:         272
        .size:           4
        .value_kind:     hidden_block_count_x
      - .offset:         276
        .size:           4
        .value_kind:     hidden_block_count_y
      - .offset:         280
        .size:           4
        .value_kind:     hidden_block_count_z
      - .offset:         284
        .size:           2
        .value_kind:     hidden_group_size_x
      - .offset:         286
        .size:           2
        .value_kind:     hidden_group_size_y
      - .offset:         288
        .size:           2
        .value_kind:     hidden_group_size_z
      - .offset:         290
        .size:           2
        .value_kind:     hidden_remainder_x
      - .offset:         292
        .size:           2
        .value_kind:     hidden_remainder_y
      - .offset:         294
        .size:           2
        .value_kind:     hidden_remainder_z
      - .offset:         312
        .size:           8
        .value_kind:     hidden_global_offset_x
      - .offset:         320
        .size:           8
        .value_kind:     hidden_global_offset_y
      - .offset:         328
        .size:           8
        .value_kind:     hidden_global_offset_z
      - .offset:         336
        .size:           2
        .value_kind:     hidden_grid_dims
    .group_segment_fixed_size: 1024
    .kernarg_segment_align: 8
    .kernarg_segment_size: 528
    .language:       OpenCL C
    .language_version:
      - 2
      - 0
    .max_flat_workgroup_size: 256
    .name:           _ZN2at6native6mbtopk23computeBlockDigitCountsIajjLi1EEEvNS_4cuda6detail10TensorInfoIKT_T0_EEjPjjS8_iijT1_PSB_Ps
    .private_segment_fixed_size: 0
    .sgpr_count:     24
    .sgpr_spill_count: 0
    .symbol:         _ZN2at6native6mbtopk23computeBlockDigitCountsIajjLi1EEEvNS_4cuda6detail10TensorInfoIKT_T0_EEjPjjS8_iijT1_PSB_Ps.kd
    .uniform_work_group_size: 1
    .uses_dynamic_stack: false
    .vgpr_count:     10
    .vgpr_spill_count: 0
    .wavefront_size: 64
  - .args:
      - .address_space:  global
        .offset:         0
        .size:           8
        .value_kind:     global_buffer
      - .address_space:  global
        .offset:         8
        .size:           8
        .value_kind:     global_buffer
      - .address_space:  global
        .offset:         16
        .size:           8
        .value_kind:     global_buffer
      - .offset:         24
        .size:           4
        .value_kind:     by_value
      - .offset:         28
        .size:           4
        .value_kind:     by_value
      - .offset:         32
        .size:           1
        .value_kind:     by_value
      - .address_space:  global
        .offset:         40
        .size:           8
        .value_kind:     global_buffer
      - .address_space:  global
        .offset:         48
        .size:           8
        .value_kind:     global_buffer
      - .address_space:  global
        .offset:         56
        .size:           8
        .value_kind:     global_buffer
      - .address_space:  global
        .offset:         64
        .size:           8
        .value_kind:     global_buffer
      - .address_space:  global
        .offset:         72
        .size:           8
        .value_kind:     global_buffer
      - .offset:         80
        .size:           4
        .value_kind:     by_value
      - .offset:         88
        .size:           4
        .value_kind:     hidden_block_count_x
      - .offset:         92
        .size:           4
        .value_kind:     hidden_block_count_y
      - .offset:         96
        .size:           4
        .value_kind:     hidden_block_count_z
      - .offset:         100
        .size:           2
        .value_kind:     hidden_group_size_x
      - .offset:         102
        .size:           2
        .value_kind:     hidden_group_size_y
      - .offset:         104
        .size:           2
        .value_kind:     hidden_group_size_z
      - .offset:         106
        .size:           2
        .value_kind:     hidden_remainder_x
      - .offset:         108
        .size:           2
        .value_kind:     hidden_remainder_y
      - .offset:         110
        .size:           2
        .value_kind:     hidden_remainder_z
      - .offset:         128
        .size:           8
        .value_kind:     hidden_global_offset_x
      - .offset:         136
        .size:           8
        .value_kind:     hidden_global_offset_y
      - .offset:         144
        .size:           8
        .value_kind:     hidden_global_offset_z
      - .offset:         152
        .size:           2
        .value_kind:     hidden_grid_dims
    .group_segment_fixed_size: 2100
    .kernarg_segment_align: 8
    .kernarg_segment_size: 344
    .language:       OpenCL C
    .language_version:
      - 2
      - 0
    .max_flat_workgroup_size: 256
    .name:           _ZN2at6native6mbtopk29computeBlockwiseWithinKCountsIjaEEvPT_PsPjjibS6_PT0_S6_S4_S6_j
    .private_segment_fixed_size: 0
    .sgpr_count:     34
    .sgpr_spill_count: 0
    .symbol:         _ZN2at6native6mbtopk29computeBlockwiseWithinKCountsIjaEEvPT_PsPjjibS6_PT0_S6_S4_S6_j.kd
    .uniform_work_group_size: 1
    .uses_dynamic_stack: false
    .vgpr_count:     11
    .vgpr_spill_count: 0
    .wavefront_size: 64
  - .args:
      - .offset:         0
        .size:           216
        .value_kind:     by_value
      - .offset:         216
        .size:           4
        .value_kind:     by_value
      - .offset:         220
        .size:           4
        .value_kind:     by_value
      - .offset:         224
        .size:           1
        .value_kind:     by_value
      - .offset:         228
        .size:           4
        .value_kind:     by_value
      - .offset:         232
        .size:           4
        .value_kind:     by_value
      - .offset:         240
        .size:           216
        .value_kind:     by_value
      - .offset:         456
        .size:           4
        .value_kind:     by_value
      - .offset:         464
        .size:           216
        .value_kind:     by_value
      - .offset:         680
        .size:           4
        .value_kind:     by_value
      - .offset:         684
        .size:           4
        .value_kind:     by_value
      - .offset:         688
        .size:           4
        .value_kind:     by_value
      - .address_space:  global
        .offset:         696
        .size:           8
        .value_kind:     global_buffer
      - .address_space:  global
        .offset:         704
        .size:           8
        .value_kind:     global_buffer
      - .address_space:  global
        .offset:         712
        .size:           8
        .value_kind:     global_buffer
      - .offset:         720
        .size:           4
        .value_kind:     by_value
      - .offset:         728
        .size:           4
        .value_kind:     hidden_block_count_x
      - .offset:         732
        .size:           4
        .value_kind:     hidden_block_count_y
      - .offset:         736
        .size:           4
        .value_kind:     hidden_block_count_z
      - .offset:         740
        .size:           2
        .value_kind:     hidden_group_size_x
      - .offset:         742
        .size:           2
        .value_kind:     hidden_group_size_y
      - .offset:         744
        .size:           2
        .value_kind:     hidden_group_size_z
      - .offset:         746
        .size:           2
        .value_kind:     hidden_remainder_x
      - .offset:         748
        .size:           2
        .value_kind:     hidden_remainder_y
      - .offset:         750
        .size:           2
        .value_kind:     hidden_remainder_z
      - .offset:         768
        .size:           8
        .value_kind:     hidden_global_offset_x
      - .offset:         776
        .size:           8
        .value_kind:     hidden_global_offset_y
      - .offset:         784
        .size:           8
        .value_kind:     hidden_global_offset_z
      - .offset:         792
        .size:           2
        .value_kind:     hidden_grid_dims
    .group_segment_fixed_size: 1068
    .kernarg_segment_align: 8
    .kernarg_segment_size: 984
    .language:       OpenCL C
    .language_version:
      - 2
      - 0
    .max_flat_workgroup_size: 256
    .name:           _ZN2at6native6mbtopk10gatherTopKIajLi1EEEvNS_4cuda6detail10TensorInfoIKT_T0_EES8_S8_bjS8_NS5_IS6_S8_EES8_NS5_IlS8_EES8_jjPS6_PjSD_j
    .private_segment_fixed_size: 0
    .sgpr_count:     42
    .sgpr_spill_count: 0
    .symbol:         _ZN2at6native6mbtopk10gatherTopKIajLi1EEEvNS_4cuda6detail10TensorInfoIKT_T0_EES8_S8_bjS8_NS5_IS6_S8_EES8_NS5_IlS8_EES8_jjPS6_PjSD_j.kd
    .uniform_work_group_size: 1
    .uses_dynamic_stack: false
    .vgpr_count:     21
    .vgpr_spill_count: 0
    .wavefront_size: 64
  - .args:
      - .offset:         0
        .size:           216
        .value_kind:     by_value
      - .offset:         216
        .size:           4
        .value_kind:     by_value
      - .offset:         220
        .size:           4
        .value_kind:     by_value
      - .offset:         224
        .size:           1
        .value_kind:     by_value
      - .offset:         228
        .size:           4
        .value_kind:     by_value
      - .offset:         232
        .size:           4
        .value_kind:     by_value
      - .offset:         240
        .size:           216
        .value_kind:     by_value
      - .offset:         456
        .size:           4
        .value_kind:     by_value
      - .offset:         464
        .size:           216
        .value_kind:     by_value
      - .offset:         680
        .size:           4
        .value_kind:     by_value
      - .address_space:  global
        .offset:         688
        .size:           8
        .value_kind:     global_buffer
      - .offset:         696
        .size:           4
        .value_kind:     hidden_block_count_x
      - .offset:         700
        .size:           4
        .value_kind:     hidden_block_count_y
      - .offset:         704
        .size:           4
        .value_kind:     hidden_block_count_z
      - .offset:         708
        .size:           2
        .value_kind:     hidden_group_size_x
      - .offset:         710
        .size:           2
        .value_kind:     hidden_group_size_y
      - .offset:         712
        .size:           2
        .value_kind:     hidden_group_size_z
      - .offset:         714
        .size:           2
        .value_kind:     hidden_remainder_x
      - .offset:         716
        .size:           2
        .value_kind:     hidden_remainder_y
      - .offset:         718
        .size:           2
        .value_kind:     hidden_remainder_z
      - .offset:         736
        .size:           8
        .value_kind:     hidden_global_offset_x
      - .offset:         744
        .size:           8
        .value_kind:     hidden_global_offset_y
      - .offset:         752
        .size:           8
        .value_kind:     hidden_global_offset_z
      - .offset:         760
        .size:           2
        .value_kind:     hidden_grid_dims
    .group_segment_fixed_size: 4112
    .kernarg_segment_align: 8
    .kernarg_segment_size: 952
    .language:       OpenCL C
    .language_version:
      - 2
      - 0
    .max_flat_workgroup_size: 1024
    .name:           _ZN2at6native6sbtopk10gatherTopKIajLi1ELb0EEEvNS_4cuda6detail10TensorInfoIKT_T0_EES8_S8_bS8_S8_NS5_IS6_S8_EES8_NS5_IlS8_EES8_PS6_
    .private_segment_fixed_size: 0
    .sgpr_count:     100
    .sgpr_spill_count: 52
    .symbol:         _ZN2at6native6sbtopk10gatherTopKIajLi1ELb0EEEvNS_4cuda6detail10TensorInfoIKT_T0_EES8_S8_bS8_S8_NS5_IS6_S8_EES8_NS5_IlS8_EES8_PS6_.kd
    .uniform_work_group_size: 1
    .uses_dynamic_stack: false
    .vgpr_count:     52
    .vgpr_spill_count: 0
    .wavefront_size: 64
  - .args:
      - .offset:         0
        .size:           216
        .value_kind:     by_value
      - .offset:         216
        .size:           4
        .value_kind:     by_value
      - .address_space:  global
        .offset:         224
        .size:           8
        .value_kind:     global_buffer
      - .offset:         232
        .size:           4
        .value_kind:     by_value
      - .offset:         236
        .size:           4
        .value_kind:     by_value
      - .offset:         240
        .size:           4
        .value_kind:     by_value
      - .offset:         244
        .size:           4
        .value_kind:     by_value
      - .offset:         248
        .size:           4
        .value_kind:     by_value
      - .offset:         252
        .size:           4
        .value_kind:     by_value
      - .address_space:  global
        .offset:         256
        .size:           8
        .value_kind:     global_buffer
      - .address_space:  global
        .offset:         264
        .size:           8
        .value_kind:     global_buffer
      - .offset:         272
        .size:           4
        .value_kind:     hidden_block_count_x
      - .offset:         276
        .size:           4
        .value_kind:     hidden_block_count_y
      - .offset:         280
        .size:           4
        .value_kind:     hidden_block_count_z
      - .offset:         284
        .size:           2
        .value_kind:     hidden_group_size_x
      - .offset:         286
        .size:           2
        .value_kind:     hidden_group_size_y
      - .offset:         288
        .size:           2
        .value_kind:     hidden_group_size_z
      - .offset:         290
        .size:           2
        .value_kind:     hidden_remainder_x
      - .offset:         292
        .size:           2
        .value_kind:     hidden_remainder_y
      - .offset:         294
        .size:           2
        .value_kind:     hidden_remainder_z
      - .offset:         312
        .size:           8
        .value_kind:     hidden_global_offset_x
      - .offset:         320
        .size:           8
        .value_kind:     hidden_global_offset_y
      - .offset:         328
        .size:           8
        .value_kind:     hidden_global_offset_z
      - .offset:         336
        .size:           2
        .value_kind:     hidden_grid_dims
    .group_segment_fixed_size: 1024
    .kernarg_segment_align: 8
    .kernarg_segment_size: 528
    .language:       OpenCL C
    .language_version:
      - 2
      - 0
    .max_flat_workgroup_size: 256
    .name:           _ZN2at6native6mbtopk23computeBlockDigitCountsIajjLi2EEEvNS_4cuda6detail10TensorInfoIKT_T0_EEjPjjS8_iijT1_PSB_Ps
    .private_segment_fixed_size: 0
    .sgpr_count:     28
    .sgpr_spill_count: 0
    .symbol:         _ZN2at6native6mbtopk23computeBlockDigitCountsIajjLi2EEEvNS_4cuda6detail10TensorInfoIKT_T0_EEjPjjS8_iijT1_PSB_Ps.kd
    .uniform_work_group_size: 1
    .uses_dynamic_stack: false
    .vgpr_count:     10
    .vgpr_spill_count: 0
    .wavefront_size: 64
  - .args:
      - .offset:         0
        .size:           216
        .value_kind:     by_value
      - .offset:         216
        .size:           4
        .value_kind:     by_value
      - .offset:         220
        .size:           4
        .value_kind:     by_value
      - .offset:         224
        .size:           1
        .value_kind:     by_value
      - .offset:         228
        .size:           4
        .value_kind:     by_value
      - .offset:         232
        .size:           4
        .value_kind:     by_value
      - .offset:         240
        .size:           216
        .value_kind:     by_value
      - .offset:         456
        .size:           4
        .value_kind:     by_value
      - .offset:         464
        .size:           216
        .value_kind:     by_value
      - .offset:         680
        .size:           4
        .value_kind:     by_value
      - .offset:         684
        .size:           4
        .value_kind:     by_value
      - .offset:         688
        .size:           4
        .value_kind:     by_value
      - .address_space:  global
        .offset:         696
        .size:           8
        .value_kind:     global_buffer
      - .address_space:  global
        .offset:         704
        .size:           8
        .value_kind:     global_buffer
      - .address_space:  global
        .offset:         712
        .size:           8
        .value_kind:     global_buffer
      - .offset:         720
        .size:           4
        .value_kind:     by_value
      - .offset:         728
        .size:           4
        .value_kind:     hidden_block_count_x
      - .offset:         732
        .size:           4
        .value_kind:     hidden_block_count_y
      - .offset:         736
        .size:           4
        .value_kind:     hidden_block_count_z
      - .offset:         740
        .size:           2
        .value_kind:     hidden_group_size_x
      - .offset:         742
        .size:           2
        .value_kind:     hidden_group_size_y
      - .offset:         744
        .size:           2
        .value_kind:     hidden_group_size_z
      - .offset:         746
        .size:           2
        .value_kind:     hidden_remainder_x
      - .offset:         748
        .size:           2
        .value_kind:     hidden_remainder_y
      - .offset:         750
        .size:           2
        .value_kind:     hidden_remainder_z
      - .offset:         768
        .size:           8
        .value_kind:     hidden_global_offset_x
      - .offset:         776
        .size:           8
        .value_kind:     hidden_global_offset_y
      - .offset:         784
        .size:           8
        .value_kind:     hidden_global_offset_z
      - .offset:         792
        .size:           2
        .value_kind:     hidden_grid_dims
    .group_segment_fixed_size: 1068
    .kernarg_segment_align: 8
    .kernarg_segment_size: 984
    .language:       OpenCL C
    .language_version:
      - 2
      - 0
    .max_flat_workgroup_size: 256
    .name:           _ZN2at6native6mbtopk10gatherTopKIajLi2EEEvNS_4cuda6detail10TensorInfoIKT_T0_EES8_S8_bjS8_NS5_IS6_S8_EES8_NS5_IlS8_EES8_jjPS6_PjSD_j
    .private_segment_fixed_size: 0
    .sgpr_count:     54
    .sgpr_spill_count: 0
    .symbol:         _ZN2at6native6mbtopk10gatherTopKIajLi2EEEvNS_4cuda6detail10TensorInfoIKT_T0_EES8_S8_bjS8_NS5_IS6_S8_EES8_NS5_IlS8_EES8_jjPS6_PjSD_j.kd
    .uniform_work_group_size: 1
    .uses_dynamic_stack: false
    .vgpr_count:     21
    .vgpr_spill_count: 0
    .wavefront_size: 64
  - .args:
      - .offset:         0
        .size:           216
        .value_kind:     by_value
      - .offset:         216
        .size:           4
        .value_kind:     by_value
      - .offset:         220
        .size:           4
        .value_kind:     by_value
      - .offset:         224
        .size:           1
        .value_kind:     by_value
      - .offset:         228
        .size:           4
        .value_kind:     by_value
      - .offset:         232
        .size:           4
        .value_kind:     by_value
      - .offset:         240
        .size:           216
        .value_kind:     by_value
      - .offset:         456
        .size:           4
        .value_kind:     by_value
      - .offset:         464
        .size:           216
        .value_kind:     by_value
      - .offset:         680
        .size:           4
        .value_kind:     by_value
      - .address_space:  global
        .offset:         688
        .size:           8
        .value_kind:     global_buffer
      - .offset:         696
        .size:           4
        .value_kind:     hidden_block_count_x
      - .offset:         700
        .size:           4
        .value_kind:     hidden_block_count_y
      - .offset:         704
        .size:           4
        .value_kind:     hidden_block_count_z
      - .offset:         708
        .size:           2
        .value_kind:     hidden_group_size_x
      - .offset:         710
        .size:           2
        .value_kind:     hidden_group_size_y
      - .offset:         712
        .size:           2
        .value_kind:     hidden_group_size_z
      - .offset:         714
        .size:           2
        .value_kind:     hidden_remainder_x
      - .offset:         716
        .size:           2
        .value_kind:     hidden_remainder_y
      - .offset:         718
        .size:           2
        .value_kind:     hidden_remainder_z
      - .offset:         736
        .size:           8
        .value_kind:     hidden_global_offset_x
      - .offset:         744
        .size:           8
        .value_kind:     hidden_global_offset_y
      - .offset:         752
        .size:           8
        .value_kind:     hidden_global_offset_z
      - .offset:         760
        .size:           2
        .value_kind:     hidden_grid_dims
    .group_segment_fixed_size: 4112
    .kernarg_segment_align: 8
    .kernarg_segment_size: 952
    .language:       OpenCL C
    .language_version:
      - 2
      - 0
    .max_flat_workgroup_size: 1024
    .name:           _ZN2at6native6sbtopk10gatherTopKIajLi2ELb0EEEvNS_4cuda6detail10TensorInfoIKT_T0_EES8_S8_bS8_S8_NS5_IS6_S8_EES8_NS5_IlS8_EES8_PS6_
    .private_segment_fixed_size: 0
    .sgpr_count:     100
    .sgpr_spill_count: 60
    .symbol:         _ZN2at6native6sbtopk10gatherTopKIajLi2ELb0EEEvNS_4cuda6detail10TensorInfoIKT_T0_EES8_S8_bS8_S8_NS5_IS6_S8_EES8_NS5_IlS8_EES8_PS6_.kd
    .uniform_work_group_size: 1
    .uses_dynamic_stack: false
    .vgpr_count:     52
    .vgpr_spill_count: 0
    .wavefront_size: 64
  - .args:
      - .offset:         0
        .size:           216
        .value_kind:     by_value
      - .offset:         216
        .size:           4
        .value_kind:     by_value
      - .address_space:  global
        .offset:         224
        .size:           8
        .value_kind:     global_buffer
      - .offset:         232
        .size:           4
        .value_kind:     by_value
      - .offset:         236
        .size:           4
        .value_kind:     by_value
      - .offset:         240
        .size:           4
        .value_kind:     by_value
      - .offset:         244
        .size:           4
        .value_kind:     by_value
      - .offset:         248
        .size:           4
        .value_kind:     by_value
      - .offset:         252
        .size:           4
        .value_kind:     by_value
      - .address_space:  global
        .offset:         256
        .size:           8
        .value_kind:     global_buffer
      - .address_space:  global
        .offset:         264
        .size:           8
        .value_kind:     global_buffer
      - .offset:         272
        .size:           4
        .value_kind:     hidden_block_count_x
      - .offset:         276
        .size:           4
        .value_kind:     hidden_block_count_y
      - .offset:         280
        .size:           4
        .value_kind:     hidden_block_count_z
      - .offset:         284
        .size:           2
        .value_kind:     hidden_group_size_x
      - .offset:         286
        .size:           2
        .value_kind:     hidden_group_size_y
      - .offset:         288
        .size:           2
        .value_kind:     hidden_group_size_z
      - .offset:         290
        .size:           2
        .value_kind:     hidden_remainder_x
      - .offset:         292
        .size:           2
        .value_kind:     hidden_remainder_y
      - .offset:         294
        .size:           2
        .value_kind:     hidden_remainder_z
      - .offset:         312
        .size:           8
        .value_kind:     hidden_global_offset_x
      - .offset:         320
        .size:           8
        .value_kind:     hidden_global_offset_y
      - .offset:         328
        .size:           8
        .value_kind:     hidden_global_offset_z
      - .offset:         336
        .size:           2
        .value_kind:     hidden_grid_dims
    .group_segment_fixed_size: 1024
    .kernarg_segment_align: 8
    .kernarg_segment_size: 528
    .language:       OpenCL C
    .language_version:
      - 2
      - 0
    .max_flat_workgroup_size: 256
    .name:           _ZN2at6native6mbtopk23computeBlockDigitCountsIajjLi3EEEvNS_4cuda6detail10TensorInfoIKT_T0_EEjPjjS8_iijT1_PSB_Ps
    .private_segment_fixed_size: 0
    .sgpr_count:     30
    .sgpr_spill_count: 0
    .symbol:         _ZN2at6native6mbtopk23computeBlockDigitCountsIajjLi3EEEvNS_4cuda6detail10TensorInfoIKT_T0_EEjPjjS8_iijT1_PSB_Ps.kd
    .uniform_work_group_size: 1
    .uses_dynamic_stack: false
    .vgpr_count:     10
    .vgpr_spill_count: 0
    .wavefront_size: 64
  - .args:
      - .offset:         0
        .size:           216
        .value_kind:     by_value
      - .offset:         216
        .size:           4
        .value_kind:     by_value
      - .offset:         220
        .size:           4
        .value_kind:     by_value
      - .offset:         224
        .size:           1
        .value_kind:     by_value
      - .offset:         228
        .size:           4
        .value_kind:     by_value
      - .offset:         232
        .size:           4
        .value_kind:     by_value
      - .offset:         240
        .size:           216
        .value_kind:     by_value
      - .offset:         456
        .size:           4
        .value_kind:     by_value
      - .offset:         464
        .size:           216
        .value_kind:     by_value
      - .offset:         680
        .size:           4
        .value_kind:     by_value
      - .offset:         684
        .size:           4
        .value_kind:     by_value
      - .offset:         688
        .size:           4
        .value_kind:     by_value
      - .address_space:  global
        .offset:         696
        .size:           8
        .value_kind:     global_buffer
      - .address_space:  global
        .offset:         704
        .size:           8
        .value_kind:     global_buffer
      - .address_space:  global
        .offset:         712
        .size:           8
        .value_kind:     global_buffer
      - .offset:         720
        .size:           4
        .value_kind:     by_value
      - .offset:         728
        .size:           4
        .value_kind:     hidden_block_count_x
      - .offset:         732
        .size:           4
        .value_kind:     hidden_block_count_y
      - .offset:         736
        .size:           4
        .value_kind:     hidden_block_count_z
      - .offset:         740
        .size:           2
        .value_kind:     hidden_group_size_x
      - .offset:         742
        .size:           2
        .value_kind:     hidden_group_size_y
      - .offset:         744
        .size:           2
        .value_kind:     hidden_group_size_z
      - .offset:         746
        .size:           2
        .value_kind:     hidden_remainder_x
      - .offset:         748
        .size:           2
        .value_kind:     hidden_remainder_y
      - .offset:         750
        .size:           2
        .value_kind:     hidden_remainder_z
      - .offset:         768
        .size:           8
        .value_kind:     hidden_global_offset_x
      - .offset:         776
        .size:           8
        .value_kind:     hidden_global_offset_y
      - .offset:         784
        .size:           8
        .value_kind:     hidden_global_offset_z
      - .offset:         792
        .size:           2
        .value_kind:     hidden_grid_dims
    .group_segment_fixed_size: 1068
    .kernarg_segment_align: 8
    .kernarg_segment_size: 984
    .language:       OpenCL C
    .language_version:
      - 2
      - 0
    .max_flat_workgroup_size: 256
    .name:           _ZN2at6native6mbtopk10gatherTopKIajLi3EEEvNS_4cuda6detail10TensorInfoIKT_T0_EES8_S8_bjS8_NS5_IS6_S8_EES8_NS5_IlS8_EES8_jjPS6_PjSD_j
    .private_segment_fixed_size: 0
    .sgpr_count:     63
    .sgpr_spill_count: 0
    .symbol:         _ZN2at6native6mbtopk10gatherTopKIajLi3EEEvNS_4cuda6detail10TensorInfoIKT_T0_EES8_S8_bjS8_NS5_IS6_S8_EES8_NS5_IlS8_EES8_jjPS6_PjSD_j.kd
    .uniform_work_group_size: 1
    .uses_dynamic_stack: false
    .vgpr_count:     21
    .vgpr_spill_count: 0
    .wavefront_size: 64
  - .args:
      - .offset:         0
        .size:           216
        .value_kind:     by_value
      - .offset:         216
        .size:           4
        .value_kind:     by_value
      - .offset:         220
        .size:           4
        .value_kind:     by_value
      - .offset:         224
        .size:           1
        .value_kind:     by_value
      - .offset:         228
        .size:           4
        .value_kind:     by_value
      - .offset:         232
        .size:           4
        .value_kind:     by_value
      - .offset:         240
        .size:           216
        .value_kind:     by_value
      - .offset:         456
        .size:           4
        .value_kind:     by_value
      - .offset:         464
        .size:           216
        .value_kind:     by_value
      - .offset:         680
        .size:           4
        .value_kind:     by_value
      - .address_space:  global
        .offset:         688
        .size:           8
        .value_kind:     global_buffer
      - .offset:         696
        .size:           4
        .value_kind:     hidden_block_count_x
      - .offset:         700
        .size:           4
        .value_kind:     hidden_block_count_y
      - .offset:         704
        .size:           4
        .value_kind:     hidden_block_count_z
      - .offset:         708
        .size:           2
        .value_kind:     hidden_group_size_x
      - .offset:         710
        .size:           2
        .value_kind:     hidden_group_size_y
      - .offset:         712
        .size:           2
        .value_kind:     hidden_group_size_z
      - .offset:         714
        .size:           2
        .value_kind:     hidden_remainder_x
      - .offset:         716
        .size:           2
        .value_kind:     hidden_remainder_y
      - .offset:         718
        .size:           2
        .value_kind:     hidden_remainder_z
      - .offset:         736
        .size:           8
        .value_kind:     hidden_global_offset_x
      - .offset:         744
        .size:           8
        .value_kind:     hidden_global_offset_y
      - .offset:         752
        .size:           8
        .value_kind:     hidden_global_offset_z
      - .offset:         760
        .size:           2
        .value_kind:     hidden_grid_dims
    .group_segment_fixed_size: 4112
    .kernarg_segment_align: 8
    .kernarg_segment_size: 952
    .language:       OpenCL C
    .language_version:
      - 2
      - 0
    .max_flat_workgroup_size: 1024
    .name:           _ZN2at6native6sbtopk10gatherTopKIajLi3ELb0EEEvNS_4cuda6detail10TensorInfoIKT_T0_EES8_S8_bS8_S8_NS5_IS6_S8_EES8_NS5_IlS8_EES8_PS6_
    .private_segment_fixed_size: 0
    .sgpr_count:     100
    .sgpr_spill_count: 69
    .symbol:         _ZN2at6native6sbtopk10gatherTopKIajLi3ELb0EEEvNS_4cuda6detail10TensorInfoIKT_T0_EES8_S8_bS8_S8_NS5_IS6_S8_EES8_NS5_IlS8_EES8_PS6_.kd
    .uniform_work_group_size: 1
    .uses_dynamic_stack: false
    .vgpr_count:     53
    .vgpr_spill_count: 0
    .wavefront_size: 64
  - .args:
      - .offset:         0
        .size:           216
        .value_kind:     by_value
      - .offset:         216
        .size:           4
        .value_kind:     by_value
      - .address_space:  global
        .offset:         224
        .size:           8
        .value_kind:     global_buffer
      - .offset:         232
        .size:           4
        .value_kind:     by_value
      - .offset:         236
        .size:           4
        .value_kind:     by_value
      - .offset:         240
        .size:           4
        .value_kind:     by_value
      - .offset:         244
        .size:           4
        .value_kind:     by_value
      - .offset:         248
        .size:           4
        .value_kind:     by_value
      - .offset:         252
        .size:           4
        .value_kind:     by_value
      - .address_space:  global
        .offset:         256
        .size:           8
        .value_kind:     global_buffer
      - .address_space:  global
        .offset:         264
        .size:           8
        .value_kind:     global_buffer
      - .offset:         272
        .size:           4
        .value_kind:     hidden_block_count_x
      - .offset:         276
        .size:           4
        .value_kind:     hidden_block_count_y
      - .offset:         280
        .size:           4
        .value_kind:     hidden_block_count_z
      - .offset:         284
        .size:           2
        .value_kind:     hidden_group_size_x
      - .offset:         286
        .size:           2
        .value_kind:     hidden_group_size_y
      - .offset:         288
        .size:           2
        .value_kind:     hidden_group_size_z
      - .offset:         290
        .size:           2
        .value_kind:     hidden_remainder_x
      - .offset:         292
        .size:           2
        .value_kind:     hidden_remainder_y
      - .offset:         294
        .size:           2
        .value_kind:     hidden_remainder_z
      - .offset:         312
        .size:           8
        .value_kind:     hidden_global_offset_x
      - .offset:         320
        .size:           8
        .value_kind:     hidden_global_offset_y
      - .offset:         328
        .size:           8
        .value_kind:     hidden_global_offset_z
      - .offset:         336
        .size:           2
        .value_kind:     hidden_grid_dims
    .group_segment_fixed_size: 1024
    .kernarg_segment_align: 8
    .kernarg_segment_size: 528
    .language:       OpenCL C
    .language_version:
      - 2
      - 0
    .max_flat_workgroup_size: 256
    .name:           _ZN2at6native6mbtopk23computeBlockDigitCountsIajjLin1EEEvNS_4cuda6detail10TensorInfoIKT_T0_EEjPjjS8_iijT1_PSB_Ps
    .private_segment_fixed_size: 0
    .sgpr_count:     28
    .sgpr_spill_count: 0
    .symbol:         _ZN2at6native6mbtopk23computeBlockDigitCountsIajjLin1EEEvNS_4cuda6detail10TensorInfoIKT_T0_EEjPjjS8_iijT1_PSB_Ps.kd
    .uniform_work_group_size: 1
    .uses_dynamic_stack: false
    .vgpr_count:     10
    .vgpr_spill_count: 0
    .wavefront_size: 64
  - .args:
      - .offset:         0
        .size:           216
        .value_kind:     by_value
      - .offset:         216
        .size:           4
        .value_kind:     by_value
      - .offset:         220
        .size:           4
        .value_kind:     by_value
      - .offset:         224
        .size:           1
        .value_kind:     by_value
      - .offset:         228
        .size:           4
        .value_kind:     by_value
      - .offset:         232
        .size:           4
        .value_kind:     by_value
      - .offset:         240
        .size:           216
        .value_kind:     by_value
      - .offset:         456
        .size:           4
        .value_kind:     by_value
      - .offset:         464
        .size:           216
        .value_kind:     by_value
      - .offset:         680
        .size:           4
        .value_kind:     by_value
      - .offset:         684
        .size:           4
        .value_kind:     by_value
      - .offset:         688
        .size:           4
        .value_kind:     by_value
      - .address_space:  global
        .offset:         696
        .size:           8
        .value_kind:     global_buffer
      - .address_space:  global
        .offset:         704
        .size:           8
        .value_kind:     global_buffer
      - .address_space:  global
        .offset:         712
        .size:           8
        .value_kind:     global_buffer
      - .offset:         720
        .size:           4
        .value_kind:     by_value
      - .offset:         728
        .size:           4
        .value_kind:     hidden_block_count_x
      - .offset:         732
        .size:           4
        .value_kind:     hidden_block_count_y
      - .offset:         736
        .size:           4
        .value_kind:     hidden_block_count_z
      - .offset:         740
        .size:           2
        .value_kind:     hidden_group_size_x
      - .offset:         742
        .size:           2
        .value_kind:     hidden_group_size_y
      - .offset:         744
        .size:           2
        .value_kind:     hidden_group_size_z
      - .offset:         746
        .size:           2
        .value_kind:     hidden_remainder_x
      - .offset:         748
        .size:           2
        .value_kind:     hidden_remainder_y
      - .offset:         750
        .size:           2
        .value_kind:     hidden_remainder_z
      - .offset:         768
        .size:           8
        .value_kind:     hidden_global_offset_x
      - .offset:         776
        .size:           8
        .value_kind:     hidden_global_offset_y
      - .offset:         784
        .size:           8
        .value_kind:     hidden_global_offset_z
      - .offset:         792
        .size:           2
        .value_kind:     hidden_grid_dims
    .group_segment_fixed_size: 1068
    .kernarg_segment_align: 8
    .kernarg_segment_size: 984
    .language:       OpenCL C
    .language_version:
      - 2
      - 0
    .max_flat_workgroup_size: 256
    .name:           _ZN2at6native6mbtopk10gatherTopKIajLin1EEEvNS_4cuda6detail10TensorInfoIKT_T0_EES8_S8_bjS8_NS5_IS6_S8_EES8_NS5_IlS8_EES8_jjPS6_PjSD_j
    .private_segment_fixed_size: 0
    .sgpr_count:     49
    .sgpr_spill_count: 0
    .symbol:         _ZN2at6native6mbtopk10gatherTopKIajLin1EEEvNS_4cuda6detail10TensorInfoIKT_T0_EES8_S8_bjS8_NS5_IS6_S8_EES8_NS5_IlS8_EES8_jjPS6_PjSD_j.kd
    .uniform_work_group_size: 1
    .uses_dynamic_stack: false
    .vgpr_count:     21
    .vgpr_spill_count: 0
    .wavefront_size: 64
  - .args:
      - .offset:         0
        .size:           216
        .value_kind:     by_value
      - .offset:         216
        .size:           4
        .value_kind:     by_value
      - .offset:         220
        .size:           4
        .value_kind:     by_value
      - .offset:         224
        .size:           1
        .value_kind:     by_value
      - .offset:         228
        .size:           4
        .value_kind:     by_value
      - .offset:         232
        .size:           4
        .value_kind:     by_value
      - .offset:         240
        .size:           216
        .value_kind:     by_value
      - .offset:         456
        .size:           4
        .value_kind:     by_value
      - .offset:         464
        .size:           216
        .value_kind:     by_value
      - .offset:         680
        .size:           4
        .value_kind:     by_value
      - .address_space:  global
        .offset:         688
        .size:           8
        .value_kind:     global_buffer
      - .offset:         696
        .size:           4
        .value_kind:     hidden_block_count_x
      - .offset:         700
        .size:           4
        .value_kind:     hidden_block_count_y
      - .offset:         704
        .size:           4
        .value_kind:     hidden_block_count_z
      - .offset:         708
        .size:           2
        .value_kind:     hidden_group_size_x
      - .offset:         710
        .size:           2
        .value_kind:     hidden_group_size_y
      - .offset:         712
        .size:           2
        .value_kind:     hidden_group_size_z
      - .offset:         714
        .size:           2
        .value_kind:     hidden_remainder_x
      - .offset:         716
        .size:           2
        .value_kind:     hidden_remainder_y
      - .offset:         718
        .size:           2
        .value_kind:     hidden_remainder_z
      - .offset:         736
        .size:           8
        .value_kind:     hidden_global_offset_x
      - .offset:         744
        .size:           8
        .value_kind:     hidden_global_offset_y
      - .offset:         752
        .size:           8
        .value_kind:     hidden_global_offset_z
      - .offset:         760
        .size:           2
        .value_kind:     hidden_grid_dims
    .group_segment_fixed_size: 4112
    .kernarg_segment_align: 8
    .kernarg_segment_size: 952
    .language:       OpenCL C
    .language_version:
      - 2
      - 0
    .max_flat_workgroup_size: 1024
    .name:           _ZN2at6native6sbtopk10gatherTopKIajLin1ELb0EEEvNS_4cuda6detail10TensorInfoIKT_T0_EES8_S8_bS8_S8_NS5_IS6_S8_EES8_NS5_IlS8_EES8_PS6_
    .private_segment_fixed_size: 0
    .sgpr_count:     100
    .sgpr_spill_count: 54
    .symbol:         _ZN2at6native6sbtopk10gatherTopKIajLin1ELb0EEEvNS_4cuda6detail10TensorInfoIKT_T0_EES8_S8_bS8_S8_NS5_IS6_S8_EES8_NS5_IlS8_EES8_PS6_.kd
    .uniform_work_group_size: 1
    .uses_dynamic_stack: false
    .vgpr_count:     52
    .vgpr_spill_count: 0
    .wavefront_size: 64
  - .args:
      - .offset:         0
        .size:           216
        .value_kind:     by_value
      - .offset:         216
        .size:           4
        .value_kind:     by_value
      - .address_space:  global
        .offset:         224
        .size:           8
        .value_kind:     global_buffer
      - .offset:         232
        .size:           4
        .value_kind:     by_value
      - .offset:         236
        .size:           4
        .value_kind:     by_value
      - .offset:         240
        .size:           4
        .value_kind:     by_value
      - .offset:         244
        .size:           4
        .value_kind:     by_value
      - .offset:         248
        .size:           4
        .value_kind:     by_value
      - .offset:         252
        .size:           4
        .value_kind:     by_value
      - .address_space:  global
        .offset:         256
        .size:           8
        .value_kind:     global_buffer
      - .address_space:  global
        .offset:         264
        .size:           8
        .value_kind:     global_buffer
      - .offset:         272
        .size:           4
        .value_kind:     hidden_block_count_x
      - .offset:         276
        .size:           4
        .value_kind:     hidden_block_count_y
      - .offset:         280
        .size:           4
        .value_kind:     hidden_block_count_z
      - .offset:         284
        .size:           2
        .value_kind:     hidden_group_size_x
      - .offset:         286
        .size:           2
        .value_kind:     hidden_group_size_y
      - .offset:         288
        .size:           2
        .value_kind:     hidden_group_size_z
      - .offset:         290
        .size:           2
        .value_kind:     hidden_remainder_x
      - .offset:         292
        .size:           2
        .value_kind:     hidden_remainder_y
      - .offset:         294
        .size:           2
        .value_kind:     hidden_remainder_z
      - .offset:         312
        .size:           8
        .value_kind:     hidden_global_offset_x
      - .offset:         320
        .size:           8
        .value_kind:     hidden_global_offset_y
      - .offset:         328
        .size:           8
        .value_kind:     hidden_global_offset_z
      - .offset:         336
        .size:           2
        .value_kind:     hidden_grid_dims
    .group_segment_fixed_size: 1024
    .kernarg_segment_align: 8
    .kernarg_segment_size: 528
    .language:       OpenCL C
    .language_version:
      - 2
      - 0
    .max_flat_workgroup_size: 256
    .name:           _ZN2at6native6mbtopk23computeBlockDigitCountsIijjLi1EEEvNS_4cuda6detail10TensorInfoIKT_T0_EEjPjjS8_iijT1_PSB_Ps
    .private_segment_fixed_size: 0
    .sgpr_count:     24
    .sgpr_spill_count: 0
    .symbol:         _ZN2at6native6mbtopk23computeBlockDigitCountsIijjLi1EEEvNS_4cuda6detail10TensorInfoIKT_T0_EEjPjjS8_iijT1_PSB_Ps.kd
    .uniform_work_group_size: 1
    .uses_dynamic_stack: false
    .vgpr_count:     12
    .vgpr_spill_count: 0
    .wavefront_size: 64
  - .args:
      - .address_space:  global
        .offset:         0
        .size:           8
        .value_kind:     global_buffer
      - .address_space:  global
        .offset:         8
        .size:           8
        .value_kind:     global_buffer
      - .address_space:  global
        .offset:         16
        .size:           8
        .value_kind:     global_buffer
      - .offset:         24
        .size:           4
        .value_kind:     by_value
      - .offset:         28
        .size:           4
        .value_kind:     by_value
      - .offset:         32
        .size:           1
        .value_kind:     by_value
      - .address_space:  global
        .offset:         40
        .size:           8
        .value_kind:     global_buffer
      - .address_space:  global
        .offset:         48
        .size:           8
        .value_kind:     global_buffer
      - .address_space:  global
        .offset:         56
        .size:           8
        .value_kind:     global_buffer
      - .address_space:  global
        .offset:         64
        .size:           8
        .value_kind:     global_buffer
      - .address_space:  global
        .offset:         72
        .size:           8
        .value_kind:     global_buffer
      - .offset:         80
        .size:           4
        .value_kind:     by_value
      - .offset:         88
        .size:           4
        .value_kind:     hidden_block_count_x
      - .offset:         92
        .size:           4
        .value_kind:     hidden_block_count_y
      - .offset:         96
        .size:           4
        .value_kind:     hidden_block_count_z
      - .offset:         100
        .size:           2
        .value_kind:     hidden_group_size_x
      - .offset:         102
        .size:           2
        .value_kind:     hidden_group_size_y
      - .offset:         104
        .size:           2
        .value_kind:     hidden_group_size_z
      - .offset:         106
        .size:           2
        .value_kind:     hidden_remainder_x
      - .offset:         108
        .size:           2
        .value_kind:     hidden_remainder_y
      - .offset:         110
        .size:           2
        .value_kind:     hidden_remainder_z
      - .offset:         128
        .size:           8
        .value_kind:     hidden_global_offset_x
      - .offset:         136
        .size:           8
        .value_kind:     hidden_global_offset_y
      - .offset:         144
        .size:           8
        .value_kind:     hidden_global_offset_z
      - .offset:         152
        .size:           2
        .value_kind:     hidden_grid_dims
    .group_segment_fixed_size: 2100
    .kernarg_segment_align: 8
    .kernarg_segment_size: 344
    .language:       OpenCL C
    .language_version:
      - 2
      - 0
    .max_flat_workgroup_size: 256
    .name:           _ZN2at6native6mbtopk29computeBlockwiseWithinKCountsIjiEEvPT_PsPjjibS6_PT0_S6_S4_S6_j
    .private_segment_fixed_size: 0
    .sgpr_count:     34
    .sgpr_spill_count: 0
    .symbol:         _ZN2at6native6mbtopk29computeBlockwiseWithinKCountsIjiEEvPT_PsPjjibS6_PT0_S6_S4_S6_j.kd
    .uniform_work_group_size: 1
    .uses_dynamic_stack: false
    .vgpr_count:     11
    .vgpr_spill_count: 0
    .wavefront_size: 64
  - .args:
      - .offset:         0
        .size:           216
        .value_kind:     by_value
      - .offset:         216
        .size:           4
        .value_kind:     by_value
      - .offset:         220
        .size:           4
        .value_kind:     by_value
      - .offset:         224
        .size:           1
        .value_kind:     by_value
      - .offset:         228
        .size:           4
        .value_kind:     by_value
      - .offset:         232
        .size:           4
        .value_kind:     by_value
      - .offset:         240
        .size:           216
        .value_kind:     by_value
      - .offset:         456
        .size:           4
        .value_kind:     by_value
      - .offset:         464
        .size:           216
        .value_kind:     by_value
      - .offset:         680
        .size:           4
        .value_kind:     by_value
      - .offset:         684
        .size:           4
        .value_kind:     by_value
      - .offset:         688
        .size:           4
        .value_kind:     by_value
      - .address_space:  global
        .offset:         696
        .size:           8
        .value_kind:     global_buffer
      - .address_space:  global
        .offset:         704
        .size:           8
        .value_kind:     global_buffer
      - .address_space:  global
        .offset:         712
        .size:           8
        .value_kind:     global_buffer
      - .offset:         720
        .size:           4
        .value_kind:     by_value
      - .offset:         728
        .size:           4
        .value_kind:     hidden_block_count_x
      - .offset:         732
        .size:           4
        .value_kind:     hidden_block_count_y
      - .offset:         736
        .size:           4
        .value_kind:     hidden_block_count_z
      - .offset:         740
        .size:           2
        .value_kind:     hidden_group_size_x
      - .offset:         742
        .size:           2
        .value_kind:     hidden_group_size_y
      - .offset:         744
        .size:           2
        .value_kind:     hidden_group_size_z
      - .offset:         746
        .size:           2
        .value_kind:     hidden_remainder_x
      - .offset:         748
        .size:           2
        .value_kind:     hidden_remainder_y
      - .offset:         750
        .size:           2
        .value_kind:     hidden_remainder_z
      - .offset:         768
        .size:           8
        .value_kind:     hidden_global_offset_x
      - .offset:         776
        .size:           8
        .value_kind:     hidden_global_offset_y
      - .offset:         784
        .size:           8
        .value_kind:     hidden_global_offset_z
      - .offset:         792
        .size:           2
        .value_kind:     hidden_grid_dims
    .group_segment_fixed_size: 1068
    .kernarg_segment_align: 8
    .kernarg_segment_size: 984
    .language:       OpenCL C
    .language_version:
      - 2
      - 0
    .max_flat_workgroup_size: 256
    .name:           _ZN2at6native6mbtopk10gatherTopKIijLi1EEEvNS_4cuda6detail10TensorInfoIKT_T0_EES8_S8_bjS8_NS5_IS6_S8_EES8_NS5_IlS8_EES8_jjPS6_PjSD_j
    .private_segment_fixed_size: 0
    .sgpr_count:     43
    .sgpr_spill_count: 0
    .symbol:         _ZN2at6native6mbtopk10gatherTopKIijLi1EEEvNS_4cuda6detail10TensorInfoIKT_T0_EES8_S8_bjS8_NS5_IS6_S8_EES8_NS5_IlS8_EES8_jjPS6_PjSD_j.kd
    .uniform_work_group_size: 1
    .uses_dynamic_stack: false
    .vgpr_count:     19
    .vgpr_spill_count: 0
    .wavefront_size: 64
  - .args:
      - .offset:         0
        .size:           216
        .value_kind:     by_value
      - .offset:         216
        .size:           4
        .value_kind:     by_value
      - .offset:         220
        .size:           4
        .value_kind:     by_value
      - .offset:         224
        .size:           1
        .value_kind:     by_value
      - .offset:         228
        .size:           4
        .value_kind:     by_value
      - .offset:         232
        .size:           4
        .value_kind:     by_value
      - .offset:         240
        .size:           216
        .value_kind:     by_value
      - .offset:         456
        .size:           4
        .value_kind:     by_value
      - .offset:         464
        .size:           216
        .value_kind:     by_value
      - .offset:         680
        .size:           4
        .value_kind:     by_value
      - .address_space:  global
        .offset:         688
        .size:           8
        .value_kind:     global_buffer
      - .offset:         696
        .size:           4
        .value_kind:     hidden_block_count_x
      - .offset:         700
        .size:           4
        .value_kind:     hidden_block_count_y
      - .offset:         704
        .size:           4
        .value_kind:     hidden_block_count_z
      - .offset:         708
        .size:           2
        .value_kind:     hidden_group_size_x
      - .offset:         710
        .size:           2
        .value_kind:     hidden_group_size_y
      - .offset:         712
        .size:           2
        .value_kind:     hidden_group_size_z
      - .offset:         714
        .size:           2
        .value_kind:     hidden_remainder_x
      - .offset:         716
        .size:           2
        .value_kind:     hidden_remainder_y
      - .offset:         718
        .size:           2
        .value_kind:     hidden_remainder_z
      - .offset:         736
        .size:           8
        .value_kind:     hidden_global_offset_x
      - .offset:         744
        .size:           8
        .value_kind:     hidden_global_offset_y
      - .offset:         752
        .size:           8
        .value_kind:     hidden_global_offset_z
      - .offset:         760
        .size:           2
        .value_kind:     hidden_grid_dims
    .group_segment_fixed_size: 4112
    .kernarg_segment_align: 8
    .kernarg_segment_size: 952
    .language:       OpenCL C
    .language_version:
      - 2
      - 0
    .max_flat_workgroup_size: 1024
    .name:           _ZN2at6native6sbtopk10gatherTopKIijLi1ELb0EEEvNS_4cuda6detail10TensorInfoIKT_T0_EES8_S8_bS8_S8_NS5_IS6_S8_EES8_NS5_IlS8_EES8_PS6_
    .private_segment_fixed_size: 0
    .sgpr_count:     100
    .sgpr_spill_count: 46
    .symbol:         _ZN2at6native6sbtopk10gatherTopKIijLi1ELb0EEEvNS_4cuda6detail10TensorInfoIKT_T0_EES8_S8_bS8_S8_NS5_IS6_S8_EES8_NS5_IlS8_EES8_PS6_.kd
    .uniform_work_group_size: 1
    .uses_dynamic_stack: false
    .vgpr_count:     47
    .vgpr_spill_count: 0
    .wavefront_size: 64
  - .args:
      - .offset:         0
        .size:           216
        .value_kind:     by_value
      - .offset:         216
        .size:           4
        .value_kind:     by_value
      - .address_space:  global
        .offset:         224
        .size:           8
        .value_kind:     global_buffer
      - .offset:         232
        .size:           4
        .value_kind:     by_value
      - .offset:         236
        .size:           4
        .value_kind:     by_value
      - .offset:         240
        .size:           4
        .value_kind:     by_value
      - .offset:         244
        .size:           4
        .value_kind:     by_value
      - .offset:         248
        .size:           4
        .value_kind:     by_value
      - .offset:         252
        .size:           4
        .value_kind:     by_value
      - .address_space:  global
        .offset:         256
        .size:           8
        .value_kind:     global_buffer
      - .address_space:  global
        .offset:         264
        .size:           8
        .value_kind:     global_buffer
      - .offset:         272
        .size:           4
        .value_kind:     hidden_block_count_x
      - .offset:         276
        .size:           4
        .value_kind:     hidden_block_count_y
      - .offset:         280
        .size:           4
        .value_kind:     hidden_block_count_z
      - .offset:         284
        .size:           2
        .value_kind:     hidden_group_size_x
      - .offset:         286
        .size:           2
        .value_kind:     hidden_group_size_y
      - .offset:         288
        .size:           2
        .value_kind:     hidden_group_size_z
      - .offset:         290
        .size:           2
        .value_kind:     hidden_remainder_x
      - .offset:         292
        .size:           2
        .value_kind:     hidden_remainder_y
      - .offset:         294
        .size:           2
        .value_kind:     hidden_remainder_z
      - .offset:         312
        .size:           8
        .value_kind:     hidden_global_offset_x
      - .offset:         320
        .size:           8
        .value_kind:     hidden_global_offset_y
      - .offset:         328
        .size:           8
        .value_kind:     hidden_global_offset_z
      - .offset:         336
        .size:           2
        .value_kind:     hidden_grid_dims
    .group_segment_fixed_size: 1024
    .kernarg_segment_align: 8
    .kernarg_segment_size: 528
    .language:       OpenCL C
    .language_version:
      - 2
      - 0
    .max_flat_workgroup_size: 256
    .name:           _ZN2at6native6mbtopk23computeBlockDigitCountsIijjLi2EEEvNS_4cuda6detail10TensorInfoIKT_T0_EEjPjjS8_iijT1_PSB_Ps
    .private_segment_fixed_size: 0
    .sgpr_count:     26
    .sgpr_spill_count: 0
    .symbol:         _ZN2at6native6mbtopk23computeBlockDigitCountsIijjLi2EEEvNS_4cuda6detail10TensorInfoIKT_T0_EEjPjjS8_iijT1_PSB_Ps.kd
    .uniform_work_group_size: 1
    .uses_dynamic_stack: false
    .vgpr_count:     12
    .vgpr_spill_count: 0
    .wavefront_size: 64
  - .args:
      - .offset:         0
        .size:           216
        .value_kind:     by_value
      - .offset:         216
        .size:           4
        .value_kind:     by_value
      - .offset:         220
        .size:           4
        .value_kind:     by_value
      - .offset:         224
        .size:           1
        .value_kind:     by_value
      - .offset:         228
        .size:           4
        .value_kind:     by_value
      - .offset:         232
        .size:           4
        .value_kind:     by_value
      - .offset:         240
        .size:           216
        .value_kind:     by_value
      - .offset:         456
        .size:           4
        .value_kind:     by_value
      - .offset:         464
        .size:           216
        .value_kind:     by_value
      - .offset:         680
        .size:           4
        .value_kind:     by_value
      - .offset:         684
        .size:           4
        .value_kind:     by_value
      - .offset:         688
        .size:           4
        .value_kind:     by_value
      - .address_space:  global
        .offset:         696
        .size:           8
        .value_kind:     global_buffer
      - .address_space:  global
        .offset:         704
        .size:           8
        .value_kind:     global_buffer
      - .address_space:  global
        .offset:         712
        .size:           8
        .value_kind:     global_buffer
      - .offset:         720
        .size:           4
        .value_kind:     by_value
      - .offset:         728
        .size:           4
        .value_kind:     hidden_block_count_x
      - .offset:         732
        .size:           4
        .value_kind:     hidden_block_count_y
      - .offset:         736
        .size:           4
        .value_kind:     hidden_block_count_z
      - .offset:         740
        .size:           2
        .value_kind:     hidden_group_size_x
      - .offset:         742
        .size:           2
        .value_kind:     hidden_group_size_y
      - .offset:         744
        .size:           2
        .value_kind:     hidden_group_size_z
      - .offset:         746
        .size:           2
        .value_kind:     hidden_remainder_x
      - .offset:         748
        .size:           2
        .value_kind:     hidden_remainder_y
      - .offset:         750
        .size:           2
        .value_kind:     hidden_remainder_z
      - .offset:         768
        .size:           8
        .value_kind:     hidden_global_offset_x
      - .offset:         776
        .size:           8
        .value_kind:     hidden_global_offset_y
      - .offset:         784
        .size:           8
        .value_kind:     hidden_global_offset_z
      - .offset:         792
        .size:           2
        .value_kind:     hidden_grid_dims
    .group_segment_fixed_size: 1068
    .kernarg_segment_align: 8
    .kernarg_segment_size: 984
    .language:       OpenCL C
    .language_version:
      - 2
      - 0
    .max_flat_workgroup_size: 256
    .name:           _ZN2at6native6mbtopk10gatherTopKIijLi2EEEvNS_4cuda6detail10TensorInfoIKT_T0_EES8_S8_bjS8_NS5_IS6_S8_EES8_NS5_IlS8_EES8_jjPS6_PjSD_j
    .private_segment_fixed_size: 0
    .sgpr_count:     55
    .sgpr_spill_count: 0
    .symbol:         _ZN2at6native6mbtopk10gatherTopKIijLi2EEEvNS_4cuda6detail10TensorInfoIKT_T0_EES8_S8_bjS8_NS5_IS6_S8_EES8_NS5_IlS8_EES8_jjPS6_PjSD_j.kd
    .uniform_work_group_size: 1
    .uses_dynamic_stack: false
    .vgpr_count:     19
    .vgpr_spill_count: 0
    .wavefront_size: 64
  - .args:
      - .offset:         0
        .size:           216
        .value_kind:     by_value
      - .offset:         216
        .size:           4
        .value_kind:     by_value
      - .offset:         220
        .size:           4
        .value_kind:     by_value
      - .offset:         224
        .size:           1
        .value_kind:     by_value
      - .offset:         228
        .size:           4
        .value_kind:     by_value
      - .offset:         232
        .size:           4
        .value_kind:     by_value
      - .offset:         240
        .size:           216
        .value_kind:     by_value
      - .offset:         456
        .size:           4
        .value_kind:     by_value
      - .offset:         464
        .size:           216
        .value_kind:     by_value
      - .offset:         680
        .size:           4
        .value_kind:     by_value
      - .address_space:  global
        .offset:         688
        .size:           8
        .value_kind:     global_buffer
      - .offset:         696
        .size:           4
        .value_kind:     hidden_block_count_x
      - .offset:         700
        .size:           4
        .value_kind:     hidden_block_count_y
      - .offset:         704
        .size:           4
        .value_kind:     hidden_block_count_z
      - .offset:         708
        .size:           2
        .value_kind:     hidden_group_size_x
      - .offset:         710
        .size:           2
        .value_kind:     hidden_group_size_y
      - .offset:         712
        .size:           2
        .value_kind:     hidden_group_size_z
      - .offset:         714
        .size:           2
        .value_kind:     hidden_remainder_x
      - .offset:         716
        .size:           2
        .value_kind:     hidden_remainder_y
      - .offset:         718
        .size:           2
        .value_kind:     hidden_remainder_z
      - .offset:         736
        .size:           8
        .value_kind:     hidden_global_offset_x
      - .offset:         744
        .size:           8
        .value_kind:     hidden_global_offset_y
      - .offset:         752
        .size:           8
        .value_kind:     hidden_global_offset_z
      - .offset:         760
        .size:           2
        .value_kind:     hidden_grid_dims
    .group_segment_fixed_size: 4112
    .kernarg_segment_align: 8
    .kernarg_segment_size: 952
    .language:       OpenCL C
    .language_version:
      - 2
      - 0
    .max_flat_workgroup_size: 1024
    .name:           _ZN2at6native6sbtopk10gatherTopKIijLi2ELb0EEEvNS_4cuda6detail10TensorInfoIKT_T0_EES8_S8_bS8_S8_NS5_IS6_S8_EES8_NS5_IlS8_EES8_PS6_
    .private_segment_fixed_size: 0
    .sgpr_count:     100
    .sgpr_spill_count: 54
    .symbol:         _ZN2at6native6sbtopk10gatherTopKIijLi2ELb0EEEvNS_4cuda6detail10TensorInfoIKT_T0_EES8_S8_bS8_S8_NS5_IS6_S8_EES8_NS5_IlS8_EES8_PS6_.kd
    .uniform_work_group_size: 1
    .uses_dynamic_stack: false
    .vgpr_count:     47
    .vgpr_spill_count: 0
    .wavefront_size: 64
  - .args:
      - .offset:         0
        .size:           216
        .value_kind:     by_value
      - .offset:         216
        .size:           4
        .value_kind:     by_value
      - .address_space:  global
        .offset:         224
        .size:           8
        .value_kind:     global_buffer
      - .offset:         232
        .size:           4
        .value_kind:     by_value
      - .offset:         236
        .size:           4
        .value_kind:     by_value
      - .offset:         240
        .size:           4
        .value_kind:     by_value
      - .offset:         244
        .size:           4
        .value_kind:     by_value
      - .offset:         248
        .size:           4
        .value_kind:     by_value
      - .offset:         252
        .size:           4
        .value_kind:     by_value
      - .address_space:  global
        .offset:         256
        .size:           8
        .value_kind:     global_buffer
      - .address_space:  global
        .offset:         264
        .size:           8
        .value_kind:     global_buffer
      - .offset:         272
        .size:           4
        .value_kind:     hidden_block_count_x
      - .offset:         276
        .size:           4
        .value_kind:     hidden_block_count_y
      - .offset:         280
        .size:           4
        .value_kind:     hidden_block_count_z
      - .offset:         284
        .size:           2
        .value_kind:     hidden_group_size_x
      - .offset:         286
        .size:           2
        .value_kind:     hidden_group_size_y
      - .offset:         288
        .size:           2
        .value_kind:     hidden_group_size_z
      - .offset:         290
        .size:           2
        .value_kind:     hidden_remainder_x
      - .offset:         292
        .size:           2
        .value_kind:     hidden_remainder_y
      - .offset:         294
        .size:           2
        .value_kind:     hidden_remainder_z
      - .offset:         312
        .size:           8
        .value_kind:     hidden_global_offset_x
      - .offset:         320
        .size:           8
        .value_kind:     hidden_global_offset_y
      - .offset:         328
        .size:           8
        .value_kind:     hidden_global_offset_z
      - .offset:         336
        .size:           2
        .value_kind:     hidden_grid_dims
    .group_segment_fixed_size: 1024
    .kernarg_segment_align: 8
    .kernarg_segment_size: 528
    .language:       OpenCL C
    .language_version:
      - 2
      - 0
    .max_flat_workgroup_size: 256
    .name:           _ZN2at6native6mbtopk23computeBlockDigitCountsIijjLi3EEEvNS_4cuda6detail10TensorInfoIKT_T0_EEjPjjS8_iijT1_PSB_Ps
    .private_segment_fixed_size: 0
    .sgpr_count:     30
    .sgpr_spill_count: 0
    .symbol:         _ZN2at6native6mbtopk23computeBlockDigitCountsIijjLi3EEEvNS_4cuda6detail10TensorInfoIKT_T0_EEjPjjS8_iijT1_PSB_Ps.kd
    .uniform_work_group_size: 1
    .uses_dynamic_stack: false
    .vgpr_count:     12
    .vgpr_spill_count: 0
    .wavefront_size: 64
  - .args:
      - .offset:         0
        .size:           216
        .value_kind:     by_value
      - .offset:         216
        .size:           4
        .value_kind:     by_value
      - .offset:         220
        .size:           4
        .value_kind:     by_value
      - .offset:         224
        .size:           1
        .value_kind:     by_value
      - .offset:         228
        .size:           4
        .value_kind:     by_value
      - .offset:         232
        .size:           4
        .value_kind:     by_value
      - .offset:         240
        .size:           216
        .value_kind:     by_value
      - .offset:         456
        .size:           4
        .value_kind:     by_value
      - .offset:         464
        .size:           216
        .value_kind:     by_value
      - .offset:         680
        .size:           4
        .value_kind:     by_value
      - .offset:         684
        .size:           4
        .value_kind:     by_value
      - .offset:         688
        .size:           4
        .value_kind:     by_value
      - .address_space:  global
        .offset:         696
        .size:           8
        .value_kind:     global_buffer
      - .address_space:  global
        .offset:         704
        .size:           8
        .value_kind:     global_buffer
      - .address_space:  global
        .offset:         712
        .size:           8
        .value_kind:     global_buffer
      - .offset:         720
        .size:           4
        .value_kind:     by_value
      - .offset:         728
        .size:           4
        .value_kind:     hidden_block_count_x
      - .offset:         732
        .size:           4
        .value_kind:     hidden_block_count_y
      - .offset:         736
        .size:           4
        .value_kind:     hidden_block_count_z
      - .offset:         740
        .size:           2
        .value_kind:     hidden_group_size_x
      - .offset:         742
        .size:           2
        .value_kind:     hidden_group_size_y
      - .offset:         744
        .size:           2
        .value_kind:     hidden_group_size_z
      - .offset:         746
        .size:           2
        .value_kind:     hidden_remainder_x
      - .offset:         748
        .size:           2
        .value_kind:     hidden_remainder_y
      - .offset:         750
        .size:           2
        .value_kind:     hidden_remainder_z
      - .offset:         768
        .size:           8
        .value_kind:     hidden_global_offset_x
      - .offset:         776
        .size:           8
        .value_kind:     hidden_global_offset_y
      - .offset:         784
        .size:           8
        .value_kind:     hidden_global_offset_z
      - .offset:         792
        .size:           2
        .value_kind:     hidden_grid_dims
    .group_segment_fixed_size: 1068
    .kernarg_segment_align: 8
    .kernarg_segment_size: 984
    .language:       OpenCL C
    .language_version:
      - 2
      - 0
    .max_flat_workgroup_size: 256
    .name:           _ZN2at6native6mbtopk10gatherTopKIijLi3EEEvNS_4cuda6detail10TensorInfoIKT_T0_EES8_S8_bjS8_NS5_IS6_S8_EES8_NS5_IlS8_EES8_jjPS6_PjSD_j
    .private_segment_fixed_size: 0
    .sgpr_count:     64
    .sgpr_spill_count: 0
    .symbol:         _ZN2at6native6mbtopk10gatherTopKIijLi3EEEvNS_4cuda6detail10TensorInfoIKT_T0_EES8_S8_bjS8_NS5_IS6_S8_EES8_NS5_IlS8_EES8_jjPS6_PjSD_j.kd
    .uniform_work_group_size: 1
    .uses_dynamic_stack: false
    .vgpr_count:     19
    .vgpr_spill_count: 0
    .wavefront_size: 64
  - .args:
      - .offset:         0
        .size:           216
        .value_kind:     by_value
      - .offset:         216
        .size:           4
        .value_kind:     by_value
      - .offset:         220
        .size:           4
        .value_kind:     by_value
      - .offset:         224
        .size:           1
        .value_kind:     by_value
      - .offset:         228
        .size:           4
        .value_kind:     by_value
      - .offset:         232
        .size:           4
        .value_kind:     by_value
      - .offset:         240
        .size:           216
        .value_kind:     by_value
      - .offset:         456
        .size:           4
        .value_kind:     by_value
      - .offset:         464
        .size:           216
        .value_kind:     by_value
      - .offset:         680
        .size:           4
        .value_kind:     by_value
      - .address_space:  global
        .offset:         688
        .size:           8
        .value_kind:     global_buffer
      - .offset:         696
        .size:           4
        .value_kind:     hidden_block_count_x
      - .offset:         700
        .size:           4
        .value_kind:     hidden_block_count_y
      - .offset:         704
        .size:           4
        .value_kind:     hidden_block_count_z
      - .offset:         708
        .size:           2
        .value_kind:     hidden_group_size_x
      - .offset:         710
        .size:           2
        .value_kind:     hidden_group_size_y
      - .offset:         712
        .size:           2
        .value_kind:     hidden_group_size_z
      - .offset:         714
        .size:           2
        .value_kind:     hidden_remainder_x
      - .offset:         716
        .size:           2
        .value_kind:     hidden_remainder_y
      - .offset:         718
        .size:           2
        .value_kind:     hidden_remainder_z
      - .offset:         736
        .size:           8
        .value_kind:     hidden_global_offset_x
      - .offset:         744
        .size:           8
        .value_kind:     hidden_global_offset_y
      - .offset:         752
        .size:           8
        .value_kind:     hidden_global_offset_z
      - .offset:         760
        .size:           2
        .value_kind:     hidden_grid_dims
    .group_segment_fixed_size: 4112
    .kernarg_segment_align: 8
    .kernarg_segment_size: 952
    .language:       OpenCL C
    .language_version:
      - 2
      - 0
    .max_flat_workgroup_size: 1024
    .name:           _ZN2at6native6sbtopk10gatherTopKIijLi3ELb0EEEvNS_4cuda6detail10TensorInfoIKT_T0_EES8_S8_bS8_S8_NS5_IS6_S8_EES8_NS5_IlS8_EES8_PS6_
    .private_segment_fixed_size: 0
    .sgpr_count:     100
    .sgpr_spill_count: 62
    .symbol:         _ZN2at6native6sbtopk10gatherTopKIijLi3ELb0EEEvNS_4cuda6detail10TensorInfoIKT_T0_EES8_S8_bS8_S8_NS5_IS6_S8_EES8_NS5_IlS8_EES8_PS6_.kd
    .uniform_work_group_size: 1
    .uses_dynamic_stack: false
    .vgpr_count:     47
    .vgpr_spill_count: 0
    .wavefront_size: 64
  - .args:
      - .offset:         0
        .size:           216
        .value_kind:     by_value
      - .offset:         216
        .size:           4
        .value_kind:     by_value
      - .address_space:  global
        .offset:         224
        .size:           8
        .value_kind:     global_buffer
      - .offset:         232
        .size:           4
        .value_kind:     by_value
      - .offset:         236
        .size:           4
        .value_kind:     by_value
      - .offset:         240
        .size:           4
        .value_kind:     by_value
      - .offset:         244
        .size:           4
        .value_kind:     by_value
      - .offset:         248
        .size:           4
        .value_kind:     by_value
      - .offset:         252
        .size:           4
        .value_kind:     by_value
      - .address_space:  global
        .offset:         256
        .size:           8
        .value_kind:     global_buffer
      - .address_space:  global
        .offset:         264
        .size:           8
        .value_kind:     global_buffer
      - .offset:         272
        .size:           4
        .value_kind:     hidden_block_count_x
      - .offset:         276
        .size:           4
        .value_kind:     hidden_block_count_y
      - .offset:         280
        .size:           4
        .value_kind:     hidden_block_count_z
      - .offset:         284
        .size:           2
        .value_kind:     hidden_group_size_x
      - .offset:         286
        .size:           2
        .value_kind:     hidden_group_size_y
      - .offset:         288
        .size:           2
        .value_kind:     hidden_group_size_z
      - .offset:         290
        .size:           2
        .value_kind:     hidden_remainder_x
      - .offset:         292
        .size:           2
        .value_kind:     hidden_remainder_y
      - .offset:         294
        .size:           2
        .value_kind:     hidden_remainder_z
      - .offset:         312
        .size:           8
        .value_kind:     hidden_global_offset_x
      - .offset:         320
        .size:           8
        .value_kind:     hidden_global_offset_y
      - .offset:         328
        .size:           8
        .value_kind:     hidden_global_offset_z
      - .offset:         336
        .size:           2
        .value_kind:     hidden_grid_dims
    .group_segment_fixed_size: 1024
    .kernarg_segment_align: 8
    .kernarg_segment_size: 528
    .language:       OpenCL C
    .language_version:
      - 2
      - 0
    .max_flat_workgroup_size: 256
    .name:           _ZN2at6native6mbtopk23computeBlockDigitCountsIijjLin1EEEvNS_4cuda6detail10TensorInfoIKT_T0_EEjPjjS8_iijT1_PSB_Ps
    .private_segment_fixed_size: 0
    .sgpr_count:     28
    .sgpr_spill_count: 0
    .symbol:         _ZN2at6native6mbtopk23computeBlockDigitCountsIijjLin1EEEvNS_4cuda6detail10TensorInfoIKT_T0_EEjPjjS8_iijT1_PSB_Ps.kd
    .uniform_work_group_size: 1
    .uses_dynamic_stack: false
    .vgpr_count:     12
    .vgpr_spill_count: 0
    .wavefront_size: 64
  - .args:
      - .offset:         0
        .size:           216
        .value_kind:     by_value
      - .offset:         216
        .size:           4
        .value_kind:     by_value
      - .offset:         220
        .size:           4
        .value_kind:     by_value
      - .offset:         224
        .size:           1
        .value_kind:     by_value
      - .offset:         228
        .size:           4
        .value_kind:     by_value
      - .offset:         232
        .size:           4
        .value_kind:     by_value
      - .offset:         240
        .size:           216
        .value_kind:     by_value
      - .offset:         456
        .size:           4
        .value_kind:     by_value
      - .offset:         464
        .size:           216
        .value_kind:     by_value
      - .offset:         680
        .size:           4
        .value_kind:     by_value
      - .offset:         684
        .size:           4
        .value_kind:     by_value
      - .offset:         688
        .size:           4
        .value_kind:     by_value
      - .address_space:  global
        .offset:         696
        .size:           8
        .value_kind:     global_buffer
      - .address_space:  global
        .offset:         704
        .size:           8
        .value_kind:     global_buffer
      - .address_space:  global
        .offset:         712
        .size:           8
        .value_kind:     global_buffer
      - .offset:         720
        .size:           4
        .value_kind:     by_value
      - .offset:         728
        .size:           4
        .value_kind:     hidden_block_count_x
      - .offset:         732
        .size:           4
        .value_kind:     hidden_block_count_y
      - .offset:         736
        .size:           4
        .value_kind:     hidden_block_count_z
      - .offset:         740
        .size:           2
        .value_kind:     hidden_group_size_x
      - .offset:         742
        .size:           2
        .value_kind:     hidden_group_size_y
      - .offset:         744
        .size:           2
        .value_kind:     hidden_group_size_z
      - .offset:         746
        .size:           2
        .value_kind:     hidden_remainder_x
      - .offset:         748
        .size:           2
        .value_kind:     hidden_remainder_y
      - .offset:         750
        .size:           2
        .value_kind:     hidden_remainder_z
      - .offset:         768
        .size:           8
        .value_kind:     hidden_global_offset_x
      - .offset:         776
        .size:           8
        .value_kind:     hidden_global_offset_y
      - .offset:         784
        .size:           8
        .value_kind:     hidden_global_offset_z
      - .offset:         792
        .size:           2
        .value_kind:     hidden_grid_dims
    .group_segment_fixed_size: 1068
    .kernarg_segment_align: 8
    .kernarg_segment_size: 984
    .language:       OpenCL C
    .language_version:
      - 2
      - 0
    .max_flat_workgroup_size: 256
    .name:           _ZN2at6native6mbtopk10gatherTopKIijLin1EEEvNS_4cuda6detail10TensorInfoIKT_T0_EES8_S8_bjS8_NS5_IS6_S8_EES8_NS5_IlS8_EES8_jjPS6_PjSD_j
    .private_segment_fixed_size: 0
    .sgpr_count:     50
    .sgpr_spill_count: 0
    .symbol:         _ZN2at6native6mbtopk10gatherTopKIijLin1EEEvNS_4cuda6detail10TensorInfoIKT_T0_EES8_S8_bjS8_NS5_IS6_S8_EES8_NS5_IlS8_EES8_jjPS6_PjSD_j.kd
    .uniform_work_group_size: 1
    .uses_dynamic_stack: false
    .vgpr_count:     19
    .vgpr_spill_count: 0
    .wavefront_size: 64
  - .args:
      - .offset:         0
        .size:           216
        .value_kind:     by_value
      - .offset:         216
        .size:           4
        .value_kind:     by_value
      - .offset:         220
        .size:           4
        .value_kind:     by_value
      - .offset:         224
        .size:           1
        .value_kind:     by_value
      - .offset:         228
        .size:           4
        .value_kind:     by_value
      - .offset:         232
        .size:           4
        .value_kind:     by_value
      - .offset:         240
        .size:           216
        .value_kind:     by_value
      - .offset:         456
        .size:           4
        .value_kind:     by_value
      - .offset:         464
        .size:           216
        .value_kind:     by_value
      - .offset:         680
        .size:           4
        .value_kind:     by_value
      - .address_space:  global
        .offset:         688
        .size:           8
        .value_kind:     global_buffer
      - .offset:         696
        .size:           4
        .value_kind:     hidden_block_count_x
      - .offset:         700
        .size:           4
        .value_kind:     hidden_block_count_y
      - .offset:         704
        .size:           4
        .value_kind:     hidden_block_count_z
      - .offset:         708
        .size:           2
        .value_kind:     hidden_group_size_x
      - .offset:         710
        .size:           2
        .value_kind:     hidden_group_size_y
      - .offset:         712
        .size:           2
        .value_kind:     hidden_group_size_z
      - .offset:         714
        .size:           2
        .value_kind:     hidden_remainder_x
      - .offset:         716
        .size:           2
        .value_kind:     hidden_remainder_y
      - .offset:         718
        .size:           2
        .value_kind:     hidden_remainder_z
      - .offset:         736
        .size:           8
        .value_kind:     hidden_global_offset_x
      - .offset:         744
        .size:           8
        .value_kind:     hidden_global_offset_y
      - .offset:         752
        .size:           8
        .value_kind:     hidden_global_offset_z
      - .offset:         760
        .size:           2
        .value_kind:     hidden_grid_dims
    .group_segment_fixed_size: 4112
    .kernarg_segment_align: 8
    .kernarg_segment_size: 952
    .language:       OpenCL C
    .language_version:
      - 2
      - 0
    .max_flat_workgroup_size: 1024
    .name:           _ZN2at6native6sbtopk10gatherTopKIijLin1ELb0EEEvNS_4cuda6detail10TensorInfoIKT_T0_EES8_S8_bS8_S8_NS5_IS6_S8_EES8_NS5_IlS8_EES8_PS6_
    .private_segment_fixed_size: 0
    .sgpr_count:     100
    .sgpr_spill_count: 43
    .symbol:         _ZN2at6native6sbtopk10gatherTopKIijLin1ELb0EEEvNS_4cuda6detail10TensorInfoIKT_T0_EES8_S8_bS8_S8_NS5_IS6_S8_EES8_NS5_IlS8_EES8_PS6_.kd
    .uniform_work_group_size: 1
    .uses_dynamic_stack: false
    .vgpr_count:     47
    .vgpr_spill_count: 0
    .wavefront_size: 64
  - .args:
      - .offset:         0
        .size:           216
        .value_kind:     by_value
      - .offset:         216
        .size:           4
        .value_kind:     by_value
      - .address_space:  global
        .offset:         224
        .size:           8
        .value_kind:     global_buffer
      - .offset:         232
        .size:           4
        .value_kind:     by_value
      - .offset:         236
        .size:           4
        .value_kind:     by_value
      - .offset:         240
        .size:           4
        .value_kind:     by_value
      - .offset:         244
        .size:           4
        .value_kind:     by_value
      - .offset:         248
        .size:           4
        .value_kind:     by_value
      - .offset:         256
        .size:           8
        .value_kind:     by_value
      - .address_space:  global
        .offset:         264
        .size:           8
        .value_kind:     global_buffer
      - .address_space:  global
        .offset:         272
        .size:           8
        .value_kind:     global_buffer
      - .offset:         280
        .size:           4
        .value_kind:     hidden_block_count_x
      - .offset:         284
        .size:           4
        .value_kind:     hidden_block_count_y
      - .offset:         288
        .size:           4
        .value_kind:     hidden_block_count_z
      - .offset:         292
        .size:           2
        .value_kind:     hidden_group_size_x
      - .offset:         294
        .size:           2
        .value_kind:     hidden_group_size_y
      - .offset:         296
        .size:           2
        .value_kind:     hidden_group_size_z
      - .offset:         298
        .size:           2
        .value_kind:     hidden_remainder_x
      - .offset:         300
        .size:           2
        .value_kind:     hidden_remainder_y
      - .offset:         302
        .size:           2
        .value_kind:     hidden_remainder_z
      - .offset:         320
        .size:           8
        .value_kind:     hidden_global_offset_x
      - .offset:         328
        .size:           8
        .value_kind:     hidden_global_offset_y
      - .offset:         336
        .size:           8
        .value_kind:     hidden_global_offset_z
      - .offset:         344
        .size:           2
        .value_kind:     hidden_grid_dims
    .group_segment_fixed_size: 1024
    .kernarg_segment_align: 8
    .kernarg_segment_size: 536
    .language:       OpenCL C
    .language_version:
      - 2
      - 0
    .max_flat_workgroup_size: 256
    .name:           _ZN2at6native6mbtopk23computeBlockDigitCountsIljmLi1EEEvNS_4cuda6detail10TensorInfoIKT_T0_EEjPjjS8_iijT1_PSB_Ps
    .private_segment_fixed_size: 0
    .sgpr_count:     28
    .sgpr_spill_count: 0
    .symbol:         _ZN2at6native6mbtopk23computeBlockDigitCountsIljmLi1EEEvNS_4cuda6detail10TensorInfoIKT_T0_EEjPjjS8_iijT1_PSB_Ps.kd
    .uniform_work_group_size: 1
    .uses_dynamic_stack: false
    .vgpr_count:     15
    .vgpr_spill_count: 0
    .wavefront_size: 64
  - .args:
      - .address_space:  global
        .offset:         0
        .size:           8
        .value_kind:     global_buffer
      - .address_space:  global
        .offset:         8
        .size:           8
        .value_kind:     global_buffer
      - .address_space:  global
        .offset:         16
        .size:           8
        .value_kind:     global_buffer
      - .offset:         24
        .size:           4
        .value_kind:     by_value
      - .offset:         28
        .size:           4
        .value_kind:     by_value
      - .offset:         32
        .size:           1
        .value_kind:     by_value
      - .address_space:  global
        .offset:         40
        .size:           8
        .value_kind:     global_buffer
      - .address_space:  global
        .offset:         48
        .size:           8
        .value_kind:     global_buffer
      - .address_space:  global
        .offset:         56
        .size:           8
        .value_kind:     global_buffer
      - .address_space:  global
        .offset:         64
        .size:           8
        .value_kind:     global_buffer
      - .address_space:  global
        .offset:         72
        .size:           8
        .value_kind:     global_buffer
      - .offset:         80
        .size:           4
        .value_kind:     by_value
      - .offset:         88
        .size:           4
        .value_kind:     hidden_block_count_x
      - .offset:         92
        .size:           4
        .value_kind:     hidden_block_count_y
      - .offset:         96
        .size:           4
        .value_kind:     hidden_block_count_z
      - .offset:         100
        .size:           2
        .value_kind:     hidden_group_size_x
      - .offset:         102
        .size:           2
        .value_kind:     hidden_group_size_y
      - .offset:         104
        .size:           2
        .value_kind:     hidden_group_size_z
      - .offset:         106
        .size:           2
        .value_kind:     hidden_remainder_x
      - .offset:         108
        .size:           2
        .value_kind:     hidden_remainder_y
      - .offset:         110
        .size:           2
        .value_kind:     hidden_remainder_z
      - .offset:         128
        .size:           8
        .value_kind:     hidden_global_offset_x
      - .offset:         136
        .size:           8
        .value_kind:     hidden_global_offset_y
      - .offset:         144
        .size:           8
        .value_kind:     hidden_global_offset_z
      - .offset:         152
        .size:           2
        .value_kind:     hidden_grid_dims
    .group_segment_fixed_size: 2104
    .kernarg_segment_align: 8
    .kernarg_segment_size: 344
    .language:       OpenCL C
    .language_version:
      - 2
      - 0
    .max_flat_workgroup_size: 256
    .name:           _ZN2at6native6mbtopk29computeBlockwiseWithinKCountsImlEEvPT_PsPjjibS6_PT0_S6_S4_S6_j
    .private_segment_fixed_size: 0
    .sgpr_count:     34
    .sgpr_spill_count: 0
    .symbol:         _ZN2at6native6mbtopk29computeBlockwiseWithinKCountsImlEEvPT_PsPjjibS6_PT0_S6_S4_S6_j.kd
    .uniform_work_group_size: 1
    .uses_dynamic_stack: false
    .vgpr_count:     11
    .vgpr_spill_count: 0
    .wavefront_size: 64
  - .args:
      - .offset:         0
        .size:           216
        .value_kind:     by_value
      - .offset:         216
        .size:           4
        .value_kind:     by_value
      - .offset:         220
        .size:           4
        .value_kind:     by_value
      - .offset:         224
        .size:           1
        .value_kind:     by_value
      - .offset:         228
        .size:           4
        .value_kind:     by_value
      - .offset:         232
        .size:           4
        .value_kind:     by_value
      - .offset:         240
        .size:           216
        .value_kind:     by_value
      - .offset:         456
        .size:           4
        .value_kind:     by_value
      - .offset:         464
        .size:           216
        .value_kind:     by_value
      - .offset:         680
        .size:           4
        .value_kind:     by_value
      - .offset:         684
        .size:           4
        .value_kind:     by_value
      - .offset:         688
        .size:           4
        .value_kind:     by_value
      - .address_space:  global
        .offset:         696
        .size:           8
        .value_kind:     global_buffer
      - .address_space:  global
        .offset:         704
        .size:           8
        .value_kind:     global_buffer
      - .address_space:  global
        .offset:         712
        .size:           8
        .value_kind:     global_buffer
      - .offset:         720
        .size:           4
        .value_kind:     by_value
      - .offset:         728
        .size:           4
        .value_kind:     hidden_block_count_x
      - .offset:         732
        .size:           4
        .value_kind:     hidden_block_count_y
      - .offset:         736
        .size:           4
        .value_kind:     hidden_block_count_z
      - .offset:         740
        .size:           2
        .value_kind:     hidden_group_size_x
      - .offset:         742
        .size:           2
        .value_kind:     hidden_group_size_y
      - .offset:         744
        .size:           2
        .value_kind:     hidden_group_size_z
      - .offset:         746
        .size:           2
        .value_kind:     hidden_remainder_x
      - .offset:         748
        .size:           2
        .value_kind:     hidden_remainder_y
      - .offset:         750
        .size:           2
        .value_kind:     hidden_remainder_z
      - .offset:         768
        .size:           8
        .value_kind:     hidden_global_offset_x
      - .offset:         776
        .size:           8
        .value_kind:     hidden_global_offset_y
      - .offset:         784
        .size:           8
        .value_kind:     hidden_global_offset_z
      - .offset:         792
        .size:           2
        .value_kind:     hidden_grid_dims
    .group_segment_fixed_size: 1068
    .kernarg_segment_align: 8
    .kernarg_segment_size: 984
    .language:       OpenCL C
    .language_version:
      - 2
      - 0
    .max_flat_workgroup_size: 256
    .name:           _ZN2at6native6mbtopk10gatherTopKIljLi1EEEvNS_4cuda6detail10TensorInfoIKT_T0_EES8_S8_bjS8_NS5_IS6_S8_EES8_NS5_IlS8_EES8_jjPS6_PjSD_j
    .private_segment_fixed_size: 0
    .sgpr_count:     44
    .sgpr_spill_count: 0
    .symbol:         _ZN2at6native6mbtopk10gatherTopKIljLi1EEEvNS_4cuda6detail10TensorInfoIKT_T0_EES8_S8_bjS8_NS5_IS6_S8_EES8_NS5_IlS8_EES8_jjPS6_PjSD_j.kd
    .uniform_work_group_size: 1
    .uses_dynamic_stack: false
    .vgpr_count:     20
    .vgpr_spill_count: 0
    .wavefront_size: 64
  - .args:
      - .offset:         0
        .size:           216
        .value_kind:     by_value
      - .offset:         216
        .size:           4
        .value_kind:     by_value
      - .offset:         220
        .size:           4
        .value_kind:     by_value
      - .offset:         224
        .size:           1
        .value_kind:     by_value
      - .offset:         228
        .size:           4
        .value_kind:     by_value
      - .offset:         232
        .size:           4
        .value_kind:     by_value
      - .offset:         240
        .size:           216
        .value_kind:     by_value
      - .offset:         456
        .size:           4
        .value_kind:     by_value
      - .offset:         464
        .size:           216
        .value_kind:     by_value
      - .offset:         680
        .size:           4
        .value_kind:     by_value
      - .address_space:  global
        .offset:         688
        .size:           8
        .value_kind:     global_buffer
      - .offset:         696
        .size:           4
        .value_kind:     hidden_block_count_x
      - .offset:         700
        .size:           4
        .value_kind:     hidden_block_count_y
      - .offset:         704
        .size:           4
        .value_kind:     hidden_block_count_z
      - .offset:         708
        .size:           2
        .value_kind:     hidden_group_size_x
      - .offset:         710
        .size:           2
        .value_kind:     hidden_group_size_y
      - .offset:         712
        .size:           2
        .value_kind:     hidden_group_size_z
      - .offset:         714
        .size:           2
        .value_kind:     hidden_remainder_x
      - .offset:         716
        .size:           2
        .value_kind:     hidden_remainder_y
      - .offset:         718
        .size:           2
        .value_kind:     hidden_remainder_z
      - .offset:         736
        .size:           8
        .value_kind:     hidden_global_offset_x
      - .offset:         744
        .size:           8
        .value_kind:     hidden_global_offset_y
      - .offset:         752
        .size:           8
        .value_kind:     hidden_global_offset_z
      - .offset:         760
        .size:           2
        .value_kind:     hidden_grid_dims
    .group_segment_fixed_size: 4112
    .kernarg_segment_align: 8
    .kernarg_segment_size: 952
    .language:       OpenCL C
    .language_version:
      - 2
      - 0
    .max_flat_workgroup_size: 1024
    .name:           _ZN2at6native6sbtopk10gatherTopKIljLi1ELb0EEEvNS_4cuda6detail10TensorInfoIKT_T0_EES8_S8_bS8_S8_NS5_IS6_S8_EES8_NS5_IlS8_EES8_PS6_
    .private_segment_fixed_size: 0
    .sgpr_count:     100
    .sgpr_spill_count: 52
    .symbol:         _ZN2at6native6sbtopk10gatherTopKIljLi1ELb0EEEvNS_4cuda6detail10TensorInfoIKT_T0_EES8_S8_bS8_S8_NS5_IS6_S8_EES8_NS5_IlS8_EES8_PS6_.kd
    .uniform_work_group_size: 1
    .uses_dynamic_stack: false
    .vgpr_count:     47
    .vgpr_spill_count: 0
    .wavefront_size: 64
  - .args:
      - .offset:         0
        .size:           216
        .value_kind:     by_value
      - .offset:         216
        .size:           4
        .value_kind:     by_value
      - .address_space:  global
        .offset:         224
        .size:           8
        .value_kind:     global_buffer
      - .offset:         232
        .size:           4
        .value_kind:     by_value
      - .offset:         236
        .size:           4
        .value_kind:     by_value
      - .offset:         240
        .size:           4
        .value_kind:     by_value
      - .offset:         244
        .size:           4
        .value_kind:     by_value
      - .offset:         248
        .size:           4
        .value_kind:     by_value
      - .offset:         256
        .size:           8
        .value_kind:     by_value
      - .address_space:  global
        .offset:         264
        .size:           8
        .value_kind:     global_buffer
      - .address_space:  global
        .offset:         272
        .size:           8
        .value_kind:     global_buffer
      - .offset:         280
        .size:           4
        .value_kind:     hidden_block_count_x
      - .offset:         284
        .size:           4
        .value_kind:     hidden_block_count_y
      - .offset:         288
        .size:           4
        .value_kind:     hidden_block_count_z
      - .offset:         292
        .size:           2
        .value_kind:     hidden_group_size_x
      - .offset:         294
        .size:           2
        .value_kind:     hidden_group_size_y
      - .offset:         296
        .size:           2
        .value_kind:     hidden_group_size_z
      - .offset:         298
        .size:           2
        .value_kind:     hidden_remainder_x
      - .offset:         300
        .size:           2
        .value_kind:     hidden_remainder_y
      - .offset:         302
        .size:           2
        .value_kind:     hidden_remainder_z
      - .offset:         320
        .size:           8
        .value_kind:     hidden_global_offset_x
      - .offset:         328
        .size:           8
        .value_kind:     hidden_global_offset_y
      - .offset:         336
        .size:           8
        .value_kind:     hidden_global_offset_z
      - .offset:         344
        .size:           2
        .value_kind:     hidden_grid_dims
    .group_segment_fixed_size: 1024
    .kernarg_segment_align: 8
    .kernarg_segment_size: 536
    .language:       OpenCL C
    .language_version:
      - 2
      - 0
    .max_flat_workgroup_size: 256
    .name:           _ZN2at6native6mbtopk23computeBlockDigitCountsIljmLi2EEEvNS_4cuda6detail10TensorInfoIKT_T0_EEjPjjS8_iijT1_PSB_Ps
    .private_segment_fixed_size: 0
    .sgpr_count:     30
    .sgpr_spill_count: 0
    .symbol:         _ZN2at6native6mbtopk23computeBlockDigitCountsIljmLi2EEEvNS_4cuda6detail10TensorInfoIKT_T0_EEjPjjS8_iijT1_PSB_Ps.kd
    .uniform_work_group_size: 1
    .uses_dynamic_stack: false
    .vgpr_count:     15
    .vgpr_spill_count: 0
    .wavefront_size: 64
  - .args:
      - .offset:         0
        .size:           216
        .value_kind:     by_value
      - .offset:         216
        .size:           4
        .value_kind:     by_value
      - .offset:         220
        .size:           4
        .value_kind:     by_value
      - .offset:         224
        .size:           1
        .value_kind:     by_value
      - .offset:         228
        .size:           4
        .value_kind:     by_value
      - .offset:         232
        .size:           4
        .value_kind:     by_value
      - .offset:         240
        .size:           216
        .value_kind:     by_value
      - .offset:         456
        .size:           4
        .value_kind:     by_value
      - .offset:         464
        .size:           216
        .value_kind:     by_value
      - .offset:         680
        .size:           4
        .value_kind:     by_value
      - .offset:         684
        .size:           4
        .value_kind:     by_value
      - .offset:         688
        .size:           4
        .value_kind:     by_value
      - .address_space:  global
        .offset:         696
        .size:           8
        .value_kind:     global_buffer
      - .address_space:  global
        .offset:         704
        .size:           8
        .value_kind:     global_buffer
      - .address_space:  global
        .offset:         712
        .size:           8
        .value_kind:     global_buffer
      - .offset:         720
        .size:           4
        .value_kind:     by_value
      - .offset:         728
        .size:           4
        .value_kind:     hidden_block_count_x
      - .offset:         732
        .size:           4
        .value_kind:     hidden_block_count_y
      - .offset:         736
        .size:           4
        .value_kind:     hidden_block_count_z
      - .offset:         740
        .size:           2
        .value_kind:     hidden_group_size_x
      - .offset:         742
        .size:           2
        .value_kind:     hidden_group_size_y
      - .offset:         744
        .size:           2
        .value_kind:     hidden_group_size_z
      - .offset:         746
        .size:           2
        .value_kind:     hidden_remainder_x
      - .offset:         748
        .size:           2
        .value_kind:     hidden_remainder_y
      - .offset:         750
        .size:           2
        .value_kind:     hidden_remainder_z
      - .offset:         768
        .size:           8
        .value_kind:     hidden_global_offset_x
      - .offset:         776
        .size:           8
        .value_kind:     hidden_global_offset_y
      - .offset:         784
        .size:           8
        .value_kind:     hidden_global_offset_z
      - .offset:         792
        .size:           2
        .value_kind:     hidden_grid_dims
    .group_segment_fixed_size: 1068
    .kernarg_segment_align: 8
    .kernarg_segment_size: 984
    .language:       OpenCL C
    .language_version:
      - 2
      - 0
    .max_flat_workgroup_size: 256
    .name:           _ZN2at6native6mbtopk10gatherTopKIljLi2EEEvNS_4cuda6detail10TensorInfoIKT_T0_EES8_S8_bjS8_NS5_IS6_S8_EES8_NS5_IlS8_EES8_jjPS6_PjSD_j
    .private_segment_fixed_size: 0
    .sgpr_count:     56
    .sgpr_spill_count: 0
    .symbol:         _ZN2at6native6mbtopk10gatherTopKIljLi2EEEvNS_4cuda6detail10TensorInfoIKT_T0_EES8_S8_bjS8_NS5_IS6_S8_EES8_NS5_IlS8_EES8_jjPS6_PjSD_j.kd
    .uniform_work_group_size: 1
    .uses_dynamic_stack: false
    .vgpr_count:     20
    .vgpr_spill_count: 0
    .wavefront_size: 64
  - .args:
      - .offset:         0
        .size:           216
        .value_kind:     by_value
      - .offset:         216
        .size:           4
        .value_kind:     by_value
      - .offset:         220
        .size:           4
        .value_kind:     by_value
      - .offset:         224
        .size:           1
        .value_kind:     by_value
      - .offset:         228
        .size:           4
        .value_kind:     by_value
      - .offset:         232
        .size:           4
        .value_kind:     by_value
      - .offset:         240
        .size:           216
        .value_kind:     by_value
      - .offset:         456
        .size:           4
        .value_kind:     by_value
      - .offset:         464
        .size:           216
        .value_kind:     by_value
      - .offset:         680
        .size:           4
        .value_kind:     by_value
      - .address_space:  global
        .offset:         688
        .size:           8
        .value_kind:     global_buffer
      - .offset:         696
        .size:           4
        .value_kind:     hidden_block_count_x
      - .offset:         700
        .size:           4
        .value_kind:     hidden_block_count_y
      - .offset:         704
        .size:           4
        .value_kind:     hidden_block_count_z
      - .offset:         708
        .size:           2
        .value_kind:     hidden_group_size_x
      - .offset:         710
        .size:           2
        .value_kind:     hidden_group_size_y
      - .offset:         712
        .size:           2
        .value_kind:     hidden_group_size_z
      - .offset:         714
        .size:           2
        .value_kind:     hidden_remainder_x
      - .offset:         716
        .size:           2
        .value_kind:     hidden_remainder_y
      - .offset:         718
        .size:           2
        .value_kind:     hidden_remainder_z
      - .offset:         736
        .size:           8
        .value_kind:     hidden_global_offset_x
      - .offset:         744
        .size:           8
        .value_kind:     hidden_global_offset_y
      - .offset:         752
        .size:           8
        .value_kind:     hidden_global_offset_z
      - .offset:         760
        .size:           2
        .value_kind:     hidden_grid_dims
    .group_segment_fixed_size: 4112
    .kernarg_segment_align: 8
    .kernarg_segment_size: 952
    .language:       OpenCL C
    .language_version:
      - 2
      - 0
    .max_flat_workgroup_size: 1024
    .name:           _ZN2at6native6sbtopk10gatherTopKIljLi2ELb0EEEvNS_4cuda6detail10TensorInfoIKT_T0_EES8_S8_bS8_S8_NS5_IS6_S8_EES8_NS5_IlS8_EES8_PS6_
    .private_segment_fixed_size: 0
    .sgpr_count:     100
    .sgpr_spill_count: 60
    .symbol:         _ZN2at6native6sbtopk10gatherTopKIljLi2ELb0EEEvNS_4cuda6detail10TensorInfoIKT_T0_EES8_S8_bS8_S8_NS5_IS6_S8_EES8_NS5_IlS8_EES8_PS6_.kd
    .uniform_work_group_size: 1
    .uses_dynamic_stack: false
    .vgpr_count:     47
    .vgpr_spill_count: 0
    .wavefront_size: 64
  - .args:
      - .offset:         0
        .size:           216
        .value_kind:     by_value
      - .offset:         216
        .size:           4
        .value_kind:     by_value
      - .address_space:  global
        .offset:         224
        .size:           8
        .value_kind:     global_buffer
      - .offset:         232
        .size:           4
        .value_kind:     by_value
      - .offset:         236
        .size:           4
        .value_kind:     by_value
      - .offset:         240
        .size:           4
        .value_kind:     by_value
      - .offset:         244
        .size:           4
        .value_kind:     by_value
      - .offset:         248
        .size:           4
        .value_kind:     by_value
      - .offset:         256
        .size:           8
        .value_kind:     by_value
      - .address_space:  global
        .offset:         264
        .size:           8
        .value_kind:     global_buffer
      - .address_space:  global
        .offset:         272
        .size:           8
        .value_kind:     global_buffer
      - .offset:         280
        .size:           4
        .value_kind:     hidden_block_count_x
      - .offset:         284
        .size:           4
        .value_kind:     hidden_block_count_y
      - .offset:         288
        .size:           4
        .value_kind:     hidden_block_count_z
      - .offset:         292
        .size:           2
        .value_kind:     hidden_group_size_x
      - .offset:         294
        .size:           2
        .value_kind:     hidden_group_size_y
      - .offset:         296
        .size:           2
        .value_kind:     hidden_group_size_z
      - .offset:         298
        .size:           2
        .value_kind:     hidden_remainder_x
      - .offset:         300
        .size:           2
        .value_kind:     hidden_remainder_y
      - .offset:         302
        .size:           2
        .value_kind:     hidden_remainder_z
      - .offset:         320
        .size:           8
        .value_kind:     hidden_global_offset_x
      - .offset:         328
        .size:           8
        .value_kind:     hidden_global_offset_y
      - .offset:         336
        .size:           8
        .value_kind:     hidden_global_offset_z
      - .offset:         344
        .size:           2
        .value_kind:     hidden_grid_dims
    .group_segment_fixed_size: 1024
    .kernarg_segment_align: 8
    .kernarg_segment_size: 536
    .language:       OpenCL C
    .language_version:
      - 2
      - 0
    .max_flat_workgroup_size: 256
    .name:           _ZN2at6native6mbtopk23computeBlockDigitCountsIljmLi3EEEvNS_4cuda6detail10TensorInfoIKT_T0_EEjPjjS8_iijT1_PSB_Ps
    .private_segment_fixed_size: 0
    .sgpr_count:     32
    .sgpr_spill_count: 0
    .symbol:         _ZN2at6native6mbtopk23computeBlockDigitCountsIljmLi3EEEvNS_4cuda6detail10TensorInfoIKT_T0_EEjPjjS8_iijT1_PSB_Ps.kd
    .uniform_work_group_size: 1
    .uses_dynamic_stack: false
    .vgpr_count:     15
    .vgpr_spill_count: 0
    .wavefront_size: 64
  - .args:
      - .offset:         0
        .size:           216
        .value_kind:     by_value
      - .offset:         216
        .size:           4
        .value_kind:     by_value
      - .offset:         220
        .size:           4
        .value_kind:     by_value
      - .offset:         224
        .size:           1
        .value_kind:     by_value
      - .offset:         228
        .size:           4
        .value_kind:     by_value
      - .offset:         232
        .size:           4
        .value_kind:     by_value
      - .offset:         240
        .size:           216
        .value_kind:     by_value
      - .offset:         456
        .size:           4
        .value_kind:     by_value
      - .offset:         464
        .size:           216
        .value_kind:     by_value
      - .offset:         680
        .size:           4
        .value_kind:     by_value
      - .offset:         684
        .size:           4
        .value_kind:     by_value
      - .offset:         688
        .size:           4
        .value_kind:     by_value
      - .address_space:  global
        .offset:         696
        .size:           8
        .value_kind:     global_buffer
      - .address_space:  global
        .offset:         704
        .size:           8
        .value_kind:     global_buffer
      - .address_space:  global
        .offset:         712
        .size:           8
        .value_kind:     global_buffer
      - .offset:         720
        .size:           4
        .value_kind:     by_value
      - .offset:         728
        .size:           4
        .value_kind:     hidden_block_count_x
      - .offset:         732
        .size:           4
        .value_kind:     hidden_block_count_y
      - .offset:         736
        .size:           4
        .value_kind:     hidden_block_count_z
      - .offset:         740
        .size:           2
        .value_kind:     hidden_group_size_x
      - .offset:         742
        .size:           2
        .value_kind:     hidden_group_size_y
      - .offset:         744
        .size:           2
        .value_kind:     hidden_group_size_z
      - .offset:         746
        .size:           2
        .value_kind:     hidden_remainder_x
      - .offset:         748
        .size:           2
        .value_kind:     hidden_remainder_y
      - .offset:         750
        .size:           2
        .value_kind:     hidden_remainder_z
      - .offset:         768
        .size:           8
        .value_kind:     hidden_global_offset_x
      - .offset:         776
        .size:           8
        .value_kind:     hidden_global_offset_y
      - .offset:         784
        .size:           8
        .value_kind:     hidden_global_offset_z
      - .offset:         792
        .size:           2
        .value_kind:     hidden_grid_dims
    .group_segment_fixed_size: 1068
    .kernarg_segment_align: 8
    .kernarg_segment_size: 984
    .language:       OpenCL C
    .language_version:
      - 2
      - 0
    .max_flat_workgroup_size: 256
    .name:           _ZN2at6native6mbtopk10gatherTopKIljLi3EEEvNS_4cuda6detail10TensorInfoIKT_T0_EES8_S8_bjS8_NS5_IS6_S8_EES8_NS5_IlS8_EES8_jjPS6_PjSD_j
    .private_segment_fixed_size: 0
    .sgpr_count:     65
    .sgpr_spill_count: 0
    .symbol:         _ZN2at6native6mbtopk10gatherTopKIljLi3EEEvNS_4cuda6detail10TensorInfoIKT_T0_EES8_S8_bjS8_NS5_IS6_S8_EES8_NS5_IlS8_EES8_jjPS6_PjSD_j.kd
    .uniform_work_group_size: 1
    .uses_dynamic_stack: false
    .vgpr_count:     20
    .vgpr_spill_count: 0
    .wavefront_size: 64
  - .args:
      - .offset:         0
        .size:           216
        .value_kind:     by_value
      - .offset:         216
        .size:           4
        .value_kind:     by_value
      - .offset:         220
        .size:           4
        .value_kind:     by_value
      - .offset:         224
        .size:           1
        .value_kind:     by_value
      - .offset:         228
        .size:           4
        .value_kind:     by_value
      - .offset:         232
        .size:           4
        .value_kind:     by_value
      - .offset:         240
        .size:           216
        .value_kind:     by_value
      - .offset:         456
        .size:           4
        .value_kind:     by_value
      - .offset:         464
        .size:           216
        .value_kind:     by_value
      - .offset:         680
        .size:           4
        .value_kind:     by_value
      - .address_space:  global
        .offset:         688
        .size:           8
        .value_kind:     global_buffer
      - .offset:         696
        .size:           4
        .value_kind:     hidden_block_count_x
      - .offset:         700
        .size:           4
        .value_kind:     hidden_block_count_y
      - .offset:         704
        .size:           4
        .value_kind:     hidden_block_count_z
      - .offset:         708
        .size:           2
        .value_kind:     hidden_group_size_x
      - .offset:         710
        .size:           2
        .value_kind:     hidden_group_size_y
      - .offset:         712
        .size:           2
        .value_kind:     hidden_group_size_z
      - .offset:         714
        .size:           2
        .value_kind:     hidden_remainder_x
      - .offset:         716
        .size:           2
        .value_kind:     hidden_remainder_y
      - .offset:         718
        .size:           2
        .value_kind:     hidden_remainder_z
      - .offset:         736
        .size:           8
        .value_kind:     hidden_global_offset_x
      - .offset:         744
        .size:           8
        .value_kind:     hidden_global_offset_y
      - .offset:         752
        .size:           8
        .value_kind:     hidden_global_offset_z
      - .offset:         760
        .size:           2
        .value_kind:     hidden_grid_dims
    .group_segment_fixed_size: 4112
    .kernarg_segment_align: 8
    .kernarg_segment_size: 952
    .language:       OpenCL C
    .language_version:
      - 2
      - 0
    .max_flat_workgroup_size: 1024
    .name:           _ZN2at6native6sbtopk10gatherTopKIljLi3ELb0EEEvNS_4cuda6detail10TensorInfoIKT_T0_EES8_S8_bS8_S8_NS5_IS6_S8_EES8_NS5_IlS8_EES8_PS6_
    .private_segment_fixed_size: 0
    .sgpr_count:     100
    .sgpr_spill_count: 65
    .symbol:         _ZN2at6native6sbtopk10gatherTopKIljLi3ELb0EEEvNS_4cuda6detail10TensorInfoIKT_T0_EES8_S8_bS8_S8_NS5_IS6_S8_EES8_NS5_IlS8_EES8_PS6_.kd
    .uniform_work_group_size: 1
    .uses_dynamic_stack: false
    .vgpr_count:     47
    .vgpr_spill_count: 0
    .wavefront_size: 64
  - .args:
      - .offset:         0
        .size:           216
        .value_kind:     by_value
      - .offset:         216
        .size:           4
        .value_kind:     by_value
      - .address_space:  global
        .offset:         224
        .size:           8
        .value_kind:     global_buffer
      - .offset:         232
        .size:           4
        .value_kind:     by_value
      - .offset:         236
        .size:           4
        .value_kind:     by_value
      - .offset:         240
        .size:           4
        .value_kind:     by_value
      - .offset:         244
        .size:           4
        .value_kind:     by_value
      - .offset:         248
        .size:           4
        .value_kind:     by_value
      - .offset:         256
        .size:           8
        .value_kind:     by_value
      - .address_space:  global
        .offset:         264
        .size:           8
        .value_kind:     global_buffer
      - .address_space:  global
        .offset:         272
        .size:           8
        .value_kind:     global_buffer
      - .offset:         280
        .size:           4
        .value_kind:     hidden_block_count_x
      - .offset:         284
        .size:           4
        .value_kind:     hidden_block_count_y
      - .offset:         288
        .size:           4
        .value_kind:     hidden_block_count_z
      - .offset:         292
        .size:           2
        .value_kind:     hidden_group_size_x
      - .offset:         294
        .size:           2
        .value_kind:     hidden_group_size_y
      - .offset:         296
        .size:           2
        .value_kind:     hidden_group_size_z
      - .offset:         298
        .size:           2
        .value_kind:     hidden_remainder_x
      - .offset:         300
        .size:           2
        .value_kind:     hidden_remainder_y
      - .offset:         302
        .size:           2
        .value_kind:     hidden_remainder_z
      - .offset:         320
        .size:           8
        .value_kind:     hidden_global_offset_x
      - .offset:         328
        .size:           8
        .value_kind:     hidden_global_offset_y
      - .offset:         336
        .size:           8
        .value_kind:     hidden_global_offset_z
      - .offset:         344
        .size:           2
        .value_kind:     hidden_grid_dims
    .group_segment_fixed_size: 1024
    .kernarg_segment_align: 8
    .kernarg_segment_size: 536
    .language:       OpenCL C
    .language_version:
      - 2
      - 0
    .max_flat_workgroup_size: 256
    .name:           _ZN2at6native6mbtopk23computeBlockDigitCountsIljmLin1EEEvNS_4cuda6detail10TensorInfoIKT_T0_EEjPjjS8_iijT1_PSB_Ps
    .private_segment_fixed_size: 0
    .sgpr_count:     29
    .sgpr_spill_count: 0
    .symbol:         _ZN2at6native6mbtopk23computeBlockDigitCountsIljmLin1EEEvNS_4cuda6detail10TensorInfoIKT_T0_EEjPjjS8_iijT1_PSB_Ps.kd
    .uniform_work_group_size: 1
    .uses_dynamic_stack: false
    .vgpr_count:     15
    .vgpr_spill_count: 0
    .wavefront_size: 64
  - .args:
      - .offset:         0
        .size:           216
        .value_kind:     by_value
      - .offset:         216
        .size:           4
        .value_kind:     by_value
      - .offset:         220
        .size:           4
        .value_kind:     by_value
      - .offset:         224
        .size:           1
        .value_kind:     by_value
      - .offset:         228
        .size:           4
        .value_kind:     by_value
      - .offset:         232
        .size:           4
        .value_kind:     by_value
      - .offset:         240
        .size:           216
        .value_kind:     by_value
      - .offset:         456
        .size:           4
        .value_kind:     by_value
      - .offset:         464
        .size:           216
        .value_kind:     by_value
      - .offset:         680
        .size:           4
        .value_kind:     by_value
      - .offset:         684
        .size:           4
        .value_kind:     by_value
      - .offset:         688
        .size:           4
        .value_kind:     by_value
      - .address_space:  global
        .offset:         696
        .size:           8
        .value_kind:     global_buffer
      - .address_space:  global
        .offset:         704
        .size:           8
        .value_kind:     global_buffer
      - .address_space:  global
        .offset:         712
        .size:           8
        .value_kind:     global_buffer
      - .offset:         720
        .size:           4
        .value_kind:     by_value
      - .offset:         728
        .size:           4
        .value_kind:     hidden_block_count_x
      - .offset:         732
        .size:           4
        .value_kind:     hidden_block_count_y
      - .offset:         736
        .size:           4
        .value_kind:     hidden_block_count_z
      - .offset:         740
        .size:           2
        .value_kind:     hidden_group_size_x
      - .offset:         742
        .size:           2
        .value_kind:     hidden_group_size_y
      - .offset:         744
        .size:           2
        .value_kind:     hidden_group_size_z
      - .offset:         746
        .size:           2
        .value_kind:     hidden_remainder_x
      - .offset:         748
        .size:           2
        .value_kind:     hidden_remainder_y
      - .offset:         750
        .size:           2
        .value_kind:     hidden_remainder_z
      - .offset:         768
        .size:           8
        .value_kind:     hidden_global_offset_x
      - .offset:         776
        .size:           8
        .value_kind:     hidden_global_offset_y
      - .offset:         784
        .size:           8
        .value_kind:     hidden_global_offset_z
      - .offset:         792
        .size:           2
        .value_kind:     hidden_grid_dims
    .group_segment_fixed_size: 1068
    .kernarg_segment_align: 8
    .kernarg_segment_size: 984
    .language:       OpenCL C
    .language_version:
      - 2
      - 0
    .max_flat_workgroup_size: 256
    .name:           _ZN2at6native6mbtopk10gatherTopKIljLin1EEEvNS_4cuda6detail10TensorInfoIKT_T0_EES8_S8_bjS8_NS5_IS6_S8_EES8_NS5_IlS8_EES8_jjPS6_PjSD_j
    .private_segment_fixed_size: 0
    .sgpr_count:     51
    .sgpr_spill_count: 0
    .symbol:         _ZN2at6native6mbtopk10gatherTopKIljLin1EEEvNS_4cuda6detail10TensorInfoIKT_T0_EES8_S8_bjS8_NS5_IS6_S8_EES8_NS5_IlS8_EES8_jjPS6_PjSD_j.kd
    .uniform_work_group_size: 1
    .uses_dynamic_stack: false
    .vgpr_count:     20
    .vgpr_spill_count: 0
    .wavefront_size: 64
  - .args:
      - .offset:         0
        .size:           216
        .value_kind:     by_value
      - .offset:         216
        .size:           4
        .value_kind:     by_value
      - .offset:         220
        .size:           4
        .value_kind:     by_value
      - .offset:         224
        .size:           1
        .value_kind:     by_value
      - .offset:         228
        .size:           4
        .value_kind:     by_value
      - .offset:         232
        .size:           4
        .value_kind:     by_value
      - .offset:         240
        .size:           216
        .value_kind:     by_value
      - .offset:         456
        .size:           4
        .value_kind:     by_value
      - .offset:         464
        .size:           216
        .value_kind:     by_value
      - .offset:         680
        .size:           4
        .value_kind:     by_value
      - .address_space:  global
        .offset:         688
        .size:           8
        .value_kind:     global_buffer
      - .offset:         696
        .size:           4
        .value_kind:     hidden_block_count_x
      - .offset:         700
        .size:           4
        .value_kind:     hidden_block_count_y
      - .offset:         704
        .size:           4
        .value_kind:     hidden_block_count_z
      - .offset:         708
        .size:           2
        .value_kind:     hidden_group_size_x
      - .offset:         710
        .size:           2
        .value_kind:     hidden_group_size_y
      - .offset:         712
        .size:           2
        .value_kind:     hidden_group_size_z
      - .offset:         714
        .size:           2
        .value_kind:     hidden_remainder_x
      - .offset:         716
        .size:           2
        .value_kind:     hidden_remainder_y
      - .offset:         718
        .size:           2
        .value_kind:     hidden_remainder_z
      - .offset:         736
        .size:           8
        .value_kind:     hidden_global_offset_x
      - .offset:         744
        .size:           8
        .value_kind:     hidden_global_offset_y
      - .offset:         752
        .size:           8
        .value_kind:     hidden_global_offset_z
      - .offset:         760
        .size:           2
        .value_kind:     hidden_grid_dims
    .group_segment_fixed_size: 4112
    .kernarg_segment_align: 8
    .kernarg_segment_size: 952
    .language:       OpenCL C
    .language_version:
      - 2
      - 0
    .max_flat_workgroup_size: 1024
    .name:           _ZN2at6native6sbtopk10gatherTopKIljLin1ELb0EEEvNS_4cuda6detail10TensorInfoIKT_T0_EES8_S8_bS8_S8_NS5_IS6_S8_EES8_NS5_IlS8_EES8_PS6_
    .private_segment_fixed_size: 0
    .sgpr_count:     100
    .sgpr_spill_count: 48
    .symbol:         _ZN2at6native6sbtopk10gatherTopKIljLin1ELb0EEEvNS_4cuda6detail10TensorInfoIKT_T0_EES8_S8_bS8_S8_NS5_IS6_S8_EES8_NS5_IlS8_EES8_PS6_.kd
    .uniform_work_group_size: 1
    .uses_dynamic_stack: false
    .vgpr_count:     48
    .vgpr_spill_count: 0
    .wavefront_size: 64
  - .args:
      - .offset:         0
        .size:           216
        .value_kind:     by_value
      - .offset:         216
        .size:           4
        .value_kind:     by_value
      - .address_space:  global
        .offset:         224
        .size:           8
        .value_kind:     global_buffer
      - .offset:         232
        .size:           4
        .value_kind:     by_value
      - .offset:         236
        .size:           4
        .value_kind:     by_value
      - .offset:         240
        .size:           4
        .value_kind:     by_value
      - .offset:         244
        .size:           4
        .value_kind:     by_value
      - .offset:         248
        .size:           4
        .value_kind:     by_value
      - .offset:         252
        .size:           4
        .value_kind:     by_value
      - .address_space:  global
        .offset:         256
        .size:           8
        .value_kind:     global_buffer
      - .address_space:  global
        .offset:         264
        .size:           8
        .value_kind:     global_buffer
      - .offset:         272
        .size:           4
        .value_kind:     hidden_block_count_x
      - .offset:         276
        .size:           4
        .value_kind:     hidden_block_count_y
      - .offset:         280
        .size:           4
        .value_kind:     hidden_block_count_z
      - .offset:         284
        .size:           2
        .value_kind:     hidden_group_size_x
      - .offset:         286
        .size:           2
        .value_kind:     hidden_group_size_y
      - .offset:         288
        .size:           2
        .value_kind:     hidden_group_size_z
      - .offset:         290
        .size:           2
        .value_kind:     hidden_remainder_x
      - .offset:         292
        .size:           2
        .value_kind:     hidden_remainder_y
      - .offset:         294
        .size:           2
        .value_kind:     hidden_remainder_z
      - .offset:         312
        .size:           8
        .value_kind:     hidden_global_offset_x
      - .offset:         320
        .size:           8
        .value_kind:     hidden_global_offset_y
      - .offset:         328
        .size:           8
        .value_kind:     hidden_global_offset_z
      - .offset:         336
        .size:           2
        .value_kind:     hidden_grid_dims
    .group_segment_fixed_size: 1024
    .kernarg_segment_align: 8
    .kernarg_segment_size: 528
    .language:       OpenCL C
    .language_version:
      - 2
      - 0
    .max_flat_workgroup_size: 256
    .name:           _ZN2at6native6mbtopk23computeBlockDigitCountsIsjjLi1EEEvNS_4cuda6detail10TensorInfoIKT_T0_EEjPjjS8_iijT1_PSB_Ps
    .private_segment_fixed_size: 0
    .sgpr_count:     24
    .sgpr_spill_count: 0
    .symbol:         _ZN2at6native6mbtopk23computeBlockDigitCountsIsjjLi1EEEvNS_4cuda6detail10TensorInfoIKT_T0_EEjPjjS8_iijT1_PSB_Ps.kd
    .uniform_work_group_size: 1
    .uses_dynamic_stack: false
    .vgpr_count:     12
    .vgpr_spill_count: 0
    .wavefront_size: 64
  - .args:
      - .address_space:  global
        .offset:         0
        .size:           8
        .value_kind:     global_buffer
      - .address_space:  global
        .offset:         8
        .size:           8
        .value_kind:     global_buffer
      - .address_space:  global
        .offset:         16
        .size:           8
        .value_kind:     global_buffer
      - .offset:         24
        .size:           4
        .value_kind:     by_value
      - .offset:         28
        .size:           4
        .value_kind:     by_value
      - .offset:         32
        .size:           1
        .value_kind:     by_value
      - .address_space:  global
        .offset:         40
        .size:           8
        .value_kind:     global_buffer
      - .address_space:  global
        .offset:         48
        .size:           8
        .value_kind:     global_buffer
      - .address_space:  global
        .offset:         56
        .size:           8
        .value_kind:     global_buffer
      - .address_space:  global
        .offset:         64
        .size:           8
        .value_kind:     global_buffer
      - .address_space:  global
        .offset:         72
        .size:           8
        .value_kind:     global_buffer
      - .offset:         80
        .size:           4
        .value_kind:     by_value
      - .offset:         88
        .size:           4
        .value_kind:     hidden_block_count_x
      - .offset:         92
        .size:           4
        .value_kind:     hidden_block_count_y
      - .offset:         96
        .size:           4
        .value_kind:     hidden_block_count_z
      - .offset:         100
        .size:           2
        .value_kind:     hidden_group_size_x
      - .offset:         102
        .size:           2
        .value_kind:     hidden_group_size_y
      - .offset:         104
        .size:           2
        .value_kind:     hidden_group_size_z
      - .offset:         106
        .size:           2
        .value_kind:     hidden_remainder_x
      - .offset:         108
        .size:           2
        .value_kind:     hidden_remainder_y
      - .offset:         110
        .size:           2
        .value_kind:     hidden_remainder_z
      - .offset:         128
        .size:           8
        .value_kind:     hidden_global_offset_x
      - .offset:         136
        .size:           8
        .value_kind:     hidden_global_offset_y
      - .offset:         144
        .size:           8
        .value_kind:     hidden_global_offset_z
      - .offset:         152
        .size:           2
        .value_kind:     hidden_grid_dims
    .group_segment_fixed_size: 2100
    .kernarg_segment_align: 8
    .kernarg_segment_size: 344
    .language:       OpenCL C
    .language_version:
      - 2
      - 0
    .max_flat_workgroup_size: 256
    .name:           _ZN2at6native6mbtopk29computeBlockwiseWithinKCountsIjsEEvPT_PsPjjibS6_PT0_S6_S4_S6_j
    .private_segment_fixed_size: 0
    .sgpr_count:     34
    .sgpr_spill_count: 0
    .symbol:         _ZN2at6native6mbtopk29computeBlockwiseWithinKCountsIjsEEvPT_PsPjjibS6_PT0_S6_S4_S6_j.kd
    .uniform_work_group_size: 1
    .uses_dynamic_stack: false
    .vgpr_count:     11
    .vgpr_spill_count: 0
    .wavefront_size: 64
  - .args:
      - .offset:         0
        .size:           216
        .value_kind:     by_value
      - .offset:         216
        .size:           4
        .value_kind:     by_value
      - .offset:         220
        .size:           4
        .value_kind:     by_value
      - .offset:         224
        .size:           1
        .value_kind:     by_value
      - .offset:         228
        .size:           4
        .value_kind:     by_value
      - .offset:         232
        .size:           4
        .value_kind:     by_value
      - .offset:         240
        .size:           216
        .value_kind:     by_value
      - .offset:         456
        .size:           4
        .value_kind:     by_value
      - .offset:         464
        .size:           216
        .value_kind:     by_value
      - .offset:         680
        .size:           4
        .value_kind:     by_value
      - .offset:         684
        .size:           4
        .value_kind:     by_value
      - .offset:         688
        .size:           4
        .value_kind:     by_value
      - .address_space:  global
        .offset:         696
        .size:           8
        .value_kind:     global_buffer
      - .address_space:  global
        .offset:         704
        .size:           8
        .value_kind:     global_buffer
      - .address_space:  global
        .offset:         712
        .size:           8
        .value_kind:     global_buffer
      - .offset:         720
        .size:           4
        .value_kind:     by_value
      - .offset:         728
        .size:           4
        .value_kind:     hidden_block_count_x
      - .offset:         732
        .size:           4
        .value_kind:     hidden_block_count_y
      - .offset:         736
        .size:           4
        .value_kind:     hidden_block_count_z
      - .offset:         740
        .size:           2
        .value_kind:     hidden_group_size_x
      - .offset:         742
        .size:           2
        .value_kind:     hidden_group_size_y
      - .offset:         744
        .size:           2
        .value_kind:     hidden_group_size_z
      - .offset:         746
        .size:           2
        .value_kind:     hidden_remainder_x
      - .offset:         748
        .size:           2
        .value_kind:     hidden_remainder_y
      - .offset:         750
        .size:           2
        .value_kind:     hidden_remainder_z
      - .offset:         768
        .size:           8
        .value_kind:     hidden_global_offset_x
      - .offset:         776
        .size:           8
        .value_kind:     hidden_global_offset_y
      - .offset:         784
        .size:           8
        .value_kind:     hidden_global_offset_z
      - .offset:         792
        .size:           2
        .value_kind:     hidden_grid_dims
    .group_segment_fixed_size: 1068
    .kernarg_segment_align: 8
    .kernarg_segment_size: 984
    .language:       OpenCL C
    .language_version:
      - 2
      - 0
    .max_flat_workgroup_size: 256
    .name:           _ZN2at6native6mbtopk10gatherTopKIsjLi1EEEvNS_4cuda6detail10TensorInfoIKT_T0_EES8_S8_bjS8_NS5_IS6_S8_EES8_NS5_IlS8_EES8_jjPS6_PjSD_j
    .private_segment_fixed_size: 0
    .sgpr_count:     42
    .sgpr_spill_count: 0
    .symbol:         _ZN2at6native6mbtopk10gatherTopKIsjLi1EEEvNS_4cuda6detail10TensorInfoIKT_T0_EES8_S8_bjS8_NS5_IS6_S8_EES8_NS5_IlS8_EES8_jjPS6_PjSD_j.kd
    .uniform_work_group_size: 1
    .uses_dynamic_stack: false
    .vgpr_count:     21
    .vgpr_spill_count: 0
    .wavefront_size: 64
  - .args:
      - .offset:         0
        .size:           216
        .value_kind:     by_value
      - .offset:         216
        .size:           4
        .value_kind:     by_value
      - .offset:         220
        .size:           4
        .value_kind:     by_value
      - .offset:         224
        .size:           1
        .value_kind:     by_value
      - .offset:         228
        .size:           4
        .value_kind:     by_value
      - .offset:         232
        .size:           4
        .value_kind:     by_value
      - .offset:         240
        .size:           216
        .value_kind:     by_value
      - .offset:         456
        .size:           4
        .value_kind:     by_value
      - .offset:         464
        .size:           216
        .value_kind:     by_value
      - .offset:         680
        .size:           4
        .value_kind:     by_value
      - .address_space:  global
        .offset:         688
        .size:           8
        .value_kind:     global_buffer
      - .offset:         696
        .size:           4
        .value_kind:     hidden_block_count_x
      - .offset:         700
        .size:           4
        .value_kind:     hidden_block_count_y
      - .offset:         704
        .size:           4
        .value_kind:     hidden_block_count_z
      - .offset:         708
        .size:           2
        .value_kind:     hidden_group_size_x
      - .offset:         710
        .size:           2
        .value_kind:     hidden_group_size_y
      - .offset:         712
        .size:           2
        .value_kind:     hidden_group_size_z
      - .offset:         714
        .size:           2
        .value_kind:     hidden_remainder_x
      - .offset:         716
        .size:           2
        .value_kind:     hidden_remainder_y
      - .offset:         718
        .size:           2
        .value_kind:     hidden_remainder_z
      - .offset:         736
        .size:           8
        .value_kind:     hidden_global_offset_x
      - .offset:         744
        .size:           8
        .value_kind:     hidden_global_offset_y
      - .offset:         752
        .size:           8
        .value_kind:     hidden_global_offset_z
      - .offset:         760
        .size:           2
        .value_kind:     hidden_grid_dims
    .group_segment_fixed_size: 4112
    .kernarg_segment_align: 8
    .kernarg_segment_size: 952
    .language:       OpenCL C
    .language_version:
      - 2
      - 0
    .max_flat_workgroup_size: 1024
    .name:           _ZN2at6native6sbtopk10gatherTopKIsjLi1ELb0EEEvNS_4cuda6detail10TensorInfoIKT_T0_EES8_S8_bS8_S8_NS5_IS6_S8_EES8_NS5_IlS8_EES8_PS6_
    .private_segment_fixed_size: 0
    .sgpr_count:     100
    .sgpr_spill_count: 59
    .symbol:         _ZN2at6native6sbtopk10gatherTopKIsjLi1ELb0EEEvNS_4cuda6detail10TensorInfoIKT_T0_EES8_S8_bS8_S8_NS5_IS6_S8_EES8_NS5_IlS8_EES8_PS6_.kd
    .uniform_work_group_size: 1
    .uses_dynamic_stack: false
    .vgpr_count:     50
    .vgpr_spill_count: 0
    .wavefront_size: 64
  - .args:
      - .offset:         0
        .size:           216
        .value_kind:     by_value
      - .offset:         216
        .size:           4
        .value_kind:     by_value
      - .address_space:  global
        .offset:         224
        .size:           8
        .value_kind:     global_buffer
      - .offset:         232
        .size:           4
        .value_kind:     by_value
      - .offset:         236
        .size:           4
        .value_kind:     by_value
      - .offset:         240
        .size:           4
        .value_kind:     by_value
      - .offset:         244
        .size:           4
        .value_kind:     by_value
      - .offset:         248
        .size:           4
        .value_kind:     by_value
      - .offset:         252
        .size:           4
        .value_kind:     by_value
      - .address_space:  global
        .offset:         256
        .size:           8
        .value_kind:     global_buffer
      - .address_space:  global
        .offset:         264
        .size:           8
        .value_kind:     global_buffer
      - .offset:         272
        .size:           4
        .value_kind:     hidden_block_count_x
      - .offset:         276
        .size:           4
        .value_kind:     hidden_block_count_y
      - .offset:         280
        .size:           4
        .value_kind:     hidden_block_count_z
      - .offset:         284
        .size:           2
        .value_kind:     hidden_group_size_x
      - .offset:         286
        .size:           2
        .value_kind:     hidden_group_size_y
      - .offset:         288
        .size:           2
        .value_kind:     hidden_group_size_z
      - .offset:         290
        .size:           2
        .value_kind:     hidden_remainder_x
      - .offset:         292
        .size:           2
        .value_kind:     hidden_remainder_y
      - .offset:         294
        .size:           2
        .value_kind:     hidden_remainder_z
      - .offset:         312
        .size:           8
        .value_kind:     hidden_global_offset_x
      - .offset:         320
        .size:           8
        .value_kind:     hidden_global_offset_y
      - .offset:         328
        .size:           8
        .value_kind:     hidden_global_offset_z
      - .offset:         336
        .size:           2
        .value_kind:     hidden_grid_dims
    .group_segment_fixed_size: 1024
    .kernarg_segment_align: 8
    .kernarg_segment_size: 528
    .language:       OpenCL C
    .language_version:
      - 2
      - 0
    .max_flat_workgroup_size: 256
    .name:           _ZN2at6native6mbtopk23computeBlockDigitCountsIsjjLi2EEEvNS_4cuda6detail10TensorInfoIKT_T0_EEjPjjS8_iijT1_PSB_Ps
    .private_segment_fixed_size: 0
    .sgpr_count:     26
    .sgpr_spill_count: 0
    .symbol:         _ZN2at6native6mbtopk23computeBlockDigitCountsIsjjLi2EEEvNS_4cuda6detail10TensorInfoIKT_T0_EEjPjjS8_iijT1_PSB_Ps.kd
    .uniform_work_group_size: 1
    .uses_dynamic_stack: false
    .vgpr_count:     12
    .vgpr_spill_count: 0
    .wavefront_size: 64
  - .args:
      - .offset:         0
        .size:           216
        .value_kind:     by_value
      - .offset:         216
        .size:           4
        .value_kind:     by_value
      - .offset:         220
        .size:           4
        .value_kind:     by_value
      - .offset:         224
        .size:           1
        .value_kind:     by_value
      - .offset:         228
        .size:           4
        .value_kind:     by_value
      - .offset:         232
        .size:           4
        .value_kind:     by_value
      - .offset:         240
        .size:           216
        .value_kind:     by_value
      - .offset:         456
        .size:           4
        .value_kind:     by_value
      - .offset:         464
        .size:           216
        .value_kind:     by_value
      - .offset:         680
        .size:           4
        .value_kind:     by_value
      - .offset:         684
        .size:           4
        .value_kind:     by_value
      - .offset:         688
        .size:           4
        .value_kind:     by_value
      - .address_space:  global
        .offset:         696
        .size:           8
        .value_kind:     global_buffer
      - .address_space:  global
        .offset:         704
        .size:           8
        .value_kind:     global_buffer
      - .address_space:  global
        .offset:         712
        .size:           8
        .value_kind:     global_buffer
      - .offset:         720
        .size:           4
        .value_kind:     by_value
      - .offset:         728
        .size:           4
        .value_kind:     hidden_block_count_x
      - .offset:         732
        .size:           4
        .value_kind:     hidden_block_count_y
      - .offset:         736
        .size:           4
        .value_kind:     hidden_block_count_z
      - .offset:         740
        .size:           2
        .value_kind:     hidden_group_size_x
      - .offset:         742
        .size:           2
        .value_kind:     hidden_group_size_y
      - .offset:         744
        .size:           2
        .value_kind:     hidden_group_size_z
      - .offset:         746
        .size:           2
        .value_kind:     hidden_remainder_x
      - .offset:         748
        .size:           2
        .value_kind:     hidden_remainder_y
      - .offset:         750
        .size:           2
        .value_kind:     hidden_remainder_z
      - .offset:         768
        .size:           8
        .value_kind:     hidden_global_offset_x
      - .offset:         776
        .size:           8
        .value_kind:     hidden_global_offset_y
      - .offset:         784
        .size:           8
        .value_kind:     hidden_global_offset_z
      - .offset:         792
        .size:           2
        .value_kind:     hidden_grid_dims
    .group_segment_fixed_size: 1068
    .kernarg_segment_align: 8
    .kernarg_segment_size: 984
    .language:       OpenCL C
    .language_version:
      - 2
      - 0
    .max_flat_workgroup_size: 256
    .name:           _ZN2at6native6mbtopk10gatherTopKIsjLi2EEEvNS_4cuda6detail10TensorInfoIKT_T0_EES8_S8_bjS8_NS5_IS6_S8_EES8_NS5_IlS8_EES8_jjPS6_PjSD_j
    .private_segment_fixed_size: 0
    .sgpr_count:     54
    .sgpr_spill_count: 0
    .symbol:         _ZN2at6native6mbtopk10gatherTopKIsjLi2EEEvNS_4cuda6detail10TensorInfoIKT_T0_EES8_S8_bjS8_NS5_IS6_S8_EES8_NS5_IlS8_EES8_jjPS6_PjSD_j.kd
    .uniform_work_group_size: 1
    .uses_dynamic_stack: false
    .vgpr_count:     21
    .vgpr_spill_count: 0
    .wavefront_size: 64
  - .args:
      - .offset:         0
        .size:           216
        .value_kind:     by_value
      - .offset:         216
        .size:           4
        .value_kind:     by_value
      - .offset:         220
        .size:           4
        .value_kind:     by_value
      - .offset:         224
        .size:           1
        .value_kind:     by_value
      - .offset:         228
        .size:           4
        .value_kind:     by_value
      - .offset:         232
        .size:           4
        .value_kind:     by_value
      - .offset:         240
        .size:           216
        .value_kind:     by_value
      - .offset:         456
        .size:           4
        .value_kind:     by_value
      - .offset:         464
        .size:           216
        .value_kind:     by_value
      - .offset:         680
        .size:           4
        .value_kind:     by_value
      - .address_space:  global
        .offset:         688
        .size:           8
        .value_kind:     global_buffer
      - .offset:         696
        .size:           4
        .value_kind:     hidden_block_count_x
      - .offset:         700
        .size:           4
        .value_kind:     hidden_block_count_y
      - .offset:         704
        .size:           4
        .value_kind:     hidden_block_count_z
      - .offset:         708
        .size:           2
        .value_kind:     hidden_group_size_x
      - .offset:         710
        .size:           2
        .value_kind:     hidden_group_size_y
      - .offset:         712
        .size:           2
        .value_kind:     hidden_group_size_z
      - .offset:         714
        .size:           2
        .value_kind:     hidden_remainder_x
      - .offset:         716
        .size:           2
        .value_kind:     hidden_remainder_y
      - .offset:         718
        .size:           2
        .value_kind:     hidden_remainder_z
      - .offset:         736
        .size:           8
        .value_kind:     hidden_global_offset_x
      - .offset:         744
        .size:           8
        .value_kind:     hidden_global_offset_y
      - .offset:         752
        .size:           8
        .value_kind:     hidden_global_offset_z
      - .offset:         760
        .size:           2
        .value_kind:     hidden_grid_dims
    .group_segment_fixed_size: 4112
    .kernarg_segment_align: 8
    .kernarg_segment_size: 952
    .language:       OpenCL C
    .language_version:
      - 2
      - 0
    .max_flat_workgroup_size: 1024
    .name:           _ZN2at6native6sbtopk10gatherTopKIsjLi2ELb0EEEvNS_4cuda6detail10TensorInfoIKT_T0_EES8_S8_bS8_S8_NS5_IS6_S8_EES8_NS5_IlS8_EES8_PS6_
    .private_segment_fixed_size: 0
    .sgpr_count:     100
    .sgpr_spill_count: 66
    .symbol:         _ZN2at6native6sbtopk10gatherTopKIsjLi2ELb0EEEvNS_4cuda6detail10TensorInfoIKT_T0_EES8_S8_bS8_S8_NS5_IS6_S8_EES8_NS5_IlS8_EES8_PS6_.kd
    .uniform_work_group_size: 1
    .uses_dynamic_stack: false
    .vgpr_count:     50
    .vgpr_spill_count: 0
    .wavefront_size: 64
  - .args:
      - .offset:         0
        .size:           216
        .value_kind:     by_value
      - .offset:         216
        .size:           4
        .value_kind:     by_value
      - .address_space:  global
        .offset:         224
        .size:           8
        .value_kind:     global_buffer
      - .offset:         232
        .size:           4
        .value_kind:     by_value
      - .offset:         236
        .size:           4
        .value_kind:     by_value
      - .offset:         240
        .size:           4
        .value_kind:     by_value
      - .offset:         244
        .size:           4
        .value_kind:     by_value
      - .offset:         248
        .size:           4
        .value_kind:     by_value
      - .offset:         252
        .size:           4
        .value_kind:     by_value
      - .address_space:  global
        .offset:         256
        .size:           8
        .value_kind:     global_buffer
      - .address_space:  global
        .offset:         264
        .size:           8
        .value_kind:     global_buffer
      - .offset:         272
        .size:           4
        .value_kind:     hidden_block_count_x
      - .offset:         276
        .size:           4
        .value_kind:     hidden_block_count_y
      - .offset:         280
        .size:           4
        .value_kind:     hidden_block_count_z
      - .offset:         284
        .size:           2
        .value_kind:     hidden_group_size_x
      - .offset:         286
        .size:           2
        .value_kind:     hidden_group_size_y
      - .offset:         288
        .size:           2
        .value_kind:     hidden_group_size_z
      - .offset:         290
        .size:           2
        .value_kind:     hidden_remainder_x
      - .offset:         292
        .size:           2
        .value_kind:     hidden_remainder_y
      - .offset:         294
        .size:           2
        .value_kind:     hidden_remainder_z
      - .offset:         312
        .size:           8
        .value_kind:     hidden_global_offset_x
      - .offset:         320
        .size:           8
        .value_kind:     hidden_global_offset_y
      - .offset:         328
        .size:           8
        .value_kind:     hidden_global_offset_z
      - .offset:         336
        .size:           2
        .value_kind:     hidden_grid_dims
    .group_segment_fixed_size: 1024
    .kernarg_segment_align: 8
    .kernarg_segment_size: 528
    .language:       OpenCL C
    .language_version:
      - 2
      - 0
    .max_flat_workgroup_size: 256
    .name:           _ZN2at6native6mbtopk23computeBlockDigitCountsIsjjLi3EEEvNS_4cuda6detail10TensorInfoIKT_T0_EEjPjjS8_iijT1_PSB_Ps
    .private_segment_fixed_size: 0
    .sgpr_count:     30
    .sgpr_spill_count: 0
    .symbol:         _ZN2at6native6mbtopk23computeBlockDigitCountsIsjjLi3EEEvNS_4cuda6detail10TensorInfoIKT_T0_EEjPjjS8_iijT1_PSB_Ps.kd
    .uniform_work_group_size: 1
    .uses_dynamic_stack: false
    .vgpr_count:     12
    .vgpr_spill_count: 0
    .wavefront_size: 64
  - .args:
      - .offset:         0
        .size:           216
        .value_kind:     by_value
      - .offset:         216
        .size:           4
        .value_kind:     by_value
      - .offset:         220
        .size:           4
        .value_kind:     by_value
      - .offset:         224
        .size:           1
        .value_kind:     by_value
      - .offset:         228
        .size:           4
        .value_kind:     by_value
      - .offset:         232
        .size:           4
        .value_kind:     by_value
      - .offset:         240
        .size:           216
        .value_kind:     by_value
      - .offset:         456
        .size:           4
        .value_kind:     by_value
      - .offset:         464
        .size:           216
        .value_kind:     by_value
      - .offset:         680
        .size:           4
        .value_kind:     by_value
      - .offset:         684
        .size:           4
        .value_kind:     by_value
      - .offset:         688
        .size:           4
        .value_kind:     by_value
      - .address_space:  global
        .offset:         696
        .size:           8
        .value_kind:     global_buffer
      - .address_space:  global
        .offset:         704
        .size:           8
        .value_kind:     global_buffer
      - .address_space:  global
        .offset:         712
        .size:           8
        .value_kind:     global_buffer
      - .offset:         720
        .size:           4
        .value_kind:     by_value
      - .offset:         728
        .size:           4
        .value_kind:     hidden_block_count_x
      - .offset:         732
        .size:           4
        .value_kind:     hidden_block_count_y
      - .offset:         736
        .size:           4
        .value_kind:     hidden_block_count_z
      - .offset:         740
        .size:           2
        .value_kind:     hidden_group_size_x
      - .offset:         742
        .size:           2
        .value_kind:     hidden_group_size_y
      - .offset:         744
        .size:           2
        .value_kind:     hidden_group_size_z
      - .offset:         746
        .size:           2
        .value_kind:     hidden_remainder_x
      - .offset:         748
        .size:           2
        .value_kind:     hidden_remainder_y
      - .offset:         750
        .size:           2
        .value_kind:     hidden_remainder_z
      - .offset:         768
        .size:           8
        .value_kind:     hidden_global_offset_x
      - .offset:         776
        .size:           8
        .value_kind:     hidden_global_offset_y
      - .offset:         784
        .size:           8
        .value_kind:     hidden_global_offset_z
      - .offset:         792
        .size:           2
        .value_kind:     hidden_grid_dims
    .group_segment_fixed_size: 1068
    .kernarg_segment_align: 8
    .kernarg_segment_size: 984
    .language:       OpenCL C
    .language_version:
      - 2
      - 0
    .max_flat_workgroup_size: 256
    .name:           _ZN2at6native6mbtopk10gatherTopKIsjLi3EEEvNS_4cuda6detail10TensorInfoIKT_T0_EES8_S8_bjS8_NS5_IS6_S8_EES8_NS5_IlS8_EES8_jjPS6_PjSD_j
    .private_segment_fixed_size: 0
    .sgpr_count:     63
    .sgpr_spill_count: 0
    .symbol:         _ZN2at6native6mbtopk10gatherTopKIsjLi3EEEvNS_4cuda6detail10TensorInfoIKT_T0_EES8_S8_bjS8_NS5_IS6_S8_EES8_NS5_IlS8_EES8_jjPS6_PjSD_j.kd
    .uniform_work_group_size: 1
    .uses_dynamic_stack: false
    .vgpr_count:     21
    .vgpr_spill_count: 0
    .wavefront_size: 64
  - .args:
      - .offset:         0
        .size:           216
        .value_kind:     by_value
      - .offset:         216
        .size:           4
        .value_kind:     by_value
      - .offset:         220
        .size:           4
        .value_kind:     by_value
      - .offset:         224
        .size:           1
        .value_kind:     by_value
      - .offset:         228
        .size:           4
        .value_kind:     by_value
      - .offset:         232
        .size:           4
        .value_kind:     by_value
      - .offset:         240
        .size:           216
        .value_kind:     by_value
      - .offset:         456
        .size:           4
        .value_kind:     by_value
      - .offset:         464
        .size:           216
        .value_kind:     by_value
      - .offset:         680
        .size:           4
        .value_kind:     by_value
      - .address_space:  global
        .offset:         688
        .size:           8
        .value_kind:     global_buffer
      - .offset:         696
        .size:           4
        .value_kind:     hidden_block_count_x
      - .offset:         700
        .size:           4
        .value_kind:     hidden_block_count_y
      - .offset:         704
        .size:           4
        .value_kind:     hidden_block_count_z
      - .offset:         708
        .size:           2
        .value_kind:     hidden_group_size_x
      - .offset:         710
        .size:           2
        .value_kind:     hidden_group_size_y
      - .offset:         712
        .size:           2
        .value_kind:     hidden_group_size_z
      - .offset:         714
        .size:           2
        .value_kind:     hidden_remainder_x
      - .offset:         716
        .size:           2
        .value_kind:     hidden_remainder_y
      - .offset:         718
        .size:           2
        .value_kind:     hidden_remainder_z
      - .offset:         736
        .size:           8
        .value_kind:     hidden_global_offset_x
      - .offset:         744
        .size:           8
        .value_kind:     hidden_global_offset_y
      - .offset:         752
        .size:           8
        .value_kind:     hidden_global_offset_z
      - .offset:         760
        .size:           2
        .value_kind:     hidden_grid_dims
    .group_segment_fixed_size: 4112
    .kernarg_segment_align: 8
    .kernarg_segment_size: 952
    .language:       OpenCL C
    .language_version:
      - 2
      - 0
    .max_flat_workgroup_size: 1024
    .name:           _ZN2at6native6sbtopk10gatherTopKIsjLi3ELb0EEEvNS_4cuda6detail10TensorInfoIKT_T0_EES8_S8_bS8_S8_NS5_IS6_S8_EES8_NS5_IlS8_EES8_PS6_
    .private_segment_fixed_size: 0
    .sgpr_count:     100
    .sgpr_spill_count: 71
    .symbol:         _ZN2at6native6sbtopk10gatherTopKIsjLi3ELb0EEEvNS_4cuda6detail10TensorInfoIKT_T0_EES8_S8_bS8_S8_NS5_IS6_S8_EES8_NS5_IlS8_EES8_PS6_.kd
    .uniform_work_group_size: 1
    .uses_dynamic_stack: false
    .vgpr_count:     51
    .vgpr_spill_count: 0
    .wavefront_size: 64
  - .args:
      - .offset:         0
        .size:           216
        .value_kind:     by_value
      - .offset:         216
        .size:           4
        .value_kind:     by_value
      - .address_space:  global
        .offset:         224
        .size:           8
        .value_kind:     global_buffer
      - .offset:         232
        .size:           4
        .value_kind:     by_value
      - .offset:         236
        .size:           4
        .value_kind:     by_value
      - .offset:         240
        .size:           4
        .value_kind:     by_value
      - .offset:         244
        .size:           4
        .value_kind:     by_value
      - .offset:         248
        .size:           4
        .value_kind:     by_value
      - .offset:         252
        .size:           4
        .value_kind:     by_value
      - .address_space:  global
        .offset:         256
        .size:           8
        .value_kind:     global_buffer
      - .address_space:  global
        .offset:         264
        .size:           8
        .value_kind:     global_buffer
      - .offset:         272
        .size:           4
        .value_kind:     hidden_block_count_x
      - .offset:         276
        .size:           4
        .value_kind:     hidden_block_count_y
      - .offset:         280
        .size:           4
        .value_kind:     hidden_block_count_z
      - .offset:         284
        .size:           2
        .value_kind:     hidden_group_size_x
      - .offset:         286
        .size:           2
        .value_kind:     hidden_group_size_y
      - .offset:         288
        .size:           2
        .value_kind:     hidden_group_size_z
      - .offset:         290
        .size:           2
        .value_kind:     hidden_remainder_x
      - .offset:         292
        .size:           2
        .value_kind:     hidden_remainder_y
      - .offset:         294
        .size:           2
        .value_kind:     hidden_remainder_z
      - .offset:         312
        .size:           8
        .value_kind:     hidden_global_offset_x
      - .offset:         320
        .size:           8
        .value_kind:     hidden_global_offset_y
      - .offset:         328
        .size:           8
        .value_kind:     hidden_global_offset_z
      - .offset:         336
        .size:           2
        .value_kind:     hidden_grid_dims
    .group_segment_fixed_size: 1024
    .kernarg_segment_align: 8
    .kernarg_segment_size: 528
    .language:       OpenCL C
    .language_version:
      - 2
      - 0
    .max_flat_workgroup_size: 256
    .name:           _ZN2at6native6mbtopk23computeBlockDigitCountsIsjjLin1EEEvNS_4cuda6detail10TensorInfoIKT_T0_EEjPjjS8_iijT1_PSB_Ps
    .private_segment_fixed_size: 0
    .sgpr_count:     28
    .sgpr_spill_count: 0
    .symbol:         _ZN2at6native6mbtopk23computeBlockDigitCountsIsjjLin1EEEvNS_4cuda6detail10TensorInfoIKT_T0_EEjPjjS8_iijT1_PSB_Ps.kd
    .uniform_work_group_size: 1
    .uses_dynamic_stack: false
    .vgpr_count:     12
    .vgpr_spill_count: 0
    .wavefront_size: 64
  - .args:
      - .offset:         0
        .size:           216
        .value_kind:     by_value
      - .offset:         216
        .size:           4
        .value_kind:     by_value
      - .offset:         220
        .size:           4
        .value_kind:     by_value
      - .offset:         224
        .size:           1
        .value_kind:     by_value
      - .offset:         228
        .size:           4
        .value_kind:     by_value
      - .offset:         232
        .size:           4
        .value_kind:     by_value
      - .offset:         240
        .size:           216
        .value_kind:     by_value
      - .offset:         456
        .size:           4
        .value_kind:     by_value
      - .offset:         464
        .size:           216
        .value_kind:     by_value
      - .offset:         680
        .size:           4
        .value_kind:     by_value
      - .offset:         684
        .size:           4
        .value_kind:     by_value
      - .offset:         688
        .size:           4
        .value_kind:     by_value
      - .address_space:  global
        .offset:         696
        .size:           8
        .value_kind:     global_buffer
      - .address_space:  global
        .offset:         704
        .size:           8
        .value_kind:     global_buffer
      - .address_space:  global
        .offset:         712
        .size:           8
        .value_kind:     global_buffer
      - .offset:         720
        .size:           4
        .value_kind:     by_value
      - .offset:         728
        .size:           4
        .value_kind:     hidden_block_count_x
      - .offset:         732
        .size:           4
        .value_kind:     hidden_block_count_y
      - .offset:         736
        .size:           4
        .value_kind:     hidden_block_count_z
      - .offset:         740
        .size:           2
        .value_kind:     hidden_group_size_x
      - .offset:         742
        .size:           2
        .value_kind:     hidden_group_size_y
      - .offset:         744
        .size:           2
        .value_kind:     hidden_group_size_z
      - .offset:         746
        .size:           2
        .value_kind:     hidden_remainder_x
      - .offset:         748
        .size:           2
        .value_kind:     hidden_remainder_y
      - .offset:         750
        .size:           2
        .value_kind:     hidden_remainder_z
      - .offset:         768
        .size:           8
        .value_kind:     hidden_global_offset_x
      - .offset:         776
        .size:           8
        .value_kind:     hidden_global_offset_y
      - .offset:         784
        .size:           8
        .value_kind:     hidden_global_offset_z
      - .offset:         792
        .size:           2
        .value_kind:     hidden_grid_dims
    .group_segment_fixed_size: 1068
    .kernarg_segment_align: 8
    .kernarg_segment_size: 984
    .language:       OpenCL C
    .language_version:
      - 2
      - 0
    .max_flat_workgroup_size: 256
    .name:           _ZN2at6native6mbtopk10gatherTopKIsjLin1EEEvNS_4cuda6detail10TensorInfoIKT_T0_EES8_S8_bjS8_NS5_IS6_S8_EES8_NS5_IlS8_EES8_jjPS6_PjSD_j
    .private_segment_fixed_size: 0
    .sgpr_count:     49
    .sgpr_spill_count: 0
    .symbol:         _ZN2at6native6mbtopk10gatherTopKIsjLin1EEEvNS_4cuda6detail10TensorInfoIKT_T0_EES8_S8_bjS8_NS5_IS6_S8_EES8_NS5_IlS8_EES8_jjPS6_PjSD_j.kd
    .uniform_work_group_size: 1
    .uses_dynamic_stack: false
    .vgpr_count:     21
    .vgpr_spill_count: 0
    .wavefront_size: 64
  - .args:
      - .offset:         0
        .size:           216
        .value_kind:     by_value
      - .offset:         216
        .size:           4
        .value_kind:     by_value
      - .offset:         220
        .size:           4
        .value_kind:     by_value
      - .offset:         224
        .size:           1
        .value_kind:     by_value
      - .offset:         228
        .size:           4
        .value_kind:     by_value
      - .offset:         232
        .size:           4
        .value_kind:     by_value
      - .offset:         240
        .size:           216
        .value_kind:     by_value
      - .offset:         456
        .size:           4
        .value_kind:     by_value
      - .offset:         464
        .size:           216
        .value_kind:     by_value
      - .offset:         680
        .size:           4
        .value_kind:     by_value
      - .address_space:  global
        .offset:         688
        .size:           8
        .value_kind:     global_buffer
      - .offset:         696
        .size:           4
        .value_kind:     hidden_block_count_x
      - .offset:         700
        .size:           4
        .value_kind:     hidden_block_count_y
      - .offset:         704
        .size:           4
        .value_kind:     hidden_block_count_z
      - .offset:         708
        .size:           2
        .value_kind:     hidden_group_size_x
      - .offset:         710
        .size:           2
        .value_kind:     hidden_group_size_y
      - .offset:         712
        .size:           2
        .value_kind:     hidden_group_size_z
      - .offset:         714
        .size:           2
        .value_kind:     hidden_remainder_x
      - .offset:         716
        .size:           2
        .value_kind:     hidden_remainder_y
      - .offset:         718
        .size:           2
        .value_kind:     hidden_remainder_z
      - .offset:         736
        .size:           8
        .value_kind:     hidden_global_offset_x
      - .offset:         744
        .size:           8
        .value_kind:     hidden_global_offset_y
      - .offset:         752
        .size:           8
        .value_kind:     hidden_global_offset_z
      - .offset:         760
        .size:           2
        .value_kind:     hidden_grid_dims
    .group_segment_fixed_size: 4112
    .kernarg_segment_align: 8
    .kernarg_segment_size: 952
    .language:       OpenCL C
    .language_version:
      - 2
      - 0
    .max_flat_workgroup_size: 1024
    .name:           _ZN2at6native6sbtopk10gatherTopKIsjLin1ELb0EEEvNS_4cuda6detail10TensorInfoIKT_T0_EES8_S8_bS8_S8_NS5_IS6_S8_EES8_NS5_IlS8_EES8_PS6_
    .private_segment_fixed_size: 0
    .sgpr_count:     100
    .sgpr_spill_count: 63
    .symbol:         _ZN2at6native6sbtopk10gatherTopKIsjLin1ELb0EEEvNS_4cuda6detail10TensorInfoIKT_T0_EES8_S8_bS8_S8_NS5_IS6_S8_EES8_NS5_IlS8_EES8_PS6_.kd
    .uniform_work_group_size: 1
    .uses_dynamic_stack: false
    .vgpr_count:     50
    .vgpr_spill_count: 0
    .wavefront_size: 64
  - .args:
      - .offset:         0
        .size:           216
        .value_kind:     by_value
      - .offset:         216
        .size:           4
        .value_kind:     by_value
      - .address_space:  global
        .offset:         224
        .size:           8
        .value_kind:     global_buffer
      - .offset:         232
        .size:           4
        .value_kind:     by_value
      - .offset:         236
        .size:           4
        .value_kind:     by_value
      - .offset:         240
        .size:           4
        .value_kind:     by_value
      - .offset:         244
        .size:           4
        .value_kind:     by_value
      - .offset:         248
        .size:           4
        .value_kind:     by_value
      - .offset:         256
        .size:           8
        .value_kind:     by_value
      - .address_space:  global
        .offset:         264
        .size:           8
        .value_kind:     global_buffer
      - .address_space:  global
        .offset:         272
        .size:           8
        .value_kind:     global_buffer
      - .offset:         280
        .size:           4
        .value_kind:     hidden_block_count_x
      - .offset:         284
        .size:           4
        .value_kind:     hidden_block_count_y
      - .offset:         288
        .size:           4
        .value_kind:     hidden_block_count_z
      - .offset:         292
        .size:           2
        .value_kind:     hidden_group_size_x
      - .offset:         294
        .size:           2
        .value_kind:     hidden_group_size_y
      - .offset:         296
        .size:           2
        .value_kind:     hidden_group_size_z
      - .offset:         298
        .size:           2
        .value_kind:     hidden_remainder_x
      - .offset:         300
        .size:           2
        .value_kind:     hidden_remainder_y
      - .offset:         302
        .size:           2
        .value_kind:     hidden_remainder_z
      - .offset:         320
        .size:           8
        .value_kind:     hidden_global_offset_x
      - .offset:         328
        .size:           8
        .value_kind:     hidden_global_offset_y
      - .offset:         336
        .size:           8
        .value_kind:     hidden_global_offset_z
      - .offset:         344
        .size:           2
        .value_kind:     hidden_grid_dims
    .group_segment_fixed_size: 1024
    .kernarg_segment_align: 8
    .kernarg_segment_size: 536
    .language:       OpenCL C
    .language_version:
      - 2
      - 0
    .max_flat_workgroup_size: 256
    .name:           _ZN2at6native6mbtopk23computeBlockDigitCountsIdjmLi1EEEvNS_4cuda6detail10TensorInfoIKT_T0_EEjPjjS8_iijT1_PSB_Ps
    .private_segment_fixed_size: 0
    .sgpr_count:     26
    .sgpr_spill_count: 0
    .symbol:         _ZN2at6native6mbtopk23computeBlockDigitCountsIdjmLi1EEEvNS_4cuda6detail10TensorInfoIKT_T0_EEjPjjS8_iijT1_PSB_Ps.kd
    .uniform_work_group_size: 1
    .uses_dynamic_stack: false
    .vgpr_count:     14
    .vgpr_spill_count: 0
    .wavefront_size: 64
  - .args:
      - .address_space:  global
        .offset:         0
        .size:           8
        .value_kind:     global_buffer
      - .address_space:  global
        .offset:         8
        .size:           8
        .value_kind:     global_buffer
      - .address_space:  global
        .offset:         16
        .size:           8
        .value_kind:     global_buffer
      - .offset:         24
        .size:           4
        .value_kind:     by_value
      - .offset:         28
        .size:           4
        .value_kind:     by_value
      - .offset:         32
        .size:           1
        .value_kind:     by_value
      - .address_space:  global
        .offset:         40
        .size:           8
        .value_kind:     global_buffer
      - .address_space:  global
        .offset:         48
        .size:           8
        .value_kind:     global_buffer
      - .address_space:  global
        .offset:         56
        .size:           8
        .value_kind:     global_buffer
      - .address_space:  global
        .offset:         64
        .size:           8
        .value_kind:     global_buffer
      - .address_space:  global
        .offset:         72
        .size:           8
        .value_kind:     global_buffer
      - .offset:         80
        .size:           4
        .value_kind:     by_value
      - .offset:         88
        .size:           4
        .value_kind:     hidden_block_count_x
      - .offset:         92
        .size:           4
        .value_kind:     hidden_block_count_y
      - .offset:         96
        .size:           4
        .value_kind:     hidden_block_count_z
      - .offset:         100
        .size:           2
        .value_kind:     hidden_group_size_x
      - .offset:         102
        .size:           2
        .value_kind:     hidden_group_size_y
      - .offset:         104
        .size:           2
        .value_kind:     hidden_group_size_z
      - .offset:         106
        .size:           2
        .value_kind:     hidden_remainder_x
      - .offset:         108
        .size:           2
        .value_kind:     hidden_remainder_y
      - .offset:         110
        .size:           2
        .value_kind:     hidden_remainder_z
      - .offset:         128
        .size:           8
        .value_kind:     hidden_global_offset_x
      - .offset:         136
        .size:           8
        .value_kind:     hidden_global_offset_y
      - .offset:         144
        .size:           8
        .value_kind:     hidden_global_offset_z
      - .offset:         152
        .size:           2
        .value_kind:     hidden_grid_dims
    .group_segment_fixed_size: 2104
    .kernarg_segment_align: 8
    .kernarg_segment_size: 344
    .language:       OpenCL C
    .language_version:
      - 2
      - 0
    .max_flat_workgroup_size: 256
    .name:           _ZN2at6native6mbtopk29computeBlockwiseWithinKCountsImdEEvPT_PsPjjibS6_PT0_S6_S4_S6_j
    .private_segment_fixed_size: 0
    .sgpr_count:     34
    .sgpr_spill_count: 0
    .symbol:         _ZN2at6native6mbtopk29computeBlockwiseWithinKCountsImdEEvPT_PsPjjibS6_PT0_S6_S4_S6_j.kd
    .uniform_work_group_size: 1
    .uses_dynamic_stack: false
    .vgpr_count:     11
    .vgpr_spill_count: 0
    .wavefront_size: 64
  - .args:
      - .offset:         0
        .size:           216
        .value_kind:     by_value
      - .offset:         216
        .size:           4
        .value_kind:     by_value
      - .offset:         220
        .size:           4
        .value_kind:     by_value
      - .offset:         224
        .size:           1
        .value_kind:     by_value
      - .offset:         228
        .size:           4
        .value_kind:     by_value
      - .offset:         232
        .size:           4
        .value_kind:     by_value
      - .offset:         240
        .size:           216
        .value_kind:     by_value
      - .offset:         456
        .size:           4
        .value_kind:     by_value
      - .offset:         464
        .size:           216
        .value_kind:     by_value
      - .offset:         680
        .size:           4
        .value_kind:     by_value
      - .offset:         684
        .size:           4
        .value_kind:     by_value
      - .offset:         688
        .size:           4
        .value_kind:     by_value
      - .address_space:  global
        .offset:         696
        .size:           8
        .value_kind:     global_buffer
      - .address_space:  global
        .offset:         704
        .size:           8
        .value_kind:     global_buffer
      - .address_space:  global
        .offset:         712
        .size:           8
        .value_kind:     global_buffer
      - .offset:         720
        .size:           4
        .value_kind:     by_value
      - .offset:         728
        .size:           4
        .value_kind:     hidden_block_count_x
      - .offset:         732
        .size:           4
        .value_kind:     hidden_block_count_y
      - .offset:         736
        .size:           4
        .value_kind:     hidden_block_count_z
      - .offset:         740
        .size:           2
        .value_kind:     hidden_group_size_x
      - .offset:         742
        .size:           2
        .value_kind:     hidden_group_size_y
      - .offset:         744
        .size:           2
        .value_kind:     hidden_group_size_z
      - .offset:         746
        .size:           2
        .value_kind:     hidden_remainder_x
      - .offset:         748
        .size:           2
        .value_kind:     hidden_remainder_y
      - .offset:         750
        .size:           2
        .value_kind:     hidden_remainder_z
      - .offset:         768
        .size:           8
        .value_kind:     hidden_global_offset_x
      - .offset:         776
        .size:           8
        .value_kind:     hidden_global_offset_y
      - .offset:         784
        .size:           8
        .value_kind:     hidden_global_offset_z
      - .offset:         792
        .size:           2
        .value_kind:     hidden_grid_dims
    .group_segment_fixed_size: 1068
    .kernarg_segment_align: 8
    .kernarg_segment_size: 984
    .language:       OpenCL C
    .language_version:
      - 2
      - 0
    .max_flat_workgroup_size: 256
    .name:           _ZN2at6native6mbtopk10gatherTopKIdjLi1EEEvNS_4cuda6detail10TensorInfoIKT_T0_EES8_S8_bjS8_NS5_IS6_S8_EES8_NS5_IlS8_EES8_jjPS6_PjSD_j
    .private_segment_fixed_size: 0
    .sgpr_count:     44
    .sgpr_spill_count: 0
    .symbol:         _ZN2at6native6mbtopk10gatherTopKIdjLi1EEEvNS_4cuda6detail10TensorInfoIKT_T0_EES8_S8_bjS8_NS5_IS6_S8_EES8_NS5_IlS8_EES8_jjPS6_PjSD_j.kd
    .uniform_work_group_size: 1
    .uses_dynamic_stack: false
    .vgpr_count:     20
    .vgpr_spill_count: 0
    .wavefront_size: 64
  - .args:
      - .offset:         0
        .size:           216
        .value_kind:     by_value
      - .offset:         216
        .size:           4
        .value_kind:     by_value
      - .offset:         220
        .size:           4
        .value_kind:     by_value
      - .offset:         224
        .size:           1
        .value_kind:     by_value
      - .offset:         228
        .size:           4
        .value_kind:     by_value
      - .offset:         232
        .size:           4
        .value_kind:     by_value
      - .offset:         240
        .size:           216
        .value_kind:     by_value
      - .offset:         456
        .size:           4
        .value_kind:     by_value
      - .offset:         464
        .size:           216
        .value_kind:     by_value
      - .offset:         680
        .size:           4
        .value_kind:     by_value
      - .address_space:  global
        .offset:         688
        .size:           8
        .value_kind:     global_buffer
      - .offset:         696
        .size:           4
        .value_kind:     hidden_block_count_x
      - .offset:         700
        .size:           4
        .value_kind:     hidden_block_count_y
      - .offset:         704
        .size:           4
        .value_kind:     hidden_block_count_z
      - .offset:         708
        .size:           2
        .value_kind:     hidden_group_size_x
      - .offset:         710
        .size:           2
        .value_kind:     hidden_group_size_y
      - .offset:         712
        .size:           2
        .value_kind:     hidden_group_size_z
      - .offset:         714
        .size:           2
        .value_kind:     hidden_remainder_x
      - .offset:         716
        .size:           2
        .value_kind:     hidden_remainder_y
      - .offset:         718
        .size:           2
        .value_kind:     hidden_remainder_z
      - .offset:         736
        .size:           8
        .value_kind:     hidden_global_offset_x
      - .offset:         744
        .size:           8
        .value_kind:     hidden_global_offset_y
      - .offset:         752
        .size:           8
        .value_kind:     hidden_global_offset_z
      - .offset:         760
        .size:           2
        .value_kind:     hidden_grid_dims
    .group_segment_fixed_size: 4112
    .kernarg_segment_align: 8
    .kernarg_segment_size: 952
    .language:       OpenCL C
    .language_version:
      - 2
      - 0
    .max_flat_workgroup_size: 1024
    .name:           _ZN2at6native6sbtopk10gatherTopKIdjLi1ELb0EEEvNS_4cuda6detail10TensorInfoIKT_T0_EES8_S8_bS8_S8_NS5_IS6_S8_EES8_NS5_IlS8_EES8_PS6_
    .private_segment_fixed_size: 0
    .sgpr_count:     100
    .sgpr_spill_count: 44
    .symbol:         _ZN2at6native6sbtopk10gatherTopKIdjLi1ELb0EEEvNS_4cuda6detail10TensorInfoIKT_T0_EES8_S8_bS8_S8_NS5_IS6_S8_EES8_NS5_IlS8_EES8_PS6_.kd
    .uniform_work_group_size: 1
    .uses_dynamic_stack: false
    .vgpr_count:     48
    .vgpr_spill_count: 0
    .wavefront_size: 64
  - .args:
      - .offset:         0
        .size:           216
        .value_kind:     by_value
      - .offset:         216
        .size:           4
        .value_kind:     by_value
      - .address_space:  global
        .offset:         224
        .size:           8
        .value_kind:     global_buffer
      - .offset:         232
        .size:           4
        .value_kind:     by_value
      - .offset:         236
        .size:           4
        .value_kind:     by_value
      - .offset:         240
        .size:           4
        .value_kind:     by_value
      - .offset:         244
        .size:           4
        .value_kind:     by_value
      - .offset:         248
        .size:           4
        .value_kind:     by_value
      - .offset:         256
        .size:           8
        .value_kind:     by_value
      - .address_space:  global
        .offset:         264
        .size:           8
        .value_kind:     global_buffer
      - .address_space:  global
        .offset:         272
        .size:           8
        .value_kind:     global_buffer
      - .offset:         280
        .size:           4
        .value_kind:     hidden_block_count_x
      - .offset:         284
        .size:           4
        .value_kind:     hidden_block_count_y
      - .offset:         288
        .size:           4
        .value_kind:     hidden_block_count_z
      - .offset:         292
        .size:           2
        .value_kind:     hidden_group_size_x
      - .offset:         294
        .size:           2
        .value_kind:     hidden_group_size_y
      - .offset:         296
        .size:           2
        .value_kind:     hidden_group_size_z
      - .offset:         298
        .size:           2
        .value_kind:     hidden_remainder_x
      - .offset:         300
        .size:           2
        .value_kind:     hidden_remainder_y
      - .offset:         302
        .size:           2
        .value_kind:     hidden_remainder_z
      - .offset:         320
        .size:           8
        .value_kind:     hidden_global_offset_x
      - .offset:         328
        .size:           8
        .value_kind:     hidden_global_offset_y
      - .offset:         336
        .size:           8
        .value_kind:     hidden_global_offset_z
      - .offset:         344
        .size:           2
        .value_kind:     hidden_grid_dims
    .group_segment_fixed_size: 1024
    .kernarg_segment_align: 8
    .kernarg_segment_size: 536
    .language:       OpenCL C
    .language_version:
      - 2
      - 0
    .max_flat_workgroup_size: 256
    .name:           _ZN2at6native6mbtopk23computeBlockDigitCountsIdjmLi2EEEvNS_4cuda6detail10TensorInfoIKT_T0_EEjPjjS8_iijT1_PSB_Ps
    .private_segment_fixed_size: 0
    .sgpr_count:     28
    .sgpr_spill_count: 0
    .symbol:         _ZN2at6native6mbtopk23computeBlockDigitCountsIdjmLi2EEEvNS_4cuda6detail10TensorInfoIKT_T0_EEjPjjS8_iijT1_PSB_Ps.kd
    .uniform_work_group_size: 1
    .uses_dynamic_stack: false
    .vgpr_count:     14
    .vgpr_spill_count: 0
    .wavefront_size: 64
  - .args:
      - .offset:         0
        .size:           216
        .value_kind:     by_value
      - .offset:         216
        .size:           4
        .value_kind:     by_value
      - .offset:         220
        .size:           4
        .value_kind:     by_value
      - .offset:         224
        .size:           1
        .value_kind:     by_value
      - .offset:         228
        .size:           4
        .value_kind:     by_value
      - .offset:         232
        .size:           4
        .value_kind:     by_value
      - .offset:         240
        .size:           216
        .value_kind:     by_value
      - .offset:         456
        .size:           4
        .value_kind:     by_value
      - .offset:         464
        .size:           216
        .value_kind:     by_value
      - .offset:         680
        .size:           4
        .value_kind:     by_value
      - .offset:         684
        .size:           4
        .value_kind:     by_value
      - .offset:         688
        .size:           4
        .value_kind:     by_value
      - .address_space:  global
        .offset:         696
        .size:           8
        .value_kind:     global_buffer
      - .address_space:  global
        .offset:         704
        .size:           8
        .value_kind:     global_buffer
      - .address_space:  global
        .offset:         712
        .size:           8
        .value_kind:     global_buffer
      - .offset:         720
        .size:           4
        .value_kind:     by_value
      - .offset:         728
        .size:           4
        .value_kind:     hidden_block_count_x
      - .offset:         732
        .size:           4
        .value_kind:     hidden_block_count_y
      - .offset:         736
        .size:           4
        .value_kind:     hidden_block_count_z
      - .offset:         740
        .size:           2
        .value_kind:     hidden_group_size_x
      - .offset:         742
        .size:           2
        .value_kind:     hidden_group_size_y
      - .offset:         744
        .size:           2
        .value_kind:     hidden_group_size_z
      - .offset:         746
        .size:           2
        .value_kind:     hidden_remainder_x
      - .offset:         748
        .size:           2
        .value_kind:     hidden_remainder_y
      - .offset:         750
        .size:           2
        .value_kind:     hidden_remainder_z
      - .offset:         768
        .size:           8
        .value_kind:     hidden_global_offset_x
      - .offset:         776
        .size:           8
        .value_kind:     hidden_global_offset_y
      - .offset:         784
        .size:           8
        .value_kind:     hidden_global_offset_z
      - .offset:         792
        .size:           2
        .value_kind:     hidden_grid_dims
    .group_segment_fixed_size: 1068
    .kernarg_segment_align: 8
    .kernarg_segment_size: 984
    .language:       OpenCL C
    .language_version:
      - 2
      - 0
    .max_flat_workgroup_size: 256
    .name:           _ZN2at6native6mbtopk10gatherTopKIdjLi2EEEvNS_4cuda6detail10TensorInfoIKT_T0_EES8_S8_bjS8_NS5_IS6_S8_EES8_NS5_IlS8_EES8_jjPS6_PjSD_j
    .private_segment_fixed_size: 0
    .sgpr_count:     56
    .sgpr_spill_count: 0
    .symbol:         _ZN2at6native6mbtopk10gatherTopKIdjLi2EEEvNS_4cuda6detail10TensorInfoIKT_T0_EES8_S8_bjS8_NS5_IS6_S8_EES8_NS5_IlS8_EES8_jjPS6_PjSD_j.kd
    .uniform_work_group_size: 1
    .uses_dynamic_stack: false
    .vgpr_count:     20
    .vgpr_spill_count: 0
    .wavefront_size: 64
  - .args:
      - .offset:         0
        .size:           216
        .value_kind:     by_value
      - .offset:         216
        .size:           4
        .value_kind:     by_value
      - .offset:         220
        .size:           4
        .value_kind:     by_value
      - .offset:         224
        .size:           1
        .value_kind:     by_value
      - .offset:         228
        .size:           4
        .value_kind:     by_value
      - .offset:         232
        .size:           4
        .value_kind:     by_value
      - .offset:         240
        .size:           216
        .value_kind:     by_value
      - .offset:         456
        .size:           4
        .value_kind:     by_value
      - .offset:         464
        .size:           216
        .value_kind:     by_value
      - .offset:         680
        .size:           4
        .value_kind:     by_value
      - .address_space:  global
        .offset:         688
        .size:           8
        .value_kind:     global_buffer
      - .offset:         696
        .size:           4
        .value_kind:     hidden_block_count_x
      - .offset:         700
        .size:           4
        .value_kind:     hidden_block_count_y
      - .offset:         704
        .size:           4
        .value_kind:     hidden_block_count_z
      - .offset:         708
        .size:           2
        .value_kind:     hidden_group_size_x
      - .offset:         710
        .size:           2
        .value_kind:     hidden_group_size_y
      - .offset:         712
        .size:           2
        .value_kind:     hidden_group_size_z
      - .offset:         714
        .size:           2
        .value_kind:     hidden_remainder_x
      - .offset:         716
        .size:           2
        .value_kind:     hidden_remainder_y
      - .offset:         718
        .size:           2
        .value_kind:     hidden_remainder_z
      - .offset:         736
        .size:           8
        .value_kind:     hidden_global_offset_x
      - .offset:         744
        .size:           8
        .value_kind:     hidden_global_offset_y
      - .offset:         752
        .size:           8
        .value_kind:     hidden_global_offset_z
      - .offset:         760
        .size:           2
        .value_kind:     hidden_grid_dims
    .group_segment_fixed_size: 4112
    .kernarg_segment_align: 8
    .kernarg_segment_size: 952
    .language:       OpenCL C
    .language_version:
      - 2
      - 0
    .max_flat_workgroup_size: 1024
    .name:           _ZN2at6native6sbtopk10gatherTopKIdjLi2ELb0EEEvNS_4cuda6detail10TensorInfoIKT_T0_EES8_S8_bS8_S8_NS5_IS6_S8_EES8_NS5_IlS8_EES8_PS6_
    .private_segment_fixed_size: 0
    .sgpr_count:     100
    .sgpr_spill_count: 58
    .symbol:         _ZN2at6native6sbtopk10gatherTopKIdjLi2ELb0EEEvNS_4cuda6detail10TensorInfoIKT_T0_EES8_S8_bS8_S8_NS5_IS6_S8_EES8_NS5_IlS8_EES8_PS6_.kd
    .uniform_work_group_size: 1
    .uses_dynamic_stack: false
    .vgpr_count:     48
    .vgpr_spill_count: 0
    .wavefront_size: 64
  - .args:
      - .offset:         0
        .size:           216
        .value_kind:     by_value
      - .offset:         216
        .size:           4
        .value_kind:     by_value
      - .address_space:  global
        .offset:         224
        .size:           8
        .value_kind:     global_buffer
      - .offset:         232
        .size:           4
        .value_kind:     by_value
      - .offset:         236
        .size:           4
        .value_kind:     by_value
      - .offset:         240
        .size:           4
        .value_kind:     by_value
      - .offset:         244
        .size:           4
        .value_kind:     by_value
      - .offset:         248
        .size:           4
        .value_kind:     by_value
      - .offset:         256
        .size:           8
        .value_kind:     by_value
      - .address_space:  global
        .offset:         264
        .size:           8
        .value_kind:     global_buffer
      - .address_space:  global
        .offset:         272
        .size:           8
        .value_kind:     global_buffer
      - .offset:         280
        .size:           4
        .value_kind:     hidden_block_count_x
      - .offset:         284
        .size:           4
        .value_kind:     hidden_block_count_y
      - .offset:         288
        .size:           4
        .value_kind:     hidden_block_count_z
      - .offset:         292
        .size:           2
        .value_kind:     hidden_group_size_x
      - .offset:         294
        .size:           2
        .value_kind:     hidden_group_size_y
      - .offset:         296
        .size:           2
        .value_kind:     hidden_group_size_z
      - .offset:         298
        .size:           2
        .value_kind:     hidden_remainder_x
      - .offset:         300
        .size:           2
        .value_kind:     hidden_remainder_y
      - .offset:         302
        .size:           2
        .value_kind:     hidden_remainder_z
      - .offset:         320
        .size:           8
        .value_kind:     hidden_global_offset_x
      - .offset:         328
        .size:           8
        .value_kind:     hidden_global_offset_y
      - .offset:         336
        .size:           8
        .value_kind:     hidden_global_offset_z
      - .offset:         344
        .size:           2
        .value_kind:     hidden_grid_dims
    .group_segment_fixed_size: 1024
    .kernarg_segment_align: 8
    .kernarg_segment_size: 536
    .language:       OpenCL C
    .language_version:
      - 2
      - 0
    .max_flat_workgroup_size: 256
    .name:           _ZN2at6native6mbtopk23computeBlockDigitCountsIdjmLi3EEEvNS_4cuda6detail10TensorInfoIKT_T0_EEjPjjS8_iijT1_PSB_Ps
    .private_segment_fixed_size: 0
    .sgpr_count:     34
    .sgpr_spill_count: 0
    .symbol:         _ZN2at6native6mbtopk23computeBlockDigitCountsIdjmLi3EEEvNS_4cuda6detail10TensorInfoIKT_T0_EEjPjjS8_iijT1_PSB_Ps.kd
    .uniform_work_group_size: 1
    .uses_dynamic_stack: false
    .vgpr_count:     14
    .vgpr_spill_count: 0
    .wavefront_size: 64
  - .args:
      - .offset:         0
        .size:           216
        .value_kind:     by_value
      - .offset:         216
        .size:           4
        .value_kind:     by_value
      - .offset:         220
        .size:           4
        .value_kind:     by_value
      - .offset:         224
        .size:           1
        .value_kind:     by_value
      - .offset:         228
        .size:           4
        .value_kind:     by_value
      - .offset:         232
        .size:           4
        .value_kind:     by_value
      - .offset:         240
        .size:           216
        .value_kind:     by_value
      - .offset:         456
        .size:           4
        .value_kind:     by_value
      - .offset:         464
        .size:           216
        .value_kind:     by_value
      - .offset:         680
        .size:           4
        .value_kind:     by_value
      - .offset:         684
        .size:           4
        .value_kind:     by_value
      - .offset:         688
        .size:           4
        .value_kind:     by_value
      - .address_space:  global
        .offset:         696
        .size:           8
        .value_kind:     global_buffer
      - .address_space:  global
        .offset:         704
        .size:           8
        .value_kind:     global_buffer
      - .address_space:  global
        .offset:         712
        .size:           8
        .value_kind:     global_buffer
      - .offset:         720
        .size:           4
        .value_kind:     by_value
      - .offset:         728
        .size:           4
        .value_kind:     hidden_block_count_x
      - .offset:         732
        .size:           4
        .value_kind:     hidden_block_count_y
      - .offset:         736
        .size:           4
        .value_kind:     hidden_block_count_z
      - .offset:         740
        .size:           2
        .value_kind:     hidden_group_size_x
      - .offset:         742
        .size:           2
        .value_kind:     hidden_group_size_y
      - .offset:         744
        .size:           2
        .value_kind:     hidden_group_size_z
      - .offset:         746
        .size:           2
        .value_kind:     hidden_remainder_x
      - .offset:         748
        .size:           2
        .value_kind:     hidden_remainder_y
      - .offset:         750
        .size:           2
        .value_kind:     hidden_remainder_z
      - .offset:         768
        .size:           8
        .value_kind:     hidden_global_offset_x
      - .offset:         776
        .size:           8
        .value_kind:     hidden_global_offset_y
      - .offset:         784
        .size:           8
        .value_kind:     hidden_global_offset_z
      - .offset:         792
        .size:           2
        .value_kind:     hidden_grid_dims
    .group_segment_fixed_size: 1068
    .kernarg_segment_align: 8
    .kernarg_segment_size: 984
    .language:       OpenCL C
    .language_version:
      - 2
      - 0
    .max_flat_workgroup_size: 256
    .name:           _ZN2at6native6mbtopk10gatherTopKIdjLi3EEEvNS_4cuda6detail10TensorInfoIKT_T0_EES8_S8_bjS8_NS5_IS6_S8_EES8_NS5_IlS8_EES8_jjPS6_PjSD_j
    .private_segment_fixed_size: 0
    .sgpr_count:     65
    .sgpr_spill_count: 0
    .symbol:         _ZN2at6native6mbtopk10gatherTopKIdjLi3EEEvNS_4cuda6detail10TensorInfoIKT_T0_EES8_S8_bjS8_NS5_IS6_S8_EES8_NS5_IlS8_EES8_jjPS6_PjSD_j.kd
    .uniform_work_group_size: 1
    .uses_dynamic_stack: false
    .vgpr_count:     20
    .vgpr_spill_count: 0
    .wavefront_size: 64
  - .args:
      - .offset:         0
        .size:           216
        .value_kind:     by_value
      - .offset:         216
        .size:           4
        .value_kind:     by_value
      - .offset:         220
        .size:           4
        .value_kind:     by_value
      - .offset:         224
        .size:           1
        .value_kind:     by_value
      - .offset:         228
        .size:           4
        .value_kind:     by_value
      - .offset:         232
        .size:           4
        .value_kind:     by_value
      - .offset:         240
        .size:           216
        .value_kind:     by_value
      - .offset:         456
        .size:           4
        .value_kind:     by_value
      - .offset:         464
        .size:           216
        .value_kind:     by_value
      - .offset:         680
        .size:           4
        .value_kind:     by_value
      - .address_space:  global
        .offset:         688
        .size:           8
        .value_kind:     global_buffer
      - .offset:         696
        .size:           4
        .value_kind:     hidden_block_count_x
      - .offset:         700
        .size:           4
        .value_kind:     hidden_block_count_y
      - .offset:         704
        .size:           4
        .value_kind:     hidden_block_count_z
      - .offset:         708
        .size:           2
        .value_kind:     hidden_group_size_x
      - .offset:         710
        .size:           2
        .value_kind:     hidden_group_size_y
      - .offset:         712
        .size:           2
        .value_kind:     hidden_group_size_z
      - .offset:         714
        .size:           2
        .value_kind:     hidden_remainder_x
      - .offset:         716
        .size:           2
        .value_kind:     hidden_remainder_y
      - .offset:         718
        .size:           2
        .value_kind:     hidden_remainder_z
      - .offset:         736
        .size:           8
        .value_kind:     hidden_global_offset_x
      - .offset:         744
        .size:           8
        .value_kind:     hidden_global_offset_y
      - .offset:         752
        .size:           8
        .value_kind:     hidden_global_offset_z
      - .offset:         760
        .size:           2
        .value_kind:     hidden_grid_dims
    .group_segment_fixed_size: 4112
    .kernarg_segment_align: 8
    .kernarg_segment_size: 952
    .language:       OpenCL C
    .language_version:
      - 2
      - 0
    .max_flat_workgroup_size: 1024
    .name:           _ZN2at6native6sbtopk10gatherTopKIdjLi3ELb0EEEvNS_4cuda6detail10TensorInfoIKT_T0_EES8_S8_bS8_S8_NS5_IS6_S8_EES8_NS5_IlS8_EES8_PS6_
    .private_segment_fixed_size: 0
    .sgpr_count:     100
    .sgpr_spill_count: 66
    .symbol:         _ZN2at6native6sbtopk10gatherTopKIdjLi3ELb0EEEvNS_4cuda6detail10TensorInfoIKT_T0_EES8_S8_bS8_S8_NS5_IS6_S8_EES8_NS5_IlS8_EES8_PS6_.kd
    .uniform_work_group_size: 1
    .uses_dynamic_stack: false
    .vgpr_count:     48
    .vgpr_spill_count: 0
    .wavefront_size: 64
  - .args:
      - .offset:         0
        .size:           216
        .value_kind:     by_value
      - .offset:         216
        .size:           4
        .value_kind:     by_value
      - .address_space:  global
        .offset:         224
        .size:           8
        .value_kind:     global_buffer
      - .offset:         232
        .size:           4
        .value_kind:     by_value
      - .offset:         236
        .size:           4
        .value_kind:     by_value
      - .offset:         240
        .size:           4
        .value_kind:     by_value
      - .offset:         244
        .size:           4
        .value_kind:     by_value
      - .offset:         248
        .size:           4
        .value_kind:     by_value
      - .offset:         256
        .size:           8
        .value_kind:     by_value
      - .address_space:  global
        .offset:         264
        .size:           8
        .value_kind:     global_buffer
      - .address_space:  global
        .offset:         272
        .size:           8
        .value_kind:     global_buffer
      - .offset:         280
        .size:           4
        .value_kind:     hidden_block_count_x
      - .offset:         284
        .size:           4
        .value_kind:     hidden_block_count_y
      - .offset:         288
        .size:           4
        .value_kind:     hidden_block_count_z
      - .offset:         292
        .size:           2
        .value_kind:     hidden_group_size_x
      - .offset:         294
        .size:           2
        .value_kind:     hidden_group_size_y
      - .offset:         296
        .size:           2
        .value_kind:     hidden_group_size_z
      - .offset:         298
        .size:           2
        .value_kind:     hidden_remainder_x
      - .offset:         300
        .size:           2
        .value_kind:     hidden_remainder_y
      - .offset:         302
        .size:           2
        .value_kind:     hidden_remainder_z
      - .offset:         320
        .size:           8
        .value_kind:     hidden_global_offset_x
      - .offset:         328
        .size:           8
        .value_kind:     hidden_global_offset_y
      - .offset:         336
        .size:           8
        .value_kind:     hidden_global_offset_z
      - .offset:         344
        .size:           2
        .value_kind:     hidden_grid_dims
    .group_segment_fixed_size: 1024
    .kernarg_segment_align: 8
    .kernarg_segment_size: 536
    .language:       OpenCL C
    .language_version:
      - 2
      - 0
    .max_flat_workgroup_size: 256
    .name:           _ZN2at6native6mbtopk23computeBlockDigitCountsIdjmLin1EEEvNS_4cuda6detail10TensorInfoIKT_T0_EEjPjjS8_iijT1_PSB_Ps
    .private_segment_fixed_size: 0
    .sgpr_count:     29
    .sgpr_spill_count: 0
    .symbol:         _ZN2at6native6mbtopk23computeBlockDigitCountsIdjmLin1EEEvNS_4cuda6detail10TensorInfoIKT_T0_EEjPjjS8_iijT1_PSB_Ps.kd
    .uniform_work_group_size: 1
    .uses_dynamic_stack: false
    .vgpr_count:     14
    .vgpr_spill_count: 0
    .wavefront_size: 64
  - .args:
      - .offset:         0
        .size:           216
        .value_kind:     by_value
      - .offset:         216
        .size:           4
        .value_kind:     by_value
      - .offset:         220
        .size:           4
        .value_kind:     by_value
      - .offset:         224
        .size:           1
        .value_kind:     by_value
      - .offset:         228
        .size:           4
        .value_kind:     by_value
      - .offset:         232
        .size:           4
        .value_kind:     by_value
      - .offset:         240
        .size:           216
        .value_kind:     by_value
      - .offset:         456
        .size:           4
        .value_kind:     by_value
      - .offset:         464
        .size:           216
        .value_kind:     by_value
      - .offset:         680
        .size:           4
        .value_kind:     by_value
      - .offset:         684
        .size:           4
        .value_kind:     by_value
      - .offset:         688
        .size:           4
        .value_kind:     by_value
      - .address_space:  global
        .offset:         696
        .size:           8
        .value_kind:     global_buffer
      - .address_space:  global
        .offset:         704
        .size:           8
        .value_kind:     global_buffer
      - .address_space:  global
        .offset:         712
        .size:           8
        .value_kind:     global_buffer
      - .offset:         720
        .size:           4
        .value_kind:     by_value
      - .offset:         728
        .size:           4
        .value_kind:     hidden_block_count_x
      - .offset:         732
        .size:           4
        .value_kind:     hidden_block_count_y
      - .offset:         736
        .size:           4
        .value_kind:     hidden_block_count_z
      - .offset:         740
        .size:           2
        .value_kind:     hidden_group_size_x
      - .offset:         742
        .size:           2
        .value_kind:     hidden_group_size_y
      - .offset:         744
        .size:           2
        .value_kind:     hidden_group_size_z
      - .offset:         746
        .size:           2
        .value_kind:     hidden_remainder_x
      - .offset:         748
        .size:           2
        .value_kind:     hidden_remainder_y
      - .offset:         750
        .size:           2
        .value_kind:     hidden_remainder_z
      - .offset:         768
        .size:           8
        .value_kind:     hidden_global_offset_x
      - .offset:         776
        .size:           8
        .value_kind:     hidden_global_offset_y
      - .offset:         784
        .size:           8
        .value_kind:     hidden_global_offset_z
      - .offset:         792
        .size:           2
        .value_kind:     hidden_grid_dims
    .group_segment_fixed_size: 1068
    .kernarg_segment_align: 8
    .kernarg_segment_size: 984
    .language:       OpenCL C
    .language_version:
      - 2
      - 0
    .max_flat_workgroup_size: 256
    .name:           _ZN2at6native6mbtopk10gatherTopKIdjLin1EEEvNS_4cuda6detail10TensorInfoIKT_T0_EES8_S8_bjS8_NS5_IS6_S8_EES8_NS5_IlS8_EES8_jjPS6_PjSD_j
    .private_segment_fixed_size: 0
    .sgpr_count:     51
    .sgpr_spill_count: 0
    .symbol:         _ZN2at6native6mbtopk10gatherTopKIdjLin1EEEvNS_4cuda6detail10TensorInfoIKT_T0_EES8_S8_bjS8_NS5_IS6_S8_EES8_NS5_IlS8_EES8_jjPS6_PjSD_j.kd
    .uniform_work_group_size: 1
    .uses_dynamic_stack: false
    .vgpr_count:     20
    .vgpr_spill_count: 0
    .wavefront_size: 64
  - .args:
      - .offset:         0
        .size:           216
        .value_kind:     by_value
      - .offset:         216
        .size:           4
        .value_kind:     by_value
      - .offset:         220
        .size:           4
        .value_kind:     by_value
      - .offset:         224
        .size:           1
        .value_kind:     by_value
      - .offset:         228
        .size:           4
        .value_kind:     by_value
      - .offset:         232
        .size:           4
        .value_kind:     by_value
      - .offset:         240
        .size:           216
        .value_kind:     by_value
      - .offset:         456
        .size:           4
        .value_kind:     by_value
      - .offset:         464
        .size:           216
        .value_kind:     by_value
      - .offset:         680
        .size:           4
        .value_kind:     by_value
      - .address_space:  global
        .offset:         688
        .size:           8
        .value_kind:     global_buffer
      - .offset:         696
        .size:           4
        .value_kind:     hidden_block_count_x
      - .offset:         700
        .size:           4
        .value_kind:     hidden_block_count_y
      - .offset:         704
        .size:           4
        .value_kind:     hidden_block_count_z
      - .offset:         708
        .size:           2
        .value_kind:     hidden_group_size_x
      - .offset:         710
        .size:           2
        .value_kind:     hidden_group_size_y
      - .offset:         712
        .size:           2
        .value_kind:     hidden_group_size_z
      - .offset:         714
        .size:           2
        .value_kind:     hidden_remainder_x
      - .offset:         716
        .size:           2
        .value_kind:     hidden_remainder_y
      - .offset:         718
        .size:           2
        .value_kind:     hidden_remainder_z
      - .offset:         736
        .size:           8
        .value_kind:     hidden_global_offset_x
      - .offset:         744
        .size:           8
        .value_kind:     hidden_global_offset_y
      - .offset:         752
        .size:           8
        .value_kind:     hidden_global_offset_z
      - .offset:         760
        .size:           2
        .value_kind:     hidden_grid_dims
    .group_segment_fixed_size: 4112
    .kernarg_segment_align: 8
    .kernarg_segment_size: 952
    .language:       OpenCL C
    .language_version:
      - 2
      - 0
    .max_flat_workgroup_size: 1024
    .name:           _ZN2at6native6sbtopk10gatherTopKIdjLin1ELb0EEEvNS_4cuda6detail10TensorInfoIKT_T0_EES8_S8_bS8_S8_NS5_IS6_S8_EES8_NS5_IlS8_EES8_PS6_
    .private_segment_fixed_size: 0
    .sgpr_count:     100
    .sgpr_spill_count: 46
    .symbol:         _ZN2at6native6sbtopk10gatherTopKIdjLin1ELb0EEEvNS_4cuda6detail10TensorInfoIKT_T0_EES8_S8_bS8_S8_NS5_IS6_S8_EES8_NS5_IlS8_EES8_PS6_.kd
    .uniform_work_group_size: 1
    .uses_dynamic_stack: false
    .vgpr_count:     48
    .vgpr_spill_count: 0
    .wavefront_size: 64
  - .args:
      - .offset:         0
        .size:           216
        .value_kind:     by_value
      - .offset:         216
        .size:           4
        .value_kind:     by_value
      - .address_space:  global
        .offset:         224
        .size:           8
        .value_kind:     global_buffer
      - .offset:         232
        .size:           4
        .value_kind:     by_value
      - .offset:         236
        .size:           4
        .value_kind:     by_value
      - .offset:         240
        .size:           4
        .value_kind:     by_value
      - .offset:         244
        .size:           4
        .value_kind:     by_value
      - .offset:         248
        .size:           4
        .value_kind:     by_value
      - .offset:         252
        .size:           4
        .value_kind:     by_value
      - .address_space:  global
        .offset:         256
        .size:           8
        .value_kind:     global_buffer
      - .address_space:  global
        .offset:         264
        .size:           8
        .value_kind:     global_buffer
      - .offset:         272
        .size:           4
        .value_kind:     hidden_block_count_x
      - .offset:         276
        .size:           4
        .value_kind:     hidden_block_count_y
      - .offset:         280
        .size:           4
        .value_kind:     hidden_block_count_z
      - .offset:         284
        .size:           2
        .value_kind:     hidden_group_size_x
      - .offset:         286
        .size:           2
        .value_kind:     hidden_group_size_y
      - .offset:         288
        .size:           2
        .value_kind:     hidden_group_size_z
      - .offset:         290
        .size:           2
        .value_kind:     hidden_remainder_x
      - .offset:         292
        .size:           2
        .value_kind:     hidden_remainder_y
      - .offset:         294
        .size:           2
        .value_kind:     hidden_remainder_z
      - .offset:         312
        .size:           8
        .value_kind:     hidden_global_offset_x
      - .offset:         320
        .size:           8
        .value_kind:     hidden_global_offset_y
      - .offset:         328
        .size:           8
        .value_kind:     hidden_global_offset_z
      - .offset:         336
        .size:           2
        .value_kind:     hidden_grid_dims
    .group_segment_fixed_size: 1024
    .kernarg_segment_align: 8
    .kernarg_segment_size: 528
    .language:       OpenCL C
    .language_version:
      - 2
      - 0
    .max_flat_workgroup_size: 256
    .name:           _ZN2at6native6mbtopk23computeBlockDigitCountsIfjjLi1EEEvNS_4cuda6detail10TensorInfoIKT_T0_EEjPjjS8_iijT1_PSB_Ps
    .private_segment_fixed_size: 0
    .sgpr_count:     24
    .sgpr_spill_count: 0
    .symbol:         _ZN2at6native6mbtopk23computeBlockDigitCountsIfjjLi1EEEvNS_4cuda6detail10TensorInfoIKT_T0_EEjPjjS8_iijT1_PSB_Ps.kd
    .uniform_work_group_size: 1
    .uses_dynamic_stack: false
    .vgpr_count:     13
    .vgpr_spill_count: 0
    .wavefront_size: 64
  - .args:
      - .address_space:  global
        .offset:         0
        .size:           8
        .value_kind:     global_buffer
      - .address_space:  global
        .offset:         8
        .size:           8
        .value_kind:     global_buffer
      - .address_space:  global
        .offset:         16
        .size:           8
        .value_kind:     global_buffer
      - .offset:         24
        .size:           4
        .value_kind:     by_value
      - .offset:         28
        .size:           4
        .value_kind:     by_value
      - .offset:         32
        .size:           1
        .value_kind:     by_value
      - .address_space:  global
        .offset:         40
        .size:           8
        .value_kind:     global_buffer
      - .address_space:  global
        .offset:         48
        .size:           8
        .value_kind:     global_buffer
      - .address_space:  global
        .offset:         56
        .size:           8
        .value_kind:     global_buffer
      - .address_space:  global
        .offset:         64
        .size:           8
        .value_kind:     global_buffer
      - .address_space:  global
        .offset:         72
        .size:           8
        .value_kind:     global_buffer
      - .offset:         80
        .size:           4
        .value_kind:     by_value
      - .offset:         88
        .size:           4
        .value_kind:     hidden_block_count_x
      - .offset:         92
        .size:           4
        .value_kind:     hidden_block_count_y
      - .offset:         96
        .size:           4
        .value_kind:     hidden_block_count_z
      - .offset:         100
        .size:           2
        .value_kind:     hidden_group_size_x
      - .offset:         102
        .size:           2
        .value_kind:     hidden_group_size_y
      - .offset:         104
        .size:           2
        .value_kind:     hidden_group_size_z
      - .offset:         106
        .size:           2
        .value_kind:     hidden_remainder_x
      - .offset:         108
        .size:           2
        .value_kind:     hidden_remainder_y
      - .offset:         110
        .size:           2
        .value_kind:     hidden_remainder_z
      - .offset:         128
        .size:           8
        .value_kind:     hidden_global_offset_x
      - .offset:         136
        .size:           8
        .value_kind:     hidden_global_offset_y
      - .offset:         144
        .size:           8
        .value_kind:     hidden_global_offset_z
      - .offset:         152
        .size:           2
        .value_kind:     hidden_grid_dims
    .group_segment_fixed_size: 2100
    .kernarg_segment_align: 8
    .kernarg_segment_size: 344
    .language:       OpenCL C
    .language_version:
      - 2
      - 0
    .max_flat_workgroup_size: 256
    .name:           _ZN2at6native6mbtopk29computeBlockwiseWithinKCountsIjfEEvPT_PsPjjibS6_PT0_S6_S4_S6_j
    .private_segment_fixed_size: 0
    .sgpr_count:     34
    .sgpr_spill_count: 0
    .symbol:         _ZN2at6native6mbtopk29computeBlockwiseWithinKCountsIjfEEvPT_PsPjjibS6_PT0_S6_S4_S6_j.kd
    .uniform_work_group_size: 1
    .uses_dynamic_stack: false
    .vgpr_count:     11
    .vgpr_spill_count: 0
    .wavefront_size: 64
  - .args:
      - .offset:         0
        .size:           216
        .value_kind:     by_value
      - .offset:         216
        .size:           4
        .value_kind:     by_value
      - .offset:         220
        .size:           4
        .value_kind:     by_value
      - .offset:         224
        .size:           1
        .value_kind:     by_value
      - .offset:         228
        .size:           4
        .value_kind:     by_value
      - .offset:         232
        .size:           4
        .value_kind:     by_value
      - .offset:         240
        .size:           216
        .value_kind:     by_value
      - .offset:         456
        .size:           4
        .value_kind:     by_value
      - .offset:         464
        .size:           216
        .value_kind:     by_value
      - .offset:         680
        .size:           4
        .value_kind:     by_value
      - .offset:         684
        .size:           4
        .value_kind:     by_value
      - .offset:         688
        .size:           4
        .value_kind:     by_value
      - .address_space:  global
        .offset:         696
        .size:           8
        .value_kind:     global_buffer
      - .address_space:  global
        .offset:         704
        .size:           8
        .value_kind:     global_buffer
      - .address_space:  global
        .offset:         712
        .size:           8
        .value_kind:     global_buffer
      - .offset:         720
        .size:           4
        .value_kind:     by_value
      - .offset:         728
        .size:           4
        .value_kind:     hidden_block_count_x
      - .offset:         732
        .size:           4
        .value_kind:     hidden_block_count_y
      - .offset:         736
        .size:           4
        .value_kind:     hidden_block_count_z
      - .offset:         740
        .size:           2
        .value_kind:     hidden_group_size_x
      - .offset:         742
        .size:           2
        .value_kind:     hidden_group_size_y
      - .offset:         744
        .size:           2
        .value_kind:     hidden_group_size_z
      - .offset:         746
        .size:           2
        .value_kind:     hidden_remainder_x
      - .offset:         748
        .size:           2
        .value_kind:     hidden_remainder_y
      - .offset:         750
        .size:           2
        .value_kind:     hidden_remainder_z
      - .offset:         768
        .size:           8
        .value_kind:     hidden_global_offset_x
      - .offset:         776
        .size:           8
        .value_kind:     hidden_global_offset_y
      - .offset:         784
        .size:           8
        .value_kind:     hidden_global_offset_z
      - .offset:         792
        .size:           2
        .value_kind:     hidden_grid_dims
    .group_segment_fixed_size: 1068
    .kernarg_segment_align: 8
    .kernarg_segment_size: 984
    .language:       OpenCL C
    .language_version:
      - 2
      - 0
    .max_flat_workgroup_size: 256
    .name:           _ZN2at6native6mbtopk10gatherTopKIfjLi1EEEvNS_4cuda6detail10TensorInfoIKT_T0_EES8_S8_bjS8_NS5_IS6_S8_EES8_NS5_IlS8_EES8_jjPS6_PjSD_j
    .private_segment_fixed_size: 0
    .sgpr_count:     43
    .sgpr_spill_count: 0
    .symbol:         _ZN2at6native6mbtopk10gatherTopKIfjLi1EEEvNS_4cuda6detail10TensorInfoIKT_T0_EES8_S8_bjS8_NS5_IS6_S8_EES8_NS5_IlS8_EES8_jjPS6_PjSD_j.kd
    .uniform_work_group_size: 1
    .uses_dynamic_stack: false
    .vgpr_count:     20
    .vgpr_spill_count: 0
    .wavefront_size: 64
  - .args:
      - .offset:         0
        .size:           216
        .value_kind:     by_value
      - .offset:         216
        .size:           4
        .value_kind:     by_value
      - .offset:         220
        .size:           4
        .value_kind:     by_value
      - .offset:         224
        .size:           1
        .value_kind:     by_value
      - .offset:         228
        .size:           4
        .value_kind:     by_value
      - .offset:         232
        .size:           4
        .value_kind:     by_value
      - .offset:         240
        .size:           216
        .value_kind:     by_value
      - .offset:         456
        .size:           4
        .value_kind:     by_value
      - .offset:         464
        .size:           216
        .value_kind:     by_value
      - .offset:         680
        .size:           4
        .value_kind:     by_value
      - .address_space:  global
        .offset:         688
        .size:           8
        .value_kind:     global_buffer
      - .offset:         696
        .size:           4
        .value_kind:     hidden_block_count_x
      - .offset:         700
        .size:           4
        .value_kind:     hidden_block_count_y
      - .offset:         704
        .size:           4
        .value_kind:     hidden_block_count_z
      - .offset:         708
        .size:           2
        .value_kind:     hidden_group_size_x
      - .offset:         710
        .size:           2
        .value_kind:     hidden_group_size_y
      - .offset:         712
        .size:           2
        .value_kind:     hidden_group_size_z
      - .offset:         714
        .size:           2
        .value_kind:     hidden_remainder_x
      - .offset:         716
        .size:           2
        .value_kind:     hidden_remainder_y
      - .offset:         718
        .size:           2
        .value_kind:     hidden_remainder_z
      - .offset:         736
        .size:           8
        .value_kind:     hidden_global_offset_x
      - .offset:         744
        .size:           8
        .value_kind:     hidden_global_offset_y
      - .offset:         752
        .size:           8
        .value_kind:     hidden_global_offset_z
      - .offset:         760
        .size:           2
        .value_kind:     hidden_grid_dims
    .group_segment_fixed_size: 4112
    .kernarg_segment_align: 8
    .kernarg_segment_size: 952
    .language:       OpenCL C
    .language_version:
      - 2
      - 0
    .max_flat_workgroup_size: 1024
    .name:           _ZN2at6native6sbtopk10gatherTopKIfjLi1ELb0EEEvNS_4cuda6detail10TensorInfoIKT_T0_EES8_S8_bS8_S8_NS5_IS6_S8_EES8_NS5_IlS8_EES8_PS6_
    .private_segment_fixed_size: 0
    .sgpr_count:     100
    .sgpr_spill_count: 39
    .symbol:         _ZN2at6native6sbtopk10gatherTopKIfjLi1ELb0EEEvNS_4cuda6detail10TensorInfoIKT_T0_EES8_S8_bS8_S8_NS5_IS6_S8_EES8_NS5_IlS8_EES8_PS6_.kd
    .uniform_work_group_size: 1
    .uses_dynamic_stack: false
    .vgpr_count:     48
    .vgpr_spill_count: 0
    .wavefront_size: 64
  - .args:
      - .offset:         0
        .size:           216
        .value_kind:     by_value
      - .offset:         216
        .size:           4
        .value_kind:     by_value
      - .address_space:  global
        .offset:         224
        .size:           8
        .value_kind:     global_buffer
      - .offset:         232
        .size:           4
        .value_kind:     by_value
      - .offset:         236
        .size:           4
        .value_kind:     by_value
      - .offset:         240
        .size:           4
        .value_kind:     by_value
      - .offset:         244
        .size:           4
        .value_kind:     by_value
      - .offset:         248
        .size:           4
        .value_kind:     by_value
      - .offset:         252
        .size:           4
        .value_kind:     by_value
      - .address_space:  global
        .offset:         256
        .size:           8
        .value_kind:     global_buffer
      - .address_space:  global
        .offset:         264
        .size:           8
        .value_kind:     global_buffer
      - .offset:         272
        .size:           4
        .value_kind:     hidden_block_count_x
      - .offset:         276
        .size:           4
        .value_kind:     hidden_block_count_y
      - .offset:         280
        .size:           4
        .value_kind:     hidden_block_count_z
      - .offset:         284
        .size:           2
        .value_kind:     hidden_group_size_x
      - .offset:         286
        .size:           2
        .value_kind:     hidden_group_size_y
      - .offset:         288
        .size:           2
        .value_kind:     hidden_group_size_z
      - .offset:         290
        .size:           2
        .value_kind:     hidden_remainder_x
      - .offset:         292
        .size:           2
        .value_kind:     hidden_remainder_y
      - .offset:         294
        .size:           2
        .value_kind:     hidden_remainder_z
      - .offset:         312
        .size:           8
        .value_kind:     hidden_global_offset_x
      - .offset:         320
        .size:           8
        .value_kind:     hidden_global_offset_y
      - .offset:         328
        .size:           8
        .value_kind:     hidden_global_offset_z
      - .offset:         336
        .size:           2
        .value_kind:     hidden_grid_dims
    .group_segment_fixed_size: 1024
    .kernarg_segment_align: 8
    .kernarg_segment_size: 528
    .language:       OpenCL C
    .language_version:
      - 2
      - 0
    .max_flat_workgroup_size: 256
    .name:           _ZN2at6native6mbtopk23computeBlockDigitCountsIfjjLi2EEEvNS_4cuda6detail10TensorInfoIKT_T0_EEjPjjS8_iijT1_PSB_Ps
    .private_segment_fixed_size: 0
    .sgpr_count:     26
    .sgpr_spill_count: 0
    .symbol:         _ZN2at6native6mbtopk23computeBlockDigitCountsIfjjLi2EEEvNS_4cuda6detail10TensorInfoIKT_T0_EEjPjjS8_iijT1_PSB_Ps.kd
    .uniform_work_group_size: 1
    .uses_dynamic_stack: false
    .vgpr_count:     13
    .vgpr_spill_count: 0
    .wavefront_size: 64
  - .args:
      - .offset:         0
        .size:           216
        .value_kind:     by_value
      - .offset:         216
        .size:           4
        .value_kind:     by_value
      - .offset:         220
        .size:           4
        .value_kind:     by_value
      - .offset:         224
        .size:           1
        .value_kind:     by_value
      - .offset:         228
        .size:           4
        .value_kind:     by_value
      - .offset:         232
        .size:           4
        .value_kind:     by_value
      - .offset:         240
        .size:           216
        .value_kind:     by_value
      - .offset:         456
        .size:           4
        .value_kind:     by_value
      - .offset:         464
        .size:           216
        .value_kind:     by_value
      - .offset:         680
        .size:           4
        .value_kind:     by_value
      - .offset:         684
        .size:           4
        .value_kind:     by_value
      - .offset:         688
        .size:           4
        .value_kind:     by_value
      - .address_space:  global
        .offset:         696
        .size:           8
        .value_kind:     global_buffer
      - .address_space:  global
        .offset:         704
        .size:           8
        .value_kind:     global_buffer
      - .address_space:  global
        .offset:         712
        .size:           8
        .value_kind:     global_buffer
      - .offset:         720
        .size:           4
        .value_kind:     by_value
      - .offset:         728
        .size:           4
        .value_kind:     hidden_block_count_x
      - .offset:         732
        .size:           4
        .value_kind:     hidden_block_count_y
      - .offset:         736
        .size:           4
        .value_kind:     hidden_block_count_z
      - .offset:         740
        .size:           2
        .value_kind:     hidden_group_size_x
      - .offset:         742
        .size:           2
        .value_kind:     hidden_group_size_y
      - .offset:         744
        .size:           2
        .value_kind:     hidden_group_size_z
      - .offset:         746
        .size:           2
        .value_kind:     hidden_remainder_x
      - .offset:         748
        .size:           2
        .value_kind:     hidden_remainder_y
      - .offset:         750
        .size:           2
        .value_kind:     hidden_remainder_z
      - .offset:         768
        .size:           8
        .value_kind:     hidden_global_offset_x
      - .offset:         776
        .size:           8
        .value_kind:     hidden_global_offset_y
      - .offset:         784
        .size:           8
        .value_kind:     hidden_global_offset_z
      - .offset:         792
        .size:           2
        .value_kind:     hidden_grid_dims
    .group_segment_fixed_size: 1068
    .kernarg_segment_align: 8
    .kernarg_segment_size: 984
    .language:       OpenCL C
    .language_version:
      - 2
      - 0
    .max_flat_workgroup_size: 256
    .name:           _ZN2at6native6mbtopk10gatherTopKIfjLi2EEEvNS_4cuda6detail10TensorInfoIKT_T0_EES8_S8_bjS8_NS5_IS6_S8_EES8_NS5_IlS8_EES8_jjPS6_PjSD_j
    .private_segment_fixed_size: 0
    .sgpr_count:     55
    .sgpr_spill_count: 0
    .symbol:         _ZN2at6native6mbtopk10gatherTopKIfjLi2EEEvNS_4cuda6detail10TensorInfoIKT_T0_EES8_S8_bjS8_NS5_IS6_S8_EES8_NS5_IlS8_EES8_jjPS6_PjSD_j.kd
    .uniform_work_group_size: 1
    .uses_dynamic_stack: false
    .vgpr_count:     20
    .vgpr_spill_count: 0
    .wavefront_size: 64
  - .args:
      - .offset:         0
        .size:           216
        .value_kind:     by_value
      - .offset:         216
        .size:           4
        .value_kind:     by_value
      - .offset:         220
        .size:           4
        .value_kind:     by_value
      - .offset:         224
        .size:           1
        .value_kind:     by_value
      - .offset:         228
        .size:           4
        .value_kind:     by_value
      - .offset:         232
        .size:           4
        .value_kind:     by_value
      - .offset:         240
        .size:           216
        .value_kind:     by_value
      - .offset:         456
        .size:           4
        .value_kind:     by_value
      - .offset:         464
        .size:           216
        .value_kind:     by_value
      - .offset:         680
        .size:           4
        .value_kind:     by_value
      - .address_space:  global
        .offset:         688
        .size:           8
        .value_kind:     global_buffer
      - .offset:         696
        .size:           4
        .value_kind:     hidden_block_count_x
      - .offset:         700
        .size:           4
        .value_kind:     hidden_block_count_y
      - .offset:         704
        .size:           4
        .value_kind:     hidden_block_count_z
      - .offset:         708
        .size:           2
        .value_kind:     hidden_group_size_x
      - .offset:         710
        .size:           2
        .value_kind:     hidden_group_size_y
      - .offset:         712
        .size:           2
        .value_kind:     hidden_group_size_z
      - .offset:         714
        .size:           2
        .value_kind:     hidden_remainder_x
      - .offset:         716
        .size:           2
        .value_kind:     hidden_remainder_y
      - .offset:         718
        .size:           2
        .value_kind:     hidden_remainder_z
      - .offset:         736
        .size:           8
        .value_kind:     hidden_global_offset_x
      - .offset:         744
        .size:           8
        .value_kind:     hidden_global_offset_y
      - .offset:         752
        .size:           8
        .value_kind:     hidden_global_offset_z
      - .offset:         760
        .size:           2
        .value_kind:     hidden_grid_dims
    .group_segment_fixed_size: 4112
    .kernarg_segment_align: 8
    .kernarg_segment_size: 952
    .language:       OpenCL C
    .language_version:
      - 2
      - 0
    .max_flat_workgroup_size: 1024
    .name:           _ZN2at6native6sbtopk10gatherTopKIfjLi2ELb0EEEvNS_4cuda6detail10TensorInfoIKT_T0_EES8_S8_bS8_S8_NS5_IS6_S8_EES8_NS5_IlS8_EES8_PS6_
    .private_segment_fixed_size: 0
    .sgpr_count:     100
    .sgpr_spill_count: 46
    .symbol:         _ZN2at6native6sbtopk10gatherTopKIfjLi2ELb0EEEvNS_4cuda6detail10TensorInfoIKT_T0_EES8_S8_bS8_S8_NS5_IS6_S8_EES8_NS5_IlS8_EES8_PS6_.kd
    .uniform_work_group_size: 1
    .uses_dynamic_stack: false
    .vgpr_count:     48
    .vgpr_spill_count: 0
    .wavefront_size: 64
  - .args:
      - .offset:         0
        .size:           216
        .value_kind:     by_value
      - .offset:         216
        .size:           4
        .value_kind:     by_value
      - .address_space:  global
        .offset:         224
        .size:           8
        .value_kind:     global_buffer
      - .offset:         232
        .size:           4
        .value_kind:     by_value
      - .offset:         236
        .size:           4
        .value_kind:     by_value
      - .offset:         240
        .size:           4
        .value_kind:     by_value
      - .offset:         244
        .size:           4
        .value_kind:     by_value
      - .offset:         248
        .size:           4
        .value_kind:     by_value
      - .offset:         252
        .size:           4
        .value_kind:     by_value
      - .address_space:  global
        .offset:         256
        .size:           8
        .value_kind:     global_buffer
      - .address_space:  global
        .offset:         264
        .size:           8
        .value_kind:     global_buffer
      - .offset:         272
        .size:           4
        .value_kind:     hidden_block_count_x
      - .offset:         276
        .size:           4
        .value_kind:     hidden_block_count_y
      - .offset:         280
        .size:           4
        .value_kind:     hidden_block_count_z
      - .offset:         284
        .size:           2
        .value_kind:     hidden_group_size_x
      - .offset:         286
        .size:           2
        .value_kind:     hidden_group_size_y
      - .offset:         288
        .size:           2
        .value_kind:     hidden_group_size_z
      - .offset:         290
        .size:           2
        .value_kind:     hidden_remainder_x
      - .offset:         292
        .size:           2
        .value_kind:     hidden_remainder_y
      - .offset:         294
        .size:           2
        .value_kind:     hidden_remainder_z
      - .offset:         312
        .size:           8
        .value_kind:     hidden_global_offset_x
      - .offset:         320
        .size:           8
        .value_kind:     hidden_global_offset_y
      - .offset:         328
        .size:           8
        .value_kind:     hidden_global_offset_z
      - .offset:         336
        .size:           2
        .value_kind:     hidden_grid_dims
    .group_segment_fixed_size: 1024
    .kernarg_segment_align: 8
    .kernarg_segment_size: 528
    .language:       OpenCL C
    .language_version:
      - 2
      - 0
    .max_flat_workgroup_size: 256
    .name:           _ZN2at6native6mbtopk23computeBlockDigitCountsIfjjLi3EEEvNS_4cuda6detail10TensorInfoIKT_T0_EEjPjjS8_iijT1_PSB_Ps
    .private_segment_fixed_size: 0
    .sgpr_count:     30
    .sgpr_spill_count: 0
    .symbol:         _ZN2at6native6mbtopk23computeBlockDigitCountsIfjjLi3EEEvNS_4cuda6detail10TensorInfoIKT_T0_EEjPjjS8_iijT1_PSB_Ps.kd
    .uniform_work_group_size: 1
    .uses_dynamic_stack: false
    .vgpr_count:     13
    .vgpr_spill_count: 0
    .wavefront_size: 64
  - .args:
      - .offset:         0
        .size:           216
        .value_kind:     by_value
      - .offset:         216
        .size:           4
        .value_kind:     by_value
      - .offset:         220
        .size:           4
        .value_kind:     by_value
      - .offset:         224
        .size:           1
        .value_kind:     by_value
      - .offset:         228
        .size:           4
        .value_kind:     by_value
      - .offset:         232
        .size:           4
        .value_kind:     by_value
      - .offset:         240
        .size:           216
        .value_kind:     by_value
      - .offset:         456
        .size:           4
        .value_kind:     by_value
      - .offset:         464
        .size:           216
        .value_kind:     by_value
      - .offset:         680
        .size:           4
        .value_kind:     by_value
      - .offset:         684
        .size:           4
        .value_kind:     by_value
      - .offset:         688
        .size:           4
        .value_kind:     by_value
      - .address_space:  global
        .offset:         696
        .size:           8
        .value_kind:     global_buffer
      - .address_space:  global
        .offset:         704
        .size:           8
        .value_kind:     global_buffer
      - .address_space:  global
        .offset:         712
        .size:           8
        .value_kind:     global_buffer
      - .offset:         720
        .size:           4
        .value_kind:     by_value
      - .offset:         728
        .size:           4
        .value_kind:     hidden_block_count_x
      - .offset:         732
        .size:           4
        .value_kind:     hidden_block_count_y
      - .offset:         736
        .size:           4
        .value_kind:     hidden_block_count_z
      - .offset:         740
        .size:           2
        .value_kind:     hidden_group_size_x
      - .offset:         742
        .size:           2
        .value_kind:     hidden_group_size_y
      - .offset:         744
        .size:           2
        .value_kind:     hidden_group_size_z
      - .offset:         746
        .size:           2
        .value_kind:     hidden_remainder_x
      - .offset:         748
        .size:           2
        .value_kind:     hidden_remainder_y
      - .offset:         750
        .size:           2
        .value_kind:     hidden_remainder_z
      - .offset:         768
        .size:           8
        .value_kind:     hidden_global_offset_x
      - .offset:         776
        .size:           8
        .value_kind:     hidden_global_offset_y
      - .offset:         784
        .size:           8
        .value_kind:     hidden_global_offset_z
      - .offset:         792
        .size:           2
        .value_kind:     hidden_grid_dims
    .group_segment_fixed_size: 1068
    .kernarg_segment_align: 8
    .kernarg_segment_size: 984
    .language:       OpenCL C
    .language_version:
      - 2
      - 0
    .max_flat_workgroup_size: 256
    .name:           _ZN2at6native6mbtopk10gatherTopKIfjLi3EEEvNS_4cuda6detail10TensorInfoIKT_T0_EES8_S8_bjS8_NS5_IS6_S8_EES8_NS5_IlS8_EES8_jjPS6_PjSD_j
    .private_segment_fixed_size: 0
    .sgpr_count:     64
    .sgpr_spill_count: 0
    .symbol:         _ZN2at6native6mbtopk10gatherTopKIfjLi3EEEvNS_4cuda6detail10TensorInfoIKT_T0_EES8_S8_bjS8_NS5_IS6_S8_EES8_NS5_IlS8_EES8_jjPS6_PjSD_j.kd
    .uniform_work_group_size: 1
    .uses_dynamic_stack: false
    .vgpr_count:     20
    .vgpr_spill_count: 0
    .wavefront_size: 64
  - .args:
      - .offset:         0
        .size:           216
        .value_kind:     by_value
      - .offset:         216
        .size:           4
        .value_kind:     by_value
      - .offset:         220
        .size:           4
        .value_kind:     by_value
      - .offset:         224
        .size:           1
        .value_kind:     by_value
      - .offset:         228
        .size:           4
        .value_kind:     by_value
      - .offset:         232
        .size:           4
        .value_kind:     by_value
      - .offset:         240
        .size:           216
        .value_kind:     by_value
      - .offset:         456
        .size:           4
        .value_kind:     by_value
      - .offset:         464
        .size:           216
        .value_kind:     by_value
      - .offset:         680
        .size:           4
        .value_kind:     by_value
      - .address_space:  global
        .offset:         688
        .size:           8
        .value_kind:     global_buffer
      - .offset:         696
        .size:           4
        .value_kind:     hidden_block_count_x
      - .offset:         700
        .size:           4
        .value_kind:     hidden_block_count_y
      - .offset:         704
        .size:           4
        .value_kind:     hidden_block_count_z
      - .offset:         708
        .size:           2
        .value_kind:     hidden_group_size_x
      - .offset:         710
        .size:           2
        .value_kind:     hidden_group_size_y
      - .offset:         712
        .size:           2
        .value_kind:     hidden_group_size_z
      - .offset:         714
        .size:           2
        .value_kind:     hidden_remainder_x
      - .offset:         716
        .size:           2
        .value_kind:     hidden_remainder_y
      - .offset:         718
        .size:           2
        .value_kind:     hidden_remainder_z
      - .offset:         736
        .size:           8
        .value_kind:     hidden_global_offset_x
      - .offset:         744
        .size:           8
        .value_kind:     hidden_global_offset_y
      - .offset:         752
        .size:           8
        .value_kind:     hidden_global_offset_z
      - .offset:         760
        .size:           2
        .value_kind:     hidden_grid_dims
    .group_segment_fixed_size: 4112
    .kernarg_segment_align: 8
    .kernarg_segment_size: 952
    .language:       OpenCL C
    .language_version:
      - 2
      - 0
    .max_flat_workgroup_size: 1024
    .name:           _ZN2at6native6sbtopk10gatherTopKIfjLi3ELb0EEEvNS_4cuda6detail10TensorInfoIKT_T0_EES8_S8_bS8_S8_NS5_IS6_S8_EES8_NS5_IlS8_EES8_PS6_
    .private_segment_fixed_size: 0
    .sgpr_count:     100
    .sgpr_spill_count: 54
    .symbol:         _ZN2at6native6sbtopk10gatherTopKIfjLi3ELb0EEEvNS_4cuda6detail10TensorInfoIKT_T0_EES8_S8_bS8_S8_NS5_IS6_S8_EES8_NS5_IlS8_EES8_PS6_.kd
    .uniform_work_group_size: 1
    .uses_dynamic_stack: false
    .vgpr_count:     48
    .vgpr_spill_count: 0
    .wavefront_size: 64
  - .args:
      - .offset:         0
        .size:           216
        .value_kind:     by_value
      - .offset:         216
        .size:           4
        .value_kind:     by_value
      - .address_space:  global
        .offset:         224
        .size:           8
        .value_kind:     global_buffer
      - .offset:         232
        .size:           4
        .value_kind:     by_value
      - .offset:         236
        .size:           4
        .value_kind:     by_value
      - .offset:         240
        .size:           4
        .value_kind:     by_value
      - .offset:         244
        .size:           4
        .value_kind:     by_value
      - .offset:         248
        .size:           4
        .value_kind:     by_value
      - .offset:         252
        .size:           4
        .value_kind:     by_value
      - .address_space:  global
        .offset:         256
        .size:           8
        .value_kind:     global_buffer
      - .address_space:  global
        .offset:         264
        .size:           8
        .value_kind:     global_buffer
      - .offset:         272
        .size:           4
        .value_kind:     hidden_block_count_x
      - .offset:         276
        .size:           4
        .value_kind:     hidden_block_count_y
      - .offset:         280
        .size:           4
        .value_kind:     hidden_block_count_z
      - .offset:         284
        .size:           2
        .value_kind:     hidden_group_size_x
      - .offset:         286
        .size:           2
        .value_kind:     hidden_group_size_y
      - .offset:         288
        .size:           2
        .value_kind:     hidden_group_size_z
      - .offset:         290
        .size:           2
        .value_kind:     hidden_remainder_x
      - .offset:         292
        .size:           2
        .value_kind:     hidden_remainder_y
      - .offset:         294
        .size:           2
        .value_kind:     hidden_remainder_z
      - .offset:         312
        .size:           8
        .value_kind:     hidden_global_offset_x
      - .offset:         320
        .size:           8
        .value_kind:     hidden_global_offset_y
      - .offset:         328
        .size:           8
        .value_kind:     hidden_global_offset_z
      - .offset:         336
        .size:           2
        .value_kind:     hidden_grid_dims
    .group_segment_fixed_size: 1024
    .kernarg_segment_align: 8
    .kernarg_segment_size: 528
    .language:       OpenCL C
    .language_version:
      - 2
      - 0
    .max_flat_workgroup_size: 256
    .name:           _ZN2at6native6mbtopk23computeBlockDigitCountsIfjjLin1EEEvNS_4cuda6detail10TensorInfoIKT_T0_EEjPjjS8_iijT1_PSB_Ps
    .private_segment_fixed_size: 0
    .sgpr_count:     28
    .sgpr_spill_count: 0
    .symbol:         _ZN2at6native6mbtopk23computeBlockDigitCountsIfjjLin1EEEvNS_4cuda6detail10TensorInfoIKT_T0_EEjPjjS8_iijT1_PSB_Ps.kd
    .uniform_work_group_size: 1
    .uses_dynamic_stack: false
    .vgpr_count:     13
    .vgpr_spill_count: 0
    .wavefront_size: 64
  - .args:
      - .offset:         0
        .size:           216
        .value_kind:     by_value
      - .offset:         216
        .size:           4
        .value_kind:     by_value
      - .offset:         220
        .size:           4
        .value_kind:     by_value
      - .offset:         224
        .size:           1
        .value_kind:     by_value
      - .offset:         228
        .size:           4
        .value_kind:     by_value
      - .offset:         232
        .size:           4
        .value_kind:     by_value
      - .offset:         240
        .size:           216
        .value_kind:     by_value
      - .offset:         456
        .size:           4
        .value_kind:     by_value
      - .offset:         464
        .size:           216
        .value_kind:     by_value
      - .offset:         680
        .size:           4
        .value_kind:     by_value
      - .offset:         684
        .size:           4
        .value_kind:     by_value
      - .offset:         688
        .size:           4
        .value_kind:     by_value
      - .address_space:  global
        .offset:         696
        .size:           8
        .value_kind:     global_buffer
      - .address_space:  global
        .offset:         704
        .size:           8
        .value_kind:     global_buffer
      - .address_space:  global
        .offset:         712
        .size:           8
        .value_kind:     global_buffer
      - .offset:         720
        .size:           4
        .value_kind:     by_value
      - .offset:         728
        .size:           4
        .value_kind:     hidden_block_count_x
      - .offset:         732
        .size:           4
        .value_kind:     hidden_block_count_y
      - .offset:         736
        .size:           4
        .value_kind:     hidden_block_count_z
      - .offset:         740
        .size:           2
        .value_kind:     hidden_group_size_x
      - .offset:         742
        .size:           2
        .value_kind:     hidden_group_size_y
      - .offset:         744
        .size:           2
        .value_kind:     hidden_group_size_z
      - .offset:         746
        .size:           2
        .value_kind:     hidden_remainder_x
      - .offset:         748
        .size:           2
        .value_kind:     hidden_remainder_y
      - .offset:         750
        .size:           2
        .value_kind:     hidden_remainder_z
      - .offset:         768
        .size:           8
        .value_kind:     hidden_global_offset_x
      - .offset:         776
        .size:           8
        .value_kind:     hidden_global_offset_y
      - .offset:         784
        .size:           8
        .value_kind:     hidden_global_offset_z
      - .offset:         792
        .size:           2
        .value_kind:     hidden_grid_dims
    .group_segment_fixed_size: 1068
    .kernarg_segment_align: 8
    .kernarg_segment_size: 984
    .language:       OpenCL C
    .language_version:
      - 2
      - 0
    .max_flat_workgroup_size: 256
    .name:           _ZN2at6native6mbtopk10gatherTopKIfjLin1EEEvNS_4cuda6detail10TensorInfoIKT_T0_EES8_S8_bjS8_NS5_IS6_S8_EES8_NS5_IlS8_EES8_jjPS6_PjSD_j
    .private_segment_fixed_size: 0
    .sgpr_count:     50
    .sgpr_spill_count: 0
    .symbol:         _ZN2at6native6mbtopk10gatherTopKIfjLin1EEEvNS_4cuda6detail10TensorInfoIKT_T0_EES8_S8_bjS8_NS5_IS6_S8_EES8_NS5_IlS8_EES8_jjPS6_PjSD_j.kd
    .uniform_work_group_size: 1
    .uses_dynamic_stack: false
    .vgpr_count:     20
    .vgpr_spill_count: 0
    .wavefront_size: 64
  - .args:
      - .offset:         0
        .size:           216
        .value_kind:     by_value
      - .offset:         216
        .size:           4
        .value_kind:     by_value
      - .offset:         220
        .size:           4
        .value_kind:     by_value
      - .offset:         224
        .size:           1
        .value_kind:     by_value
      - .offset:         228
        .size:           4
        .value_kind:     by_value
      - .offset:         232
        .size:           4
        .value_kind:     by_value
      - .offset:         240
        .size:           216
        .value_kind:     by_value
      - .offset:         456
        .size:           4
        .value_kind:     by_value
      - .offset:         464
        .size:           216
        .value_kind:     by_value
      - .offset:         680
        .size:           4
        .value_kind:     by_value
      - .address_space:  global
        .offset:         688
        .size:           8
        .value_kind:     global_buffer
      - .offset:         696
        .size:           4
        .value_kind:     hidden_block_count_x
      - .offset:         700
        .size:           4
        .value_kind:     hidden_block_count_y
      - .offset:         704
        .size:           4
        .value_kind:     hidden_block_count_z
      - .offset:         708
        .size:           2
        .value_kind:     hidden_group_size_x
      - .offset:         710
        .size:           2
        .value_kind:     hidden_group_size_y
      - .offset:         712
        .size:           2
        .value_kind:     hidden_group_size_z
      - .offset:         714
        .size:           2
        .value_kind:     hidden_remainder_x
      - .offset:         716
        .size:           2
        .value_kind:     hidden_remainder_y
      - .offset:         718
        .size:           2
        .value_kind:     hidden_remainder_z
      - .offset:         736
        .size:           8
        .value_kind:     hidden_global_offset_x
      - .offset:         744
        .size:           8
        .value_kind:     hidden_global_offset_y
      - .offset:         752
        .size:           8
        .value_kind:     hidden_global_offset_z
      - .offset:         760
        .size:           2
        .value_kind:     hidden_grid_dims
    .group_segment_fixed_size: 4112
    .kernarg_segment_align: 8
    .kernarg_segment_size: 952
    .language:       OpenCL C
    .language_version:
      - 2
      - 0
    .max_flat_workgroup_size: 1024
    .name:           _ZN2at6native6sbtopk10gatherTopKIfjLin1ELb0EEEvNS_4cuda6detail10TensorInfoIKT_T0_EES8_S8_bS8_S8_NS5_IS6_S8_EES8_NS5_IlS8_EES8_PS6_
    .private_segment_fixed_size: 0
    .sgpr_count:     100
    .sgpr_spill_count: 46
    .symbol:         _ZN2at6native6sbtopk10gatherTopKIfjLin1ELb0EEEvNS_4cuda6detail10TensorInfoIKT_T0_EES8_S8_bS8_S8_NS5_IS6_S8_EES8_NS5_IlS8_EES8_PS6_.kd
    .uniform_work_group_size: 1
    .uses_dynamic_stack: false
    .vgpr_count:     48
    .vgpr_spill_count: 0
    .wavefront_size: 64
  - .args:
      - .offset:         0
        .size:           216
        .value_kind:     by_value
      - .offset:         216
        .size:           4
        .value_kind:     by_value
      - .address_space:  global
        .offset:         224
        .size:           8
        .value_kind:     global_buffer
      - .offset:         232
        .size:           4
        .value_kind:     by_value
      - .offset:         236
        .size:           4
        .value_kind:     by_value
      - .offset:         240
        .size:           4
        .value_kind:     by_value
      - .offset:         244
        .size:           4
        .value_kind:     by_value
      - .offset:         248
        .size:           4
        .value_kind:     by_value
      - .offset:         252
        .size:           4
        .value_kind:     by_value
      - .address_space:  global
        .offset:         256
        .size:           8
        .value_kind:     global_buffer
      - .address_space:  global
        .offset:         264
        .size:           8
        .value_kind:     global_buffer
      - .offset:         272
        .size:           4
        .value_kind:     hidden_block_count_x
      - .offset:         276
        .size:           4
        .value_kind:     hidden_block_count_y
      - .offset:         280
        .size:           4
        .value_kind:     hidden_block_count_z
      - .offset:         284
        .size:           2
        .value_kind:     hidden_group_size_x
      - .offset:         286
        .size:           2
        .value_kind:     hidden_group_size_y
      - .offset:         288
        .size:           2
        .value_kind:     hidden_group_size_z
      - .offset:         290
        .size:           2
        .value_kind:     hidden_remainder_x
      - .offset:         292
        .size:           2
        .value_kind:     hidden_remainder_y
      - .offset:         294
        .size:           2
        .value_kind:     hidden_remainder_z
      - .offset:         312
        .size:           8
        .value_kind:     hidden_global_offset_x
      - .offset:         320
        .size:           8
        .value_kind:     hidden_global_offset_y
      - .offset:         328
        .size:           8
        .value_kind:     hidden_global_offset_z
      - .offset:         336
        .size:           2
        .value_kind:     hidden_grid_dims
    .group_segment_fixed_size: 1024
    .kernarg_segment_align: 8
    .kernarg_segment_size: 528
    .language:       OpenCL C
    .language_version:
      - 2
      - 0
    .max_flat_workgroup_size: 256
    .name:           _ZN2at6native6mbtopk23computeBlockDigitCountsIN3c104HalfEjjLi1EEEvNS_4cuda6detail10TensorInfoIKT_T0_EEjPjjSA_iijT1_PSD_Ps
    .private_segment_fixed_size: 0
    .sgpr_count:     24
    .sgpr_spill_count: 0
    .symbol:         _ZN2at6native6mbtopk23computeBlockDigitCountsIN3c104HalfEjjLi1EEEvNS_4cuda6detail10TensorInfoIKT_T0_EEjPjjSA_iijT1_PSD_Ps.kd
    .uniform_work_group_size: 1
    .uses_dynamic_stack: false
    .vgpr_count:     14
    .vgpr_spill_count: 0
    .wavefront_size: 64
  - .args:
      - .address_space:  global
        .offset:         0
        .size:           8
        .value_kind:     global_buffer
      - .address_space:  global
        .offset:         8
        .size:           8
        .value_kind:     global_buffer
      - .address_space:  global
        .offset:         16
        .size:           8
        .value_kind:     global_buffer
      - .offset:         24
        .size:           4
        .value_kind:     by_value
      - .offset:         28
        .size:           4
        .value_kind:     by_value
      - .offset:         32
        .size:           1
        .value_kind:     by_value
      - .address_space:  global
        .offset:         40
        .size:           8
        .value_kind:     global_buffer
      - .address_space:  global
        .offset:         48
        .size:           8
        .value_kind:     global_buffer
      - .address_space:  global
        .offset:         56
        .size:           8
        .value_kind:     global_buffer
      - .address_space:  global
        .offset:         64
        .size:           8
        .value_kind:     global_buffer
      - .address_space:  global
        .offset:         72
        .size:           8
        .value_kind:     global_buffer
      - .offset:         80
        .size:           4
        .value_kind:     by_value
      - .offset:         88
        .size:           4
        .value_kind:     hidden_block_count_x
      - .offset:         92
        .size:           4
        .value_kind:     hidden_block_count_y
      - .offset:         96
        .size:           4
        .value_kind:     hidden_block_count_z
      - .offset:         100
        .size:           2
        .value_kind:     hidden_group_size_x
      - .offset:         102
        .size:           2
        .value_kind:     hidden_group_size_y
      - .offset:         104
        .size:           2
        .value_kind:     hidden_group_size_z
      - .offset:         106
        .size:           2
        .value_kind:     hidden_remainder_x
      - .offset:         108
        .size:           2
        .value_kind:     hidden_remainder_y
      - .offset:         110
        .size:           2
        .value_kind:     hidden_remainder_z
      - .offset:         128
        .size:           8
        .value_kind:     hidden_global_offset_x
      - .offset:         136
        .size:           8
        .value_kind:     hidden_global_offset_y
      - .offset:         144
        .size:           8
        .value_kind:     hidden_global_offset_z
      - .offset:         152
        .size:           2
        .value_kind:     hidden_grid_dims
    .group_segment_fixed_size: 2100
    .kernarg_segment_align: 8
    .kernarg_segment_size: 344
    .language:       OpenCL C
    .language_version:
      - 2
      - 0
    .max_flat_workgroup_size: 256
    .name:           _ZN2at6native6mbtopk29computeBlockwiseWithinKCountsIjN3c104HalfEEEvPT_PsPjjibS8_PT0_S8_S6_S8_j
    .private_segment_fixed_size: 0
    .sgpr_count:     34
    .sgpr_spill_count: 0
    .symbol:         _ZN2at6native6mbtopk29computeBlockwiseWithinKCountsIjN3c104HalfEEEvPT_PsPjjibS8_PT0_S8_S6_S8_j.kd
    .uniform_work_group_size: 1
    .uses_dynamic_stack: false
    .vgpr_count:     11
    .vgpr_spill_count: 0
    .wavefront_size: 64
  - .args:
      - .offset:         0
        .size:           216
        .value_kind:     by_value
      - .offset:         216
        .size:           4
        .value_kind:     by_value
      - .offset:         220
        .size:           4
        .value_kind:     by_value
      - .offset:         224
        .size:           1
        .value_kind:     by_value
      - .offset:         228
        .size:           4
        .value_kind:     by_value
      - .offset:         232
        .size:           4
        .value_kind:     by_value
      - .offset:         240
        .size:           216
        .value_kind:     by_value
      - .offset:         456
        .size:           4
        .value_kind:     by_value
      - .offset:         464
        .size:           216
        .value_kind:     by_value
      - .offset:         680
        .size:           4
        .value_kind:     by_value
      - .offset:         684
        .size:           4
        .value_kind:     by_value
      - .offset:         688
        .size:           4
        .value_kind:     by_value
      - .address_space:  global
        .offset:         696
        .size:           8
        .value_kind:     global_buffer
      - .address_space:  global
        .offset:         704
        .size:           8
        .value_kind:     global_buffer
      - .address_space:  global
        .offset:         712
        .size:           8
        .value_kind:     global_buffer
      - .offset:         720
        .size:           4
        .value_kind:     by_value
      - .offset:         728
        .size:           4
        .value_kind:     hidden_block_count_x
      - .offset:         732
        .size:           4
        .value_kind:     hidden_block_count_y
      - .offset:         736
        .size:           4
        .value_kind:     hidden_block_count_z
      - .offset:         740
        .size:           2
        .value_kind:     hidden_group_size_x
      - .offset:         742
        .size:           2
        .value_kind:     hidden_group_size_y
      - .offset:         744
        .size:           2
        .value_kind:     hidden_group_size_z
      - .offset:         746
        .size:           2
        .value_kind:     hidden_remainder_x
      - .offset:         748
        .size:           2
        .value_kind:     hidden_remainder_y
      - .offset:         750
        .size:           2
        .value_kind:     hidden_remainder_z
      - .offset:         768
        .size:           8
        .value_kind:     hidden_global_offset_x
      - .offset:         776
        .size:           8
        .value_kind:     hidden_global_offset_y
      - .offset:         784
        .size:           8
        .value_kind:     hidden_global_offset_z
      - .offset:         792
        .size:           2
        .value_kind:     hidden_grid_dims
    .group_segment_fixed_size: 1068
    .kernarg_segment_align: 8
    .kernarg_segment_size: 984
    .language:       OpenCL C
    .language_version:
      - 2
      - 0
    .max_flat_workgroup_size: 256
    .name:           _ZN2at6native6mbtopk10gatherTopKIN3c104HalfEjLi1EEEvNS_4cuda6detail10TensorInfoIKT_T0_EESA_SA_bjSA_NS7_IS8_SA_EESA_NS7_IlSA_EESA_jjPS8_PjSF_j
    .private_segment_fixed_size: 0
    .sgpr_count:     43
    .sgpr_spill_count: 0
    .symbol:         _ZN2at6native6mbtopk10gatherTopKIN3c104HalfEjLi1EEEvNS_4cuda6detail10TensorInfoIKT_T0_EESA_SA_bjSA_NS7_IS8_SA_EESA_NS7_IlSA_EESA_jjPS8_PjSF_j.kd
    .uniform_work_group_size: 1
    .uses_dynamic_stack: false
    .vgpr_count:     21
    .vgpr_spill_count: 0
    .wavefront_size: 64
  - .args:
      - .offset:         0
        .size:           216
        .value_kind:     by_value
      - .offset:         216
        .size:           4
        .value_kind:     by_value
      - .offset:         220
        .size:           4
        .value_kind:     by_value
      - .offset:         224
        .size:           1
        .value_kind:     by_value
      - .offset:         228
        .size:           4
        .value_kind:     by_value
      - .offset:         232
        .size:           4
        .value_kind:     by_value
      - .offset:         240
        .size:           216
        .value_kind:     by_value
      - .offset:         456
        .size:           4
        .value_kind:     by_value
      - .offset:         464
        .size:           216
        .value_kind:     by_value
      - .offset:         680
        .size:           4
        .value_kind:     by_value
      - .address_space:  global
        .offset:         688
        .size:           8
        .value_kind:     global_buffer
      - .offset:         696
        .size:           4
        .value_kind:     hidden_block_count_x
      - .offset:         700
        .size:           4
        .value_kind:     hidden_block_count_y
      - .offset:         704
        .size:           4
        .value_kind:     hidden_block_count_z
      - .offset:         708
        .size:           2
        .value_kind:     hidden_group_size_x
      - .offset:         710
        .size:           2
        .value_kind:     hidden_group_size_y
      - .offset:         712
        .size:           2
        .value_kind:     hidden_group_size_z
      - .offset:         714
        .size:           2
        .value_kind:     hidden_remainder_x
      - .offset:         716
        .size:           2
        .value_kind:     hidden_remainder_y
      - .offset:         718
        .size:           2
        .value_kind:     hidden_remainder_z
      - .offset:         736
        .size:           8
        .value_kind:     hidden_global_offset_x
      - .offset:         744
        .size:           8
        .value_kind:     hidden_global_offset_y
      - .offset:         752
        .size:           8
        .value_kind:     hidden_global_offset_z
      - .offset:         760
        .size:           2
        .value_kind:     hidden_grid_dims
    .group_segment_fixed_size: 4112
    .kernarg_segment_align: 8
    .kernarg_segment_size: 952
    .language:       OpenCL C
    .language_version:
      - 2
      - 0
    .max_flat_workgroup_size: 1024
    .name:           _ZN2at6native6sbtopk10gatherTopKIN3c104HalfEjLi1ELb0EEEvNS_4cuda6detail10TensorInfoIKT_T0_EESA_SA_bSA_SA_NS7_IS8_SA_EESA_NS7_IlSA_EESA_PS8_
    .private_segment_fixed_size: 0
    .sgpr_count:     100
    .sgpr_spill_count: 55
    .symbol:         _ZN2at6native6sbtopk10gatherTopKIN3c104HalfEjLi1ELb0EEEvNS_4cuda6detail10TensorInfoIKT_T0_EESA_SA_bSA_SA_NS7_IS8_SA_EESA_NS7_IlSA_EESA_PS8_.kd
    .uniform_work_group_size: 1
    .uses_dynamic_stack: false
    .vgpr_count:     53
    .vgpr_spill_count: 0
    .wavefront_size: 64
  - .args:
      - .offset:         0
        .size:           216
        .value_kind:     by_value
      - .offset:         216
        .size:           4
        .value_kind:     by_value
      - .address_space:  global
        .offset:         224
        .size:           8
        .value_kind:     global_buffer
      - .offset:         232
        .size:           4
        .value_kind:     by_value
      - .offset:         236
        .size:           4
        .value_kind:     by_value
      - .offset:         240
        .size:           4
        .value_kind:     by_value
      - .offset:         244
        .size:           4
        .value_kind:     by_value
      - .offset:         248
        .size:           4
        .value_kind:     by_value
      - .offset:         252
        .size:           4
        .value_kind:     by_value
      - .address_space:  global
        .offset:         256
        .size:           8
        .value_kind:     global_buffer
      - .address_space:  global
        .offset:         264
        .size:           8
        .value_kind:     global_buffer
      - .offset:         272
        .size:           4
        .value_kind:     hidden_block_count_x
      - .offset:         276
        .size:           4
        .value_kind:     hidden_block_count_y
      - .offset:         280
        .size:           4
        .value_kind:     hidden_block_count_z
      - .offset:         284
        .size:           2
        .value_kind:     hidden_group_size_x
      - .offset:         286
        .size:           2
        .value_kind:     hidden_group_size_y
      - .offset:         288
        .size:           2
        .value_kind:     hidden_group_size_z
      - .offset:         290
        .size:           2
        .value_kind:     hidden_remainder_x
      - .offset:         292
        .size:           2
        .value_kind:     hidden_remainder_y
      - .offset:         294
        .size:           2
        .value_kind:     hidden_remainder_z
      - .offset:         312
        .size:           8
        .value_kind:     hidden_global_offset_x
      - .offset:         320
        .size:           8
        .value_kind:     hidden_global_offset_y
      - .offset:         328
        .size:           8
        .value_kind:     hidden_global_offset_z
      - .offset:         336
        .size:           2
        .value_kind:     hidden_grid_dims
    .group_segment_fixed_size: 1024
    .kernarg_segment_align: 8
    .kernarg_segment_size: 528
    .language:       OpenCL C
    .language_version:
      - 2
      - 0
    .max_flat_workgroup_size: 256
    .name:           _ZN2at6native6mbtopk23computeBlockDigitCountsIN3c104HalfEjjLi2EEEvNS_4cuda6detail10TensorInfoIKT_T0_EEjPjjSA_iijT1_PSD_Ps
    .private_segment_fixed_size: 0
    .sgpr_count:     26
    .sgpr_spill_count: 0
    .symbol:         _ZN2at6native6mbtopk23computeBlockDigitCountsIN3c104HalfEjjLi2EEEvNS_4cuda6detail10TensorInfoIKT_T0_EEjPjjSA_iijT1_PSD_Ps.kd
    .uniform_work_group_size: 1
    .uses_dynamic_stack: false
    .vgpr_count:     14
    .vgpr_spill_count: 0
    .wavefront_size: 64
  - .args:
      - .offset:         0
        .size:           216
        .value_kind:     by_value
      - .offset:         216
        .size:           4
        .value_kind:     by_value
      - .offset:         220
        .size:           4
        .value_kind:     by_value
      - .offset:         224
        .size:           1
        .value_kind:     by_value
      - .offset:         228
        .size:           4
        .value_kind:     by_value
      - .offset:         232
        .size:           4
        .value_kind:     by_value
      - .offset:         240
        .size:           216
        .value_kind:     by_value
      - .offset:         456
        .size:           4
        .value_kind:     by_value
      - .offset:         464
        .size:           216
        .value_kind:     by_value
      - .offset:         680
        .size:           4
        .value_kind:     by_value
      - .offset:         684
        .size:           4
        .value_kind:     by_value
      - .offset:         688
        .size:           4
        .value_kind:     by_value
      - .address_space:  global
        .offset:         696
        .size:           8
        .value_kind:     global_buffer
      - .address_space:  global
        .offset:         704
        .size:           8
        .value_kind:     global_buffer
      - .address_space:  global
        .offset:         712
        .size:           8
        .value_kind:     global_buffer
      - .offset:         720
        .size:           4
        .value_kind:     by_value
      - .offset:         728
        .size:           4
        .value_kind:     hidden_block_count_x
      - .offset:         732
        .size:           4
        .value_kind:     hidden_block_count_y
      - .offset:         736
        .size:           4
        .value_kind:     hidden_block_count_z
      - .offset:         740
        .size:           2
        .value_kind:     hidden_group_size_x
      - .offset:         742
        .size:           2
        .value_kind:     hidden_group_size_y
      - .offset:         744
        .size:           2
        .value_kind:     hidden_group_size_z
      - .offset:         746
        .size:           2
        .value_kind:     hidden_remainder_x
      - .offset:         748
        .size:           2
        .value_kind:     hidden_remainder_y
      - .offset:         750
        .size:           2
        .value_kind:     hidden_remainder_z
      - .offset:         768
        .size:           8
        .value_kind:     hidden_global_offset_x
      - .offset:         776
        .size:           8
        .value_kind:     hidden_global_offset_y
      - .offset:         784
        .size:           8
        .value_kind:     hidden_global_offset_z
      - .offset:         792
        .size:           2
        .value_kind:     hidden_grid_dims
    .group_segment_fixed_size: 1068
    .kernarg_segment_align: 8
    .kernarg_segment_size: 984
    .language:       OpenCL C
    .language_version:
      - 2
      - 0
    .max_flat_workgroup_size: 256
    .name:           _ZN2at6native6mbtopk10gatherTopKIN3c104HalfEjLi2EEEvNS_4cuda6detail10TensorInfoIKT_T0_EESA_SA_bjSA_NS7_IS8_SA_EESA_NS7_IlSA_EESA_jjPS8_PjSF_j
    .private_segment_fixed_size: 0
    .sgpr_count:     55
    .sgpr_spill_count: 0
    .symbol:         _ZN2at6native6mbtopk10gatherTopKIN3c104HalfEjLi2EEEvNS_4cuda6detail10TensorInfoIKT_T0_EESA_SA_bjSA_NS7_IS8_SA_EESA_NS7_IlSA_EESA_jjPS8_PjSF_j.kd
    .uniform_work_group_size: 1
    .uses_dynamic_stack: false
    .vgpr_count:     21
    .vgpr_spill_count: 0
    .wavefront_size: 64
  - .args:
      - .offset:         0
        .size:           216
        .value_kind:     by_value
      - .offset:         216
        .size:           4
        .value_kind:     by_value
      - .offset:         220
        .size:           4
        .value_kind:     by_value
      - .offset:         224
        .size:           1
        .value_kind:     by_value
      - .offset:         228
        .size:           4
        .value_kind:     by_value
      - .offset:         232
        .size:           4
        .value_kind:     by_value
      - .offset:         240
        .size:           216
        .value_kind:     by_value
      - .offset:         456
        .size:           4
        .value_kind:     by_value
      - .offset:         464
        .size:           216
        .value_kind:     by_value
      - .offset:         680
        .size:           4
        .value_kind:     by_value
      - .address_space:  global
        .offset:         688
        .size:           8
        .value_kind:     global_buffer
      - .offset:         696
        .size:           4
        .value_kind:     hidden_block_count_x
      - .offset:         700
        .size:           4
        .value_kind:     hidden_block_count_y
      - .offset:         704
        .size:           4
        .value_kind:     hidden_block_count_z
      - .offset:         708
        .size:           2
        .value_kind:     hidden_group_size_x
      - .offset:         710
        .size:           2
        .value_kind:     hidden_group_size_y
      - .offset:         712
        .size:           2
        .value_kind:     hidden_group_size_z
      - .offset:         714
        .size:           2
        .value_kind:     hidden_remainder_x
      - .offset:         716
        .size:           2
        .value_kind:     hidden_remainder_y
      - .offset:         718
        .size:           2
        .value_kind:     hidden_remainder_z
      - .offset:         736
        .size:           8
        .value_kind:     hidden_global_offset_x
      - .offset:         744
        .size:           8
        .value_kind:     hidden_global_offset_y
      - .offset:         752
        .size:           8
        .value_kind:     hidden_global_offset_z
      - .offset:         760
        .size:           2
        .value_kind:     hidden_grid_dims
    .group_segment_fixed_size: 4112
    .kernarg_segment_align: 8
    .kernarg_segment_size: 952
    .language:       OpenCL C
    .language_version:
      - 2
      - 0
    .max_flat_workgroup_size: 1024
    .name:           _ZN2at6native6sbtopk10gatherTopKIN3c104HalfEjLi2ELb0EEEvNS_4cuda6detail10TensorInfoIKT_T0_EESA_SA_bSA_SA_NS7_IS8_SA_EESA_NS7_IlSA_EESA_PS8_
    .private_segment_fixed_size: 0
    .sgpr_count:     100
    .sgpr_spill_count: 63
    .symbol:         _ZN2at6native6sbtopk10gatherTopKIN3c104HalfEjLi2ELb0EEEvNS_4cuda6detail10TensorInfoIKT_T0_EESA_SA_bSA_SA_NS7_IS8_SA_EESA_NS7_IlSA_EESA_PS8_.kd
    .uniform_work_group_size: 1
    .uses_dynamic_stack: false
    .vgpr_count:     53
    .vgpr_spill_count: 0
    .wavefront_size: 64
  - .args:
      - .offset:         0
        .size:           216
        .value_kind:     by_value
      - .offset:         216
        .size:           4
        .value_kind:     by_value
      - .address_space:  global
        .offset:         224
        .size:           8
        .value_kind:     global_buffer
      - .offset:         232
        .size:           4
        .value_kind:     by_value
      - .offset:         236
        .size:           4
        .value_kind:     by_value
      - .offset:         240
        .size:           4
        .value_kind:     by_value
      - .offset:         244
        .size:           4
        .value_kind:     by_value
      - .offset:         248
        .size:           4
        .value_kind:     by_value
      - .offset:         252
        .size:           4
        .value_kind:     by_value
      - .address_space:  global
        .offset:         256
        .size:           8
        .value_kind:     global_buffer
      - .address_space:  global
        .offset:         264
        .size:           8
        .value_kind:     global_buffer
      - .offset:         272
        .size:           4
        .value_kind:     hidden_block_count_x
      - .offset:         276
        .size:           4
        .value_kind:     hidden_block_count_y
      - .offset:         280
        .size:           4
        .value_kind:     hidden_block_count_z
      - .offset:         284
        .size:           2
        .value_kind:     hidden_group_size_x
      - .offset:         286
        .size:           2
        .value_kind:     hidden_group_size_y
      - .offset:         288
        .size:           2
        .value_kind:     hidden_group_size_z
      - .offset:         290
        .size:           2
        .value_kind:     hidden_remainder_x
      - .offset:         292
        .size:           2
        .value_kind:     hidden_remainder_y
      - .offset:         294
        .size:           2
        .value_kind:     hidden_remainder_z
      - .offset:         312
        .size:           8
        .value_kind:     hidden_global_offset_x
      - .offset:         320
        .size:           8
        .value_kind:     hidden_global_offset_y
      - .offset:         328
        .size:           8
        .value_kind:     hidden_global_offset_z
      - .offset:         336
        .size:           2
        .value_kind:     hidden_grid_dims
    .group_segment_fixed_size: 1024
    .kernarg_segment_align: 8
    .kernarg_segment_size: 528
    .language:       OpenCL C
    .language_version:
      - 2
      - 0
    .max_flat_workgroup_size: 256
    .name:           _ZN2at6native6mbtopk23computeBlockDigitCountsIN3c104HalfEjjLi3EEEvNS_4cuda6detail10TensorInfoIKT_T0_EEjPjjSA_iijT1_PSD_Ps
    .private_segment_fixed_size: 0
    .sgpr_count:     30
    .sgpr_spill_count: 0
    .symbol:         _ZN2at6native6mbtopk23computeBlockDigitCountsIN3c104HalfEjjLi3EEEvNS_4cuda6detail10TensorInfoIKT_T0_EEjPjjSA_iijT1_PSD_Ps.kd
    .uniform_work_group_size: 1
    .uses_dynamic_stack: false
    .vgpr_count:     14
    .vgpr_spill_count: 0
    .wavefront_size: 64
  - .args:
      - .offset:         0
        .size:           216
        .value_kind:     by_value
      - .offset:         216
        .size:           4
        .value_kind:     by_value
      - .offset:         220
        .size:           4
        .value_kind:     by_value
      - .offset:         224
        .size:           1
        .value_kind:     by_value
      - .offset:         228
        .size:           4
        .value_kind:     by_value
      - .offset:         232
        .size:           4
        .value_kind:     by_value
      - .offset:         240
        .size:           216
        .value_kind:     by_value
      - .offset:         456
        .size:           4
        .value_kind:     by_value
      - .offset:         464
        .size:           216
        .value_kind:     by_value
      - .offset:         680
        .size:           4
        .value_kind:     by_value
      - .offset:         684
        .size:           4
        .value_kind:     by_value
      - .offset:         688
        .size:           4
        .value_kind:     by_value
      - .address_space:  global
        .offset:         696
        .size:           8
        .value_kind:     global_buffer
      - .address_space:  global
        .offset:         704
        .size:           8
        .value_kind:     global_buffer
      - .address_space:  global
        .offset:         712
        .size:           8
        .value_kind:     global_buffer
      - .offset:         720
        .size:           4
        .value_kind:     by_value
      - .offset:         728
        .size:           4
        .value_kind:     hidden_block_count_x
      - .offset:         732
        .size:           4
        .value_kind:     hidden_block_count_y
      - .offset:         736
        .size:           4
        .value_kind:     hidden_block_count_z
      - .offset:         740
        .size:           2
        .value_kind:     hidden_group_size_x
      - .offset:         742
        .size:           2
        .value_kind:     hidden_group_size_y
      - .offset:         744
        .size:           2
        .value_kind:     hidden_group_size_z
      - .offset:         746
        .size:           2
        .value_kind:     hidden_remainder_x
      - .offset:         748
        .size:           2
        .value_kind:     hidden_remainder_y
      - .offset:         750
        .size:           2
        .value_kind:     hidden_remainder_z
      - .offset:         768
        .size:           8
        .value_kind:     hidden_global_offset_x
      - .offset:         776
        .size:           8
        .value_kind:     hidden_global_offset_y
      - .offset:         784
        .size:           8
        .value_kind:     hidden_global_offset_z
      - .offset:         792
        .size:           2
        .value_kind:     hidden_grid_dims
    .group_segment_fixed_size: 1068
    .kernarg_segment_align: 8
    .kernarg_segment_size: 984
    .language:       OpenCL C
    .language_version:
      - 2
      - 0
    .max_flat_workgroup_size: 256
    .name:           _ZN2at6native6mbtopk10gatherTopKIN3c104HalfEjLi3EEEvNS_4cuda6detail10TensorInfoIKT_T0_EESA_SA_bjSA_NS7_IS8_SA_EESA_NS7_IlSA_EESA_jjPS8_PjSF_j
    .private_segment_fixed_size: 0
    .sgpr_count:     64
    .sgpr_spill_count: 0
    .symbol:         _ZN2at6native6mbtopk10gatherTopKIN3c104HalfEjLi3EEEvNS_4cuda6detail10TensorInfoIKT_T0_EESA_SA_bjSA_NS7_IS8_SA_EESA_NS7_IlSA_EESA_jjPS8_PjSF_j.kd
    .uniform_work_group_size: 1
    .uses_dynamic_stack: false
    .vgpr_count:     21
    .vgpr_spill_count: 0
    .wavefront_size: 64
  - .args:
      - .offset:         0
        .size:           216
        .value_kind:     by_value
      - .offset:         216
        .size:           4
        .value_kind:     by_value
      - .offset:         220
        .size:           4
        .value_kind:     by_value
      - .offset:         224
        .size:           1
        .value_kind:     by_value
      - .offset:         228
        .size:           4
        .value_kind:     by_value
      - .offset:         232
        .size:           4
        .value_kind:     by_value
      - .offset:         240
        .size:           216
        .value_kind:     by_value
      - .offset:         456
        .size:           4
        .value_kind:     by_value
      - .offset:         464
        .size:           216
        .value_kind:     by_value
      - .offset:         680
        .size:           4
        .value_kind:     by_value
      - .address_space:  global
        .offset:         688
        .size:           8
        .value_kind:     global_buffer
      - .offset:         696
        .size:           4
        .value_kind:     hidden_block_count_x
      - .offset:         700
        .size:           4
        .value_kind:     hidden_block_count_y
      - .offset:         704
        .size:           4
        .value_kind:     hidden_block_count_z
      - .offset:         708
        .size:           2
        .value_kind:     hidden_group_size_x
      - .offset:         710
        .size:           2
        .value_kind:     hidden_group_size_y
      - .offset:         712
        .size:           2
        .value_kind:     hidden_group_size_z
      - .offset:         714
        .size:           2
        .value_kind:     hidden_remainder_x
      - .offset:         716
        .size:           2
        .value_kind:     hidden_remainder_y
      - .offset:         718
        .size:           2
        .value_kind:     hidden_remainder_z
      - .offset:         736
        .size:           8
        .value_kind:     hidden_global_offset_x
      - .offset:         744
        .size:           8
        .value_kind:     hidden_global_offset_y
      - .offset:         752
        .size:           8
        .value_kind:     hidden_global_offset_z
      - .offset:         760
        .size:           2
        .value_kind:     hidden_grid_dims
    .group_segment_fixed_size: 4112
    .kernarg_segment_align: 8
    .kernarg_segment_size: 952
    .language:       OpenCL C
    .language_version:
      - 2
      - 0
    .max_flat_workgroup_size: 1024
    .name:           _ZN2at6native6sbtopk10gatherTopKIN3c104HalfEjLi3ELb0EEEvNS_4cuda6detail10TensorInfoIKT_T0_EESA_SA_bSA_SA_NS7_IS8_SA_EESA_NS7_IlSA_EESA_PS8_
    .private_segment_fixed_size: 0
    .sgpr_count:     100
    .sgpr_spill_count: 65
    .symbol:         _ZN2at6native6sbtopk10gatherTopKIN3c104HalfEjLi3ELb0EEEvNS_4cuda6detail10TensorInfoIKT_T0_EESA_SA_bSA_SA_NS7_IS8_SA_EESA_NS7_IlSA_EESA_PS8_.kd
    .uniform_work_group_size: 1
    .uses_dynamic_stack: false
    .vgpr_count:     54
    .vgpr_spill_count: 0
    .wavefront_size: 64
  - .args:
      - .offset:         0
        .size:           216
        .value_kind:     by_value
      - .offset:         216
        .size:           4
        .value_kind:     by_value
      - .address_space:  global
        .offset:         224
        .size:           8
        .value_kind:     global_buffer
      - .offset:         232
        .size:           4
        .value_kind:     by_value
      - .offset:         236
        .size:           4
        .value_kind:     by_value
      - .offset:         240
        .size:           4
        .value_kind:     by_value
      - .offset:         244
        .size:           4
        .value_kind:     by_value
      - .offset:         248
        .size:           4
        .value_kind:     by_value
      - .offset:         252
        .size:           4
        .value_kind:     by_value
      - .address_space:  global
        .offset:         256
        .size:           8
        .value_kind:     global_buffer
      - .address_space:  global
        .offset:         264
        .size:           8
        .value_kind:     global_buffer
      - .offset:         272
        .size:           4
        .value_kind:     hidden_block_count_x
      - .offset:         276
        .size:           4
        .value_kind:     hidden_block_count_y
      - .offset:         280
        .size:           4
        .value_kind:     hidden_block_count_z
      - .offset:         284
        .size:           2
        .value_kind:     hidden_group_size_x
      - .offset:         286
        .size:           2
        .value_kind:     hidden_group_size_y
      - .offset:         288
        .size:           2
        .value_kind:     hidden_group_size_z
      - .offset:         290
        .size:           2
        .value_kind:     hidden_remainder_x
      - .offset:         292
        .size:           2
        .value_kind:     hidden_remainder_y
      - .offset:         294
        .size:           2
        .value_kind:     hidden_remainder_z
      - .offset:         312
        .size:           8
        .value_kind:     hidden_global_offset_x
      - .offset:         320
        .size:           8
        .value_kind:     hidden_global_offset_y
      - .offset:         328
        .size:           8
        .value_kind:     hidden_global_offset_z
      - .offset:         336
        .size:           2
        .value_kind:     hidden_grid_dims
    .group_segment_fixed_size: 1024
    .kernarg_segment_align: 8
    .kernarg_segment_size: 528
    .language:       OpenCL C
    .language_version:
      - 2
      - 0
    .max_flat_workgroup_size: 256
    .name:           _ZN2at6native6mbtopk23computeBlockDigitCountsIN3c104HalfEjjLin1EEEvNS_4cuda6detail10TensorInfoIKT_T0_EEjPjjSA_iijT1_PSD_Ps
    .private_segment_fixed_size: 0
    .sgpr_count:     28
    .sgpr_spill_count: 0
    .symbol:         _ZN2at6native6mbtopk23computeBlockDigitCountsIN3c104HalfEjjLin1EEEvNS_4cuda6detail10TensorInfoIKT_T0_EEjPjjSA_iijT1_PSD_Ps.kd
    .uniform_work_group_size: 1
    .uses_dynamic_stack: false
    .vgpr_count:     14
    .vgpr_spill_count: 0
    .wavefront_size: 64
  - .args:
      - .offset:         0
        .size:           216
        .value_kind:     by_value
      - .offset:         216
        .size:           4
        .value_kind:     by_value
      - .offset:         220
        .size:           4
        .value_kind:     by_value
      - .offset:         224
        .size:           1
        .value_kind:     by_value
      - .offset:         228
        .size:           4
        .value_kind:     by_value
      - .offset:         232
        .size:           4
        .value_kind:     by_value
      - .offset:         240
        .size:           216
        .value_kind:     by_value
      - .offset:         456
        .size:           4
        .value_kind:     by_value
      - .offset:         464
        .size:           216
        .value_kind:     by_value
      - .offset:         680
        .size:           4
        .value_kind:     by_value
      - .offset:         684
        .size:           4
        .value_kind:     by_value
      - .offset:         688
        .size:           4
        .value_kind:     by_value
      - .address_space:  global
        .offset:         696
        .size:           8
        .value_kind:     global_buffer
      - .address_space:  global
        .offset:         704
        .size:           8
        .value_kind:     global_buffer
      - .address_space:  global
        .offset:         712
        .size:           8
        .value_kind:     global_buffer
      - .offset:         720
        .size:           4
        .value_kind:     by_value
      - .offset:         728
        .size:           4
        .value_kind:     hidden_block_count_x
      - .offset:         732
        .size:           4
        .value_kind:     hidden_block_count_y
      - .offset:         736
        .size:           4
        .value_kind:     hidden_block_count_z
      - .offset:         740
        .size:           2
        .value_kind:     hidden_group_size_x
      - .offset:         742
        .size:           2
        .value_kind:     hidden_group_size_y
      - .offset:         744
        .size:           2
        .value_kind:     hidden_group_size_z
      - .offset:         746
        .size:           2
        .value_kind:     hidden_remainder_x
      - .offset:         748
        .size:           2
        .value_kind:     hidden_remainder_y
      - .offset:         750
        .size:           2
        .value_kind:     hidden_remainder_z
      - .offset:         768
        .size:           8
        .value_kind:     hidden_global_offset_x
      - .offset:         776
        .size:           8
        .value_kind:     hidden_global_offset_y
      - .offset:         784
        .size:           8
        .value_kind:     hidden_global_offset_z
      - .offset:         792
        .size:           2
        .value_kind:     hidden_grid_dims
    .group_segment_fixed_size: 1068
    .kernarg_segment_align: 8
    .kernarg_segment_size: 984
    .language:       OpenCL C
    .language_version:
      - 2
      - 0
    .max_flat_workgroup_size: 256
    .name:           _ZN2at6native6mbtopk10gatherTopKIN3c104HalfEjLin1EEEvNS_4cuda6detail10TensorInfoIKT_T0_EESA_SA_bjSA_NS7_IS8_SA_EESA_NS7_IlSA_EESA_jjPS8_PjSF_j
    .private_segment_fixed_size: 0
    .sgpr_count:     50
    .sgpr_spill_count: 0
    .symbol:         _ZN2at6native6mbtopk10gatherTopKIN3c104HalfEjLin1EEEvNS_4cuda6detail10TensorInfoIKT_T0_EESA_SA_bjSA_NS7_IS8_SA_EESA_NS7_IlSA_EESA_jjPS8_PjSF_j.kd
    .uniform_work_group_size: 1
    .uses_dynamic_stack: false
    .vgpr_count:     21
    .vgpr_spill_count: 0
    .wavefront_size: 64
  - .args:
      - .offset:         0
        .size:           216
        .value_kind:     by_value
      - .offset:         216
        .size:           4
        .value_kind:     by_value
      - .offset:         220
        .size:           4
        .value_kind:     by_value
      - .offset:         224
        .size:           1
        .value_kind:     by_value
      - .offset:         228
        .size:           4
        .value_kind:     by_value
      - .offset:         232
        .size:           4
        .value_kind:     by_value
      - .offset:         240
        .size:           216
        .value_kind:     by_value
      - .offset:         456
        .size:           4
        .value_kind:     by_value
      - .offset:         464
        .size:           216
        .value_kind:     by_value
      - .offset:         680
        .size:           4
        .value_kind:     by_value
      - .address_space:  global
        .offset:         688
        .size:           8
        .value_kind:     global_buffer
      - .offset:         696
        .size:           4
        .value_kind:     hidden_block_count_x
      - .offset:         700
        .size:           4
        .value_kind:     hidden_block_count_y
      - .offset:         704
        .size:           4
        .value_kind:     hidden_block_count_z
      - .offset:         708
        .size:           2
        .value_kind:     hidden_group_size_x
      - .offset:         710
        .size:           2
        .value_kind:     hidden_group_size_y
      - .offset:         712
        .size:           2
        .value_kind:     hidden_group_size_z
      - .offset:         714
        .size:           2
        .value_kind:     hidden_remainder_x
      - .offset:         716
        .size:           2
        .value_kind:     hidden_remainder_y
      - .offset:         718
        .size:           2
        .value_kind:     hidden_remainder_z
      - .offset:         736
        .size:           8
        .value_kind:     hidden_global_offset_x
      - .offset:         744
        .size:           8
        .value_kind:     hidden_global_offset_y
      - .offset:         752
        .size:           8
        .value_kind:     hidden_global_offset_z
      - .offset:         760
        .size:           2
        .value_kind:     hidden_grid_dims
    .group_segment_fixed_size: 4112
    .kernarg_segment_align: 8
    .kernarg_segment_size: 952
    .language:       OpenCL C
    .language_version:
      - 2
      - 0
    .max_flat_workgroup_size: 1024
    .name:           _ZN2at6native6sbtopk10gatherTopKIN3c104HalfEjLin1ELb0EEEvNS_4cuda6detail10TensorInfoIKT_T0_EESA_SA_bSA_SA_NS7_IS8_SA_EESA_NS7_IlSA_EESA_PS8_
    .private_segment_fixed_size: 0
    .sgpr_count:     100
    .sgpr_spill_count: 59
    .symbol:         _ZN2at6native6sbtopk10gatherTopKIN3c104HalfEjLin1ELb0EEEvNS_4cuda6detail10TensorInfoIKT_T0_EESA_SA_bSA_SA_NS7_IS8_SA_EESA_NS7_IlSA_EESA_PS8_.kd
    .uniform_work_group_size: 1
    .uses_dynamic_stack: false
    .vgpr_count:     53
    .vgpr_spill_count: 0
    .wavefront_size: 64
  - .args:
      - .offset:         0
        .size:           216
        .value_kind:     by_value
      - .offset:         216
        .size:           4
        .value_kind:     by_value
      - .address_space:  global
        .offset:         224
        .size:           8
        .value_kind:     global_buffer
      - .offset:         232
        .size:           4
        .value_kind:     by_value
      - .offset:         236
        .size:           4
        .value_kind:     by_value
      - .offset:         240
        .size:           4
        .value_kind:     by_value
      - .offset:         244
        .size:           4
        .value_kind:     by_value
      - .offset:         248
        .size:           4
        .value_kind:     by_value
      - .offset:         252
        .size:           4
        .value_kind:     by_value
      - .address_space:  global
        .offset:         256
        .size:           8
        .value_kind:     global_buffer
      - .address_space:  global
        .offset:         264
        .size:           8
        .value_kind:     global_buffer
      - .offset:         272
        .size:           4
        .value_kind:     hidden_block_count_x
      - .offset:         276
        .size:           4
        .value_kind:     hidden_block_count_y
      - .offset:         280
        .size:           4
        .value_kind:     hidden_block_count_z
      - .offset:         284
        .size:           2
        .value_kind:     hidden_group_size_x
      - .offset:         286
        .size:           2
        .value_kind:     hidden_group_size_y
      - .offset:         288
        .size:           2
        .value_kind:     hidden_group_size_z
      - .offset:         290
        .size:           2
        .value_kind:     hidden_remainder_x
      - .offset:         292
        .size:           2
        .value_kind:     hidden_remainder_y
      - .offset:         294
        .size:           2
        .value_kind:     hidden_remainder_z
      - .offset:         312
        .size:           8
        .value_kind:     hidden_global_offset_x
      - .offset:         320
        .size:           8
        .value_kind:     hidden_global_offset_y
      - .offset:         328
        .size:           8
        .value_kind:     hidden_global_offset_z
      - .offset:         336
        .size:           2
        .value_kind:     hidden_grid_dims
    .group_segment_fixed_size: 1024
    .kernarg_segment_align: 8
    .kernarg_segment_size: 528
    .language:       OpenCL C
    .language_version:
      - 2
      - 0
    .max_flat_workgroup_size: 256
    .name:           _ZN2at6native6mbtopk23computeBlockDigitCountsIN3c108BFloat16EjjLi1EEEvNS_4cuda6detail10TensorInfoIKT_T0_EEjPjjSA_iijT1_PSD_Ps
    .private_segment_fixed_size: 0
    .sgpr_count:     24
    .sgpr_spill_count: 0
    .symbol:         _ZN2at6native6mbtopk23computeBlockDigitCountsIN3c108BFloat16EjjLi1EEEvNS_4cuda6detail10TensorInfoIKT_T0_EEjPjjSA_iijT1_PSD_Ps.kd
    .uniform_work_group_size: 1
    .uses_dynamic_stack: false
    .vgpr_count:     14
    .vgpr_spill_count: 0
    .wavefront_size: 64
  - .args:
      - .address_space:  global
        .offset:         0
        .size:           8
        .value_kind:     global_buffer
      - .address_space:  global
        .offset:         8
        .size:           8
        .value_kind:     global_buffer
      - .address_space:  global
        .offset:         16
        .size:           8
        .value_kind:     global_buffer
      - .offset:         24
        .size:           4
        .value_kind:     by_value
      - .offset:         28
        .size:           4
        .value_kind:     by_value
      - .offset:         32
        .size:           1
        .value_kind:     by_value
      - .address_space:  global
        .offset:         40
        .size:           8
        .value_kind:     global_buffer
      - .address_space:  global
        .offset:         48
        .size:           8
        .value_kind:     global_buffer
      - .address_space:  global
        .offset:         56
        .size:           8
        .value_kind:     global_buffer
      - .address_space:  global
        .offset:         64
        .size:           8
        .value_kind:     global_buffer
      - .address_space:  global
        .offset:         72
        .size:           8
        .value_kind:     global_buffer
      - .offset:         80
        .size:           4
        .value_kind:     by_value
      - .offset:         88
        .size:           4
        .value_kind:     hidden_block_count_x
      - .offset:         92
        .size:           4
        .value_kind:     hidden_block_count_y
      - .offset:         96
        .size:           4
        .value_kind:     hidden_block_count_z
      - .offset:         100
        .size:           2
        .value_kind:     hidden_group_size_x
      - .offset:         102
        .size:           2
        .value_kind:     hidden_group_size_y
      - .offset:         104
        .size:           2
        .value_kind:     hidden_group_size_z
      - .offset:         106
        .size:           2
        .value_kind:     hidden_remainder_x
      - .offset:         108
        .size:           2
        .value_kind:     hidden_remainder_y
      - .offset:         110
        .size:           2
        .value_kind:     hidden_remainder_z
      - .offset:         128
        .size:           8
        .value_kind:     hidden_global_offset_x
      - .offset:         136
        .size:           8
        .value_kind:     hidden_global_offset_y
      - .offset:         144
        .size:           8
        .value_kind:     hidden_global_offset_z
      - .offset:         152
        .size:           2
        .value_kind:     hidden_grid_dims
    .group_segment_fixed_size: 2100
    .kernarg_segment_align: 8
    .kernarg_segment_size: 344
    .language:       OpenCL C
    .language_version:
      - 2
      - 0
    .max_flat_workgroup_size: 256
    .name:           _ZN2at6native6mbtopk29computeBlockwiseWithinKCountsIjN3c108BFloat16EEEvPT_PsPjjibS8_PT0_S8_S6_S8_j
    .private_segment_fixed_size: 0
    .sgpr_count:     34
    .sgpr_spill_count: 0
    .symbol:         _ZN2at6native6mbtopk29computeBlockwiseWithinKCountsIjN3c108BFloat16EEEvPT_PsPjjibS8_PT0_S8_S6_S8_j.kd
    .uniform_work_group_size: 1
    .uses_dynamic_stack: false
    .vgpr_count:     11
    .vgpr_spill_count: 0
    .wavefront_size: 64
  - .args:
      - .offset:         0
        .size:           216
        .value_kind:     by_value
      - .offset:         216
        .size:           4
        .value_kind:     by_value
      - .offset:         220
        .size:           4
        .value_kind:     by_value
      - .offset:         224
        .size:           1
        .value_kind:     by_value
      - .offset:         228
        .size:           4
        .value_kind:     by_value
      - .offset:         232
        .size:           4
        .value_kind:     by_value
      - .offset:         240
        .size:           216
        .value_kind:     by_value
      - .offset:         456
        .size:           4
        .value_kind:     by_value
      - .offset:         464
        .size:           216
        .value_kind:     by_value
      - .offset:         680
        .size:           4
        .value_kind:     by_value
      - .offset:         684
        .size:           4
        .value_kind:     by_value
      - .offset:         688
        .size:           4
        .value_kind:     by_value
      - .address_space:  global
        .offset:         696
        .size:           8
        .value_kind:     global_buffer
      - .address_space:  global
        .offset:         704
        .size:           8
        .value_kind:     global_buffer
      - .address_space:  global
        .offset:         712
        .size:           8
        .value_kind:     global_buffer
      - .offset:         720
        .size:           4
        .value_kind:     by_value
      - .offset:         728
        .size:           4
        .value_kind:     hidden_block_count_x
      - .offset:         732
        .size:           4
        .value_kind:     hidden_block_count_y
      - .offset:         736
        .size:           4
        .value_kind:     hidden_block_count_z
      - .offset:         740
        .size:           2
        .value_kind:     hidden_group_size_x
      - .offset:         742
        .size:           2
        .value_kind:     hidden_group_size_y
      - .offset:         744
        .size:           2
        .value_kind:     hidden_group_size_z
      - .offset:         746
        .size:           2
        .value_kind:     hidden_remainder_x
      - .offset:         748
        .size:           2
        .value_kind:     hidden_remainder_y
      - .offset:         750
        .size:           2
        .value_kind:     hidden_remainder_z
      - .offset:         768
        .size:           8
        .value_kind:     hidden_global_offset_x
      - .offset:         776
        .size:           8
        .value_kind:     hidden_global_offset_y
      - .offset:         784
        .size:           8
        .value_kind:     hidden_global_offset_z
      - .offset:         792
        .size:           2
        .value_kind:     hidden_grid_dims
    .group_segment_fixed_size: 1068
    .kernarg_segment_align: 8
    .kernarg_segment_size: 984
    .language:       OpenCL C
    .language_version:
      - 2
      - 0
    .max_flat_workgroup_size: 256
    .name:           _ZN2at6native6mbtopk10gatherTopKIN3c108BFloat16EjLi1EEEvNS_4cuda6detail10TensorInfoIKT_T0_EESA_SA_bjSA_NS7_IS8_SA_EESA_NS7_IlSA_EESA_jjPS8_PjSF_j
    .private_segment_fixed_size: 0
    .sgpr_count:     43
    .sgpr_spill_count: 0
    .symbol:         _ZN2at6native6mbtopk10gatherTopKIN3c108BFloat16EjLi1EEEvNS_4cuda6detail10TensorInfoIKT_T0_EESA_SA_bjSA_NS7_IS8_SA_EESA_NS7_IlSA_EESA_jjPS8_PjSF_j.kd
    .uniform_work_group_size: 1
    .uses_dynamic_stack: false
    .vgpr_count:     21
    .vgpr_spill_count: 0
    .wavefront_size: 64
  - .args:
      - .offset:         0
        .size:           216
        .value_kind:     by_value
      - .offset:         216
        .size:           4
        .value_kind:     by_value
      - .offset:         220
        .size:           4
        .value_kind:     by_value
      - .offset:         224
        .size:           1
        .value_kind:     by_value
      - .offset:         228
        .size:           4
        .value_kind:     by_value
      - .offset:         232
        .size:           4
        .value_kind:     by_value
      - .offset:         240
        .size:           216
        .value_kind:     by_value
      - .offset:         456
        .size:           4
        .value_kind:     by_value
      - .offset:         464
        .size:           216
        .value_kind:     by_value
      - .offset:         680
        .size:           4
        .value_kind:     by_value
      - .address_space:  global
        .offset:         688
        .size:           8
        .value_kind:     global_buffer
      - .offset:         696
        .size:           4
        .value_kind:     hidden_block_count_x
      - .offset:         700
        .size:           4
        .value_kind:     hidden_block_count_y
      - .offset:         704
        .size:           4
        .value_kind:     hidden_block_count_z
      - .offset:         708
        .size:           2
        .value_kind:     hidden_group_size_x
      - .offset:         710
        .size:           2
        .value_kind:     hidden_group_size_y
      - .offset:         712
        .size:           2
        .value_kind:     hidden_group_size_z
      - .offset:         714
        .size:           2
        .value_kind:     hidden_remainder_x
      - .offset:         716
        .size:           2
        .value_kind:     hidden_remainder_y
      - .offset:         718
        .size:           2
        .value_kind:     hidden_remainder_z
      - .offset:         736
        .size:           8
        .value_kind:     hidden_global_offset_x
      - .offset:         744
        .size:           8
        .value_kind:     hidden_global_offset_y
      - .offset:         752
        .size:           8
        .value_kind:     hidden_global_offset_z
      - .offset:         760
        .size:           2
        .value_kind:     hidden_grid_dims
    .group_segment_fixed_size: 4112
    .kernarg_segment_align: 8
    .kernarg_segment_size: 952
    .language:       OpenCL C
    .language_version:
      - 2
      - 0
    .max_flat_workgroup_size: 1024
    .name:           _ZN2at6native6sbtopk10gatherTopKIN3c108BFloat16EjLi1ELb0EEEvNS_4cuda6detail10TensorInfoIKT_T0_EESA_SA_bSA_SA_NS7_IS8_SA_EESA_NS7_IlSA_EESA_PS8_
    .private_segment_fixed_size: 0
    .sgpr_count:     100
    .sgpr_spill_count: 57
    .symbol:         _ZN2at6native6sbtopk10gatherTopKIN3c108BFloat16EjLi1ELb0EEEvNS_4cuda6detail10TensorInfoIKT_T0_EESA_SA_bSA_SA_NS7_IS8_SA_EESA_NS7_IlSA_EESA_PS8_.kd
    .uniform_work_group_size: 1
    .uses_dynamic_stack: false
    .vgpr_count:     53
    .vgpr_spill_count: 0
    .wavefront_size: 64
  - .args:
      - .offset:         0
        .size:           216
        .value_kind:     by_value
      - .offset:         216
        .size:           4
        .value_kind:     by_value
      - .address_space:  global
        .offset:         224
        .size:           8
        .value_kind:     global_buffer
      - .offset:         232
        .size:           4
        .value_kind:     by_value
      - .offset:         236
        .size:           4
        .value_kind:     by_value
      - .offset:         240
        .size:           4
        .value_kind:     by_value
      - .offset:         244
        .size:           4
        .value_kind:     by_value
      - .offset:         248
        .size:           4
        .value_kind:     by_value
      - .offset:         252
        .size:           4
        .value_kind:     by_value
      - .address_space:  global
        .offset:         256
        .size:           8
        .value_kind:     global_buffer
      - .address_space:  global
        .offset:         264
        .size:           8
        .value_kind:     global_buffer
      - .offset:         272
        .size:           4
        .value_kind:     hidden_block_count_x
      - .offset:         276
        .size:           4
        .value_kind:     hidden_block_count_y
      - .offset:         280
        .size:           4
        .value_kind:     hidden_block_count_z
      - .offset:         284
        .size:           2
        .value_kind:     hidden_group_size_x
      - .offset:         286
        .size:           2
        .value_kind:     hidden_group_size_y
      - .offset:         288
        .size:           2
        .value_kind:     hidden_group_size_z
      - .offset:         290
        .size:           2
        .value_kind:     hidden_remainder_x
      - .offset:         292
        .size:           2
        .value_kind:     hidden_remainder_y
      - .offset:         294
        .size:           2
        .value_kind:     hidden_remainder_z
      - .offset:         312
        .size:           8
        .value_kind:     hidden_global_offset_x
      - .offset:         320
        .size:           8
        .value_kind:     hidden_global_offset_y
      - .offset:         328
        .size:           8
        .value_kind:     hidden_global_offset_z
      - .offset:         336
        .size:           2
        .value_kind:     hidden_grid_dims
    .group_segment_fixed_size: 1024
    .kernarg_segment_align: 8
    .kernarg_segment_size: 528
    .language:       OpenCL C
    .language_version:
      - 2
      - 0
    .max_flat_workgroup_size: 256
    .name:           _ZN2at6native6mbtopk23computeBlockDigitCountsIN3c108BFloat16EjjLi2EEEvNS_4cuda6detail10TensorInfoIKT_T0_EEjPjjSA_iijT1_PSD_Ps
    .private_segment_fixed_size: 0
    .sgpr_count:     26
    .sgpr_spill_count: 0
    .symbol:         _ZN2at6native6mbtopk23computeBlockDigitCountsIN3c108BFloat16EjjLi2EEEvNS_4cuda6detail10TensorInfoIKT_T0_EEjPjjSA_iijT1_PSD_Ps.kd
    .uniform_work_group_size: 1
    .uses_dynamic_stack: false
    .vgpr_count:     14
    .vgpr_spill_count: 0
    .wavefront_size: 64
  - .args:
      - .offset:         0
        .size:           216
        .value_kind:     by_value
      - .offset:         216
        .size:           4
        .value_kind:     by_value
      - .offset:         220
        .size:           4
        .value_kind:     by_value
      - .offset:         224
        .size:           1
        .value_kind:     by_value
      - .offset:         228
        .size:           4
        .value_kind:     by_value
      - .offset:         232
        .size:           4
        .value_kind:     by_value
      - .offset:         240
        .size:           216
        .value_kind:     by_value
      - .offset:         456
        .size:           4
        .value_kind:     by_value
      - .offset:         464
        .size:           216
        .value_kind:     by_value
      - .offset:         680
        .size:           4
        .value_kind:     by_value
      - .offset:         684
        .size:           4
        .value_kind:     by_value
      - .offset:         688
        .size:           4
        .value_kind:     by_value
      - .address_space:  global
        .offset:         696
        .size:           8
        .value_kind:     global_buffer
      - .address_space:  global
        .offset:         704
        .size:           8
        .value_kind:     global_buffer
      - .address_space:  global
        .offset:         712
        .size:           8
        .value_kind:     global_buffer
      - .offset:         720
        .size:           4
        .value_kind:     by_value
      - .offset:         728
        .size:           4
        .value_kind:     hidden_block_count_x
      - .offset:         732
        .size:           4
        .value_kind:     hidden_block_count_y
      - .offset:         736
        .size:           4
        .value_kind:     hidden_block_count_z
      - .offset:         740
        .size:           2
        .value_kind:     hidden_group_size_x
      - .offset:         742
        .size:           2
        .value_kind:     hidden_group_size_y
      - .offset:         744
        .size:           2
        .value_kind:     hidden_group_size_z
      - .offset:         746
        .size:           2
        .value_kind:     hidden_remainder_x
      - .offset:         748
        .size:           2
        .value_kind:     hidden_remainder_y
      - .offset:         750
        .size:           2
        .value_kind:     hidden_remainder_z
      - .offset:         768
        .size:           8
        .value_kind:     hidden_global_offset_x
      - .offset:         776
        .size:           8
        .value_kind:     hidden_global_offset_y
      - .offset:         784
        .size:           8
        .value_kind:     hidden_global_offset_z
      - .offset:         792
        .size:           2
        .value_kind:     hidden_grid_dims
    .group_segment_fixed_size: 1068
    .kernarg_segment_align: 8
    .kernarg_segment_size: 984
    .language:       OpenCL C
    .language_version:
      - 2
      - 0
    .max_flat_workgroup_size: 256
    .name:           _ZN2at6native6mbtopk10gatherTopKIN3c108BFloat16EjLi2EEEvNS_4cuda6detail10TensorInfoIKT_T0_EESA_SA_bjSA_NS7_IS8_SA_EESA_NS7_IlSA_EESA_jjPS8_PjSF_j
    .private_segment_fixed_size: 0
    .sgpr_count:     55
    .sgpr_spill_count: 0
    .symbol:         _ZN2at6native6mbtopk10gatherTopKIN3c108BFloat16EjLi2EEEvNS_4cuda6detail10TensorInfoIKT_T0_EESA_SA_bjSA_NS7_IS8_SA_EESA_NS7_IlSA_EESA_jjPS8_PjSF_j.kd
    .uniform_work_group_size: 1
    .uses_dynamic_stack: false
    .vgpr_count:     21
    .vgpr_spill_count: 0
    .wavefront_size: 64
  - .args:
      - .offset:         0
        .size:           216
        .value_kind:     by_value
      - .offset:         216
        .size:           4
        .value_kind:     by_value
      - .offset:         220
        .size:           4
        .value_kind:     by_value
      - .offset:         224
        .size:           1
        .value_kind:     by_value
      - .offset:         228
        .size:           4
        .value_kind:     by_value
      - .offset:         232
        .size:           4
        .value_kind:     by_value
      - .offset:         240
        .size:           216
        .value_kind:     by_value
      - .offset:         456
        .size:           4
        .value_kind:     by_value
      - .offset:         464
        .size:           216
        .value_kind:     by_value
      - .offset:         680
        .size:           4
        .value_kind:     by_value
      - .address_space:  global
        .offset:         688
        .size:           8
        .value_kind:     global_buffer
      - .offset:         696
        .size:           4
        .value_kind:     hidden_block_count_x
      - .offset:         700
        .size:           4
        .value_kind:     hidden_block_count_y
      - .offset:         704
        .size:           4
        .value_kind:     hidden_block_count_z
      - .offset:         708
        .size:           2
        .value_kind:     hidden_group_size_x
      - .offset:         710
        .size:           2
        .value_kind:     hidden_group_size_y
      - .offset:         712
        .size:           2
        .value_kind:     hidden_group_size_z
      - .offset:         714
        .size:           2
        .value_kind:     hidden_remainder_x
      - .offset:         716
        .size:           2
        .value_kind:     hidden_remainder_y
      - .offset:         718
        .size:           2
        .value_kind:     hidden_remainder_z
      - .offset:         736
        .size:           8
        .value_kind:     hidden_global_offset_x
      - .offset:         744
        .size:           8
        .value_kind:     hidden_global_offset_y
      - .offset:         752
        .size:           8
        .value_kind:     hidden_global_offset_z
      - .offset:         760
        .size:           2
        .value_kind:     hidden_grid_dims
    .group_segment_fixed_size: 4112
    .kernarg_segment_align: 8
    .kernarg_segment_size: 952
    .language:       OpenCL C
    .language_version:
      - 2
      - 0
    .max_flat_workgroup_size: 1024
    .name:           _ZN2at6native6sbtopk10gatherTopKIN3c108BFloat16EjLi2ELb0EEEvNS_4cuda6detail10TensorInfoIKT_T0_EESA_SA_bSA_SA_NS7_IS8_SA_EESA_NS7_IlSA_EESA_PS8_
    .private_segment_fixed_size: 0
    .sgpr_count:     100
    .sgpr_spill_count: 65
    .symbol:         _ZN2at6native6sbtopk10gatherTopKIN3c108BFloat16EjLi2ELb0EEEvNS_4cuda6detail10TensorInfoIKT_T0_EESA_SA_bSA_SA_NS7_IS8_SA_EESA_NS7_IlSA_EESA_PS8_.kd
    .uniform_work_group_size: 1
    .uses_dynamic_stack: false
    .vgpr_count:     53
    .vgpr_spill_count: 0
    .wavefront_size: 64
  - .args:
      - .offset:         0
        .size:           216
        .value_kind:     by_value
      - .offset:         216
        .size:           4
        .value_kind:     by_value
      - .address_space:  global
        .offset:         224
        .size:           8
        .value_kind:     global_buffer
      - .offset:         232
        .size:           4
        .value_kind:     by_value
      - .offset:         236
        .size:           4
        .value_kind:     by_value
      - .offset:         240
        .size:           4
        .value_kind:     by_value
      - .offset:         244
        .size:           4
        .value_kind:     by_value
      - .offset:         248
        .size:           4
        .value_kind:     by_value
      - .offset:         252
        .size:           4
        .value_kind:     by_value
      - .address_space:  global
        .offset:         256
        .size:           8
        .value_kind:     global_buffer
      - .address_space:  global
        .offset:         264
        .size:           8
        .value_kind:     global_buffer
      - .offset:         272
        .size:           4
        .value_kind:     hidden_block_count_x
      - .offset:         276
        .size:           4
        .value_kind:     hidden_block_count_y
      - .offset:         280
        .size:           4
        .value_kind:     hidden_block_count_z
      - .offset:         284
        .size:           2
        .value_kind:     hidden_group_size_x
      - .offset:         286
        .size:           2
        .value_kind:     hidden_group_size_y
      - .offset:         288
        .size:           2
        .value_kind:     hidden_group_size_z
      - .offset:         290
        .size:           2
        .value_kind:     hidden_remainder_x
      - .offset:         292
        .size:           2
        .value_kind:     hidden_remainder_y
      - .offset:         294
        .size:           2
        .value_kind:     hidden_remainder_z
      - .offset:         312
        .size:           8
        .value_kind:     hidden_global_offset_x
      - .offset:         320
        .size:           8
        .value_kind:     hidden_global_offset_y
      - .offset:         328
        .size:           8
        .value_kind:     hidden_global_offset_z
      - .offset:         336
        .size:           2
        .value_kind:     hidden_grid_dims
    .group_segment_fixed_size: 1024
    .kernarg_segment_align: 8
    .kernarg_segment_size: 528
    .language:       OpenCL C
    .language_version:
      - 2
      - 0
    .max_flat_workgroup_size: 256
    .name:           _ZN2at6native6mbtopk23computeBlockDigitCountsIN3c108BFloat16EjjLi3EEEvNS_4cuda6detail10TensorInfoIKT_T0_EEjPjjSA_iijT1_PSD_Ps
    .private_segment_fixed_size: 0
    .sgpr_count:     30
    .sgpr_spill_count: 0
    .symbol:         _ZN2at6native6mbtopk23computeBlockDigitCountsIN3c108BFloat16EjjLi3EEEvNS_4cuda6detail10TensorInfoIKT_T0_EEjPjjSA_iijT1_PSD_Ps.kd
    .uniform_work_group_size: 1
    .uses_dynamic_stack: false
    .vgpr_count:     14
    .vgpr_spill_count: 0
    .wavefront_size: 64
  - .args:
      - .offset:         0
        .size:           216
        .value_kind:     by_value
      - .offset:         216
        .size:           4
        .value_kind:     by_value
      - .offset:         220
        .size:           4
        .value_kind:     by_value
      - .offset:         224
        .size:           1
        .value_kind:     by_value
      - .offset:         228
        .size:           4
        .value_kind:     by_value
      - .offset:         232
        .size:           4
        .value_kind:     by_value
      - .offset:         240
        .size:           216
        .value_kind:     by_value
      - .offset:         456
        .size:           4
        .value_kind:     by_value
      - .offset:         464
        .size:           216
        .value_kind:     by_value
      - .offset:         680
        .size:           4
        .value_kind:     by_value
      - .offset:         684
        .size:           4
        .value_kind:     by_value
      - .offset:         688
        .size:           4
        .value_kind:     by_value
      - .address_space:  global
        .offset:         696
        .size:           8
        .value_kind:     global_buffer
      - .address_space:  global
        .offset:         704
        .size:           8
        .value_kind:     global_buffer
      - .address_space:  global
        .offset:         712
        .size:           8
        .value_kind:     global_buffer
      - .offset:         720
        .size:           4
        .value_kind:     by_value
      - .offset:         728
        .size:           4
        .value_kind:     hidden_block_count_x
      - .offset:         732
        .size:           4
        .value_kind:     hidden_block_count_y
      - .offset:         736
        .size:           4
        .value_kind:     hidden_block_count_z
      - .offset:         740
        .size:           2
        .value_kind:     hidden_group_size_x
      - .offset:         742
        .size:           2
        .value_kind:     hidden_group_size_y
      - .offset:         744
        .size:           2
        .value_kind:     hidden_group_size_z
      - .offset:         746
        .size:           2
        .value_kind:     hidden_remainder_x
      - .offset:         748
        .size:           2
        .value_kind:     hidden_remainder_y
      - .offset:         750
        .size:           2
        .value_kind:     hidden_remainder_z
      - .offset:         768
        .size:           8
        .value_kind:     hidden_global_offset_x
      - .offset:         776
        .size:           8
        .value_kind:     hidden_global_offset_y
      - .offset:         784
        .size:           8
        .value_kind:     hidden_global_offset_z
      - .offset:         792
        .size:           2
        .value_kind:     hidden_grid_dims
    .group_segment_fixed_size: 1068
    .kernarg_segment_align: 8
    .kernarg_segment_size: 984
    .language:       OpenCL C
    .language_version:
      - 2
      - 0
    .max_flat_workgroup_size: 256
    .name:           _ZN2at6native6mbtopk10gatherTopKIN3c108BFloat16EjLi3EEEvNS_4cuda6detail10TensorInfoIKT_T0_EESA_SA_bjSA_NS7_IS8_SA_EESA_NS7_IlSA_EESA_jjPS8_PjSF_j
    .private_segment_fixed_size: 0
    .sgpr_count:     64
    .sgpr_spill_count: 0
    .symbol:         _ZN2at6native6mbtopk10gatherTopKIN3c108BFloat16EjLi3EEEvNS_4cuda6detail10TensorInfoIKT_T0_EESA_SA_bjSA_NS7_IS8_SA_EESA_NS7_IlSA_EESA_jjPS8_PjSF_j.kd
    .uniform_work_group_size: 1
    .uses_dynamic_stack: false
    .vgpr_count:     21
    .vgpr_spill_count: 0
    .wavefront_size: 64
  - .args:
      - .offset:         0
        .size:           216
        .value_kind:     by_value
      - .offset:         216
        .size:           4
        .value_kind:     by_value
      - .offset:         220
        .size:           4
        .value_kind:     by_value
      - .offset:         224
        .size:           1
        .value_kind:     by_value
      - .offset:         228
        .size:           4
        .value_kind:     by_value
      - .offset:         232
        .size:           4
        .value_kind:     by_value
      - .offset:         240
        .size:           216
        .value_kind:     by_value
      - .offset:         456
        .size:           4
        .value_kind:     by_value
      - .offset:         464
        .size:           216
        .value_kind:     by_value
      - .offset:         680
        .size:           4
        .value_kind:     by_value
      - .address_space:  global
        .offset:         688
        .size:           8
        .value_kind:     global_buffer
      - .offset:         696
        .size:           4
        .value_kind:     hidden_block_count_x
      - .offset:         700
        .size:           4
        .value_kind:     hidden_block_count_y
      - .offset:         704
        .size:           4
        .value_kind:     hidden_block_count_z
      - .offset:         708
        .size:           2
        .value_kind:     hidden_group_size_x
      - .offset:         710
        .size:           2
        .value_kind:     hidden_group_size_y
      - .offset:         712
        .size:           2
        .value_kind:     hidden_group_size_z
      - .offset:         714
        .size:           2
        .value_kind:     hidden_remainder_x
      - .offset:         716
        .size:           2
        .value_kind:     hidden_remainder_y
      - .offset:         718
        .size:           2
        .value_kind:     hidden_remainder_z
      - .offset:         736
        .size:           8
        .value_kind:     hidden_global_offset_x
      - .offset:         744
        .size:           8
        .value_kind:     hidden_global_offset_y
      - .offset:         752
        .size:           8
        .value_kind:     hidden_global_offset_z
      - .offset:         760
        .size:           2
        .value_kind:     hidden_grid_dims
    .group_segment_fixed_size: 4112
    .kernarg_segment_align: 8
    .kernarg_segment_size: 952
    .language:       OpenCL C
    .language_version:
      - 2
      - 0
    .max_flat_workgroup_size: 1024
    .name:           _ZN2at6native6sbtopk10gatherTopKIN3c108BFloat16EjLi3ELb0EEEvNS_4cuda6detail10TensorInfoIKT_T0_EESA_SA_bSA_SA_NS7_IS8_SA_EESA_NS7_IlSA_EESA_PS8_
    .private_segment_fixed_size: 0
    .sgpr_count:     100
    .sgpr_spill_count: 70
    .symbol:         _ZN2at6native6sbtopk10gatherTopKIN3c108BFloat16EjLi3ELb0EEEvNS_4cuda6detail10TensorInfoIKT_T0_EESA_SA_bSA_SA_NS7_IS8_SA_EESA_NS7_IlSA_EESA_PS8_.kd
    .uniform_work_group_size: 1
    .uses_dynamic_stack: false
    .vgpr_count:     54
    .vgpr_spill_count: 0
    .wavefront_size: 64
  - .args:
      - .offset:         0
        .size:           216
        .value_kind:     by_value
      - .offset:         216
        .size:           4
        .value_kind:     by_value
      - .address_space:  global
        .offset:         224
        .size:           8
        .value_kind:     global_buffer
      - .offset:         232
        .size:           4
        .value_kind:     by_value
      - .offset:         236
        .size:           4
        .value_kind:     by_value
      - .offset:         240
        .size:           4
        .value_kind:     by_value
      - .offset:         244
        .size:           4
        .value_kind:     by_value
      - .offset:         248
        .size:           4
        .value_kind:     by_value
      - .offset:         252
        .size:           4
        .value_kind:     by_value
      - .address_space:  global
        .offset:         256
        .size:           8
        .value_kind:     global_buffer
      - .address_space:  global
        .offset:         264
        .size:           8
        .value_kind:     global_buffer
      - .offset:         272
        .size:           4
        .value_kind:     hidden_block_count_x
      - .offset:         276
        .size:           4
        .value_kind:     hidden_block_count_y
      - .offset:         280
        .size:           4
        .value_kind:     hidden_block_count_z
      - .offset:         284
        .size:           2
        .value_kind:     hidden_group_size_x
      - .offset:         286
        .size:           2
        .value_kind:     hidden_group_size_y
      - .offset:         288
        .size:           2
        .value_kind:     hidden_group_size_z
      - .offset:         290
        .size:           2
        .value_kind:     hidden_remainder_x
      - .offset:         292
        .size:           2
        .value_kind:     hidden_remainder_y
      - .offset:         294
        .size:           2
        .value_kind:     hidden_remainder_z
      - .offset:         312
        .size:           8
        .value_kind:     hidden_global_offset_x
      - .offset:         320
        .size:           8
        .value_kind:     hidden_global_offset_y
      - .offset:         328
        .size:           8
        .value_kind:     hidden_global_offset_z
      - .offset:         336
        .size:           2
        .value_kind:     hidden_grid_dims
    .group_segment_fixed_size: 1024
    .kernarg_segment_align: 8
    .kernarg_segment_size: 528
    .language:       OpenCL C
    .language_version:
      - 2
      - 0
    .max_flat_workgroup_size: 256
    .name:           _ZN2at6native6mbtopk23computeBlockDigitCountsIN3c108BFloat16EjjLin1EEEvNS_4cuda6detail10TensorInfoIKT_T0_EEjPjjSA_iijT1_PSD_Ps
    .private_segment_fixed_size: 0
    .sgpr_count:     28
    .sgpr_spill_count: 0
    .symbol:         _ZN2at6native6mbtopk23computeBlockDigitCountsIN3c108BFloat16EjjLin1EEEvNS_4cuda6detail10TensorInfoIKT_T0_EEjPjjSA_iijT1_PSD_Ps.kd
    .uniform_work_group_size: 1
    .uses_dynamic_stack: false
    .vgpr_count:     14
    .vgpr_spill_count: 0
    .wavefront_size: 64
  - .args:
      - .offset:         0
        .size:           216
        .value_kind:     by_value
      - .offset:         216
        .size:           4
        .value_kind:     by_value
      - .offset:         220
        .size:           4
        .value_kind:     by_value
      - .offset:         224
        .size:           1
        .value_kind:     by_value
      - .offset:         228
        .size:           4
        .value_kind:     by_value
      - .offset:         232
        .size:           4
        .value_kind:     by_value
      - .offset:         240
        .size:           216
        .value_kind:     by_value
      - .offset:         456
        .size:           4
        .value_kind:     by_value
      - .offset:         464
        .size:           216
        .value_kind:     by_value
      - .offset:         680
        .size:           4
        .value_kind:     by_value
      - .offset:         684
        .size:           4
        .value_kind:     by_value
      - .offset:         688
        .size:           4
        .value_kind:     by_value
      - .address_space:  global
        .offset:         696
        .size:           8
        .value_kind:     global_buffer
      - .address_space:  global
        .offset:         704
        .size:           8
        .value_kind:     global_buffer
      - .address_space:  global
        .offset:         712
        .size:           8
        .value_kind:     global_buffer
      - .offset:         720
        .size:           4
        .value_kind:     by_value
      - .offset:         728
        .size:           4
        .value_kind:     hidden_block_count_x
      - .offset:         732
        .size:           4
        .value_kind:     hidden_block_count_y
      - .offset:         736
        .size:           4
        .value_kind:     hidden_block_count_z
      - .offset:         740
        .size:           2
        .value_kind:     hidden_group_size_x
      - .offset:         742
        .size:           2
        .value_kind:     hidden_group_size_y
      - .offset:         744
        .size:           2
        .value_kind:     hidden_group_size_z
      - .offset:         746
        .size:           2
        .value_kind:     hidden_remainder_x
      - .offset:         748
        .size:           2
        .value_kind:     hidden_remainder_y
      - .offset:         750
        .size:           2
        .value_kind:     hidden_remainder_z
      - .offset:         768
        .size:           8
        .value_kind:     hidden_global_offset_x
      - .offset:         776
        .size:           8
        .value_kind:     hidden_global_offset_y
      - .offset:         784
        .size:           8
        .value_kind:     hidden_global_offset_z
      - .offset:         792
        .size:           2
        .value_kind:     hidden_grid_dims
    .group_segment_fixed_size: 1068
    .kernarg_segment_align: 8
    .kernarg_segment_size: 984
    .language:       OpenCL C
    .language_version:
      - 2
      - 0
    .max_flat_workgroup_size: 256
    .name:           _ZN2at6native6mbtopk10gatherTopKIN3c108BFloat16EjLin1EEEvNS_4cuda6detail10TensorInfoIKT_T0_EESA_SA_bjSA_NS7_IS8_SA_EESA_NS7_IlSA_EESA_jjPS8_PjSF_j
    .private_segment_fixed_size: 0
    .sgpr_count:     50
    .sgpr_spill_count: 0
    .symbol:         _ZN2at6native6mbtopk10gatherTopKIN3c108BFloat16EjLin1EEEvNS_4cuda6detail10TensorInfoIKT_T0_EESA_SA_bjSA_NS7_IS8_SA_EESA_NS7_IlSA_EESA_jjPS8_PjSF_j.kd
    .uniform_work_group_size: 1
    .uses_dynamic_stack: false
    .vgpr_count:     21
    .vgpr_spill_count: 0
    .wavefront_size: 64
  - .args:
      - .offset:         0
        .size:           216
        .value_kind:     by_value
      - .offset:         216
        .size:           4
        .value_kind:     by_value
      - .offset:         220
        .size:           4
        .value_kind:     by_value
      - .offset:         224
        .size:           1
        .value_kind:     by_value
      - .offset:         228
        .size:           4
        .value_kind:     by_value
      - .offset:         232
        .size:           4
        .value_kind:     by_value
      - .offset:         240
        .size:           216
        .value_kind:     by_value
      - .offset:         456
        .size:           4
        .value_kind:     by_value
      - .offset:         464
        .size:           216
        .value_kind:     by_value
      - .offset:         680
        .size:           4
        .value_kind:     by_value
      - .address_space:  global
        .offset:         688
        .size:           8
        .value_kind:     global_buffer
      - .offset:         696
        .size:           4
        .value_kind:     hidden_block_count_x
      - .offset:         700
        .size:           4
        .value_kind:     hidden_block_count_y
      - .offset:         704
        .size:           4
        .value_kind:     hidden_block_count_z
      - .offset:         708
        .size:           2
        .value_kind:     hidden_group_size_x
      - .offset:         710
        .size:           2
        .value_kind:     hidden_group_size_y
      - .offset:         712
        .size:           2
        .value_kind:     hidden_group_size_z
      - .offset:         714
        .size:           2
        .value_kind:     hidden_remainder_x
      - .offset:         716
        .size:           2
        .value_kind:     hidden_remainder_y
      - .offset:         718
        .size:           2
        .value_kind:     hidden_remainder_z
      - .offset:         736
        .size:           8
        .value_kind:     hidden_global_offset_x
      - .offset:         744
        .size:           8
        .value_kind:     hidden_global_offset_y
      - .offset:         752
        .size:           8
        .value_kind:     hidden_global_offset_z
      - .offset:         760
        .size:           2
        .value_kind:     hidden_grid_dims
    .group_segment_fixed_size: 4112
    .kernarg_segment_align: 8
    .kernarg_segment_size: 952
    .language:       OpenCL C
    .language_version:
      - 2
      - 0
    .max_flat_workgroup_size: 1024
    .name:           _ZN2at6native6sbtopk10gatherTopKIN3c108BFloat16EjLin1ELb0EEEvNS_4cuda6detail10TensorInfoIKT_T0_EESA_SA_bSA_SA_NS7_IS8_SA_EESA_NS7_IlSA_EESA_PS8_
    .private_segment_fixed_size: 0
    .sgpr_count:     100
    .sgpr_spill_count: 63
    .symbol:         _ZN2at6native6sbtopk10gatherTopKIN3c108BFloat16EjLin1ELb0EEEvNS_4cuda6detail10TensorInfoIKT_T0_EESA_SA_bSA_SA_NS7_IS8_SA_EESA_NS7_IlSA_EESA_PS8_.kd
    .uniform_work_group_size: 1
    .uses_dynamic_stack: false
    .vgpr_count:     53
    .vgpr_spill_count: 0
    .wavefront_size: 64
  - .args:
      - .offset:         0
        .size:           416
        .value_kind:     by_value
      - .offset:         416
        .size:           4
        .value_kind:     by_value
      - .address_space:  global
        .offset:         424
        .size:           8
        .value_kind:     global_buffer
      - .offset:         432
        .size:           4
        .value_kind:     by_value
      - .offset:         440
        .size:           8
        .value_kind:     by_value
      - .offset:         448
        .size:           4
        .value_kind:     by_value
      - .offset:         452
        .size:           4
        .value_kind:     by_value
      - .offset:         456
        .size:           4
        .value_kind:     by_value
      - .offset:         460
        .size:           4
        .value_kind:     by_value
      - .address_space:  global
        .offset:         464
        .size:           8
        .value_kind:     global_buffer
      - .address_space:  global
        .offset:         472
        .size:           8
        .value_kind:     global_buffer
      - .offset:         480
        .size:           4
        .value_kind:     hidden_block_count_x
      - .offset:         484
        .size:           4
        .value_kind:     hidden_block_count_y
      - .offset:         488
        .size:           4
        .value_kind:     hidden_block_count_z
      - .offset:         492
        .size:           2
        .value_kind:     hidden_group_size_x
      - .offset:         494
        .size:           2
        .value_kind:     hidden_group_size_y
      - .offset:         496
        .size:           2
        .value_kind:     hidden_group_size_z
      - .offset:         498
        .size:           2
        .value_kind:     hidden_remainder_x
      - .offset:         500
        .size:           2
        .value_kind:     hidden_remainder_y
      - .offset:         502
        .size:           2
        .value_kind:     hidden_remainder_z
      - .offset:         520
        .size:           8
        .value_kind:     hidden_global_offset_x
      - .offset:         528
        .size:           8
        .value_kind:     hidden_global_offset_y
      - .offset:         536
        .size:           8
        .value_kind:     hidden_global_offset_z
      - .offset:         544
        .size:           2
        .value_kind:     hidden_grid_dims
    .group_segment_fixed_size: 1024
    .kernarg_segment_align: 8
    .kernarg_segment_size: 736
    .language:       OpenCL C
    .language_version:
      - 2
      - 0
    .max_flat_workgroup_size: 256
    .name:           _ZN2at6native6mbtopk23computeBlockDigitCountsIhmjLi1EEEvNS_4cuda6detail10TensorInfoIKT_T0_EEjPjjS8_iijT1_PSB_Ps
    .private_segment_fixed_size: 0
    .sgpr_count:     26
    .sgpr_spill_count: 0
    .symbol:         _ZN2at6native6mbtopk23computeBlockDigitCountsIhmjLi1EEEvNS_4cuda6detail10TensorInfoIKT_T0_EEjPjjS8_iijT1_PSB_Ps.kd
    .uniform_work_group_size: 1
    .uses_dynamic_stack: false
    .vgpr_count:     8
    .vgpr_spill_count: 0
    .wavefront_size: 64
  - .args:
      - .offset:         0
        .size:           416
        .value_kind:     by_value
      - .offset:         416
        .size:           8
        .value_kind:     by_value
      - .offset:         424
        .size:           8
        .value_kind:     by_value
      - .offset:         432
        .size:           1
        .value_kind:     by_value
      - .offset:         436
        .size:           4
        .value_kind:     by_value
      - .offset:         440
        .size:           8
        .value_kind:     by_value
      - .offset:         448
        .size:           416
        .value_kind:     by_value
      - .offset:         864
        .size:           8
        .value_kind:     by_value
      - .offset:         872
        .size:           416
        .value_kind:     by_value
      - .offset:         1288
        .size:           8
        .value_kind:     by_value
      - .offset:         1296
        .size:           4
        .value_kind:     by_value
      - .offset:         1300
        .size:           4
        .value_kind:     by_value
      - .address_space:  global
        .offset:         1304
        .size:           8
        .value_kind:     global_buffer
      - .address_space:  global
        .offset:         1312
        .size:           8
        .value_kind:     global_buffer
      - .address_space:  global
        .offset:         1320
        .size:           8
        .value_kind:     global_buffer
      - .offset:         1328
        .size:           4
        .value_kind:     by_value
      - .offset:         1336
        .size:           4
        .value_kind:     hidden_block_count_x
      - .offset:         1340
        .size:           4
        .value_kind:     hidden_block_count_y
      - .offset:         1344
        .size:           4
        .value_kind:     hidden_block_count_z
      - .offset:         1348
        .size:           2
        .value_kind:     hidden_group_size_x
      - .offset:         1350
        .size:           2
        .value_kind:     hidden_group_size_y
      - .offset:         1352
        .size:           2
        .value_kind:     hidden_group_size_z
      - .offset:         1354
        .size:           2
        .value_kind:     hidden_remainder_x
      - .offset:         1356
        .size:           2
        .value_kind:     hidden_remainder_y
      - .offset:         1358
        .size:           2
        .value_kind:     hidden_remainder_z
      - .offset:         1376
        .size:           8
        .value_kind:     hidden_global_offset_x
      - .offset:         1384
        .size:           8
        .value_kind:     hidden_global_offset_y
      - .offset:         1392
        .size:           8
        .value_kind:     hidden_global_offset_z
      - .offset:         1400
        .size:           2
        .value_kind:     hidden_grid_dims
    .group_segment_fixed_size: 1068
    .kernarg_segment_align: 8
    .kernarg_segment_size: 1592
    .language:       OpenCL C
    .language_version:
      - 2
      - 0
    .max_flat_workgroup_size: 256
    .name:           _ZN2at6native6mbtopk10gatherTopKIhmLi1EEEvNS_4cuda6detail10TensorInfoIKT_T0_EES8_S8_bjS8_NS5_IS6_S8_EES8_NS5_IlS8_EES8_jjPS6_PjSD_j
    .private_segment_fixed_size: 0
    .sgpr_count:     48
    .sgpr_spill_count: 0
    .symbol:         _ZN2at6native6mbtopk10gatherTopKIhmLi1EEEvNS_4cuda6detail10TensorInfoIKT_T0_EES8_S8_bjS8_NS5_IS6_S8_EES8_NS5_IlS8_EES8_jjPS6_PjSD_j.kd
    .uniform_work_group_size: 1
    .uses_dynamic_stack: false
    .vgpr_count:     22
    .vgpr_spill_count: 0
    .wavefront_size: 64
  - .args:
      - .offset:         0
        .size:           416
        .value_kind:     by_value
      - .offset:         416
        .size:           8
        .value_kind:     by_value
      - .offset:         424
        .size:           8
        .value_kind:     by_value
      - .offset:         432
        .size:           1
        .value_kind:     by_value
      - .offset:         440
        .size:           8
        .value_kind:     by_value
      - .offset:         448
        .size:           8
        .value_kind:     by_value
      - .offset:         456
        .size:           416
        .value_kind:     by_value
      - .offset:         872
        .size:           8
        .value_kind:     by_value
      - .offset:         880
        .size:           416
        .value_kind:     by_value
      - .offset:         1296
        .size:           8
        .value_kind:     by_value
      - .address_space:  global
        .offset:         1304
        .size:           8
        .value_kind:     global_buffer
      - .offset:         1312
        .size:           4
        .value_kind:     hidden_block_count_x
      - .offset:         1316
        .size:           4
        .value_kind:     hidden_block_count_y
      - .offset:         1320
        .size:           4
        .value_kind:     hidden_block_count_z
      - .offset:         1324
        .size:           2
        .value_kind:     hidden_group_size_x
      - .offset:         1326
        .size:           2
        .value_kind:     hidden_group_size_y
      - .offset:         1328
        .size:           2
        .value_kind:     hidden_group_size_z
      - .offset:         1330
        .size:           2
        .value_kind:     hidden_remainder_x
      - .offset:         1332
        .size:           2
        .value_kind:     hidden_remainder_y
      - .offset:         1334
        .size:           2
        .value_kind:     hidden_remainder_z
      - .offset:         1352
        .size:           8
        .value_kind:     hidden_global_offset_x
      - .offset:         1360
        .size:           8
        .value_kind:     hidden_global_offset_y
      - .offset:         1368
        .size:           8
        .value_kind:     hidden_global_offset_z
      - .offset:         1376
        .size:           2
        .value_kind:     hidden_grid_dims
    .group_segment_fixed_size: 5152
    .kernarg_segment_align: 8
    .kernarg_segment_size: 1568
    .language:       OpenCL C
    .language_version:
      - 2
      - 0
    .max_flat_workgroup_size: 1024
    .name:           _ZN2at6native6sbtopk10gatherTopKIhmLi1ELb0EEEvNS_4cuda6detail10TensorInfoIKT_T0_EES8_S8_bS8_S8_NS5_IS6_S8_EES8_NS5_IlS8_EES8_PS6_
    .private_segment_fixed_size: 0
    .sgpr_count:     100
    .sgpr_spill_count: 89
    .symbol:         _ZN2at6native6sbtopk10gatherTopKIhmLi1ELb0EEEvNS_4cuda6detail10TensorInfoIKT_T0_EES8_S8_bS8_S8_NS5_IS6_S8_EES8_NS5_IlS8_EES8_PS6_.kd
    .uniform_work_group_size: 1
    .uses_dynamic_stack: false
    .vgpr_count:     55
    .vgpr_spill_count: 0
    .wavefront_size: 64
  - .args:
      - .offset:         0
        .size:           416
        .value_kind:     by_value
      - .offset:         416
        .size:           4
        .value_kind:     by_value
      - .address_space:  global
        .offset:         424
        .size:           8
        .value_kind:     global_buffer
      - .offset:         432
        .size:           4
        .value_kind:     by_value
      - .offset:         440
        .size:           8
        .value_kind:     by_value
      - .offset:         448
        .size:           4
        .value_kind:     by_value
      - .offset:         452
        .size:           4
        .value_kind:     by_value
      - .offset:         456
        .size:           4
        .value_kind:     by_value
      - .offset:         460
        .size:           4
        .value_kind:     by_value
      - .address_space:  global
        .offset:         464
        .size:           8
        .value_kind:     global_buffer
      - .address_space:  global
        .offset:         472
        .size:           8
        .value_kind:     global_buffer
      - .offset:         480
        .size:           4
        .value_kind:     hidden_block_count_x
      - .offset:         484
        .size:           4
        .value_kind:     hidden_block_count_y
      - .offset:         488
        .size:           4
        .value_kind:     hidden_block_count_z
      - .offset:         492
        .size:           2
        .value_kind:     hidden_group_size_x
      - .offset:         494
        .size:           2
        .value_kind:     hidden_group_size_y
      - .offset:         496
        .size:           2
        .value_kind:     hidden_group_size_z
      - .offset:         498
        .size:           2
        .value_kind:     hidden_remainder_x
      - .offset:         500
        .size:           2
        .value_kind:     hidden_remainder_y
      - .offset:         502
        .size:           2
        .value_kind:     hidden_remainder_z
      - .offset:         520
        .size:           8
        .value_kind:     hidden_global_offset_x
      - .offset:         528
        .size:           8
        .value_kind:     hidden_global_offset_y
      - .offset:         536
        .size:           8
        .value_kind:     hidden_global_offset_z
      - .offset:         544
        .size:           2
        .value_kind:     hidden_grid_dims
    .group_segment_fixed_size: 1024
    .kernarg_segment_align: 8
    .kernarg_segment_size: 736
    .language:       OpenCL C
    .language_version:
      - 2
      - 0
    .max_flat_workgroup_size: 256
    .name:           _ZN2at6native6mbtopk23computeBlockDigitCountsIhmjLi2EEEvNS_4cuda6detail10TensorInfoIKT_T0_EEjPjjS8_iijT1_PSB_Ps
    .private_segment_fixed_size: 0
    .sgpr_count:     30
    .sgpr_spill_count: 0
    .symbol:         _ZN2at6native6mbtopk23computeBlockDigitCountsIhmjLi2EEEvNS_4cuda6detail10TensorInfoIKT_T0_EEjPjjS8_iijT1_PSB_Ps.kd
    .uniform_work_group_size: 1
    .uses_dynamic_stack: false
    .vgpr_count:     8
    .vgpr_spill_count: 0
    .wavefront_size: 64
  - .args:
      - .offset:         0
        .size:           416
        .value_kind:     by_value
      - .offset:         416
        .size:           8
        .value_kind:     by_value
      - .offset:         424
        .size:           8
        .value_kind:     by_value
      - .offset:         432
        .size:           1
        .value_kind:     by_value
      - .offset:         436
        .size:           4
        .value_kind:     by_value
      - .offset:         440
        .size:           8
        .value_kind:     by_value
      - .offset:         448
        .size:           416
        .value_kind:     by_value
      - .offset:         864
        .size:           8
        .value_kind:     by_value
      - .offset:         872
        .size:           416
        .value_kind:     by_value
      - .offset:         1288
        .size:           8
        .value_kind:     by_value
      - .offset:         1296
        .size:           4
        .value_kind:     by_value
      - .offset:         1300
        .size:           4
        .value_kind:     by_value
      - .address_space:  global
        .offset:         1304
        .size:           8
        .value_kind:     global_buffer
      - .address_space:  global
        .offset:         1312
        .size:           8
        .value_kind:     global_buffer
      - .address_space:  global
        .offset:         1320
        .size:           8
        .value_kind:     global_buffer
      - .offset:         1328
        .size:           4
        .value_kind:     by_value
      - .offset:         1336
        .size:           4
        .value_kind:     hidden_block_count_x
      - .offset:         1340
        .size:           4
        .value_kind:     hidden_block_count_y
      - .offset:         1344
        .size:           4
        .value_kind:     hidden_block_count_z
      - .offset:         1348
        .size:           2
        .value_kind:     hidden_group_size_x
      - .offset:         1350
        .size:           2
        .value_kind:     hidden_group_size_y
      - .offset:         1352
        .size:           2
        .value_kind:     hidden_group_size_z
      - .offset:         1354
        .size:           2
        .value_kind:     hidden_remainder_x
      - .offset:         1356
        .size:           2
        .value_kind:     hidden_remainder_y
      - .offset:         1358
        .size:           2
        .value_kind:     hidden_remainder_z
      - .offset:         1376
        .size:           8
        .value_kind:     hidden_global_offset_x
      - .offset:         1384
        .size:           8
        .value_kind:     hidden_global_offset_y
      - .offset:         1392
        .size:           8
        .value_kind:     hidden_global_offset_z
      - .offset:         1400
        .size:           2
        .value_kind:     hidden_grid_dims
    .group_segment_fixed_size: 1068
    .kernarg_segment_align: 8
    .kernarg_segment_size: 1592
    .language:       OpenCL C
    .language_version:
      - 2
      - 0
    .max_flat_workgroup_size: 256
    .name:           _ZN2at6native6mbtopk10gatherTopKIhmLi2EEEvNS_4cuda6detail10TensorInfoIKT_T0_EES8_S8_bjS8_NS5_IS6_S8_EES8_NS5_IlS8_EES8_jjPS6_PjSD_j
    .private_segment_fixed_size: 0
    .sgpr_count:     54
    .sgpr_spill_count: 0
    .symbol:         _ZN2at6native6mbtopk10gatherTopKIhmLi2EEEvNS_4cuda6detail10TensorInfoIKT_T0_EES8_S8_bjS8_NS5_IS6_S8_EES8_NS5_IlS8_EES8_jjPS6_PjSD_j.kd
    .uniform_work_group_size: 1
    .uses_dynamic_stack: false
    .vgpr_count:     22
    .vgpr_spill_count: 0
    .wavefront_size: 64
  - .args:
      - .offset:         0
        .size:           416
        .value_kind:     by_value
      - .offset:         416
        .size:           8
        .value_kind:     by_value
      - .offset:         424
        .size:           8
        .value_kind:     by_value
      - .offset:         432
        .size:           1
        .value_kind:     by_value
      - .offset:         440
        .size:           8
        .value_kind:     by_value
      - .offset:         448
        .size:           8
        .value_kind:     by_value
      - .offset:         456
        .size:           416
        .value_kind:     by_value
      - .offset:         872
        .size:           8
        .value_kind:     by_value
      - .offset:         880
        .size:           416
        .value_kind:     by_value
      - .offset:         1296
        .size:           8
        .value_kind:     by_value
      - .address_space:  global
        .offset:         1304
        .size:           8
        .value_kind:     global_buffer
      - .offset:         1312
        .size:           4
        .value_kind:     hidden_block_count_x
      - .offset:         1316
        .size:           4
        .value_kind:     hidden_block_count_y
      - .offset:         1320
        .size:           4
        .value_kind:     hidden_block_count_z
      - .offset:         1324
        .size:           2
        .value_kind:     hidden_group_size_x
      - .offset:         1326
        .size:           2
        .value_kind:     hidden_group_size_y
      - .offset:         1328
        .size:           2
        .value_kind:     hidden_group_size_z
      - .offset:         1330
        .size:           2
        .value_kind:     hidden_remainder_x
      - .offset:         1332
        .size:           2
        .value_kind:     hidden_remainder_y
      - .offset:         1334
        .size:           2
        .value_kind:     hidden_remainder_z
      - .offset:         1352
        .size:           8
        .value_kind:     hidden_global_offset_x
      - .offset:         1360
        .size:           8
        .value_kind:     hidden_global_offset_y
      - .offset:         1368
        .size:           8
        .value_kind:     hidden_global_offset_z
      - .offset:         1376
        .size:           2
        .value_kind:     hidden_grid_dims
    .group_segment_fixed_size: 5152
    .kernarg_segment_align: 8
    .kernarg_segment_size: 1568
    .language:       OpenCL C
    .language_version:
      - 2
      - 0
    .max_flat_workgroup_size: 1024
    .name:           _ZN2at6native6sbtopk10gatherTopKIhmLi2ELb0EEEvNS_4cuda6detail10TensorInfoIKT_T0_EES8_S8_bS8_S8_NS5_IS6_S8_EES8_NS5_IlS8_EES8_PS6_
    .private_segment_fixed_size: 0
    .sgpr_count:     100
    .sgpr_spill_count: 79
    .symbol:         _ZN2at6native6sbtopk10gatherTopKIhmLi2ELb0EEEvNS_4cuda6detail10TensorInfoIKT_T0_EES8_S8_bS8_S8_NS5_IS6_S8_EES8_NS5_IlS8_EES8_PS6_.kd
    .uniform_work_group_size: 1
    .uses_dynamic_stack: false
    .vgpr_count:     48
    .vgpr_spill_count: 0
    .wavefront_size: 64
  - .args:
      - .offset:         0
        .size:           416
        .value_kind:     by_value
      - .offset:         416
        .size:           4
        .value_kind:     by_value
      - .address_space:  global
        .offset:         424
        .size:           8
        .value_kind:     global_buffer
      - .offset:         432
        .size:           4
        .value_kind:     by_value
      - .offset:         440
        .size:           8
        .value_kind:     by_value
      - .offset:         448
        .size:           4
        .value_kind:     by_value
      - .offset:         452
        .size:           4
        .value_kind:     by_value
      - .offset:         456
        .size:           4
        .value_kind:     by_value
      - .offset:         460
        .size:           4
        .value_kind:     by_value
      - .address_space:  global
        .offset:         464
        .size:           8
        .value_kind:     global_buffer
      - .address_space:  global
        .offset:         472
        .size:           8
        .value_kind:     global_buffer
      - .offset:         480
        .size:           4
        .value_kind:     hidden_block_count_x
      - .offset:         484
        .size:           4
        .value_kind:     hidden_block_count_y
      - .offset:         488
        .size:           4
        .value_kind:     hidden_block_count_z
      - .offset:         492
        .size:           2
        .value_kind:     hidden_group_size_x
      - .offset:         494
        .size:           2
        .value_kind:     hidden_group_size_y
      - .offset:         496
        .size:           2
        .value_kind:     hidden_group_size_z
      - .offset:         498
        .size:           2
        .value_kind:     hidden_remainder_x
      - .offset:         500
        .size:           2
        .value_kind:     hidden_remainder_y
      - .offset:         502
        .size:           2
        .value_kind:     hidden_remainder_z
      - .offset:         520
        .size:           8
        .value_kind:     hidden_global_offset_x
      - .offset:         528
        .size:           8
        .value_kind:     hidden_global_offset_y
      - .offset:         536
        .size:           8
        .value_kind:     hidden_global_offset_z
      - .offset:         544
        .size:           2
        .value_kind:     hidden_grid_dims
    .group_segment_fixed_size: 1024
    .kernarg_segment_align: 8
    .kernarg_segment_size: 736
    .language:       OpenCL C
    .language_version:
      - 2
      - 0
    .max_flat_workgroup_size: 256
    .name:           _ZN2at6native6mbtopk23computeBlockDigitCountsIhmjLi3EEEvNS_4cuda6detail10TensorInfoIKT_T0_EEjPjjS8_iijT1_PSB_Ps
    .private_segment_fixed_size: 0
    .sgpr_count:     36
    .sgpr_spill_count: 0
    .symbol:         _ZN2at6native6mbtopk23computeBlockDigitCountsIhmjLi3EEEvNS_4cuda6detail10TensorInfoIKT_T0_EEjPjjS8_iijT1_PSB_Ps.kd
    .uniform_work_group_size: 1
    .uses_dynamic_stack: false
    .vgpr_count:     8
    .vgpr_spill_count: 0
    .wavefront_size: 64
  - .args:
      - .offset:         0
        .size:           416
        .value_kind:     by_value
      - .offset:         416
        .size:           8
        .value_kind:     by_value
      - .offset:         424
        .size:           8
        .value_kind:     by_value
      - .offset:         432
        .size:           1
        .value_kind:     by_value
      - .offset:         436
        .size:           4
        .value_kind:     by_value
      - .offset:         440
        .size:           8
        .value_kind:     by_value
      - .offset:         448
        .size:           416
        .value_kind:     by_value
      - .offset:         864
        .size:           8
        .value_kind:     by_value
      - .offset:         872
        .size:           416
        .value_kind:     by_value
      - .offset:         1288
        .size:           8
        .value_kind:     by_value
      - .offset:         1296
        .size:           4
        .value_kind:     by_value
      - .offset:         1300
        .size:           4
        .value_kind:     by_value
      - .address_space:  global
        .offset:         1304
        .size:           8
        .value_kind:     global_buffer
      - .address_space:  global
        .offset:         1312
        .size:           8
        .value_kind:     global_buffer
      - .address_space:  global
        .offset:         1320
        .size:           8
        .value_kind:     global_buffer
      - .offset:         1328
        .size:           4
        .value_kind:     by_value
      - .offset:         1336
        .size:           4
        .value_kind:     hidden_block_count_x
      - .offset:         1340
        .size:           4
        .value_kind:     hidden_block_count_y
      - .offset:         1344
        .size:           4
        .value_kind:     hidden_block_count_z
      - .offset:         1348
        .size:           2
        .value_kind:     hidden_group_size_x
      - .offset:         1350
        .size:           2
        .value_kind:     hidden_group_size_y
      - .offset:         1352
        .size:           2
        .value_kind:     hidden_group_size_z
      - .offset:         1354
        .size:           2
        .value_kind:     hidden_remainder_x
      - .offset:         1356
        .size:           2
        .value_kind:     hidden_remainder_y
      - .offset:         1358
        .size:           2
        .value_kind:     hidden_remainder_z
      - .offset:         1376
        .size:           8
        .value_kind:     hidden_global_offset_x
      - .offset:         1384
        .size:           8
        .value_kind:     hidden_global_offset_y
      - .offset:         1392
        .size:           8
        .value_kind:     hidden_global_offset_z
      - .offset:         1400
        .size:           2
        .value_kind:     hidden_grid_dims
    .group_segment_fixed_size: 1068
    .kernarg_segment_align: 8
    .kernarg_segment_size: 1592
    .language:       OpenCL C
    .language_version:
      - 2
      - 0
    .max_flat_workgroup_size: 256
    .name:           _ZN2at6native6mbtopk10gatherTopKIhmLi3EEEvNS_4cuda6detail10TensorInfoIKT_T0_EES8_S8_bjS8_NS5_IS6_S8_EES8_NS5_IlS8_EES8_jjPS6_PjSD_j
    .private_segment_fixed_size: 0
    .sgpr_count:     81
    .sgpr_spill_count: 0
    .symbol:         _ZN2at6native6mbtopk10gatherTopKIhmLi3EEEvNS_4cuda6detail10TensorInfoIKT_T0_EES8_S8_bjS8_NS5_IS6_S8_EES8_NS5_IlS8_EES8_jjPS6_PjSD_j.kd
    .uniform_work_group_size: 1
    .uses_dynamic_stack: false
    .vgpr_count:     22
    .vgpr_spill_count: 0
    .wavefront_size: 64
  - .args:
      - .offset:         0
        .size:           416
        .value_kind:     by_value
      - .offset:         416
        .size:           8
        .value_kind:     by_value
      - .offset:         424
        .size:           8
        .value_kind:     by_value
      - .offset:         432
        .size:           1
        .value_kind:     by_value
      - .offset:         440
        .size:           8
        .value_kind:     by_value
      - .offset:         448
        .size:           8
        .value_kind:     by_value
      - .offset:         456
        .size:           416
        .value_kind:     by_value
      - .offset:         872
        .size:           8
        .value_kind:     by_value
      - .offset:         880
        .size:           416
        .value_kind:     by_value
      - .offset:         1296
        .size:           8
        .value_kind:     by_value
      - .address_space:  global
        .offset:         1304
        .size:           8
        .value_kind:     global_buffer
      - .offset:         1312
        .size:           4
        .value_kind:     hidden_block_count_x
      - .offset:         1316
        .size:           4
        .value_kind:     hidden_block_count_y
      - .offset:         1320
        .size:           4
        .value_kind:     hidden_block_count_z
      - .offset:         1324
        .size:           2
        .value_kind:     hidden_group_size_x
      - .offset:         1326
        .size:           2
        .value_kind:     hidden_group_size_y
      - .offset:         1328
        .size:           2
        .value_kind:     hidden_group_size_z
      - .offset:         1330
        .size:           2
        .value_kind:     hidden_remainder_x
      - .offset:         1332
        .size:           2
        .value_kind:     hidden_remainder_y
      - .offset:         1334
        .size:           2
        .value_kind:     hidden_remainder_z
      - .offset:         1352
        .size:           8
        .value_kind:     hidden_global_offset_x
      - .offset:         1360
        .size:           8
        .value_kind:     hidden_global_offset_y
      - .offset:         1368
        .size:           8
        .value_kind:     hidden_global_offset_z
      - .offset:         1376
        .size:           2
        .value_kind:     hidden_grid_dims
    .group_segment_fixed_size: 5152
    .kernarg_segment_align: 8
    .kernarg_segment_size: 1568
    .language:       OpenCL C
    .language_version:
      - 2
      - 0
    .max_flat_workgroup_size: 1024
    .name:           _ZN2at6native6sbtopk10gatherTopKIhmLi3ELb0EEEvNS_4cuda6detail10TensorInfoIKT_T0_EES8_S8_bS8_S8_NS5_IS6_S8_EES8_NS5_IlS8_EES8_PS6_
    .private_segment_fixed_size: 0
    .sgpr_count:     100
    .sgpr_spill_count: 103
    .symbol:         _ZN2at6native6sbtopk10gatherTopKIhmLi3ELb0EEEvNS_4cuda6detail10TensorInfoIKT_T0_EES8_S8_bS8_S8_NS5_IS6_S8_EES8_NS5_IlS8_EES8_PS6_.kd
    .uniform_work_group_size: 1
    .uses_dynamic_stack: false
    .vgpr_count:     48
    .vgpr_spill_count: 0
    .wavefront_size: 64
  - .args:
      - .offset:         0
        .size:           416
        .value_kind:     by_value
      - .offset:         416
        .size:           4
        .value_kind:     by_value
      - .address_space:  global
        .offset:         424
        .size:           8
        .value_kind:     global_buffer
      - .offset:         432
        .size:           4
        .value_kind:     by_value
      - .offset:         440
        .size:           8
        .value_kind:     by_value
      - .offset:         448
        .size:           4
        .value_kind:     by_value
      - .offset:         452
        .size:           4
        .value_kind:     by_value
      - .offset:         456
        .size:           4
        .value_kind:     by_value
      - .offset:         460
        .size:           4
        .value_kind:     by_value
      - .address_space:  global
        .offset:         464
        .size:           8
        .value_kind:     global_buffer
      - .address_space:  global
        .offset:         472
        .size:           8
        .value_kind:     global_buffer
      - .offset:         480
        .size:           4
        .value_kind:     hidden_block_count_x
      - .offset:         484
        .size:           4
        .value_kind:     hidden_block_count_y
      - .offset:         488
        .size:           4
        .value_kind:     hidden_block_count_z
      - .offset:         492
        .size:           2
        .value_kind:     hidden_group_size_x
      - .offset:         494
        .size:           2
        .value_kind:     hidden_group_size_y
      - .offset:         496
        .size:           2
        .value_kind:     hidden_group_size_z
      - .offset:         498
        .size:           2
        .value_kind:     hidden_remainder_x
      - .offset:         500
        .size:           2
        .value_kind:     hidden_remainder_y
      - .offset:         502
        .size:           2
        .value_kind:     hidden_remainder_z
      - .offset:         520
        .size:           8
        .value_kind:     hidden_global_offset_x
      - .offset:         528
        .size:           8
        .value_kind:     hidden_global_offset_y
      - .offset:         536
        .size:           8
        .value_kind:     hidden_global_offset_z
      - .offset:         544
        .size:           2
        .value_kind:     hidden_grid_dims
    .group_segment_fixed_size: 1024
    .kernarg_segment_align: 8
    .kernarg_segment_size: 736
    .language:       OpenCL C
    .language_version:
      - 2
      - 0
    .max_flat_workgroup_size: 256
    .name:           _ZN2at6native6mbtopk23computeBlockDigitCountsIhmjLin1EEEvNS_4cuda6detail10TensorInfoIKT_T0_EEjPjjS8_iijT1_PSB_Ps
    .private_segment_fixed_size: 0
    .sgpr_count:     32
    .sgpr_spill_count: 0
    .symbol:         _ZN2at6native6mbtopk23computeBlockDigitCountsIhmjLin1EEEvNS_4cuda6detail10TensorInfoIKT_T0_EEjPjjS8_iijT1_PSB_Ps.kd
    .uniform_work_group_size: 1
    .uses_dynamic_stack: false
    .vgpr_count:     8
    .vgpr_spill_count: 0
    .wavefront_size: 64
  - .args:
      - .offset:         0
        .size:           416
        .value_kind:     by_value
      - .offset:         416
        .size:           8
        .value_kind:     by_value
      - .offset:         424
        .size:           8
        .value_kind:     by_value
      - .offset:         432
        .size:           1
        .value_kind:     by_value
      - .offset:         436
        .size:           4
        .value_kind:     by_value
      - .offset:         440
        .size:           8
        .value_kind:     by_value
      - .offset:         448
        .size:           416
        .value_kind:     by_value
      - .offset:         864
        .size:           8
        .value_kind:     by_value
      - .offset:         872
        .size:           416
        .value_kind:     by_value
      - .offset:         1288
        .size:           8
        .value_kind:     by_value
      - .offset:         1296
        .size:           4
        .value_kind:     by_value
      - .offset:         1300
        .size:           4
        .value_kind:     by_value
      - .address_space:  global
        .offset:         1304
        .size:           8
        .value_kind:     global_buffer
      - .address_space:  global
        .offset:         1312
        .size:           8
        .value_kind:     global_buffer
      - .address_space:  global
        .offset:         1320
        .size:           8
        .value_kind:     global_buffer
      - .offset:         1328
        .size:           4
        .value_kind:     by_value
      - .offset:         1336
        .size:           4
        .value_kind:     hidden_block_count_x
      - .offset:         1340
        .size:           4
        .value_kind:     hidden_block_count_y
      - .offset:         1344
        .size:           4
        .value_kind:     hidden_block_count_z
      - .offset:         1348
        .size:           2
        .value_kind:     hidden_group_size_x
      - .offset:         1350
        .size:           2
        .value_kind:     hidden_group_size_y
      - .offset:         1352
        .size:           2
        .value_kind:     hidden_group_size_z
      - .offset:         1354
        .size:           2
        .value_kind:     hidden_remainder_x
      - .offset:         1356
        .size:           2
        .value_kind:     hidden_remainder_y
      - .offset:         1358
        .size:           2
        .value_kind:     hidden_remainder_z
      - .offset:         1376
        .size:           8
        .value_kind:     hidden_global_offset_x
      - .offset:         1384
        .size:           8
        .value_kind:     hidden_global_offset_y
      - .offset:         1392
        .size:           8
        .value_kind:     hidden_global_offset_z
      - .offset:         1400
        .size:           2
        .value_kind:     hidden_grid_dims
    .group_segment_fixed_size: 1068
    .kernarg_segment_align: 8
    .kernarg_segment_size: 1592
    .language:       OpenCL C
    .language_version:
      - 2
      - 0
    .max_flat_workgroup_size: 256
    .name:           _ZN2at6native6mbtopk10gatherTopKIhmLin1EEEvNS_4cuda6detail10TensorInfoIKT_T0_EES8_S8_bjS8_NS5_IS6_S8_EES8_NS5_IlS8_EES8_jjPS6_PjSD_j
    .private_segment_fixed_size: 0
    .sgpr_count:     60
    .sgpr_spill_count: 0
    .symbol:         _ZN2at6native6mbtopk10gatherTopKIhmLin1EEEvNS_4cuda6detail10TensorInfoIKT_T0_EES8_S8_bjS8_NS5_IS6_S8_EES8_NS5_IlS8_EES8_jjPS6_PjSD_j.kd
    .uniform_work_group_size: 1
    .uses_dynamic_stack: false
    .vgpr_count:     22
    .vgpr_spill_count: 0
    .wavefront_size: 64
  - .args:
      - .offset:         0
        .size:           416
        .value_kind:     by_value
      - .offset:         416
        .size:           8
        .value_kind:     by_value
      - .offset:         424
        .size:           8
        .value_kind:     by_value
      - .offset:         432
        .size:           1
        .value_kind:     by_value
      - .offset:         440
        .size:           8
        .value_kind:     by_value
      - .offset:         448
        .size:           8
        .value_kind:     by_value
      - .offset:         456
        .size:           416
        .value_kind:     by_value
      - .offset:         872
        .size:           8
        .value_kind:     by_value
      - .offset:         880
        .size:           416
        .value_kind:     by_value
      - .offset:         1296
        .size:           8
        .value_kind:     by_value
      - .address_space:  global
        .offset:         1304
        .size:           8
        .value_kind:     global_buffer
      - .offset:         1312
        .size:           4
        .value_kind:     hidden_block_count_x
      - .offset:         1316
        .size:           4
        .value_kind:     hidden_block_count_y
      - .offset:         1320
        .size:           4
        .value_kind:     hidden_block_count_z
      - .offset:         1324
        .size:           2
        .value_kind:     hidden_group_size_x
      - .offset:         1326
        .size:           2
        .value_kind:     hidden_group_size_y
      - .offset:         1328
        .size:           2
        .value_kind:     hidden_group_size_z
      - .offset:         1330
        .size:           2
        .value_kind:     hidden_remainder_x
      - .offset:         1332
        .size:           2
        .value_kind:     hidden_remainder_y
      - .offset:         1334
        .size:           2
        .value_kind:     hidden_remainder_z
      - .offset:         1352
        .size:           8
        .value_kind:     hidden_global_offset_x
      - .offset:         1360
        .size:           8
        .value_kind:     hidden_global_offset_y
      - .offset:         1368
        .size:           8
        .value_kind:     hidden_global_offset_z
      - .offset:         1376
        .size:           2
        .value_kind:     hidden_grid_dims
    .group_segment_fixed_size: 5152
    .kernarg_segment_align: 8
    .kernarg_segment_size: 1568
    .language:       OpenCL C
    .language_version:
      - 2
      - 0
    .max_flat_workgroup_size: 1024
    .name:           _ZN2at6native6sbtopk10gatherTopKIhmLin1ELb0EEEvNS_4cuda6detail10TensorInfoIKT_T0_EES8_S8_bS8_S8_NS5_IS6_S8_EES8_NS5_IlS8_EES8_PS6_
    .private_segment_fixed_size: 0
    .sgpr_count:     100
    .sgpr_spill_count: 95
    .symbol:         _ZN2at6native6sbtopk10gatherTopKIhmLin1ELb0EEEvNS_4cuda6detail10TensorInfoIKT_T0_EES8_S8_bS8_S8_NS5_IS6_S8_EES8_NS5_IlS8_EES8_PS6_.kd
    .uniform_work_group_size: 1
    .uses_dynamic_stack: false
    .vgpr_count:     58
    .vgpr_spill_count: 0
    .wavefront_size: 64
  - .args:
      - .offset:         0
        .size:           416
        .value_kind:     by_value
      - .offset:         416
        .size:           4
        .value_kind:     by_value
      - .address_space:  global
        .offset:         424
        .size:           8
        .value_kind:     global_buffer
      - .offset:         432
        .size:           4
        .value_kind:     by_value
      - .offset:         440
        .size:           8
        .value_kind:     by_value
      - .offset:         448
        .size:           4
        .value_kind:     by_value
      - .offset:         452
        .size:           4
        .value_kind:     by_value
      - .offset:         456
        .size:           4
        .value_kind:     by_value
      - .offset:         460
        .size:           4
        .value_kind:     by_value
      - .address_space:  global
        .offset:         464
        .size:           8
        .value_kind:     global_buffer
      - .address_space:  global
        .offset:         472
        .size:           8
        .value_kind:     global_buffer
      - .offset:         480
        .size:           4
        .value_kind:     hidden_block_count_x
      - .offset:         484
        .size:           4
        .value_kind:     hidden_block_count_y
      - .offset:         488
        .size:           4
        .value_kind:     hidden_block_count_z
      - .offset:         492
        .size:           2
        .value_kind:     hidden_group_size_x
      - .offset:         494
        .size:           2
        .value_kind:     hidden_group_size_y
      - .offset:         496
        .size:           2
        .value_kind:     hidden_group_size_z
      - .offset:         498
        .size:           2
        .value_kind:     hidden_remainder_x
      - .offset:         500
        .size:           2
        .value_kind:     hidden_remainder_y
      - .offset:         502
        .size:           2
        .value_kind:     hidden_remainder_z
      - .offset:         520
        .size:           8
        .value_kind:     hidden_global_offset_x
      - .offset:         528
        .size:           8
        .value_kind:     hidden_global_offset_y
      - .offset:         536
        .size:           8
        .value_kind:     hidden_global_offset_z
      - .offset:         544
        .size:           2
        .value_kind:     hidden_grid_dims
    .group_segment_fixed_size: 1024
    .kernarg_segment_align: 8
    .kernarg_segment_size: 736
    .language:       OpenCL C
    .language_version:
      - 2
      - 0
    .max_flat_workgroup_size: 256
    .name:           _ZN2at6native6mbtopk23computeBlockDigitCountsIamjLi1EEEvNS_4cuda6detail10TensorInfoIKT_T0_EEjPjjS8_iijT1_PSB_Ps
    .private_segment_fixed_size: 0
    .sgpr_count:     26
    .sgpr_spill_count: 0
    .symbol:         _ZN2at6native6mbtopk23computeBlockDigitCountsIamjLi1EEEvNS_4cuda6detail10TensorInfoIKT_T0_EEjPjjS8_iijT1_PSB_Ps.kd
    .uniform_work_group_size: 1
    .uses_dynamic_stack: false
    .vgpr_count:     9
    .vgpr_spill_count: 0
    .wavefront_size: 64
  - .args:
      - .offset:         0
        .size:           416
        .value_kind:     by_value
      - .offset:         416
        .size:           8
        .value_kind:     by_value
      - .offset:         424
        .size:           8
        .value_kind:     by_value
      - .offset:         432
        .size:           1
        .value_kind:     by_value
      - .offset:         436
        .size:           4
        .value_kind:     by_value
      - .offset:         440
        .size:           8
        .value_kind:     by_value
      - .offset:         448
        .size:           416
        .value_kind:     by_value
      - .offset:         864
        .size:           8
        .value_kind:     by_value
      - .offset:         872
        .size:           416
        .value_kind:     by_value
      - .offset:         1288
        .size:           8
        .value_kind:     by_value
      - .offset:         1296
        .size:           4
        .value_kind:     by_value
      - .offset:         1300
        .size:           4
        .value_kind:     by_value
      - .address_space:  global
        .offset:         1304
        .size:           8
        .value_kind:     global_buffer
      - .address_space:  global
        .offset:         1312
        .size:           8
        .value_kind:     global_buffer
      - .address_space:  global
        .offset:         1320
        .size:           8
        .value_kind:     global_buffer
      - .offset:         1328
        .size:           4
        .value_kind:     by_value
      - .offset:         1336
        .size:           4
        .value_kind:     hidden_block_count_x
      - .offset:         1340
        .size:           4
        .value_kind:     hidden_block_count_y
      - .offset:         1344
        .size:           4
        .value_kind:     hidden_block_count_z
      - .offset:         1348
        .size:           2
        .value_kind:     hidden_group_size_x
      - .offset:         1350
        .size:           2
        .value_kind:     hidden_group_size_y
      - .offset:         1352
        .size:           2
        .value_kind:     hidden_group_size_z
      - .offset:         1354
        .size:           2
        .value_kind:     hidden_remainder_x
      - .offset:         1356
        .size:           2
        .value_kind:     hidden_remainder_y
      - .offset:         1358
        .size:           2
        .value_kind:     hidden_remainder_z
      - .offset:         1376
        .size:           8
        .value_kind:     hidden_global_offset_x
      - .offset:         1384
        .size:           8
        .value_kind:     hidden_global_offset_y
      - .offset:         1392
        .size:           8
        .value_kind:     hidden_global_offset_z
      - .offset:         1400
        .size:           2
        .value_kind:     hidden_grid_dims
    .group_segment_fixed_size: 1068
    .kernarg_segment_align: 8
    .kernarg_segment_size: 1592
    .language:       OpenCL C
    .language_version:
      - 2
      - 0
    .max_flat_workgroup_size: 256
    .name:           _ZN2at6native6mbtopk10gatherTopKIamLi1EEEvNS_4cuda6detail10TensorInfoIKT_T0_EES8_S8_bjS8_NS5_IS6_S8_EES8_NS5_IlS8_EES8_jjPS6_PjSD_j
    .private_segment_fixed_size: 0
    .sgpr_count:     48
    .sgpr_spill_count: 0
    .symbol:         _ZN2at6native6mbtopk10gatherTopKIamLi1EEEvNS_4cuda6detail10TensorInfoIKT_T0_EES8_S8_bjS8_NS5_IS6_S8_EES8_NS5_IlS8_EES8_jjPS6_PjSD_j.kd
    .uniform_work_group_size: 1
    .uses_dynamic_stack: false
    .vgpr_count:     23
    .vgpr_spill_count: 0
    .wavefront_size: 64
  - .args:
      - .offset:         0
        .size:           416
        .value_kind:     by_value
      - .offset:         416
        .size:           8
        .value_kind:     by_value
      - .offset:         424
        .size:           8
        .value_kind:     by_value
      - .offset:         432
        .size:           1
        .value_kind:     by_value
      - .offset:         440
        .size:           8
        .value_kind:     by_value
      - .offset:         448
        .size:           8
        .value_kind:     by_value
      - .offset:         456
        .size:           416
        .value_kind:     by_value
      - .offset:         872
        .size:           8
        .value_kind:     by_value
      - .offset:         880
        .size:           416
        .value_kind:     by_value
      - .offset:         1296
        .size:           8
        .value_kind:     by_value
      - .address_space:  global
        .offset:         1304
        .size:           8
        .value_kind:     global_buffer
      - .offset:         1312
        .size:           4
        .value_kind:     hidden_block_count_x
      - .offset:         1316
        .size:           4
        .value_kind:     hidden_block_count_y
      - .offset:         1320
        .size:           4
        .value_kind:     hidden_block_count_z
      - .offset:         1324
        .size:           2
        .value_kind:     hidden_group_size_x
      - .offset:         1326
        .size:           2
        .value_kind:     hidden_group_size_y
      - .offset:         1328
        .size:           2
        .value_kind:     hidden_group_size_z
      - .offset:         1330
        .size:           2
        .value_kind:     hidden_remainder_x
      - .offset:         1332
        .size:           2
        .value_kind:     hidden_remainder_y
      - .offset:         1334
        .size:           2
        .value_kind:     hidden_remainder_z
      - .offset:         1352
        .size:           8
        .value_kind:     hidden_global_offset_x
      - .offset:         1360
        .size:           8
        .value_kind:     hidden_global_offset_y
      - .offset:         1368
        .size:           8
        .value_kind:     hidden_global_offset_z
      - .offset:         1376
        .size:           2
        .value_kind:     hidden_grid_dims
    .group_segment_fixed_size: 5152
    .kernarg_segment_align: 8
    .kernarg_segment_size: 1568
    .language:       OpenCL C
    .language_version:
      - 2
      - 0
    .max_flat_workgroup_size: 1024
    .name:           _ZN2at6native6sbtopk10gatherTopKIamLi1ELb0EEEvNS_4cuda6detail10TensorInfoIKT_T0_EES8_S8_bS8_S8_NS5_IS6_S8_EES8_NS5_IlS8_EES8_PS6_
    .private_segment_fixed_size: 0
    .sgpr_count:     100
    .sgpr_spill_count: 89
    .symbol:         _ZN2at6native6sbtopk10gatherTopKIamLi1ELb0EEEvNS_4cuda6detail10TensorInfoIKT_T0_EES8_S8_bS8_S8_NS5_IS6_S8_EES8_NS5_IlS8_EES8_PS6_.kd
    .uniform_work_group_size: 1
    .uses_dynamic_stack: false
    .vgpr_count:     55
    .vgpr_spill_count: 0
    .wavefront_size: 64
  - .args:
      - .offset:         0
        .size:           416
        .value_kind:     by_value
      - .offset:         416
        .size:           4
        .value_kind:     by_value
      - .address_space:  global
        .offset:         424
        .size:           8
        .value_kind:     global_buffer
      - .offset:         432
        .size:           4
        .value_kind:     by_value
      - .offset:         440
        .size:           8
        .value_kind:     by_value
      - .offset:         448
        .size:           4
        .value_kind:     by_value
      - .offset:         452
        .size:           4
        .value_kind:     by_value
      - .offset:         456
        .size:           4
        .value_kind:     by_value
      - .offset:         460
        .size:           4
        .value_kind:     by_value
      - .address_space:  global
        .offset:         464
        .size:           8
        .value_kind:     global_buffer
      - .address_space:  global
        .offset:         472
        .size:           8
        .value_kind:     global_buffer
      - .offset:         480
        .size:           4
        .value_kind:     hidden_block_count_x
      - .offset:         484
        .size:           4
        .value_kind:     hidden_block_count_y
      - .offset:         488
        .size:           4
        .value_kind:     hidden_block_count_z
      - .offset:         492
        .size:           2
        .value_kind:     hidden_group_size_x
      - .offset:         494
        .size:           2
        .value_kind:     hidden_group_size_y
      - .offset:         496
        .size:           2
        .value_kind:     hidden_group_size_z
      - .offset:         498
        .size:           2
        .value_kind:     hidden_remainder_x
      - .offset:         500
        .size:           2
        .value_kind:     hidden_remainder_y
      - .offset:         502
        .size:           2
        .value_kind:     hidden_remainder_z
      - .offset:         520
        .size:           8
        .value_kind:     hidden_global_offset_x
      - .offset:         528
        .size:           8
        .value_kind:     hidden_global_offset_y
      - .offset:         536
        .size:           8
        .value_kind:     hidden_global_offset_z
      - .offset:         544
        .size:           2
        .value_kind:     hidden_grid_dims
    .group_segment_fixed_size: 1024
    .kernarg_segment_align: 8
    .kernarg_segment_size: 736
    .language:       OpenCL C
    .language_version:
      - 2
      - 0
    .max_flat_workgroup_size: 256
    .name:           _ZN2at6native6mbtopk23computeBlockDigitCountsIamjLi2EEEvNS_4cuda6detail10TensorInfoIKT_T0_EEjPjjS8_iijT1_PSB_Ps
    .private_segment_fixed_size: 0
    .sgpr_count:     30
    .sgpr_spill_count: 0
    .symbol:         _ZN2at6native6mbtopk23computeBlockDigitCountsIamjLi2EEEvNS_4cuda6detail10TensorInfoIKT_T0_EEjPjjS8_iijT1_PSB_Ps.kd
    .uniform_work_group_size: 1
    .uses_dynamic_stack: false
    .vgpr_count:     9
    .vgpr_spill_count: 0
    .wavefront_size: 64
  - .args:
      - .offset:         0
        .size:           416
        .value_kind:     by_value
      - .offset:         416
        .size:           8
        .value_kind:     by_value
      - .offset:         424
        .size:           8
        .value_kind:     by_value
      - .offset:         432
        .size:           1
        .value_kind:     by_value
      - .offset:         436
        .size:           4
        .value_kind:     by_value
      - .offset:         440
        .size:           8
        .value_kind:     by_value
      - .offset:         448
        .size:           416
        .value_kind:     by_value
      - .offset:         864
        .size:           8
        .value_kind:     by_value
      - .offset:         872
        .size:           416
        .value_kind:     by_value
      - .offset:         1288
        .size:           8
        .value_kind:     by_value
      - .offset:         1296
        .size:           4
        .value_kind:     by_value
      - .offset:         1300
        .size:           4
        .value_kind:     by_value
      - .address_space:  global
        .offset:         1304
        .size:           8
        .value_kind:     global_buffer
      - .address_space:  global
        .offset:         1312
        .size:           8
        .value_kind:     global_buffer
      - .address_space:  global
        .offset:         1320
        .size:           8
        .value_kind:     global_buffer
      - .offset:         1328
        .size:           4
        .value_kind:     by_value
      - .offset:         1336
        .size:           4
        .value_kind:     hidden_block_count_x
      - .offset:         1340
        .size:           4
        .value_kind:     hidden_block_count_y
      - .offset:         1344
        .size:           4
        .value_kind:     hidden_block_count_z
      - .offset:         1348
        .size:           2
        .value_kind:     hidden_group_size_x
      - .offset:         1350
        .size:           2
        .value_kind:     hidden_group_size_y
      - .offset:         1352
        .size:           2
        .value_kind:     hidden_group_size_z
      - .offset:         1354
        .size:           2
        .value_kind:     hidden_remainder_x
      - .offset:         1356
        .size:           2
        .value_kind:     hidden_remainder_y
      - .offset:         1358
        .size:           2
        .value_kind:     hidden_remainder_z
      - .offset:         1376
        .size:           8
        .value_kind:     hidden_global_offset_x
      - .offset:         1384
        .size:           8
        .value_kind:     hidden_global_offset_y
      - .offset:         1392
        .size:           8
        .value_kind:     hidden_global_offset_z
      - .offset:         1400
        .size:           2
        .value_kind:     hidden_grid_dims
    .group_segment_fixed_size: 1068
    .kernarg_segment_align: 8
    .kernarg_segment_size: 1592
    .language:       OpenCL C
    .language_version:
      - 2
      - 0
    .max_flat_workgroup_size: 256
    .name:           _ZN2at6native6mbtopk10gatherTopKIamLi2EEEvNS_4cuda6detail10TensorInfoIKT_T0_EES8_S8_bjS8_NS5_IS6_S8_EES8_NS5_IlS8_EES8_jjPS6_PjSD_j
    .private_segment_fixed_size: 0
    .sgpr_count:     54
    .sgpr_spill_count: 0
    .symbol:         _ZN2at6native6mbtopk10gatherTopKIamLi2EEEvNS_4cuda6detail10TensorInfoIKT_T0_EES8_S8_bjS8_NS5_IS6_S8_EES8_NS5_IlS8_EES8_jjPS6_PjSD_j.kd
    .uniform_work_group_size: 1
    .uses_dynamic_stack: false
    .vgpr_count:     23
    .vgpr_spill_count: 0
    .wavefront_size: 64
  - .args:
      - .offset:         0
        .size:           416
        .value_kind:     by_value
      - .offset:         416
        .size:           8
        .value_kind:     by_value
      - .offset:         424
        .size:           8
        .value_kind:     by_value
      - .offset:         432
        .size:           1
        .value_kind:     by_value
      - .offset:         440
        .size:           8
        .value_kind:     by_value
      - .offset:         448
        .size:           8
        .value_kind:     by_value
      - .offset:         456
        .size:           416
        .value_kind:     by_value
      - .offset:         872
        .size:           8
        .value_kind:     by_value
      - .offset:         880
        .size:           416
        .value_kind:     by_value
      - .offset:         1296
        .size:           8
        .value_kind:     by_value
      - .address_space:  global
        .offset:         1304
        .size:           8
        .value_kind:     global_buffer
      - .offset:         1312
        .size:           4
        .value_kind:     hidden_block_count_x
      - .offset:         1316
        .size:           4
        .value_kind:     hidden_block_count_y
      - .offset:         1320
        .size:           4
        .value_kind:     hidden_block_count_z
      - .offset:         1324
        .size:           2
        .value_kind:     hidden_group_size_x
      - .offset:         1326
        .size:           2
        .value_kind:     hidden_group_size_y
      - .offset:         1328
        .size:           2
        .value_kind:     hidden_group_size_z
      - .offset:         1330
        .size:           2
        .value_kind:     hidden_remainder_x
      - .offset:         1332
        .size:           2
        .value_kind:     hidden_remainder_y
      - .offset:         1334
        .size:           2
        .value_kind:     hidden_remainder_z
      - .offset:         1352
        .size:           8
        .value_kind:     hidden_global_offset_x
      - .offset:         1360
        .size:           8
        .value_kind:     hidden_global_offset_y
      - .offset:         1368
        .size:           8
        .value_kind:     hidden_global_offset_z
      - .offset:         1376
        .size:           2
        .value_kind:     hidden_grid_dims
    .group_segment_fixed_size: 5152
    .kernarg_segment_align: 8
    .kernarg_segment_size: 1568
    .language:       OpenCL C
    .language_version:
      - 2
      - 0
    .max_flat_workgroup_size: 1024
    .name:           _ZN2at6native6sbtopk10gatherTopKIamLi2ELb0EEEvNS_4cuda6detail10TensorInfoIKT_T0_EES8_S8_bS8_S8_NS5_IS6_S8_EES8_NS5_IlS8_EES8_PS6_
    .private_segment_fixed_size: 0
    .sgpr_count:     100
    .sgpr_spill_count: 80
    .symbol:         _ZN2at6native6sbtopk10gatherTopKIamLi2ELb0EEEvNS_4cuda6detail10TensorInfoIKT_T0_EES8_S8_bS8_S8_NS5_IS6_S8_EES8_NS5_IlS8_EES8_PS6_.kd
    .uniform_work_group_size: 1
    .uses_dynamic_stack: false
    .vgpr_count:     48
    .vgpr_spill_count: 0
    .wavefront_size: 64
  - .args:
      - .offset:         0
        .size:           416
        .value_kind:     by_value
      - .offset:         416
        .size:           4
        .value_kind:     by_value
      - .address_space:  global
        .offset:         424
        .size:           8
        .value_kind:     global_buffer
      - .offset:         432
        .size:           4
        .value_kind:     by_value
      - .offset:         440
        .size:           8
        .value_kind:     by_value
      - .offset:         448
        .size:           4
        .value_kind:     by_value
      - .offset:         452
        .size:           4
        .value_kind:     by_value
      - .offset:         456
        .size:           4
        .value_kind:     by_value
      - .offset:         460
        .size:           4
        .value_kind:     by_value
      - .address_space:  global
        .offset:         464
        .size:           8
        .value_kind:     global_buffer
      - .address_space:  global
        .offset:         472
        .size:           8
        .value_kind:     global_buffer
      - .offset:         480
        .size:           4
        .value_kind:     hidden_block_count_x
      - .offset:         484
        .size:           4
        .value_kind:     hidden_block_count_y
      - .offset:         488
        .size:           4
        .value_kind:     hidden_block_count_z
      - .offset:         492
        .size:           2
        .value_kind:     hidden_group_size_x
      - .offset:         494
        .size:           2
        .value_kind:     hidden_group_size_y
      - .offset:         496
        .size:           2
        .value_kind:     hidden_group_size_z
      - .offset:         498
        .size:           2
        .value_kind:     hidden_remainder_x
      - .offset:         500
        .size:           2
        .value_kind:     hidden_remainder_y
      - .offset:         502
        .size:           2
        .value_kind:     hidden_remainder_z
      - .offset:         520
        .size:           8
        .value_kind:     hidden_global_offset_x
      - .offset:         528
        .size:           8
        .value_kind:     hidden_global_offset_y
      - .offset:         536
        .size:           8
        .value_kind:     hidden_global_offset_z
      - .offset:         544
        .size:           2
        .value_kind:     hidden_grid_dims
    .group_segment_fixed_size: 1024
    .kernarg_segment_align: 8
    .kernarg_segment_size: 736
    .language:       OpenCL C
    .language_version:
      - 2
      - 0
    .max_flat_workgroup_size: 256
    .name:           _ZN2at6native6mbtopk23computeBlockDigitCountsIamjLi3EEEvNS_4cuda6detail10TensorInfoIKT_T0_EEjPjjS8_iijT1_PSB_Ps
    .private_segment_fixed_size: 0
    .sgpr_count:     36
    .sgpr_spill_count: 0
    .symbol:         _ZN2at6native6mbtopk23computeBlockDigitCountsIamjLi3EEEvNS_4cuda6detail10TensorInfoIKT_T0_EEjPjjS8_iijT1_PSB_Ps.kd
    .uniform_work_group_size: 1
    .uses_dynamic_stack: false
    .vgpr_count:     9
    .vgpr_spill_count: 0
    .wavefront_size: 64
  - .args:
      - .offset:         0
        .size:           416
        .value_kind:     by_value
      - .offset:         416
        .size:           8
        .value_kind:     by_value
      - .offset:         424
        .size:           8
        .value_kind:     by_value
      - .offset:         432
        .size:           1
        .value_kind:     by_value
      - .offset:         436
        .size:           4
        .value_kind:     by_value
      - .offset:         440
        .size:           8
        .value_kind:     by_value
      - .offset:         448
        .size:           416
        .value_kind:     by_value
      - .offset:         864
        .size:           8
        .value_kind:     by_value
      - .offset:         872
        .size:           416
        .value_kind:     by_value
      - .offset:         1288
        .size:           8
        .value_kind:     by_value
      - .offset:         1296
        .size:           4
        .value_kind:     by_value
      - .offset:         1300
        .size:           4
        .value_kind:     by_value
      - .address_space:  global
        .offset:         1304
        .size:           8
        .value_kind:     global_buffer
      - .address_space:  global
        .offset:         1312
        .size:           8
        .value_kind:     global_buffer
      - .address_space:  global
        .offset:         1320
        .size:           8
        .value_kind:     global_buffer
      - .offset:         1328
        .size:           4
        .value_kind:     by_value
      - .offset:         1336
        .size:           4
        .value_kind:     hidden_block_count_x
      - .offset:         1340
        .size:           4
        .value_kind:     hidden_block_count_y
      - .offset:         1344
        .size:           4
        .value_kind:     hidden_block_count_z
      - .offset:         1348
        .size:           2
        .value_kind:     hidden_group_size_x
      - .offset:         1350
        .size:           2
        .value_kind:     hidden_group_size_y
      - .offset:         1352
        .size:           2
        .value_kind:     hidden_group_size_z
      - .offset:         1354
        .size:           2
        .value_kind:     hidden_remainder_x
      - .offset:         1356
        .size:           2
        .value_kind:     hidden_remainder_y
      - .offset:         1358
        .size:           2
        .value_kind:     hidden_remainder_z
      - .offset:         1376
        .size:           8
        .value_kind:     hidden_global_offset_x
      - .offset:         1384
        .size:           8
        .value_kind:     hidden_global_offset_y
      - .offset:         1392
        .size:           8
        .value_kind:     hidden_global_offset_z
      - .offset:         1400
        .size:           2
        .value_kind:     hidden_grid_dims
    .group_segment_fixed_size: 1068
    .kernarg_segment_align: 8
    .kernarg_segment_size: 1592
    .language:       OpenCL C
    .language_version:
      - 2
      - 0
    .max_flat_workgroup_size: 256
    .name:           _ZN2at6native6mbtopk10gatherTopKIamLi3EEEvNS_4cuda6detail10TensorInfoIKT_T0_EES8_S8_bjS8_NS5_IS6_S8_EES8_NS5_IlS8_EES8_jjPS6_PjSD_j
    .private_segment_fixed_size: 0
    .sgpr_count:     81
    .sgpr_spill_count: 0
    .symbol:         _ZN2at6native6mbtopk10gatherTopKIamLi3EEEvNS_4cuda6detail10TensorInfoIKT_T0_EES8_S8_bjS8_NS5_IS6_S8_EES8_NS5_IlS8_EES8_jjPS6_PjSD_j.kd
    .uniform_work_group_size: 1
    .uses_dynamic_stack: false
    .vgpr_count:     23
    .vgpr_spill_count: 0
    .wavefront_size: 64
  - .args:
      - .offset:         0
        .size:           416
        .value_kind:     by_value
      - .offset:         416
        .size:           8
        .value_kind:     by_value
      - .offset:         424
        .size:           8
        .value_kind:     by_value
      - .offset:         432
        .size:           1
        .value_kind:     by_value
      - .offset:         440
        .size:           8
        .value_kind:     by_value
      - .offset:         448
        .size:           8
        .value_kind:     by_value
      - .offset:         456
        .size:           416
        .value_kind:     by_value
      - .offset:         872
        .size:           8
        .value_kind:     by_value
      - .offset:         880
        .size:           416
        .value_kind:     by_value
      - .offset:         1296
        .size:           8
        .value_kind:     by_value
      - .address_space:  global
        .offset:         1304
        .size:           8
        .value_kind:     global_buffer
      - .offset:         1312
        .size:           4
        .value_kind:     hidden_block_count_x
      - .offset:         1316
        .size:           4
        .value_kind:     hidden_block_count_y
      - .offset:         1320
        .size:           4
        .value_kind:     hidden_block_count_z
      - .offset:         1324
        .size:           2
        .value_kind:     hidden_group_size_x
      - .offset:         1326
        .size:           2
        .value_kind:     hidden_group_size_y
      - .offset:         1328
        .size:           2
        .value_kind:     hidden_group_size_z
      - .offset:         1330
        .size:           2
        .value_kind:     hidden_remainder_x
      - .offset:         1332
        .size:           2
        .value_kind:     hidden_remainder_y
      - .offset:         1334
        .size:           2
        .value_kind:     hidden_remainder_z
      - .offset:         1352
        .size:           8
        .value_kind:     hidden_global_offset_x
      - .offset:         1360
        .size:           8
        .value_kind:     hidden_global_offset_y
      - .offset:         1368
        .size:           8
        .value_kind:     hidden_global_offset_z
      - .offset:         1376
        .size:           2
        .value_kind:     hidden_grid_dims
    .group_segment_fixed_size: 5152
    .kernarg_segment_align: 8
    .kernarg_segment_size: 1568
    .language:       OpenCL C
    .language_version:
      - 2
      - 0
    .max_flat_workgroup_size: 1024
    .name:           _ZN2at6native6sbtopk10gatherTopKIamLi3ELb0EEEvNS_4cuda6detail10TensorInfoIKT_T0_EES8_S8_bS8_S8_NS5_IS6_S8_EES8_NS5_IlS8_EES8_PS6_
    .private_segment_fixed_size: 0
    .sgpr_count:     100
    .sgpr_spill_count: 103
    .symbol:         _ZN2at6native6sbtopk10gatherTopKIamLi3ELb0EEEvNS_4cuda6detail10TensorInfoIKT_T0_EES8_S8_bS8_S8_NS5_IS6_S8_EES8_NS5_IlS8_EES8_PS6_.kd
    .uniform_work_group_size: 1
    .uses_dynamic_stack: false
    .vgpr_count:     48
    .vgpr_spill_count: 0
    .wavefront_size: 64
  - .args:
      - .offset:         0
        .size:           416
        .value_kind:     by_value
      - .offset:         416
        .size:           4
        .value_kind:     by_value
      - .address_space:  global
        .offset:         424
        .size:           8
        .value_kind:     global_buffer
      - .offset:         432
        .size:           4
        .value_kind:     by_value
      - .offset:         440
        .size:           8
        .value_kind:     by_value
      - .offset:         448
        .size:           4
        .value_kind:     by_value
      - .offset:         452
        .size:           4
        .value_kind:     by_value
      - .offset:         456
        .size:           4
        .value_kind:     by_value
      - .offset:         460
        .size:           4
        .value_kind:     by_value
      - .address_space:  global
        .offset:         464
        .size:           8
        .value_kind:     global_buffer
      - .address_space:  global
        .offset:         472
        .size:           8
        .value_kind:     global_buffer
      - .offset:         480
        .size:           4
        .value_kind:     hidden_block_count_x
      - .offset:         484
        .size:           4
        .value_kind:     hidden_block_count_y
      - .offset:         488
        .size:           4
        .value_kind:     hidden_block_count_z
      - .offset:         492
        .size:           2
        .value_kind:     hidden_group_size_x
      - .offset:         494
        .size:           2
        .value_kind:     hidden_group_size_y
      - .offset:         496
        .size:           2
        .value_kind:     hidden_group_size_z
      - .offset:         498
        .size:           2
        .value_kind:     hidden_remainder_x
      - .offset:         500
        .size:           2
        .value_kind:     hidden_remainder_y
      - .offset:         502
        .size:           2
        .value_kind:     hidden_remainder_z
      - .offset:         520
        .size:           8
        .value_kind:     hidden_global_offset_x
      - .offset:         528
        .size:           8
        .value_kind:     hidden_global_offset_y
      - .offset:         536
        .size:           8
        .value_kind:     hidden_global_offset_z
      - .offset:         544
        .size:           2
        .value_kind:     hidden_grid_dims
    .group_segment_fixed_size: 1024
    .kernarg_segment_align: 8
    .kernarg_segment_size: 736
    .language:       OpenCL C
    .language_version:
      - 2
      - 0
    .max_flat_workgroup_size: 256
    .name:           _ZN2at6native6mbtopk23computeBlockDigitCountsIamjLin1EEEvNS_4cuda6detail10TensorInfoIKT_T0_EEjPjjS8_iijT1_PSB_Ps
    .private_segment_fixed_size: 0
    .sgpr_count:     32
    .sgpr_spill_count: 0
    .symbol:         _ZN2at6native6mbtopk23computeBlockDigitCountsIamjLin1EEEvNS_4cuda6detail10TensorInfoIKT_T0_EEjPjjS8_iijT1_PSB_Ps.kd
    .uniform_work_group_size: 1
    .uses_dynamic_stack: false
    .vgpr_count:     9
    .vgpr_spill_count: 0
    .wavefront_size: 64
  - .args:
      - .offset:         0
        .size:           416
        .value_kind:     by_value
      - .offset:         416
        .size:           8
        .value_kind:     by_value
      - .offset:         424
        .size:           8
        .value_kind:     by_value
      - .offset:         432
        .size:           1
        .value_kind:     by_value
      - .offset:         436
        .size:           4
        .value_kind:     by_value
      - .offset:         440
        .size:           8
        .value_kind:     by_value
      - .offset:         448
        .size:           416
        .value_kind:     by_value
      - .offset:         864
        .size:           8
        .value_kind:     by_value
      - .offset:         872
        .size:           416
        .value_kind:     by_value
      - .offset:         1288
        .size:           8
        .value_kind:     by_value
      - .offset:         1296
        .size:           4
        .value_kind:     by_value
      - .offset:         1300
        .size:           4
        .value_kind:     by_value
      - .address_space:  global
        .offset:         1304
        .size:           8
        .value_kind:     global_buffer
      - .address_space:  global
        .offset:         1312
        .size:           8
        .value_kind:     global_buffer
      - .address_space:  global
        .offset:         1320
        .size:           8
        .value_kind:     global_buffer
      - .offset:         1328
        .size:           4
        .value_kind:     by_value
      - .offset:         1336
        .size:           4
        .value_kind:     hidden_block_count_x
      - .offset:         1340
        .size:           4
        .value_kind:     hidden_block_count_y
      - .offset:         1344
        .size:           4
        .value_kind:     hidden_block_count_z
      - .offset:         1348
        .size:           2
        .value_kind:     hidden_group_size_x
      - .offset:         1350
        .size:           2
        .value_kind:     hidden_group_size_y
      - .offset:         1352
        .size:           2
        .value_kind:     hidden_group_size_z
      - .offset:         1354
        .size:           2
        .value_kind:     hidden_remainder_x
      - .offset:         1356
        .size:           2
        .value_kind:     hidden_remainder_y
      - .offset:         1358
        .size:           2
        .value_kind:     hidden_remainder_z
      - .offset:         1376
        .size:           8
        .value_kind:     hidden_global_offset_x
      - .offset:         1384
        .size:           8
        .value_kind:     hidden_global_offset_y
      - .offset:         1392
        .size:           8
        .value_kind:     hidden_global_offset_z
      - .offset:         1400
        .size:           2
        .value_kind:     hidden_grid_dims
    .group_segment_fixed_size: 1068
    .kernarg_segment_align: 8
    .kernarg_segment_size: 1592
    .language:       OpenCL C
    .language_version:
      - 2
      - 0
    .max_flat_workgroup_size: 256
    .name:           _ZN2at6native6mbtopk10gatherTopKIamLin1EEEvNS_4cuda6detail10TensorInfoIKT_T0_EES8_S8_bjS8_NS5_IS6_S8_EES8_NS5_IlS8_EES8_jjPS6_PjSD_j
    .private_segment_fixed_size: 0
    .sgpr_count:     60
    .sgpr_spill_count: 0
    .symbol:         _ZN2at6native6mbtopk10gatherTopKIamLin1EEEvNS_4cuda6detail10TensorInfoIKT_T0_EES8_S8_bjS8_NS5_IS6_S8_EES8_NS5_IlS8_EES8_jjPS6_PjSD_j.kd
    .uniform_work_group_size: 1
    .uses_dynamic_stack: false
    .vgpr_count:     23
    .vgpr_spill_count: 0
    .wavefront_size: 64
  - .args:
      - .offset:         0
        .size:           416
        .value_kind:     by_value
      - .offset:         416
        .size:           8
        .value_kind:     by_value
      - .offset:         424
        .size:           8
        .value_kind:     by_value
      - .offset:         432
        .size:           1
        .value_kind:     by_value
      - .offset:         440
        .size:           8
        .value_kind:     by_value
      - .offset:         448
        .size:           8
        .value_kind:     by_value
      - .offset:         456
        .size:           416
        .value_kind:     by_value
      - .offset:         872
        .size:           8
        .value_kind:     by_value
      - .offset:         880
        .size:           416
        .value_kind:     by_value
      - .offset:         1296
        .size:           8
        .value_kind:     by_value
      - .address_space:  global
        .offset:         1304
        .size:           8
        .value_kind:     global_buffer
      - .offset:         1312
        .size:           4
        .value_kind:     hidden_block_count_x
      - .offset:         1316
        .size:           4
        .value_kind:     hidden_block_count_y
      - .offset:         1320
        .size:           4
        .value_kind:     hidden_block_count_z
      - .offset:         1324
        .size:           2
        .value_kind:     hidden_group_size_x
      - .offset:         1326
        .size:           2
        .value_kind:     hidden_group_size_y
      - .offset:         1328
        .size:           2
        .value_kind:     hidden_group_size_z
      - .offset:         1330
        .size:           2
        .value_kind:     hidden_remainder_x
      - .offset:         1332
        .size:           2
        .value_kind:     hidden_remainder_y
      - .offset:         1334
        .size:           2
        .value_kind:     hidden_remainder_z
      - .offset:         1352
        .size:           8
        .value_kind:     hidden_global_offset_x
      - .offset:         1360
        .size:           8
        .value_kind:     hidden_global_offset_y
      - .offset:         1368
        .size:           8
        .value_kind:     hidden_global_offset_z
      - .offset:         1376
        .size:           2
        .value_kind:     hidden_grid_dims
    .group_segment_fixed_size: 5152
    .kernarg_segment_align: 8
    .kernarg_segment_size: 1568
    .language:       OpenCL C
    .language_version:
      - 2
      - 0
    .max_flat_workgroup_size: 1024
    .name:           _ZN2at6native6sbtopk10gatherTopKIamLin1ELb0EEEvNS_4cuda6detail10TensorInfoIKT_T0_EES8_S8_bS8_S8_NS5_IS6_S8_EES8_NS5_IlS8_EES8_PS6_
    .private_segment_fixed_size: 0
    .sgpr_count:     100
    .sgpr_spill_count: 96
    .symbol:         _ZN2at6native6sbtopk10gatherTopKIamLin1ELb0EEEvNS_4cuda6detail10TensorInfoIKT_T0_EES8_S8_bS8_S8_NS5_IS6_S8_EES8_NS5_IlS8_EES8_PS6_.kd
    .uniform_work_group_size: 1
    .uses_dynamic_stack: false
    .vgpr_count:     58
    .vgpr_spill_count: 0
    .wavefront_size: 64
  - .args:
      - .offset:         0
        .size:           416
        .value_kind:     by_value
      - .offset:         416
        .size:           4
        .value_kind:     by_value
      - .address_space:  global
        .offset:         424
        .size:           8
        .value_kind:     global_buffer
      - .offset:         432
        .size:           4
        .value_kind:     by_value
      - .offset:         440
        .size:           8
        .value_kind:     by_value
      - .offset:         448
        .size:           4
        .value_kind:     by_value
      - .offset:         452
        .size:           4
        .value_kind:     by_value
      - .offset:         456
        .size:           4
        .value_kind:     by_value
      - .offset:         460
        .size:           4
        .value_kind:     by_value
      - .address_space:  global
        .offset:         464
        .size:           8
        .value_kind:     global_buffer
      - .address_space:  global
        .offset:         472
        .size:           8
        .value_kind:     global_buffer
      - .offset:         480
        .size:           4
        .value_kind:     hidden_block_count_x
      - .offset:         484
        .size:           4
        .value_kind:     hidden_block_count_y
      - .offset:         488
        .size:           4
        .value_kind:     hidden_block_count_z
      - .offset:         492
        .size:           2
        .value_kind:     hidden_group_size_x
      - .offset:         494
        .size:           2
        .value_kind:     hidden_group_size_y
      - .offset:         496
        .size:           2
        .value_kind:     hidden_group_size_z
      - .offset:         498
        .size:           2
        .value_kind:     hidden_remainder_x
      - .offset:         500
        .size:           2
        .value_kind:     hidden_remainder_y
      - .offset:         502
        .size:           2
        .value_kind:     hidden_remainder_z
      - .offset:         520
        .size:           8
        .value_kind:     hidden_global_offset_x
      - .offset:         528
        .size:           8
        .value_kind:     hidden_global_offset_y
      - .offset:         536
        .size:           8
        .value_kind:     hidden_global_offset_z
      - .offset:         544
        .size:           2
        .value_kind:     hidden_grid_dims
    .group_segment_fixed_size: 1024
    .kernarg_segment_align: 8
    .kernarg_segment_size: 736
    .language:       OpenCL C
    .language_version:
      - 2
      - 0
    .max_flat_workgroup_size: 256
    .name:           _ZN2at6native6mbtopk23computeBlockDigitCountsIimjLi1EEEvNS_4cuda6detail10TensorInfoIKT_T0_EEjPjjS8_iijT1_PSB_Ps
    .private_segment_fixed_size: 0
    .sgpr_count:     26
    .sgpr_spill_count: 0
    .symbol:         _ZN2at6native6mbtopk23computeBlockDigitCountsIimjLi1EEEvNS_4cuda6detail10TensorInfoIKT_T0_EEjPjjS8_iijT1_PSB_Ps.kd
    .uniform_work_group_size: 1
    .uses_dynamic_stack: false
    .vgpr_count:     9
    .vgpr_spill_count: 0
    .wavefront_size: 64
  - .args:
      - .offset:         0
        .size:           416
        .value_kind:     by_value
      - .offset:         416
        .size:           8
        .value_kind:     by_value
      - .offset:         424
        .size:           8
        .value_kind:     by_value
      - .offset:         432
        .size:           1
        .value_kind:     by_value
      - .offset:         436
        .size:           4
        .value_kind:     by_value
      - .offset:         440
        .size:           8
        .value_kind:     by_value
      - .offset:         448
        .size:           416
        .value_kind:     by_value
      - .offset:         864
        .size:           8
        .value_kind:     by_value
      - .offset:         872
        .size:           416
        .value_kind:     by_value
      - .offset:         1288
        .size:           8
        .value_kind:     by_value
      - .offset:         1296
        .size:           4
        .value_kind:     by_value
      - .offset:         1300
        .size:           4
        .value_kind:     by_value
      - .address_space:  global
        .offset:         1304
        .size:           8
        .value_kind:     global_buffer
      - .address_space:  global
        .offset:         1312
        .size:           8
        .value_kind:     global_buffer
      - .address_space:  global
        .offset:         1320
        .size:           8
        .value_kind:     global_buffer
      - .offset:         1328
        .size:           4
        .value_kind:     by_value
      - .offset:         1336
        .size:           4
        .value_kind:     hidden_block_count_x
      - .offset:         1340
        .size:           4
        .value_kind:     hidden_block_count_y
      - .offset:         1344
        .size:           4
        .value_kind:     hidden_block_count_z
      - .offset:         1348
        .size:           2
        .value_kind:     hidden_group_size_x
      - .offset:         1350
        .size:           2
        .value_kind:     hidden_group_size_y
      - .offset:         1352
        .size:           2
        .value_kind:     hidden_group_size_z
      - .offset:         1354
        .size:           2
        .value_kind:     hidden_remainder_x
      - .offset:         1356
        .size:           2
        .value_kind:     hidden_remainder_y
      - .offset:         1358
        .size:           2
        .value_kind:     hidden_remainder_z
      - .offset:         1376
        .size:           8
        .value_kind:     hidden_global_offset_x
      - .offset:         1384
        .size:           8
        .value_kind:     hidden_global_offset_y
      - .offset:         1392
        .size:           8
        .value_kind:     hidden_global_offset_z
      - .offset:         1400
        .size:           2
        .value_kind:     hidden_grid_dims
    .group_segment_fixed_size: 1068
    .kernarg_segment_align: 8
    .kernarg_segment_size: 1592
    .language:       OpenCL C
    .language_version:
      - 2
      - 0
    .max_flat_workgroup_size: 256
    .name:           _ZN2at6native6mbtopk10gatherTopKIimLi1EEEvNS_4cuda6detail10TensorInfoIKT_T0_EES8_S8_bjS8_NS5_IS6_S8_EES8_NS5_IlS8_EES8_jjPS6_PjSD_j
    .private_segment_fixed_size: 0
    .sgpr_count:     49
    .sgpr_spill_count: 0
    .symbol:         _ZN2at6native6mbtopk10gatherTopKIimLi1EEEvNS_4cuda6detail10TensorInfoIKT_T0_EES8_S8_bjS8_NS5_IS6_S8_EES8_NS5_IlS8_EES8_jjPS6_PjSD_j.kd
    .uniform_work_group_size: 1
    .uses_dynamic_stack: false
    .vgpr_count:     20
    .vgpr_spill_count: 0
    .wavefront_size: 64
  - .args:
      - .offset:         0
        .size:           416
        .value_kind:     by_value
      - .offset:         416
        .size:           8
        .value_kind:     by_value
      - .offset:         424
        .size:           8
        .value_kind:     by_value
      - .offset:         432
        .size:           1
        .value_kind:     by_value
      - .offset:         440
        .size:           8
        .value_kind:     by_value
      - .offset:         448
        .size:           8
        .value_kind:     by_value
      - .offset:         456
        .size:           416
        .value_kind:     by_value
      - .offset:         872
        .size:           8
        .value_kind:     by_value
      - .offset:         880
        .size:           416
        .value_kind:     by_value
      - .offset:         1296
        .size:           8
        .value_kind:     by_value
      - .address_space:  global
        .offset:         1304
        .size:           8
        .value_kind:     global_buffer
      - .offset:         1312
        .size:           4
        .value_kind:     hidden_block_count_x
      - .offset:         1316
        .size:           4
        .value_kind:     hidden_block_count_y
      - .offset:         1320
        .size:           4
        .value_kind:     hidden_block_count_z
      - .offset:         1324
        .size:           2
        .value_kind:     hidden_group_size_x
      - .offset:         1326
        .size:           2
        .value_kind:     hidden_group_size_y
      - .offset:         1328
        .size:           2
        .value_kind:     hidden_group_size_z
      - .offset:         1330
        .size:           2
        .value_kind:     hidden_remainder_x
      - .offset:         1332
        .size:           2
        .value_kind:     hidden_remainder_y
      - .offset:         1334
        .size:           2
        .value_kind:     hidden_remainder_z
      - .offset:         1352
        .size:           8
        .value_kind:     hidden_global_offset_x
      - .offset:         1360
        .size:           8
        .value_kind:     hidden_global_offset_y
      - .offset:         1368
        .size:           8
        .value_kind:     hidden_global_offset_z
      - .offset:         1376
        .size:           2
        .value_kind:     hidden_grid_dims
    .group_segment_fixed_size: 5152
    .kernarg_segment_align: 8
    .kernarg_segment_size: 1568
    .language:       OpenCL C
    .language_version:
      - 2
      - 0
    .max_flat_workgroup_size: 1024
    .name:           _ZN2at6native6sbtopk10gatherTopKIimLi1ELb0EEEvNS_4cuda6detail10TensorInfoIKT_T0_EES8_S8_bS8_S8_NS5_IS6_S8_EES8_NS5_IlS8_EES8_PS6_
    .private_segment_fixed_size: 0
    .sgpr_count:     100
    .sgpr_spill_count: 54
    .symbol:         _ZN2at6native6sbtopk10gatherTopKIimLi1ELb0EEEvNS_4cuda6detail10TensorInfoIKT_T0_EES8_S8_bS8_S8_NS5_IS6_S8_EES8_NS5_IlS8_EES8_PS6_.kd
    .uniform_work_group_size: 1
    .uses_dynamic_stack: false
    .vgpr_count:     56
    .vgpr_spill_count: 0
    .wavefront_size: 64
  - .args:
      - .offset:         0
        .size:           416
        .value_kind:     by_value
      - .offset:         416
        .size:           4
        .value_kind:     by_value
      - .address_space:  global
        .offset:         424
        .size:           8
        .value_kind:     global_buffer
      - .offset:         432
        .size:           4
        .value_kind:     by_value
      - .offset:         440
        .size:           8
        .value_kind:     by_value
      - .offset:         448
        .size:           4
        .value_kind:     by_value
      - .offset:         452
        .size:           4
        .value_kind:     by_value
      - .offset:         456
        .size:           4
        .value_kind:     by_value
      - .offset:         460
        .size:           4
        .value_kind:     by_value
      - .address_space:  global
        .offset:         464
        .size:           8
        .value_kind:     global_buffer
      - .address_space:  global
        .offset:         472
        .size:           8
        .value_kind:     global_buffer
      - .offset:         480
        .size:           4
        .value_kind:     hidden_block_count_x
      - .offset:         484
        .size:           4
        .value_kind:     hidden_block_count_y
      - .offset:         488
        .size:           4
        .value_kind:     hidden_block_count_z
      - .offset:         492
        .size:           2
        .value_kind:     hidden_group_size_x
      - .offset:         494
        .size:           2
        .value_kind:     hidden_group_size_y
      - .offset:         496
        .size:           2
        .value_kind:     hidden_group_size_z
      - .offset:         498
        .size:           2
        .value_kind:     hidden_remainder_x
      - .offset:         500
        .size:           2
        .value_kind:     hidden_remainder_y
      - .offset:         502
        .size:           2
        .value_kind:     hidden_remainder_z
      - .offset:         520
        .size:           8
        .value_kind:     hidden_global_offset_x
      - .offset:         528
        .size:           8
        .value_kind:     hidden_global_offset_y
      - .offset:         536
        .size:           8
        .value_kind:     hidden_global_offset_z
      - .offset:         544
        .size:           2
        .value_kind:     hidden_grid_dims
    .group_segment_fixed_size: 1024
    .kernarg_segment_align: 8
    .kernarg_segment_size: 736
    .language:       OpenCL C
    .language_version:
      - 2
      - 0
    .max_flat_workgroup_size: 256
    .name:           _ZN2at6native6mbtopk23computeBlockDigitCountsIimjLi2EEEvNS_4cuda6detail10TensorInfoIKT_T0_EEjPjjS8_iijT1_PSB_Ps
    .private_segment_fixed_size: 0
    .sgpr_count:     30
    .sgpr_spill_count: 0
    .symbol:         _ZN2at6native6mbtopk23computeBlockDigitCountsIimjLi2EEEvNS_4cuda6detail10TensorInfoIKT_T0_EEjPjjS8_iijT1_PSB_Ps.kd
    .uniform_work_group_size: 1
    .uses_dynamic_stack: false
    .vgpr_count:     9
    .vgpr_spill_count: 0
    .wavefront_size: 64
  - .args:
      - .offset:         0
        .size:           416
        .value_kind:     by_value
      - .offset:         416
        .size:           8
        .value_kind:     by_value
      - .offset:         424
        .size:           8
        .value_kind:     by_value
      - .offset:         432
        .size:           1
        .value_kind:     by_value
      - .offset:         436
        .size:           4
        .value_kind:     by_value
      - .offset:         440
        .size:           8
        .value_kind:     by_value
      - .offset:         448
        .size:           416
        .value_kind:     by_value
      - .offset:         864
        .size:           8
        .value_kind:     by_value
      - .offset:         872
        .size:           416
        .value_kind:     by_value
      - .offset:         1288
        .size:           8
        .value_kind:     by_value
      - .offset:         1296
        .size:           4
        .value_kind:     by_value
      - .offset:         1300
        .size:           4
        .value_kind:     by_value
      - .address_space:  global
        .offset:         1304
        .size:           8
        .value_kind:     global_buffer
      - .address_space:  global
        .offset:         1312
        .size:           8
        .value_kind:     global_buffer
      - .address_space:  global
        .offset:         1320
        .size:           8
        .value_kind:     global_buffer
      - .offset:         1328
        .size:           4
        .value_kind:     by_value
      - .offset:         1336
        .size:           4
        .value_kind:     hidden_block_count_x
      - .offset:         1340
        .size:           4
        .value_kind:     hidden_block_count_y
      - .offset:         1344
        .size:           4
        .value_kind:     hidden_block_count_z
      - .offset:         1348
        .size:           2
        .value_kind:     hidden_group_size_x
      - .offset:         1350
        .size:           2
        .value_kind:     hidden_group_size_y
      - .offset:         1352
        .size:           2
        .value_kind:     hidden_group_size_z
      - .offset:         1354
        .size:           2
        .value_kind:     hidden_remainder_x
      - .offset:         1356
        .size:           2
        .value_kind:     hidden_remainder_y
      - .offset:         1358
        .size:           2
        .value_kind:     hidden_remainder_z
      - .offset:         1376
        .size:           8
        .value_kind:     hidden_global_offset_x
      - .offset:         1384
        .size:           8
        .value_kind:     hidden_global_offset_y
      - .offset:         1392
        .size:           8
        .value_kind:     hidden_global_offset_z
      - .offset:         1400
        .size:           2
        .value_kind:     hidden_grid_dims
    .group_segment_fixed_size: 1068
    .kernarg_segment_align: 8
    .kernarg_segment_size: 1592
    .language:       OpenCL C
    .language_version:
      - 2
      - 0
    .max_flat_workgroup_size: 256
    .name:           _ZN2at6native6mbtopk10gatherTopKIimLi2EEEvNS_4cuda6detail10TensorInfoIKT_T0_EES8_S8_bjS8_NS5_IS6_S8_EES8_NS5_IlS8_EES8_jjPS6_PjSD_j
    .private_segment_fixed_size: 0
    .sgpr_count:     55
    .sgpr_spill_count: 0
    .symbol:         _ZN2at6native6mbtopk10gatherTopKIimLi2EEEvNS_4cuda6detail10TensorInfoIKT_T0_EES8_S8_bjS8_NS5_IS6_S8_EES8_NS5_IlS8_EES8_jjPS6_PjSD_j.kd
    .uniform_work_group_size: 1
    .uses_dynamic_stack: false
    .vgpr_count:     20
    .vgpr_spill_count: 0
    .wavefront_size: 64
  - .args:
      - .offset:         0
        .size:           416
        .value_kind:     by_value
      - .offset:         416
        .size:           8
        .value_kind:     by_value
      - .offset:         424
        .size:           8
        .value_kind:     by_value
      - .offset:         432
        .size:           1
        .value_kind:     by_value
      - .offset:         440
        .size:           8
        .value_kind:     by_value
      - .offset:         448
        .size:           8
        .value_kind:     by_value
      - .offset:         456
        .size:           416
        .value_kind:     by_value
      - .offset:         872
        .size:           8
        .value_kind:     by_value
      - .offset:         880
        .size:           416
        .value_kind:     by_value
      - .offset:         1296
        .size:           8
        .value_kind:     by_value
      - .address_space:  global
        .offset:         1304
        .size:           8
        .value_kind:     global_buffer
      - .offset:         1312
        .size:           4
        .value_kind:     hidden_block_count_x
      - .offset:         1316
        .size:           4
        .value_kind:     hidden_block_count_y
      - .offset:         1320
        .size:           4
        .value_kind:     hidden_block_count_z
      - .offset:         1324
        .size:           2
        .value_kind:     hidden_group_size_x
      - .offset:         1326
        .size:           2
        .value_kind:     hidden_group_size_y
      - .offset:         1328
        .size:           2
        .value_kind:     hidden_group_size_z
      - .offset:         1330
        .size:           2
        .value_kind:     hidden_remainder_x
      - .offset:         1332
        .size:           2
        .value_kind:     hidden_remainder_y
      - .offset:         1334
        .size:           2
        .value_kind:     hidden_remainder_z
      - .offset:         1352
        .size:           8
        .value_kind:     hidden_global_offset_x
      - .offset:         1360
        .size:           8
        .value_kind:     hidden_global_offset_y
      - .offset:         1368
        .size:           8
        .value_kind:     hidden_global_offset_z
      - .offset:         1376
        .size:           2
        .value_kind:     hidden_grid_dims
    .group_segment_fixed_size: 5152
    .kernarg_segment_align: 8
    .kernarg_segment_size: 1568
    .language:       OpenCL C
    .language_version:
      - 2
      - 0
    .max_flat_workgroup_size: 1024
    .name:           _ZN2at6native6sbtopk10gatherTopKIimLi2ELb0EEEvNS_4cuda6detail10TensorInfoIKT_T0_EES8_S8_bS8_S8_NS5_IS6_S8_EES8_NS5_IlS8_EES8_PS6_
    .private_segment_fixed_size: 0
    .sgpr_count:     100
    .sgpr_spill_count: 64
    .symbol:         _ZN2at6native6sbtopk10gatherTopKIimLi2ELb0EEEvNS_4cuda6detail10TensorInfoIKT_T0_EES8_S8_bS8_S8_NS5_IS6_S8_EES8_NS5_IlS8_EES8_PS6_.kd
    .uniform_work_group_size: 1
    .uses_dynamic_stack: false
    .vgpr_count:     49
    .vgpr_spill_count: 0
    .wavefront_size: 64
  - .args:
      - .offset:         0
        .size:           416
        .value_kind:     by_value
      - .offset:         416
        .size:           4
        .value_kind:     by_value
      - .address_space:  global
        .offset:         424
        .size:           8
        .value_kind:     global_buffer
      - .offset:         432
        .size:           4
        .value_kind:     by_value
      - .offset:         440
        .size:           8
        .value_kind:     by_value
      - .offset:         448
        .size:           4
        .value_kind:     by_value
      - .offset:         452
        .size:           4
        .value_kind:     by_value
      - .offset:         456
        .size:           4
        .value_kind:     by_value
      - .offset:         460
        .size:           4
        .value_kind:     by_value
      - .address_space:  global
        .offset:         464
        .size:           8
        .value_kind:     global_buffer
      - .address_space:  global
        .offset:         472
        .size:           8
        .value_kind:     global_buffer
      - .offset:         480
        .size:           4
        .value_kind:     hidden_block_count_x
      - .offset:         484
        .size:           4
        .value_kind:     hidden_block_count_y
      - .offset:         488
        .size:           4
        .value_kind:     hidden_block_count_z
      - .offset:         492
        .size:           2
        .value_kind:     hidden_group_size_x
      - .offset:         494
        .size:           2
        .value_kind:     hidden_group_size_y
      - .offset:         496
        .size:           2
        .value_kind:     hidden_group_size_z
      - .offset:         498
        .size:           2
        .value_kind:     hidden_remainder_x
      - .offset:         500
        .size:           2
        .value_kind:     hidden_remainder_y
      - .offset:         502
        .size:           2
        .value_kind:     hidden_remainder_z
      - .offset:         520
        .size:           8
        .value_kind:     hidden_global_offset_x
      - .offset:         528
        .size:           8
        .value_kind:     hidden_global_offset_y
      - .offset:         536
        .size:           8
        .value_kind:     hidden_global_offset_z
      - .offset:         544
        .size:           2
        .value_kind:     hidden_grid_dims
    .group_segment_fixed_size: 1024
    .kernarg_segment_align: 8
    .kernarg_segment_size: 736
    .language:       OpenCL C
    .language_version:
      - 2
      - 0
    .max_flat_workgroup_size: 256
    .name:           _ZN2at6native6mbtopk23computeBlockDigitCountsIimjLi3EEEvNS_4cuda6detail10TensorInfoIKT_T0_EEjPjjS8_iijT1_PSB_Ps
    .private_segment_fixed_size: 0
    .sgpr_count:     34
    .sgpr_spill_count: 0
    .symbol:         _ZN2at6native6mbtopk23computeBlockDigitCountsIimjLi3EEEvNS_4cuda6detail10TensorInfoIKT_T0_EEjPjjS8_iijT1_PSB_Ps.kd
    .uniform_work_group_size: 1
    .uses_dynamic_stack: false
    .vgpr_count:     9
    .vgpr_spill_count: 0
    .wavefront_size: 64
  - .args:
      - .offset:         0
        .size:           416
        .value_kind:     by_value
      - .offset:         416
        .size:           8
        .value_kind:     by_value
      - .offset:         424
        .size:           8
        .value_kind:     by_value
      - .offset:         432
        .size:           1
        .value_kind:     by_value
      - .offset:         436
        .size:           4
        .value_kind:     by_value
      - .offset:         440
        .size:           8
        .value_kind:     by_value
      - .offset:         448
        .size:           416
        .value_kind:     by_value
      - .offset:         864
        .size:           8
        .value_kind:     by_value
      - .offset:         872
        .size:           416
        .value_kind:     by_value
      - .offset:         1288
        .size:           8
        .value_kind:     by_value
      - .offset:         1296
        .size:           4
        .value_kind:     by_value
      - .offset:         1300
        .size:           4
        .value_kind:     by_value
      - .address_space:  global
        .offset:         1304
        .size:           8
        .value_kind:     global_buffer
      - .address_space:  global
        .offset:         1312
        .size:           8
        .value_kind:     global_buffer
      - .address_space:  global
        .offset:         1320
        .size:           8
        .value_kind:     global_buffer
      - .offset:         1328
        .size:           4
        .value_kind:     by_value
      - .offset:         1336
        .size:           4
        .value_kind:     hidden_block_count_x
      - .offset:         1340
        .size:           4
        .value_kind:     hidden_block_count_y
      - .offset:         1344
        .size:           4
        .value_kind:     hidden_block_count_z
      - .offset:         1348
        .size:           2
        .value_kind:     hidden_group_size_x
      - .offset:         1350
        .size:           2
        .value_kind:     hidden_group_size_y
      - .offset:         1352
        .size:           2
        .value_kind:     hidden_group_size_z
      - .offset:         1354
        .size:           2
        .value_kind:     hidden_remainder_x
      - .offset:         1356
        .size:           2
        .value_kind:     hidden_remainder_y
      - .offset:         1358
        .size:           2
        .value_kind:     hidden_remainder_z
      - .offset:         1376
        .size:           8
        .value_kind:     hidden_global_offset_x
      - .offset:         1384
        .size:           8
        .value_kind:     hidden_global_offset_y
      - .offset:         1392
        .size:           8
        .value_kind:     hidden_global_offset_z
      - .offset:         1400
        .size:           2
        .value_kind:     hidden_grid_dims
    .group_segment_fixed_size: 1068
    .kernarg_segment_align: 8
    .kernarg_segment_size: 1592
    .language:       OpenCL C
    .language_version:
      - 2
      - 0
    .max_flat_workgroup_size: 256
    .name:           _ZN2at6native6mbtopk10gatherTopKIimLi3EEEvNS_4cuda6detail10TensorInfoIKT_T0_EES8_S8_bjS8_NS5_IS6_S8_EES8_NS5_IlS8_EES8_jjPS6_PjSD_j
    .private_segment_fixed_size: 0
    .sgpr_count:     82
    .sgpr_spill_count: 0
    .symbol:         _ZN2at6native6mbtopk10gatherTopKIimLi3EEEvNS_4cuda6detail10TensorInfoIKT_T0_EES8_S8_bjS8_NS5_IS6_S8_EES8_NS5_IlS8_EES8_jjPS6_PjSD_j.kd
    .uniform_work_group_size: 1
    .uses_dynamic_stack: false
    .vgpr_count:     20
    .vgpr_spill_count: 0
    .wavefront_size: 64
  - .args:
      - .offset:         0
        .size:           416
        .value_kind:     by_value
      - .offset:         416
        .size:           8
        .value_kind:     by_value
      - .offset:         424
        .size:           8
        .value_kind:     by_value
      - .offset:         432
        .size:           1
        .value_kind:     by_value
      - .offset:         440
        .size:           8
        .value_kind:     by_value
      - .offset:         448
        .size:           8
        .value_kind:     by_value
      - .offset:         456
        .size:           416
        .value_kind:     by_value
      - .offset:         872
        .size:           8
        .value_kind:     by_value
      - .offset:         880
        .size:           416
        .value_kind:     by_value
      - .offset:         1296
        .size:           8
        .value_kind:     by_value
      - .address_space:  global
        .offset:         1304
        .size:           8
        .value_kind:     global_buffer
      - .offset:         1312
        .size:           4
        .value_kind:     hidden_block_count_x
      - .offset:         1316
        .size:           4
        .value_kind:     hidden_block_count_y
      - .offset:         1320
        .size:           4
        .value_kind:     hidden_block_count_z
      - .offset:         1324
        .size:           2
        .value_kind:     hidden_group_size_x
      - .offset:         1326
        .size:           2
        .value_kind:     hidden_group_size_y
      - .offset:         1328
        .size:           2
        .value_kind:     hidden_group_size_z
      - .offset:         1330
        .size:           2
        .value_kind:     hidden_remainder_x
      - .offset:         1332
        .size:           2
        .value_kind:     hidden_remainder_y
      - .offset:         1334
        .size:           2
        .value_kind:     hidden_remainder_z
      - .offset:         1352
        .size:           8
        .value_kind:     hidden_global_offset_x
      - .offset:         1360
        .size:           8
        .value_kind:     hidden_global_offset_y
      - .offset:         1368
        .size:           8
        .value_kind:     hidden_global_offset_z
      - .offset:         1376
        .size:           2
        .value_kind:     hidden_grid_dims
    .group_segment_fixed_size: 5152
    .kernarg_segment_align: 8
    .kernarg_segment_size: 1568
    .language:       OpenCL C
    .language_version:
      - 2
      - 0
    .max_flat_workgroup_size: 1024
    .name:           _ZN2at6native6sbtopk10gatherTopKIimLi3ELb0EEEvNS_4cuda6detail10TensorInfoIKT_T0_EES8_S8_bS8_S8_NS5_IS6_S8_EES8_NS5_IlS8_EES8_PS6_
    .private_segment_fixed_size: 0
    .sgpr_count:     100
    .sgpr_spill_count: 90
    .symbol:         _ZN2at6native6sbtopk10gatherTopKIimLi3ELb0EEEvNS_4cuda6detail10TensorInfoIKT_T0_EES8_S8_bS8_S8_NS5_IS6_S8_EES8_NS5_IlS8_EES8_PS6_.kd
    .uniform_work_group_size: 1
    .uses_dynamic_stack: false
    .vgpr_count:     50
    .vgpr_spill_count: 0
    .wavefront_size: 64
  - .args:
      - .offset:         0
        .size:           416
        .value_kind:     by_value
      - .offset:         416
        .size:           4
        .value_kind:     by_value
      - .address_space:  global
        .offset:         424
        .size:           8
        .value_kind:     global_buffer
      - .offset:         432
        .size:           4
        .value_kind:     by_value
      - .offset:         440
        .size:           8
        .value_kind:     by_value
      - .offset:         448
        .size:           4
        .value_kind:     by_value
      - .offset:         452
        .size:           4
        .value_kind:     by_value
      - .offset:         456
        .size:           4
        .value_kind:     by_value
      - .offset:         460
        .size:           4
        .value_kind:     by_value
      - .address_space:  global
        .offset:         464
        .size:           8
        .value_kind:     global_buffer
      - .address_space:  global
        .offset:         472
        .size:           8
        .value_kind:     global_buffer
      - .offset:         480
        .size:           4
        .value_kind:     hidden_block_count_x
      - .offset:         484
        .size:           4
        .value_kind:     hidden_block_count_y
      - .offset:         488
        .size:           4
        .value_kind:     hidden_block_count_z
      - .offset:         492
        .size:           2
        .value_kind:     hidden_group_size_x
      - .offset:         494
        .size:           2
        .value_kind:     hidden_group_size_y
      - .offset:         496
        .size:           2
        .value_kind:     hidden_group_size_z
      - .offset:         498
        .size:           2
        .value_kind:     hidden_remainder_x
      - .offset:         500
        .size:           2
        .value_kind:     hidden_remainder_y
      - .offset:         502
        .size:           2
        .value_kind:     hidden_remainder_z
      - .offset:         520
        .size:           8
        .value_kind:     hidden_global_offset_x
      - .offset:         528
        .size:           8
        .value_kind:     hidden_global_offset_y
      - .offset:         536
        .size:           8
        .value_kind:     hidden_global_offset_z
      - .offset:         544
        .size:           2
        .value_kind:     hidden_grid_dims
    .group_segment_fixed_size: 1024
    .kernarg_segment_align: 8
    .kernarg_segment_size: 736
    .language:       OpenCL C
    .language_version:
      - 2
      - 0
    .max_flat_workgroup_size: 256
    .name:           _ZN2at6native6mbtopk23computeBlockDigitCountsIimjLin1EEEvNS_4cuda6detail10TensorInfoIKT_T0_EEjPjjS8_iijT1_PSB_Ps
    .private_segment_fixed_size: 0
    .sgpr_count:     32
    .sgpr_spill_count: 0
    .symbol:         _ZN2at6native6mbtopk23computeBlockDigitCountsIimjLin1EEEvNS_4cuda6detail10TensorInfoIKT_T0_EEjPjjS8_iijT1_PSB_Ps.kd
    .uniform_work_group_size: 1
    .uses_dynamic_stack: false
    .vgpr_count:     9
    .vgpr_spill_count: 0
    .wavefront_size: 64
  - .args:
      - .offset:         0
        .size:           416
        .value_kind:     by_value
      - .offset:         416
        .size:           8
        .value_kind:     by_value
      - .offset:         424
        .size:           8
        .value_kind:     by_value
      - .offset:         432
        .size:           1
        .value_kind:     by_value
      - .offset:         436
        .size:           4
        .value_kind:     by_value
      - .offset:         440
        .size:           8
        .value_kind:     by_value
      - .offset:         448
        .size:           416
        .value_kind:     by_value
      - .offset:         864
        .size:           8
        .value_kind:     by_value
      - .offset:         872
        .size:           416
        .value_kind:     by_value
      - .offset:         1288
        .size:           8
        .value_kind:     by_value
      - .offset:         1296
        .size:           4
        .value_kind:     by_value
      - .offset:         1300
        .size:           4
        .value_kind:     by_value
      - .address_space:  global
        .offset:         1304
        .size:           8
        .value_kind:     global_buffer
      - .address_space:  global
        .offset:         1312
        .size:           8
        .value_kind:     global_buffer
      - .address_space:  global
        .offset:         1320
        .size:           8
        .value_kind:     global_buffer
      - .offset:         1328
        .size:           4
        .value_kind:     by_value
      - .offset:         1336
        .size:           4
        .value_kind:     hidden_block_count_x
      - .offset:         1340
        .size:           4
        .value_kind:     hidden_block_count_y
      - .offset:         1344
        .size:           4
        .value_kind:     hidden_block_count_z
      - .offset:         1348
        .size:           2
        .value_kind:     hidden_group_size_x
      - .offset:         1350
        .size:           2
        .value_kind:     hidden_group_size_y
      - .offset:         1352
        .size:           2
        .value_kind:     hidden_group_size_z
      - .offset:         1354
        .size:           2
        .value_kind:     hidden_remainder_x
      - .offset:         1356
        .size:           2
        .value_kind:     hidden_remainder_y
      - .offset:         1358
        .size:           2
        .value_kind:     hidden_remainder_z
      - .offset:         1376
        .size:           8
        .value_kind:     hidden_global_offset_x
      - .offset:         1384
        .size:           8
        .value_kind:     hidden_global_offset_y
      - .offset:         1392
        .size:           8
        .value_kind:     hidden_global_offset_z
      - .offset:         1400
        .size:           2
        .value_kind:     hidden_grid_dims
    .group_segment_fixed_size: 1068
    .kernarg_segment_align: 8
    .kernarg_segment_size: 1592
    .language:       OpenCL C
    .language_version:
      - 2
      - 0
    .max_flat_workgroup_size: 256
    .name:           _ZN2at6native6mbtopk10gatherTopKIimLin1EEEvNS_4cuda6detail10TensorInfoIKT_T0_EES8_S8_bjS8_NS5_IS6_S8_EES8_NS5_IlS8_EES8_jjPS6_PjSD_j
    .private_segment_fixed_size: 0
    .sgpr_count:     61
    .sgpr_spill_count: 0
    .symbol:         _ZN2at6native6mbtopk10gatherTopKIimLin1EEEvNS_4cuda6detail10TensorInfoIKT_T0_EES8_S8_bjS8_NS5_IS6_S8_EES8_NS5_IlS8_EES8_jjPS6_PjSD_j.kd
    .uniform_work_group_size: 1
    .uses_dynamic_stack: false
    .vgpr_count:     20
    .vgpr_spill_count: 0
    .wavefront_size: 64
  - .args:
      - .offset:         0
        .size:           416
        .value_kind:     by_value
      - .offset:         416
        .size:           8
        .value_kind:     by_value
      - .offset:         424
        .size:           8
        .value_kind:     by_value
      - .offset:         432
        .size:           1
        .value_kind:     by_value
      - .offset:         440
        .size:           8
        .value_kind:     by_value
      - .offset:         448
        .size:           8
        .value_kind:     by_value
      - .offset:         456
        .size:           416
        .value_kind:     by_value
      - .offset:         872
        .size:           8
        .value_kind:     by_value
      - .offset:         880
        .size:           416
        .value_kind:     by_value
      - .offset:         1296
        .size:           8
        .value_kind:     by_value
      - .address_space:  global
        .offset:         1304
        .size:           8
        .value_kind:     global_buffer
      - .offset:         1312
        .size:           4
        .value_kind:     hidden_block_count_x
      - .offset:         1316
        .size:           4
        .value_kind:     hidden_block_count_y
      - .offset:         1320
        .size:           4
        .value_kind:     hidden_block_count_z
      - .offset:         1324
        .size:           2
        .value_kind:     hidden_group_size_x
      - .offset:         1326
        .size:           2
        .value_kind:     hidden_group_size_y
      - .offset:         1328
        .size:           2
        .value_kind:     hidden_group_size_z
      - .offset:         1330
        .size:           2
        .value_kind:     hidden_remainder_x
      - .offset:         1332
        .size:           2
        .value_kind:     hidden_remainder_y
      - .offset:         1334
        .size:           2
        .value_kind:     hidden_remainder_z
      - .offset:         1352
        .size:           8
        .value_kind:     hidden_global_offset_x
      - .offset:         1360
        .size:           8
        .value_kind:     hidden_global_offset_y
      - .offset:         1368
        .size:           8
        .value_kind:     hidden_global_offset_z
      - .offset:         1376
        .size:           2
        .value_kind:     hidden_grid_dims
    .group_segment_fixed_size: 5152
    .kernarg_segment_align: 8
    .kernarg_segment_size: 1568
    .language:       OpenCL C
    .language_version:
      - 2
      - 0
    .max_flat_workgroup_size: 1024
    .name:           _ZN2at6native6sbtopk10gatherTopKIimLin1ELb0EEEvNS_4cuda6detail10TensorInfoIKT_T0_EES8_S8_bS8_S8_NS5_IS6_S8_EES8_NS5_IlS8_EES8_PS6_
    .private_segment_fixed_size: 0
    .sgpr_count:     100
    .sgpr_spill_count: 83
    .symbol:         _ZN2at6native6sbtopk10gatherTopKIimLin1ELb0EEEvNS_4cuda6detail10TensorInfoIKT_T0_EES8_S8_bS8_S8_NS5_IS6_S8_EES8_NS5_IlS8_EES8_PS6_.kd
    .uniform_work_group_size: 1
    .uses_dynamic_stack: false
    .vgpr_count:     55
    .vgpr_spill_count: 0
    .wavefront_size: 64
  - .args:
      - .offset:         0
        .size:           416
        .value_kind:     by_value
      - .offset:         416
        .size:           4
        .value_kind:     by_value
      - .address_space:  global
        .offset:         424
        .size:           8
        .value_kind:     global_buffer
      - .offset:         432
        .size:           4
        .value_kind:     by_value
      - .offset:         440
        .size:           8
        .value_kind:     by_value
      - .offset:         448
        .size:           4
        .value_kind:     by_value
      - .offset:         452
        .size:           4
        .value_kind:     by_value
      - .offset:         456
        .size:           4
        .value_kind:     by_value
      - .offset:         464
        .size:           8
        .value_kind:     by_value
      - .address_space:  global
        .offset:         472
        .size:           8
        .value_kind:     global_buffer
      - .address_space:  global
        .offset:         480
        .size:           8
        .value_kind:     global_buffer
      - .offset:         488
        .size:           4
        .value_kind:     hidden_block_count_x
      - .offset:         492
        .size:           4
        .value_kind:     hidden_block_count_y
      - .offset:         496
        .size:           4
        .value_kind:     hidden_block_count_z
      - .offset:         500
        .size:           2
        .value_kind:     hidden_group_size_x
      - .offset:         502
        .size:           2
        .value_kind:     hidden_group_size_y
      - .offset:         504
        .size:           2
        .value_kind:     hidden_group_size_z
      - .offset:         506
        .size:           2
        .value_kind:     hidden_remainder_x
      - .offset:         508
        .size:           2
        .value_kind:     hidden_remainder_y
      - .offset:         510
        .size:           2
        .value_kind:     hidden_remainder_z
      - .offset:         528
        .size:           8
        .value_kind:     hidden_global_offset_x
      - .offset:         536
        .size:           8
        .value_kind:     hidden_global_offset_y
      - .offset:         544
        .size:           8
        .value_kind:     hidden_global_offset_z
      - .offset:         552
        .size:           2
        .value_kind:     hidden_grid_dims
    .group_segment_fixed_size: 1024
    .kernarg_segment_align: 8
    .kernarg_segment_size: 744
    .language:       OpenCL C
    .language_version:
      - 2
      - 0
    .max_flat_workgroup_size: 256
    .name:           _ZN2at6native6mbtopk23computeBlockDigitCountsIlmmLi1EEEvNS_4cuda6detail10TensorInfoIKT_T0_EEjPjjS8_iijT1_PSB_Ps
    .private_segment_fixed_size: 0
    .sgpr_count:     28
    .sgpr_spill_count: 0
    .symbol:         _ZN2at6native6mbtopk23computeBlockDigitCountsIlmmLi1EEEvNS_4cuda6detail10TensorInfoIKT_T0_EEjPjjS8_iijT1_PSB_Ps.kd
    .uniform_work_group_size: 1
    .uses_dynamic_stack: false
    .vgpr_count:     11
    .vgpr_spill_count: 0
    .wavefront_size: 64
  - .args:
      - .offset:         0
        .size:           416
        .value_kind:     by_value
      - .offset:         416
        .size:           8
        .value_kind:     by_value
      - .offset:         424
        .size:           8
        .value_kind:     by_value
      - .offset:         432
        .size:           1
        .value_kind:     by_value
      - .offset:         436
        .size:           4
        .value_kind:     by_value
      - .offset:         440
        .size:           8
        .value_kind:     by_value
      - .offset:         448
        .size:           416
        .value_kind:     by_value
      - .offset:         864
        .size:           8
        .value_kind:     by_value
      - .offset:         872
        .size:           416
        .value_kind:     by_value
      - .offset:         1288
        .size:           8
        .value_kind:     by_value
      - .offset:         1296
        .size:           4
        .value_kind:     by_value
      - .offset:         1300
        .size:           4
        .value_kind:     by_value
      - .address_space:  global
        .offset:         1304
        .size:           8
        .value_kind:     global_buffer
      - .address_space:  global
        .offset:         1312
        .size:           8
        .value_kind:     global_buffer
      - .address_space:  global
        .offset:         1320
        .size:           8
        .value_kind:     global_buffer
      - .offset:         1328
        .size:           4
        .value_kind:     by_value
      - .offset:         1336
        .size:           4
        .value_kind:     hidden_block_count_x
      - .offset:         1340
        .size:           4
        .value_kind:     hidden_block_count_y
      - .offset:         1344
        .size:           4
        .value_kind:     hidden_block_count_z
      - .offset:         1348
        .size:           2
        .value_kind:     hidden_group_size_x
      - .offset:         1350
        .size:           2
        .value_kind:     hidden_group_size_y
      - .offset:         1352
        .size:           2
        .value_kind:     hidden_group_size_z
      - .offset:         1354
        .size:           2
        .value_kind:     hidden_remainder_x
      - .offset:         1356
        .size:           2
        .value_kind:     hidden_remainder_y
      - .offset:         1358
        .size:           2
        .value_kind:     hidden_remainder_z
      - .offset:         1376
        .size:           8
        .value_kind:     hidden_global_offset_x
      - .offset:         1384
        .size:           8
        .value_kind:     hidden_global_offset_y
      - .offset:         1392
        .size:           8
        .value_kind:     hidden_global_offset_z
      - .offset:         1400
        .size:           2
        .value_kind:     hidden_grid_dims
    .group_segment_fixed_size: 1068
    .kernarg_segment_align: 8
    .kernarg_segment_size: 1592
    .language:       OpenCL C
    .language_version:
      - 2
      - 0
    .max_flat_workgroup_size: 256
    .name:           _ZN2at6native6mbtopk10gatherTopKIlmLi1EEEvNS_4cuda6detail10TensorInfoIKT_T0_EES8_S8_bjS8_NS5_IS6_S8_EES8_NS5_IlS8_EES8_jjPS6_PjSD_j
    .private_segment_fixed_size: 0
    .sgpr_count:     50
    .sgpr_spill_count: 0
    .symbol:         _ZN2at6native6mbtopk10gatherTopKIlmLi1EEEvNS_4cuda6detail10TensorInfoIKT_T0_EES8_S8_bjS8_NS5_IS6_S8_EES8_NS5_IlS8_EES8_jjPS6_PjSD_j.kd
    .uniform_work_group_size: 1
    .uses_dynamic_stack: false
    .vgpr_count:     21
    .vgpr_spill_count: 0
    .wavefront_size: 64
  - .args:
      - .offset:         0
        .size:           416
        .value_kind:     by_value
      - .offset:         416
        .size:           8
        .value_kind:     by_value
      - .offset:         424
        .size:           8
        .value_kind:     by_value
      - .offset:         432
        .size:           1
        .value_kind:     by_value
      - .offset:         440
        .size:           8
        .value_kind:     by_value
      - .offset:         448
        .size:           8
        .value_kind:     by_value
      - .offset:         456
        .size:           416
        .value_kind:     by_value
      - .offset:         872
        .size:           8
        .value_kind:     by_value
      - .offset:         880
        .size:           416
        .value_kind:     by_value
      - .offset:         1296
        .size:           8
        .value_kind:     by_value
      - .address_space:  global
        .offset:         1304
        .size:           8
        .value_kind:     global_buffer
      - .offset:         1312
        .size:           4
        .value_kind:     hidden_block_count_x
      - .offset:         1316
        .size:           4
        .value_kind:     hidden_block_count_y
      - .offset:         1320
        .size:           4
        .value_kind:     hidden_block_count_z
      - .offset:         1324
        .size:           2
        .value_kind:     hidden_group_size_x
      - .offset:         1326
        .size:           2
        .value_kind:     hidden_group_size_y
      - .offset:         1328
        .size:           2
        .value_kind:     hidden_group_size_z
      - .offset:         1330
        .size:           2
        .value_kind:     hidden_remainder_x
      - .offset:         1332
        .size:           2
        .value_kind:     hidden_remainder_y
      - .offset:         1334
        .size:           2
        .value_kind:     hidden_remainder_z
      - .offset:         1352
        .size:           8
        .value_kind:     hidden_global_offset_x
      - .offset:         1360
        .size:           8
        .value_kind:     hidden_global_offset_y
      - .offset:         1368
        .size:           8
        .value_kind:     hidden_global_offset_z
      - .offset:         1376
        .size:           2
        .value_kind:     hidden_grid_dims
    .group_segment_fixed_size: 5152
    .kernarg_segment_align: 8
    .kernarg_segment_size: 1568
    .language:       OpenCL C
    .language_version:
      - 2
      - 0
    .max_flat_workgroup_size: 1024
    .name:           _ZN2at6native6sbtopk10gatherTopKIlmLi1ELb0EEEvNS_4cuda6detail10TensorInfoIKT_T0_EES8_S8_bS8_S8_NS5_IS6_S8_EES8_NS5_IlS8_EES8_PS6_
    .private_segment_fixed_size: 0
    .sgpr_count:     100
    .sgpr_spill_count: 86
    .symbol:         _ZN2at6native6sbtopk10gatherTopKIlmLi1ELb0EEEvNS_4cuda6detail10TensorInfoIKT_T0_EES8_S8_bS8_S8_NS5_IS6_S8_EES8_NS5_IlS8_EES8_PS6_.kd
    .uniform_work_group_size: 1
    .uses_dynamic_stack: false
    .vgpr_count:     57
    .vgpr_spill_count: 0
    .wavefront_size: 64
  - .args:
      - .offset:         0
        .size:           416
        .value_kind:     by_value
      - .offset:         416
        .size:           4
        .value_kind:     by_value
      - .address_space:  global
        .offset:         424
        .size:           8
        .value_kind:     global_buffer
      - .offset:         432
        .size:           4
        .value_kind:     by_value
      - .offset:         440
        .size:           8
        .value_kind:     by_value
      - .offset:         448
        .size:           4
        .value_kind:     by_value
      - .offset:         452
        .size:           4
        .value_kind:     by_value
      - .offset:         456
        .size:           4
        .value_kind:     by_value
      - .offset:         464
        .size:           8
        .value_kind:     by_value
      - .address_space:  global
        .offset:         472
        .size:           8
        .value_kind:     global_buffer
      - .address_space:  global
        .offset:         480
        .size:           8
        .value_kind:     global_buffer
      - .offset:         488
        .size:           4
        .value_kind:     hidden_block_count_x
      - .offset:         492
        .size:           4
        .value_kind:     hidden_block_count_y
      - .offset:         496
        .size:           4
        .value_kind:     hidden_block_count_z
      - .offset:         500
        .size:           2
        .value_kind:     hidden_group_size_x
      - .offset:         502
        .size:           2
        .value_kind:     hidden_group_size_y
      - .offset:         504
        .size:           2
        .value_kind:     hidden_group_size_z
      - .offset:         506
        .size:           2
        .value_kind:     hidden_remainder_x
      - .offset:         508
        .size:           2
        .value_kind:     hidden_remainder_y
      - .offset:         510
        .size:           2
        .value_kind:     hidden_remainder_z
      - .offset:         528
        .size:           8
        .value_kind:     hidden_global_offset_x
      - .offset:         536
        .size:           8
        .value_kind:     hidden_global_offset_y
      - .offset:         544
        .size:           8
        .value_kind:     hidden_global_offset_z
      - .offset:         552
        .size:           2
        .value_kind:     hidden_grid_dims
    .group_segment_fixed_size: 1024
    .kernarg_segment_align: 8
    .kernarg_segment_size: 744
    .language:       OpenCL C
    .language_version:
      - 2
      - 0
    .max_flat_workgroup_size: 256
    .name:           _ZN2at6native6mbtopk23computeBlockDigitCountsIlmmLi2EEEvNS_4cuda6detail10TensorInfoIKT_T0_EEjPjjS8_iijT1_PSB_Ps
    .private_segment_fixed_size: 0
    .sgpr_count:     32
    .sgpr_spill_count: 0
    .symbol:         _ZN2at6native6mbtopk23computeBlockDigitCountsIlmmLi2EEEvNS_4cuda6detail10TensorInfoIKT_T0_EEjPjjS8_iijT1_PSB_Ps.kd
    .uniform_work_group_size: 1
    .uses_dynamic_stack: false
    .vgpr_count:     11
    .vgpr_spill_count: 0
    .wavefront_size: 64
  - .args:
      - .offset:         0
        .size:           416
        .value_kind:     by_value
      - .offset:         416
        .size:           8
        .value_kind:     by_value
      - .offset:         424
        .size:           8
        .value_kind:     by_value
      - .offset:         432
        .size:           1
        .value_kind:     by_value
      - .offset:         436
        .size:           4
        .value_kind:     by_value
      - .offset:         440
        .size:           8
        .value_kind:     by_value
      - .offset:         448
        .size:           416
        .value_kind:     by_value
      - .offset:         864
        .size:           8
        .value_kind:     by_value
      - .offset:         872
        .size:           416
        .value_kind:     by_value
      - .offset:         1288
        .size:           8
        .value_kind:     by_value
      - .offset:         1296
        .size:           4
        .value_kind:     by_value
      - .offset:         1300
        .size:           4
        .value_kind:     by_value
      - .address_space:  global
        .offset:         1304
        .size:           8
        .value_kind:     global_buffer
      - .address_space:  global
        .offset:         1312
        .size:           8
        .value_kind:     global_buffer
      - .address_space:  global
        .offset:         1320
        .size:           8
        .value_kind:     global_buffer
      - .offset:         1328
        .size:           4
        .value_kind:     by_value
      - .offset:         1336
        .size:           4
        .value_kind:     hidden_block_count_x
      - .offset:         1340
        .size:           4
        .value_kind:     hidden_block_count_y
      - .offset:         1344
        .size:           4
        .value_kind:     hidden_block_count_z
      - .offset:         1348
        .size:           2
        .value_kind:     hidden_group_size_x
      - .offset:         1350
        .size:           2
        .value_kind:     hidden_group_size_y
      - .offset:         1352
        .size:           2
        .value_kind:     hidden_group_size_z
      - .offset:         1354
        .size:           2
        .value_kind:     hidden_remainder_x
      - .offset:         1356
        .size:           2
        .value_kind:     hidden_remainder_y
      - .offset:         1358
        .size:           2
        .value_kind:     hidden_remainder_z
      - .offset:         1376
        .size:           8
        .value_kind:     hidden_global_offset_x
      - .offset:         1384
        .size:           8
        .value_kind:     hidden_global_offset_y
      - .offset:         1392
        .size:           8
        .value_kind:     hidden_global_offset_z
      - .offset:         1400
        .size:           2
        .value_kind:     hidden_grid_dims
    .group_segment_fixed_size: 1068
    .kernarg_segment_align: 8
    .kernarg_segment_size: 1592
    .language:       OpenCL C
    .language_version:
      - 2
      - 0
    .max_flat_workgroup_size: 256
    .name:           _ZN2at6native6mbtopk10gatherTopKIlmLi2EEEvNS_4cuda6detail10TensorInfoIKT_T0_EES8_S8_bjS8_NS5_IS6_S8_EES8_NS5_IlS8_EES8_jjPS6_PjSD_j
    .private_segment_fixed_size: 0
    .sgpr_count:     56
    .sgpr_spill_count: 0
    .symbol:         _ZN2at6native6mbtopk10gatherTopKIlmLi2EEEvNS_4cuda6detail10TensorInfoIKT_T0_EES8_S8_bjS8_NS5_IS6_S8_EES8_NS5_IlS8_EES8_jjPS6_PjSD_j.kd
    .uniform_work_group_size: 1
    .uses_dynamic_stack: false
    .vgpr_count:     21
    .vgpr_spill_count: 0
    .wavefront_size: 64
  - .args:
      - .offset:         0
        .size:           416
        .value_kind:     by_value
      - .offset:         416
        .size:           8
        .value_kind:     by_value
      - .offset:         424
        .size:           8
        .value_kind:     by_value
      - .offset:         432
        .size:           1
        .value_kind:     by_value
      - .offset:         440
        .size:           8
        .value_kind:     by_value
      - .offset:         448
        .size:           8
        .value_kind:     by_value
      - .offset:         456
        .size:           416
        .value_kind:     by_value
      - .offset:         872
        .size:           8
        .value_kind:     by_value
      - .offset:         880
        .size:           416
        .value_kind:     by_value
      - .offset:         1296
        .size:           8
        .value_kind:     by_value
      - .address_space:  global
        .offset:         1304
        .size:           8
        .value_kind:     global_buffer
      - .offset:         1312
        .size:           4
        .value_kind:     hidden_block_count_x
      - .offset:         1316
        .size:           4
        .value_kind:     hidden_block_count_y
      - .offset:         1320
        .size:           4
        .value_kind:     hidden_block_count_z
      - .offset:         1324
        .size:           2
        .value_kind:     hidden_group_size_x
      - .offset:         1326
        .size:           2
        .value_kind:     hidden_group_size_y
      - .offset:         1328
        .size:           2
        .value_kind:     hidden_group_size_z
      - .offset:         1330
        .size:           2
        .value_kind:     hidden_remainder_x
      - .offset:         1332
        .size:           2
        .value_kind:     hidden_remainder_y
      - .offset:         1334
        .size:           2
        .value_kind:     hidden_remainder_z
      - .offset:         1352
        .size:           8
        .value_kind:     hidden_global_offset_x
      - .offset:         1360
        .size:           8
        .value_kind:     hidden_global_offset_y
      - .offset:         1368
        .size:           8
        .value_kind:     hidden_global_offset_z
      - .offset:         1376
        .size:           2
        .value_kind:     hidden_grid_dims
    .group_segment_fixed_size: 5152
    .kernarg_segment_align: 8
    .kernarg_segment_size: 1568
    .language:       OpenCL C
    .language_version:
      - 2
      - 0
    .max_flat_workgroup_size: 1024
    .name:           _ZN2at6native6sbtopk10gatherTopKIlmLi2ELb0EEEvNS_4cuda6detail10TensorInfoIKT_T0_EES8_S8_bS8_S8_NS5_IS6_S8_EES8_NS5_IlS8_EES8_PS6_
    .private_segment_fixed_size: 0
    .sgpr_count:     100
    .sgpr_spill_count: 82
    .symbol:         _ZN2at6native6sbtopk10gatherTopKIlmLi2ELb0EEEvNS_4cuda6detail10TensorInfoIKT_T0_EES8_S8_bS8_S8_NS5_IS6_S8_EES8_NS5_IlS8_EES8_PS6_.kd
    .uniform_work_group_size: 1
    .uses_dynamic_stack: false
    .vgpr_count:     47
    .vgpr_spill_count: 0
    .wavefront_size: 64
  - .args:
      - .offset:         0
        .size:           416
        .value_kind:     by_value
      - .offset:         416
        .size:           4
        .value_kind:     by_value
      - .address_space:  global
        .offset:         424
        .size:           8
        .value_kind:     global_buffer
      - .offset:         432
        .size:           4
        .value_kind:     by_value
      - .offset:         440
        .size:           8
        .value_kind:     by_value
      - .offset:         448
        .size:           4
        .value_kind:     by_value
      - .offset:         452
        .size:           4
        .value_kind:     by_value
      - .offset:         456
        .size:           4
        .value_kind:     by_value
      - .offset:         464
        .size:           8
        .value_kind:     by_value
      - .address_space:  global
        .offset:         472
        .size:           8
        .value_kind:     global_buffer
      - .address_space:  global
        .offset:         480
        .size:           8
        .value_kind:     global_buffer
      - .offset:         488
        .size:           4
        .value_kind:     hidden_block_count_x
      - .offset:         492
        .size:           4
        .value_kind:     hidden_block_count_y
      - .offset:         496
        .size:           4
        .value_kind:     hidden_block_count_z
      - .offset:         500
        .size:           2
        .value_kind:     hidden_group_size_x
      - .offset:         502
        .size:           2
        .value_kind:     hidden_group_size_y
      - .offset:         504
        .size:           2
        .value_kind:     hidden_group_size_z
      - .offset:         506
        .size:           2
        .value_kind:     hidden_remainder_x
      - .offset:         508
        .size:           2
        .value_kind:     hidden_remainder_y
      - .offset:         510
        .size:           2
        .value_kind:     hidden_remainder_z
      - .offset:         528
        .size:           8
        .value_kind:     hidden_global_offset_x
      - .offset:         536
        .size:           8
        .value_kind:     hidden_global_offset_y
      - .offset:         544
        .size:           8
        .value_kind:     hidden_global_offset_z
      - .offset:         552
        .size:           2
        .value_kind:     hidden_grid_dims
    .group_segment_fixed_size: 1024
    .kernarg_segment_align: 8
    .kernarg_segment_size: 744
    .language:       OpenCL C
    .language_version:
      - 2
      - 0
    .max_flat_workgroup_size: 256
    .name:           _ZN2at6native6mbtopk23computeBlockDigitCountsIlmmLi3EEEvNS_4cuda6detail10TensorInfoIKT_T0_EEjPjjS8_iijT1_PSB_Ps
    .private_segment_fixed_size: 0
    .sgpr_count:     36
    .sgpr_spill_count: 0
    .symbol:         _ZN2at6native6mbtopk23computeBlockDigitCountsIlmmLi3EEEvNS_4cuda6detail10TensorInfoIKT_T0_EEjPjjS8_iijT1_PSB_Ps.kd
    .uniform_work_group_size: 1
    .uses_dynamic_stack: false
    .vgpr_count:     11
    .vgpr_spill_count: 0
    .wavefront_size: 64
  - .args:
      - .offset:         0
        .size:           416
        .value_kind:     by_value
      - .offset:         416
        .size:           8
        .value_kind:     by_value
      - .offset:         424
        .size:           8
        .value_kind:     by_value
      - .offset:         432
        .size:           1
        .value_kind:     by_value
      - .offset:         436
        .size:           4
        .value_kind:     by_value
      - .offset:         440
        .size:           8
        .value_kind:     by_value
      - .offset:         448
        .size:           416
        .value_kind:     by_value
      - .offset:         864
        .size:           8
        .value_kind:     by_value
      - .offset:         872
        .size:           416
        .value_kind:     by_value
      - .offset:         1288
        .size:           8
        .value_kind:     by_value
      - .offset:         1296
        .size:           4
        .value_kind:     by_value
      - .offset:         1300
        .size:           4
        .value_kind:     by_value
      - .address_space:  global
        .offset:         1304
        .size:           8
        .value_kind:     global_buffer
      - .address_space:  global
        .offset:         1312
        .size:           8
        .value_kind:     global_buffer
      - .address_space:  global
        .offset:         1320
        .size:           8
        .value_kind:     global_buffer
      - .offset:         1328
        .size:           4
        .value_kind:     by_value
      - .offset:         1336
        .size:           4
        .value_kind:     hidden_block_count_x
      - .offset:         1340
        .size:           4
        .value_kind:     hidden_block_count_y
      - .offset:         1344
        .size:           4
        .value_kind:     hidden_block_count_z
      - .offset:         1348
        .size:           2
        .value_kind:     hidden_group_size_x
      - .offset:         1350
        .size:           2
        .value_kind:     hidden_group_size_y
      - .offset:         1352
        .size:           2
        .value_kind:     hidden_group_size_z
      - .offset:         1354
        .size:           2
        .value_kind:     hidden_remainder_x
      - .offset:         1356
        .size:           2
        .value_kind:     hidden_remainder_y
      - .offset:         1358
        .size:           2
        .value_kind:     hidden_remainder_z
      - .offset:         1376
        .size:           8
        .value_kind:     hidden_global_offset_x
      - .offset:         1384
        .size:           8
        .value_kind:     hidden_global_offset_y
      - .offset:         1392
        .size:           8
        .value_kind:     hidden_global_offset_z
      - .offset:         1400
        .size:           2
        .value_kind:     hidden_grid_dims
    .group_segment_fixed_size: 1068
    .kernarg_segment_align: 8
    .kernarg_segment_size: 1592
    .language:       OpenCL C
    .language_version:
      - 2
      - 0
    .max_flat_workgroup_size: 256
    .name:           _ZN2at6native6mbtopk10gatherTopKIlmLi3EEEvNS_4cuda6detail10TensorInfoIKT_T0_EES8_S8_bjS8_NS5_IS6_S8_EES8_NS5_IlS8_EES8_jjPS6_PjSD_j
    .private_segment_fixed_size: 0
    .sgpr_count:     83
    .sgpr_spill_count: 0
    .symbol:         _ZN2at6native6mbtopk10gatherTopKIlmLi3EEEvNS_4cuda6detail10TensorInfoIKT_T0_EES8_S8_bjS8_NS5_IS6_S8_EES8_NS5_IlS8_EES8_jjPS6_PjSD_j.kd
    .uniform_work_group_size: 1
    .uses_dynamic_stack: false
    .vgpr_count:     21
    .vgpr_spill_count: 0
    .wavefront_size: 64
  - .args:
      - .offset:         0
        .size:           416
        .value_kind:     by_value
      - .offset:         416
        .size:           8
        .value_kind:     by_value
      - .offset:         424
        .size:           8
        .value_kind:     by_value
      - .offset:         432
        .size:           1
        .value_kind:     by_value
      - .offset:         440
        .size:           8
        .value_kind:     by_value
      - .offset:         448
        .size:           8
        .value_kind:     by_value
      - .offset:         456
        .size:           416
        .value_kind:     by_value
      - .offset:         872
        .size:           8
        .value_kind:     by_value
      - .offset:         880
        .size:           416
        .value_kind:     by_value
      - .offset:         1296
        .size:           8
        .value_kind:     by_value
      - .address_space:  global
        .offset:         1304
        .size:           8
        .value_kind:     global_buffer
      - .offset:         1312
        .size:           4
        .value_kind:     hidden_block_count_x
      - .offset:         1316
        .size:           4
        .value_kind:     hidden_block_count_y
      - .offset:         1320
        .size:           4
        .value_kind:     hidden_block_count_z
      - .offset:         1324
        .size:           2
        .value_kind:     hidden_group_size_x
      - .offset:         1326
        .size:           2
        .value_kind:     hidden_group_size_y
      - .offset:         1328
        .size:           2
        .value_kind:     hidden_group_size_z
      - .offset:         1330
        .size:           2
        .value_kind:     hidden_remainder_x
      - .offset:         1332
        .size:           2
        .value_kind:     hidden_remainder_y
      - .offset:         1334
        .size:           2
        .value_kind:     hidden_remainder_z
      - .offset:         1352
        .size:           8
        .value_kind:     hidden_global_offset_x
      - .offset:         1360
        .size:           8
        .value_kind:     hidden_global_offset_y
      - .offset:         1368
        .size:           8
        .value_kind:     hidden_global_offset_z
      - .offset:         1376
        .size:           2
        .value_kind:     hidden_grid_dims
    .group_segment_fixed_size: 5152
    .kernarg_segment_align: 8
    .kernarg_segment_size: 1568
    .language:       OpenCL C
    .language_version:
      - 2
      - 0
    .max_flat_workgroup_size: 1024
    .name:           _ZN2at6native6sbtopk10gatherTopKIlmLi3ELb0EEEvNS_4cuda6detail10TensorInfoIKT_T0_EES8_S8_bS8_S8_NS5_IS6_S8_EES8_NS5_IlS8_EES8_PS6_
    .private_segment_fixed_size: 0
    .sgpr_count:     100
    .sgpr_spill_count: 86
    .symbol:         _ZN2at6native6sbtopk10gatherTopKIlmLi3ELb0EEEvNS_4cuda6detail10TensorInfoIKT_T0_EES8_S8_bS8_S8_NS5_IS6_S8_EES8_NS5_IlS8_EES8_PS6_.kd
    .uniform_work_group_size: 1
    .uses_dynamic_stack: false
    .vgpr_count:     46
    .vgpr_spill_count: 0
    .wavefront_size: 64
  - .args:
      - .offset:         0
        .size:           416
        .value_kind:     by_value
      - .offset:         416
        .size:           4
        .value_kind:     by_value
      - .address_space:  global
        .offset:         424
        .size:           8
        .value_kind:     global_buffer
      - .offset:         432
        .size:           4
        .value_kind:     by_value
      - .offset:         440
        .size:           8
        .value_kind:     by_value
      - .offset:         448
        .size:           4
        .value_kind:     by_value
      - .offset:         452
        .size:           4
        .value_kind:     by_value
      - .offset:         456
        .size:           4
        .value_kind:     by_value
      - .offset:         464
        .size:           8
        .value_kind:     by_value
      - .address_space:  global
        .offset:         472
        .size:           8
        .value_kind:     global_buffer
      - .address_space:  global
        .offset:         480
        .size:           8
        .value_kind:     global_buffer
      - .offset:         488
        .size:           4
        .value_kind:     hidden_block_count_x
      - .offset:         492
        .size:           4
        .value_kind:     hidden_block_count_y
      - .offset:         496
        .size:           4
        .value_kind:     hidden_block_count_z
      - .offset:         500
        .size:           2
        .value_kind:     hidden_group_size_x
      - .offset:         502
        .size:           2
        .value_kind:     hidden_group_size_y
      - .offset:         504
        .size:           2
        .value_kind:     hidden_group_size_z
      - .offset:         506
        .size:           2
        .value_kind:     hidden_remainder_x
      - .offset:         508
        .size:           2
        .value_kind:     hidden_remainder_y
      - .offset:         510
        .size:           2
        .value_kind:     hidden_remainder_z
      - .offset:         528
        .size:           8
        .value_kind:     hidden_global_offset_x
      - .offset:         536
        .size:           8
        .value_kind:     hidden_global_offset_y
      - .offset:         544
        .size:           8
        .value_kind:     hidden_global_offset_z
      - .offset:         552
        .size:           2
        .value_kind:     hidden_grid_dims
    .group_segment_fixed_size: 1024
    .kernarg_segment_align: 8
    .kernarg_segment_size: 744
    .language:       OpenCL C
    .language_version:
      - 2
      - 0
    .max_flat_workgroup_size: 256
    .name:           _ZN2at6native6mbtopk23computeBlockDigitCountsIlmmLin1EEEvNS_4cuda6detail10TensorInfoIKT_T0_EEjPjjS8_iijT1_PSB_Ps
    .private_segment_fixed_size: 0
    .sgpr_count:     34
    .sgpr_spill_count: 0
    .symbol:         _ZN2at6native6mbtopk23computeBlockDigitCountsIlmmLin1EEEvNS_4cuda6detail10TensorInfoIKT_T0_EEjPjjS8_iijT1_PSB_Ps.kd
    .uniform_work_group_size: 1
    .uses_dynamic_stack: false
    .vgpr_count:     11
    .vgpr_spill_count: 0
    .wavefront_size: 64
  - .args:
      - .offset:         0
        .size:           416
        .value_kind:     by_value
      - .offset:         416
        .size:           8
        .value_kind:     by_value
      - .offset:         424
        .size:           8
        .value_kind:     by_value
      - .offset:         432
        .size:           1
        .value_kind:     by_value
      - .offset:         436
        .size:           4
        .value_kind:     by_value
      - .offset:         440
        .size:           8
        .value_kind:     by_value
      - .offset:         448
        .size:           416
        .value_kind:     by_value
      - .offset:         864
        .size:           8
        .value_kind:     by_value
      - .offset:         872
        .size:           416
        .value_kind:     by_value
      - .offset:         1288
        .size:           8
        .value_kind:     by_value
      - .offset:         1296
        .size:           4
        .value_kind:     by_value
      - .offset:         1300
        .size:           4
        .value_kind:     by_value
      - .address_space:  global
        .offset:         1304
        .size:           8
        .value_kind:     global_buffer
      - .address_space:  global
        .offset:         1312
        .size:           8
        .value_kind:     global_buffer
      - .address_space:  global
        .offset:         1320
        .size:           8
        .value_kind:     global_buffer
      - .offset:         1328
        .size:           4
        .value_kind:     by_value
      - .offset:         1336
        .size:           4
        .value_kind:     hidden_block_count_x
      - .offset:         1340
        .size:           4
        .value_kind:     hidden_block_count_y
      - .offset:         1344
        .size:           4
        .value_kind:     hidden_block_count_z
      - .offset:         1348
        .size:           2
        .value_kind:     hidden_group_size_x
      - .offset:         1350
        .size:           2
        .value_kind:     hidden_group_size_y
      - .offset:         1352
        .size:           2
        .value_kind:     hidden_group_size_z
      - .offset:         1354
        .size:           2
        .value_kind:     hidden_remainder_x
      - .offset:         1356
        .size:           2
        .value_kind:     hidden_remainder_y
      - .offset:         1358
        .size:           2
        .value_kind:     hidden_remainder_z
      - .offset:         1376
        .size:           8
        .value_kind:     hidden_global_offset_x
      - .offset:         1384
        .size:           8
        .value_kind:     hidden_global_offset_y
      - .offset:         1392
        .size:           8
        .value_kind:     hidden_global_offset_z
      - .offset:         1400
        .size:           2
        .value_kind:     hidden_grid_dims
    .group_segment_fixed_size: 1068
    .kernarg_segment_align: 8
    .kernarg_segment_size: 1592
    .language:       OpenCL C
    .language_version:
      - 2
      - 0
    .max_flat_workgroup_size: 256
    .name:           _ZN2at6native6mbtopk10gatherTopKIlmLin1EEEvNS_4cuda6detail10TensorInfoIKT_T0_EES8_S8_bjS8_NS5_IS6_S8_EES8_NS5_IlS8_EES8_jjPS6_PjSD_j
    .private_segment_fixed_size: 0
    .sgpr_count:     62
    .sgpr_spill_count: 0
    .symbol:         _ZN2at6native6mbtopk10gatherTopKIlmLin1EEEvNS_4cuda6detail10TensorInfoIKT_T0_EES8_S8_bjS8_NS5_IS6_S8_EES8_NS5_IlS8_EES8_jjPS6_PjSD_j.kd
    .uniform_work_group_size: 1
    .uses_dynamic_stack: false
    .vgpr_count:     21
    .vgpr_spill_count: 0
    .wavefront_size: 64
  - .args:
      - .offset:         0
        .size:           416
        .value_kind:     by_value
      - .offset:         416
        .size:           8
        .value_kind:     by_value
      - .offset:         424
        .size:           8
        .value_kind:     by_value
      - .offset:         432
        .size:           1
        .value_kind:     by_value
      - .offset:         440
        .size:           8
        .value_kind:     by_value
      - .offset:         448
        .size:           8
        .value_kind:     by_value
      - .offset:         456
        .size:           416
        .value_kind:     by_value
      - .offset:         872
        .size:           8
        .value_kind:     by_value
      - .offset:         880
        .size:           416
        .value_kind:     by_value
      - .offset:         1296
        .size:           8
        .value_kind:     by_value
      - .address_space:  global
        .offset:         1304
        .size:           8
        .value_kind:     global_buffer
      - .offset:         1312
        .size:           4
        .value_kind:     hidden_block_count_x
      - .offset:         1316
        .size:           4
        .value_kind:     hidden_block_count_y
      - .offset:         1320
        .size:           4
        .value_kind:     hidden_block_count_z
      - .offset:         1324
        .size:           2
        .value_kind:     hidden_group_size_x
      - .offset:         1326
        .size:           2
        .value_kind:     hidden_group_size_y
      - .offset:         1328
        .size:           2
        .value_kind:     hidden_group_size_z
      - .offset:         1330
        .size:           2
        .value_kind:     hidden_remainder_x
      - .offset:         1332
        .size:           2
        .value_kind:     hidden_remainder_y
      - .offset:         1334
        .size:           2
        .value_kind:     hidden_remainder_z
      - .offset:         1352
        .size:           8
        .value_kind:     hidden_global_offset_x
      - .offset:         1360
        .size:           8
        .value_kind:     hidden_global_offset_y
      - .offset:         1368
        .size:           8
        .value_kind:     hidden_global_offset_z
      - .offset:         1376
        .size:           2
        .value_kind:     hidden_grid_dims
    .group_segment_fixed_size: 5152
    .kernarg_segment_align: 8
    .kernarg_segment_size: 1568
    .language:       OpenCL C
    .language_version:
      - 2
      - 0
    .max_flat_workgroup_size: 1024
    .name:           _ZN2at6native6sbtopk10gatherTopKIlmLin1ELb0EEEvNS_4cuda6detail10TensorInfoIKT_T0_EES8_S8_bS8_S8_NS5_IS6_S8_EES8_NS5_IlS8_EES8_PS6_
    .private_segment_fixed_size: 0
    .sgpr_count:     100
    .sgpr_spill_count: 117
    .symbol:         _ZN2at6native6sbtopk10gatherTopKIlmLin1ELb0EEEvNS_4cuda6detail10TensorInfoIKT_T0_EES8_S8_bS8_S8_NS5_IS6_S8_EES8_NS5_IlS8_EES8_PS6_.kd
    .uniform_work_group_size: 1
    .uses_dynamic_stack: false
    .vgpr_count:     60
    .vgpr_spill_count: 0
    .wavefront_size: 64
  - .args:
      - .offset:         0
        .size:           416
        .value_kind:     by_value
      - .offset:         416
        .size:           4
        .value_kind:     by_value
      - .address_space:  global
        .offset:         424
        .size:           8
        .value_kind:     global_buffer
      - .offset:         432
        .size:           4
        .value_kind:     by_value
      - .offset:         440
        .size:           8
        .value_kind:     by_value
      - .offset:         448
        .size:           4
        .value_kind:     by_value
      - .offset:         452
        .size:           4
        .value_kind:     by_value
      - .offset:         456
        .size:           4
        .value_kind:     by_value
      - .offset:         460
        .size:           4
        .value_kind:     by_value
      - .address_space:  global
        .offset:         464
        .size:           8
        .value_kind:     global_buffer
      - .address_space:  global
        .offset:         472
        .size:           8
        .value_kind:     global_buffer
      - .offset:         480
        .size:           4
        .value_kind:     hidden_block_count_x
      - .offset:         484
        .size:           4
        .value_kind:     hidden_block_count_y
      - .offset:         488
        .size:           4
        .value_kind:     hidden_block_count_z
      - .offset:         492
        .size:           2
        .value_kind:     hidden_group_size_x
      - .offset:         494
        .size:           2
        .value_kind:     hidden_group_size_y
      - .offset:         496
        .size:           2
        .value_kind:     hidden_group_size_z
      - .offset:         498
        .size:           2
        .value_kind:     hidden_remainder_x
      - .offset:         500
        .size:           2
        .value_kind:     hidden_remainder_y
      - .offset:         502
        .size:           2
        .value_kind:     hidden_remainder_z
      - .offset:         520
        .size:           8
        .value_kind:     hidden_global_offset_x
      - .offset:         528
        .size:           8
        .value_kind:     hidden_global_offset_y
      - .offset:         536
        .size:           8
        .value_kind:     hidden_global_offset_z
      - .offset:         544
        .size:           2
        .value_kind:     hidden_grid_dims
    .group_segment_fixed_size: 1024
    .kernarg_segment_align: 8
    .kernarg_segment_size: 736
    .language:       OpenCL C
    .language_version:
      - 2
      - 0
    .max_flat_workgroup_size: 256
    .name:           _ZN2at6native6mbtopk23computeBlockDigitCountsIsmjLi1EEEvNS_4cuda6detail10TensorInfoIKT_T0_EEjPjjS8_iijT1_PSB_Ps
    .private_segment_fixed_size: 0
    .sgpr_count:     26
    .sgpr_spill_count: 0
    .symbol:         _ZN2at6native6mbtopk23computeBlockDigitCountsIsmjLi1EEEvNS_4cuda6detail10TensorInfoIKT_T0_EEjPjjS8_iijT1_PSB_Ps.kd
    .uniform_work_group_size: 1
    .uses_dynamic_stack: false
    .vgpr_count:     9
    .vgpr_spill_count: 0
    .wavefront_size: 64
  - .args:
      - .offset:         0
        .size:           416
        .value_kind:     by_value
      - .offset:         416
        .size:           8
        .value_kind:     by_value
      - .offset:         424
        .size:           8
        .value_kind:     by_value
      - .offset:         432
        .size:           1
        .value_kind:     by_value
      - .offset:         436
        .size:           4
        .value_kind:     by_value
      - .offset:         440
        .size:           8
        .value_kind:     by_value
      - .offset:         448
        .size:           416
        .value_kind:     by_value
      - .offset:         864
        .size:           8
        .value_kind:     by_value
      - .offset:         872
        .size:           416
        .value_kind:     by_value
      - .offset:         1288
        .size:           8
        .value_kind:     by_value
      - .offset:         1296
        .size:           4
        .value_kind:     by_value
      - .offset:         1300
        .size:           4
        .value_kind:     by_value
      - .address_space:  global
        .offset:         1304
        .size:           8
        .value_kind:     global_buffer
      - .address_space:  global
        .offset:         1312
        .size:           8
        .value_kind:     global_buffer
      - .address_space:  global
        .offset:         1320
        .size:           8
        .value_kind:     global_buffer
      - .offset:         1328
        .size:           4
        .value_kind:     by_value
      - .offset:         1336
        .size:           4
        .value_kind:     hidden_block_count_x
      - .offset:         1340
        .size:           4
        .value_kind:     hidden_block_count_y
      - .offset:         1344
        .size:           4
        .value_kind:     hidden_block_count_z
      - .offset:         1348
        .size:           2
        .value_kind:     hidden_group_size_x
      - .offset:         1350
        .size:           2
        .value_kind:     hidden_group_size_y
      - .offset:         1352
        .size:           2
        .value_kind:     hidden_group_size_z
      - .offset:         1354
        .size:           2
        .value_kind:     hidden_remainder_x
      - .offset:         1356
        .size:           2
        .value_kind:     hidden_remainder_y
      - .offset:         1358
        .size:           2
        .value_kind:     hidden_remainder_z
      - .offset:         1376
        .size:           8
        .value_kind:     hidden_global_offset_x
      - .offset:         1384
        .size:           8
        .value_kind:     hidden_global_offset_y
      - .offset:         1392
        .size:           8
        .value_kind:     hidden_global_offset_z
      - .offset:         1400
        .size:           2
        .value_kind:     hidden_grid_dims
    .group_segment_fixed_size: 1068
    .kernarg_segment_align: 8
    .kernarg_segment_size: 1592
    .language:       OpenCL C
    .language_version:
      - 2
      - 0
    .max_flat_workgroup_size: 256
    .name:           _ZN2at6native6mbtopk10gatherTopKIsmLi1EEEvNS_4cuda6detail10TensorInfoIKT_T0_EES8_S8_bjS8_NS5_IS6_S8_EES8_NS5_IlS8_EES8_jjPS6_PjSD_j
    .private_segment_fixed_size: 0
    .sgpr_count:     48
    .sgpr_spill_count: 0
    .symbol:         _ZN2at6native6mbtopk10gatherTopKIsmLi1EEEvNS_4cuda6detail10TensorInfoIKT_T0_EES8_S8_bjS8_NS5_IS6_S8_EES8_NS5_IlS8_EES8_jjPS6_PjSD_j.kd
    .uniform_work_group_size: 1
    .uses_dynamic_stack: false
    .vgpr_count:     22
    .vgpr_spill_count: 0
    .wavefront_size: 64
  - .args:
      - .offset:         0
        .size:           416
        .value_kind:     by_value
      - .offset:         416
        .size:           8
        .value_kind:     by_value
      - .offset:         424
        .size:           8
        .value_kind:     by_value
      - .offset:         432
        .size:           1
        .value_kind:     by_value
      - .offset:         440
        .size:           8
        .value_kind:     by_value
      - .offset:         448
        .size:           8
        .value_kind:     by_value
      - .offset:         456
        .size:           416
        .value_kind:     by_value
      - .offset:         872
        .size:           8
        .value_kind:     by_value
      - .offset:         880
        .size:           416
        .value_kind:     by_value
      - .offset:         1296
        .size:           8
        .value_kind:     by_value
      - .address_space:  global
        .offset:         1304
        .size:           8
        .value_kind:     global_buffer
      - .offset:         1312
        .size:           4
        .value_kind:     hidden_block_count_x
      - .offset:         1316
        .size:           4
        .value_kind:     hidden_block_count_y
      - .offset:         1320
        .size:           4
        .value_kind:     hidden_block_count_z
      - .offset:         1324
        .size:           2
        .value_kind:     hidden_group_size_x
      - .offset:         1326
        .size:           2
        .value_kind:     hidden_group_size_y
      - .offset:         1328
        .size:           2
        .value_kind:     hidden_group_size_z
      - .offset:         1330
        .size:           2
        .value_kind:     hidden_remainder_x
      - .offset:         1332
        .size:           2
        .value_kind:     hidden_remainder_y
      - .offset:         1334
        .size:           2
        .value_kind:     hidden_remainder_z
      - .offset:         1352
        .size:           8
        .value_kind:     hidden_global_offset_x
      - .offset:         1360
        .size:           8
        .value_kind:     hidden_global_offset_y
      - .offset:         1368
        .size:           8
        .value_kind:     hidden_global_offset_z
      - .offset:         1376
        .size:           2
        .value_kind:     hidden_grid_dims
    .group_segment_fixed_size: 5152
    .kernarg_segment_align: 8
    .kernarg_segment_size: 1568
    .language:       OpenCL C
    .language_version:
      - 2
      - 0
    .max_flat_workgroup_size: 1024
    .name:           _ZN2at6native6sbtopk10gatherTopKIsmLi1ELb0EEEvNS_4cuda6detail10TensorInfoIKT_T0_EES8_S8_bS8_S8_NS5_IS6_S8_EES8_NS5_IlS8_EES8_PS6_
    .private_segment_fixed_size: 0
    .sgpr_count:     100
    .sgpr_spill_count: 92
    .symbol:         _ZN2at6native6sbtopk10gatherTopKIsmLi1ELb0EEEvNS_4cuda6detail10TensorInfoIKT_T0_EES8_S8_bS8_S8_NS5_IS6_S8_EES8_NS5_IlS8_EES8_PS6_.kd
    .uniform_work_group_size: 1
    .uses_dynamic_stack: false
    .vgpr_count:     50
    .vgpr_spill_count: 0
    .wavefront_size: 64
  - .args:
      - .offset:         0
        .size:           416
        .value_kind:     by_value
      - .offset:         416
        .size:           4
        .value_kind:     by_value
      - .address_space:  global
        .offset:         424
        .size:           8
        .value_kind:     global_buffer
      - .offset:         432
        .size:           4
        .value_kind:     by_value
      - .offset:         440
        .size:           8
        .value_kind:     by_value
      - .offset:         448
        .size:           4
        .value_kind:     by_value
      - .offset:         452
        .size:           4
        .value_kind:     by_value
      - .offset:         456
        .size:           4
        .value_kind:     by_value
      - .offset:         460
        .size:           4
        .value_kind:     by_value
      - .address_space:  global
        .offset:         464
        .size:           8
        .value_kind:     global_buffer
      - .address_space:  global
        .offset:         472
        .size:           8
        .value_kind:     global_buffer
      - .offset:         480
        .size:           4
        .value_kind:     hidden_block_count_x
      - .offset:         484
        .size:           4
        .value_kind:     hidden_block_count_y
      - .offset:         488
        .size:           4
        .value_kind:     hidden_block_count_z
      - .offset:         492
        .size:           2
        .value_kind:     hidden_group_size_x
      - .offset:         494
        .size:           2
        .value_kind:     hidden_group_size_y
      - .offset:         496
        .size:           2
        .value_kind:     hidden_group_size_z
      - .offset:         498
        .size:           2
        .value_kind:     hidden_remainder_x
      - .offset:         500
        .size:           2
        .value_kind:     hidden_remainder_y
      - .offset:         502
        .size:           2
        .value_kind:     hidden_remainder_z
      - .offset:         520
        .size:           8
        .value_kind:     hidden_global_offset_x
      - .offset:         528
        .size:           8
        .value_kind:     hidden_global_offset_y
      - .offset:         536
        .size:           8
        .value_kind:     hidden_global_offset_z
      - .offset:         544
        .size:           2
        .value_kind:     hidden_grid_dims
    .group_segment_fixed_size: 1024
    .kernarg_segment_align: 8
    .kernarg_segment_size: 736
    .language:       OpenCL C
    .language_version:
      - 2
      - 0
    .max_flat_workgroup_size: 256
    .name:           _ZN2at6native6mbtopk23computeBlockDigitCountsIsmjLi2EEEvNS_4cuda6detail10TensorInfoIKT_T0_EEjPjjS8_iijT1_PSB_Ps
    .private_segment_fixed_size: 0
    .sgpr_count:     30
    .sgpr_spill_count: 0
    .symbol:         _ZN2at6native6mbtopk23computeBlockDigitCountsIsmjLi2EEEvNS_4cuda6detail10TensorInfoIKT_T0_EEjPjjS8_iijT1_PSB_Ps.kd
    .uniform_work_group_size: 1
    .uses_dynamic_stack: false
    .vgpr_count:     9
    .vgpr_spill_count: 0
    .wavefront_size: 64
  - .args:
      - .offset:         0
        .size:           416
        .value_kind:     by_value
      - .offset:         416
        .size:           8
        .value_kind:     by_value
      - .offset:         424
        .size:           8
        .value_kind:     by_value
      - .offset:         432
        .size:           1
        .value_kind:     by_value
      - .offset:         436
        .size:           4
        .value_kind:     by_value
      - .offset:         440
        .size:           8
        .value_kind:     by_value
      - .offset:         448
        .size:           416
        .value_kind:     by_value
      - .offset:         864
        .size:           8
        .value_kind:     by_value
      - .offset:         872
        .size:           416
        .value_kind:     by_value
      - .offset:         1288
        .size:           8
        .value_kind:     by_value
      - .offset:         1296
        .size:           4
        .value_kind:     by_value
      - .offset:         1300
        .size:           4
        .value_kind:     by_value
      - .address_space:  global
        .offset:         1304
        .size:           8
        .value_kind:     global_buffer
      - .address_space:  global
        .offset:         1312
        .size:           8
        .value_kind:     global_buffer
      - .address_space:  global
        .offset:         1320
        .size:           8
        .value_kind:     global_buffer
      - .offset:         1328
        .size:           4
        .value_kind:     by_value
      - .offset:         1336
        .size:           4
        .value_kind:     hidden_block_count_x
      - .offset:         1340
        .size:           4
        .value_kind:     hidden_block_count_y
      - .offset:         1344
        .size:           4
        .value_kind:     hidden_block_count_z
      - .offset:         1348
        .size:           2
        .value_kind:     hidden_group_size_x
      - .offset:         1350
        .size:           2
        .value_kind:     hidden_group_size_y
      - .offset:         1352
        .size:           2
        .value_kind:     hidden_group_size_z
      - .offset:         1354
        .size:           2
        .value_kind:     hidden_remainder_x
      - .offset:         1356
        .size:           2
        .value_kind:     hidden_remainder_y
      - .offset:         1358
        .size:           2
        .value_kind:     hidden_remainder_z
      - .offset:         1376
        .size:           8
        .value_kind:     hidden_global_offset_x
      - .offset:         1384
        .size:           8
        .value_kind:     hidden_global_offset_y
      - .offset:         1392
        .size:           8
        .value_kind:     hidden_global_offset_z
      - .offset:         1400
        .size:           2
        .value_kind:     hidden_grid_dims
    .group_segment_fixed_size: 1068
    .kernarg_segment_align: 8
    .kernarg_segment_size: 1592
    .language:       OpenCL C
    .language_version:
      - 2
      - 0
    .max_flat_workgroup_size: 256
    .name:           _ZN2at6native6mbtopk10gatherTopKIsmLi2EEEvNS_4cuda6detail10TensorInfoIKT_T0_EES8_S8_bjS8_NS5_IS6_S8_EES8_NS5_IlS8_EES8_jjPS6_PjSD_j
    .private_segment_fixed_size: 0
    .sgpr_count:     54
    .sgpr_spill_count: 0
    .symbol:         _ZN2at6native6mbtopk10gatherTopKIsmLi2EEEvNS_4cuda6detail10TensorInfoIKT_T0_EES8_S8_bjS8_NS5_IS6_S8_EES8_NS5_IlS8_EES8_jjPS6_PjSD_j.kd
    .uniform_work_group_size: 1
    .uses_dynamic_stack: false
    .vgpr_count:     22
    .vgpr_spill_count: 0
    .wavefront_size: 64
  - .args:
      - .offset:         0
        .size:           416
        .value_kind:     by_value
      - .offset:         416
        .size:           8
        .value_kind:     by_value
      - .offset:         424
        .size:           8
        .value_kind:     by_value
      - .offset:         432
        .size:           1
        .value_kind:     by_value
      - .offset:         440
        .size:           8
        .value_kind:     by_value
      - .offset:         448
        .size:           8
        .value_kind:     by_value
      - .offset:         456
        .size:           416
        .value_kind:     by_value
      - .offset:         872
        .size:           8
        .value_kind:     by_value
      - .offset:         880
        .size:           416
        .value_kind:     by_value
      - .offset:         1296
        .size:           8
        .value_kind:     by_value
      - .address_space:  global
        .offset:         1304
        .size:           8
        .value_kind:     global_buffer
      - .offset:         1312
        .size:           4
        .value_kind:     hidden_block_count_x
      - .offset:         1316
        .size:           4
        .value_kind:     hidden_block_count_y
      - .offset:         1320
        .size:           4
        .value_kind:     hidden_block_count_z
      - .offset:         1324
        .size:           2
        .value_kind:     hidden_group_size_x
      - .offset:         1326
        .size:           2
        .value_kind:     hidden_group_size_y
      - .offset:         1328
        .size:           2
        .value_kind:     hidden_group_size_z
      - .offset:         1330
        .size:           2
        .value_kind:     hidden_remainder_x
      - .offset:         1332
        .size:           2
        .value_kind:     hidden_remainder_y
      - .offset:         1334
        .size:           2
        .value_kind:     hidden_remainder_z
      - .offset:         1352
        .size:           8
        .value_kind:     hidden_global_offset_x
      - .offset:         1360
        .size:           8
        .value_kind:     hidden_global_offset_y
      - .offset:         1368
        .size:           8
        .value_kind:     hidden_global_offset_z
      - .offset:         1376
        .size:           2
        .value_kind:     hidden_grid_dims
    .group_segment_fixed_size: 5152
    .kernarg_segment_align: 8
    .kernarg_segment_size: 1568
    .language:       OpenCL C
    .language_version:
      - 2
      - 0
    .max_flat_workgroup_size: 1024
    .name:           _ZN2at6native6sbtopk10gatherTopKIsmLi2ELb0EEEvNS_4cuda6detail10TensorInfoIKT_T0_EES8_S8_bS8_S8_NS5_IS6_S8_EES8_NS5_IlS8_EES8_PS6_
    .private_segment_fixed_size: 0
    .sgpr_count:     100
    .sgpr_spill_count: 72
    .symbol:         _ZN2at6native6sbtopk10gatherTopKIsmLi2ELb0EEEvNS_4cuda6detail10TensorInfoIKT_T0_EES8_S8_bS8_S8_NS5_IS6_S8_EES8_NS5_IlS8_EES8_PS6_.kd
    .uniform_work_group_size: 1
    .uses_dynamic_stack: false
    .vgpr_count:     51
    .vgpr_spill_count: 0
    .wavefront_size: 64
  - .args:
      - .offset:         0
        .size:           416
        .value_kind:     by_value
      - .offset:         416
        .size:           4
        .value_kind:     by_value
      - .address_space:  global
        .offset:         424
        .size:           8
        .value_kind:     global_buffer
      - .offset:         432
        .size:           4
        .value_kind:     by_value
      - .offset:         440
        .size:           8
        .value_kind:     by_value
      - .offset:         448
        .size:           4
        .value_kind:     by_value
      - .offset:         452
        .size:           4
        .value_kind:     by_value
      - .offset:         456
        .size:           4
        .value_kind:     by_value
      - .offset:         460
        .size:           4
        .value_kind:     by_value
      - .address_space:  global
        .offset:         464
        .size:           8
        .value_kind:     global_buffer
      - .address_space:  global
        .offset:         472
        .size:           8
        .value_kind:     global_buffer
      - .offset:         480
        .size:           4
        .value_kind:     hidden_block_count_x
      - .offset:         484
        .size:           4
        .value_kind:     hidden_block_count_y
      - .offset:         488
        .size:           4
        .value_kind:     hidden_block_count_z
      - .offset:         492
        .size:           2
        .value_kind:     hidden_group_size_x
      - .offset:         494
        .size:           2
        .value_kind:     hidden_group_size_y
      - .offset:         496
        .size:           2
        .value_kind:     hidden_group_size_z
      - .offset:         498
        .size:           2
        .value_kind:     hidden_remainder_x
      - .offset:         500
        .size:           2
        .value_kind:     hidden_remainder_y
      - .offset:         502
        .size:           2
        .value_kind:     hidden_remainder_z
      - .offset:         520
        .size:           8
        .value_kind:     hidden_global_offset_x
      - .offset:         528
        .size:           8
        .value_kind:     hidden_global_offset_y
      - .offset:         536
        .size:           8
        .value_kind:     hidden_global_offset_z
      - .offset:         544
        .size:           2
        .value_kind:     hidden_grid_dims
    .group_segment_fixed_size: 1024
    .kernarg_segment_align: 8
    .kernarg_segment_size: 736
    .language:       OpenCL C
    .language_version:
      - 2
      - 0
    .max_flat_workgroup_size: 256
    .name:           _ZN2at6native6mbtopk23computeBlockDigitCountsIsmjLi3EEEvNS_4cuda6detail10TensorInfoIKT_T0_EEjPjjS8_iijT1_PSB_Ps
    .private_segment_fixed_size: 0
    .sgpr_count:     34
    .sgpr_spill_count: 0
    .symbol:         _ZN2at6native6mbtopk23computeBlockDigitCountsIsmjLi3EEEvNS_4cuda6detail10TensorInfoIKT_T0_EEjPjjS8_iijT1_PSB_Ps.kd
    .uniform_work_group_size: 1
    .uses_dynamic_stack: false
    .vgpr_count:     9
    .vgpr_spill_count: 0
    .wavefront_size: 64
  - .args:
      - .offset:         0
        .size:           416
        .value_kind:     by_value
      - .offset:         416
        .size:           8
        .value_kind:     by_value
      - .offset:         424
        .size:           8
        .value_kind:     by_value
      - .offset:         432
        .size:           1
        .value_kind:     by_value
      - .offset:         436
        .size:           4
        .value_kind:     by_value
      - .offset:         440
        .size:           8
        .value_kind:     by_value
      - .offset:         448
        .size:           416
        .value_kind:     by_value
      - .offset:         864
        .size:           8
        .value_kind:     by_value
      - .offset:         872
        .size:           416
        .value_kind:     by_value
      - .offset:         1288
        .size:           8
        .value_kind:     by_value
      - .offset:         1296
        .size:           4
        .value_kind:     by_value
      - .offset:         1300
        .size:           4
        .value_kind:     by_value
      - .address_space:  global
        .offset:         1304
        .size:           8
        .value_kind:     global_buffer
      - .address_space:  global
        .offset:         1312
        .size:           8
        .value_kind:     global_buffer
      - .address_space:  global
        .offset:         1320
        .size:           8
        .value_kind:     global_buffer
      - .offset:         1328
        .size:           4
        .value_kind:     by_value
      - .offset:         1336
        .size:           4
        .value_kind:     hidden_block_count_x
      - .offset:         1340
        .size:           4
        .value_kind:     hidden_block_count_y
      - .offset:         1344
        .size:           4
        .value_kind:     hidden_block_count_z
      - .offset:         1348
        .size:           2
        .value_kind:     hidden_group_size_x
      - .offset:         1350
        .size:           2
        .value_kind:     hidden_group_size_y
      - .offset:         1352
        .size:           2
        .value_kind:     hidden_group_size_z
      - .offset:         1354
        .size:           2
        .value_kind:     hidden_remainder_x
      - .offset:         1356
        .size:           2
        .value_kind:     hidden_remainder_y
      - .offset:         1358
        .size:           2
        .value_kind:     hidden_remainder_z
      - .offset:         1376
        .size:           8
        .value_kind:     hidden_global_offset_x
      - .offset:         1384
        .size:           8
        .value_kind:     hidden_global_offset_y
      - .offset:         1392
        .size:           8
        .value_kind:     hidden_global_offset_z
      - .offset:         1400
        .size:           2
        .value_kind:     hidden_grid_dims
    .group_segment_fixed_size: 1068
    .kernarg_segment_align: 8
    .kernarg_segment_size: 1592
    .language:       OpenCL C
    .language_version:
      - 2
      - 0
    .max_flat_workgroup_size: 256
    .name:           _ZN2at6native6mbtopk10gatherTopKIsmLi3EEEvNS_4cuda6detail10TensorInfoIKT_T0_EES8_S8_bjS8_NS5_IS6_S8_EES8_NS5_IlS8_EES8_jjPS6_PjSD_j
    .private_segment_fixed_size: 0
    .sgpr_count:     81
    .sgpr_spill_count: 0
    .symbol:         _ZN2at6native6mbtopk10gatherTopKIsmLi3EEEvNS_4cuda6detail10TensorInfoIKT_T0_EES8_S8_bjS8_NS5_IS6_S8_EES8_NS5_IlS8_EES8_jjPS6_PjSD_j.kd
    .uniform_work_group_size: 1
    .uses_dynamic_stack: false
    .vgpr_count:     22
    .vgpr_spill_count: 0
    .wavefront_size: 64
  - .args:
      - .offset:         0
        .size:           416
        .value_kind:     by_value
      - .offset:         416
        .size:           8
        .value_kind:     by_value
      - .offset:         424
        .size:           8
        .value_kind:     by_value
      - .offset:         432
        .size:           1
        .value_kind:     by_value
      - .offset:         440
        .size:           8
        .value_kind:     by_value
      - .offset:         448
        .size:           8
        .value_kind:     by_value
      - .offset:         456
        .size:           416
        .value_kind:     by_value
      - .offset:         872
        .size:           8
        .value_kind:     by_value
      - .offset:         880
        .size:           416
        .value_kind:     by_value
      - .offset:         1296
        .size:           8
        .value_kind:     by_value
      - .address_space:  global
        .offset:         1304
        .size:           8
        .value_kind:     global_buffer
      - .offset:         1312
        .size:           4
        .value_kind:     hidden_block_count_x
      - .offset:         1316
        .size:           4
        .value_kind:     hidden_block_count_y
      - .offset:         1320
        .size:           4
        .value_kind:     hidden_block_count_z
      - .offset:         1324
        .size:           2
        .value_kind:     hidden_group_size_x
      - .offset:         1326
        .size:           2
        .value_kind:     hidden_group_size_y
      - .offset:         1328
        .size:           2
        .value_kind:     hidden_group_size_z
      - .offset:         1330
        .size:           2
        .value_kind:     hidden_remainder_x
      - .offset:         1332
        .size:           2
        .value_kind:     hidden_remainder_y
      - .offset:         1334
        .size:           2
        .value_kind:     hidden_remainder_z
      - .offset:         1352
        .size:           8
        .value_kind:     hidden_global_offset_x
      - .offset:         1360
        .size:           8
        .value_kind:     hidden_global_offset_y
      - .offset:         1368
        .size:           8
        .value_kind:     hidden_global_offset_z
      - .offset:         1376
        .size:           2
        .value_kind:     hidden_grid_dims
    .group_segment_fixed_size: 5152
    .kernarg_segment_align: 8
    .kernarg_segment_size: 1568
    .language:       OpenCL C
    .language_version:
      - 2
      - 0
    .max_flat_workgroup_size: 1024
    .name:           _ZN2at6native6sbtopk10gatherTopKIsmLi3ELb0EEEvNS_4cuda6detail10TensorInfoIKT_T0_EES8_S8_bS8_S8_NS5_IS6_S8_EES8_NS5_IlS8_EES8_PS6_
    .private_segment_fixed_size: 0
    .sgpr_count:     100
    .sgpr_spill_count: 101
    .symbol:         _ZN2at6native6sbtopk10gatherTopKIsmLi3ELb0EEEvNS_4cuda6detail10TensorInfoIKT_T0_EES8_S8_bS8_S8_NS5_IS6_S8_EES8_NS5_IlS8_EES8_PS6_.kd
    .uniform_work_group_size: 1
    .uses_dynamic_stack: false
    .vgpr_count:     51
    .vgpr_spill_count: 0
    .wavefront_size: 64
  - .args:
      - .offset:         0
        .size:           416
        .value_kind:     by_value
      - .offset:         416
        .size:           4
        .value_kind:     by_value
      - .address_space:  global
        .offset:         424
        .size:           8
        .value_kind:     global_buffer
      - .offset:         432
        .size:           4
        .value_kind:     by_value
      - .offset:         440
        .size:           8
        .value_kind:     by_value
      - .offset:         448
        .size:           4
        .value_kind:     by_value
      - .offset:         452
        .size:           4
        .value_kind:     by_value
      - .offset:         456
        .size:           4
        .value_kind:     by_value
      - .offset:         460
        .size:           4
        .value_kind:     by_value
      - .address_space:  global
        .offset:         464
        .size:           8
        .value_kind:     global_buffer
      - .address_space:  global
        .offset:         472
        .size:           8
        .value_kind:     global_buffer
      - .offset:         480
        .size:           4
        .value_kind:     hidden_block_count_x
      - .offset:         484
        .size:           4
        .value_kind:     hidden_block_count_y
      - .offset:         488
        .size:           4
        .value_kind:     hidden_block_count_z
      - .offset:         492
        .size:           2
        .value_kind:     hidden_group_size_x
      - .offset:         494
        .size:           2
        .value_kind:     hidden_group_size_y
      - .offset:         496
        .size:           2
        .value_kind:     hidden_group_size_z
      - .offset:         498
        .size:           2
        .value_kind:     hidden_remainder_x
      - .offset:         500
        .size:           2
        .value_kind:     hidden_remainder_y
      - .offset:         502
        .size:           2
        .value_kind:     hidden_remainder_z
      - .offset:         520
        .size:           8
        .value_kind:     hidden_global_offset_x
      - .offset:         528
        .size:           8
        .value_kind:     hidden_global_offset_y
      - .offset:         536
        .size:           8
        .value_kind:     hidden_global_offset_z
      - .offset:         544
        .size:           2
        .value_kind:     hidden_grid_dims
    .group_segment_fixed_size: 1024
    .kernarg_segment_align: 8
    .kernarg_segment_size: 736
    .language:       OpenCL C
    .language_version:
      - 2
      - 0
    .max_flat_workgroup_size: 256
    .name:           _ZN2at6native6mbtopk23computeBlockDigitCountsIsmjLin1EEEvNS_4cuda6detail10TensorInfoIKT_T0_EEjPjjS8_iijT1_PSB_Ps
    .private_segment_fixed_size: 0
    .sgpr_count:     32
    .sgpr_spill_count: 0
    .symbol:         _ZN2at6native6mbtopk23computeBlockDigitCountsIsmjLin1EEEvNS_4cuda6detail10TensorInfoIKT_T0_EEjPjjS8_iijT1_PSB_Ps.kd
    .uniform_work_group_size: 1
    .uses_dynamic_stack: false
    .vgpr_count:     9
    .vgpr_spill_count: 0
    .wavefront_size: 64
  - .args:
      - .offset:         0
        .size:           416
        .value_kind:     by_value
      - .offset:         416
        .size:           8
        .value_kind:     by_value
      - .offset:         424
        .size:           8
        .value_kind:     by_value
      - .offset:         432
        .size:           1
        .value_kind:     by_value
      - .offset:         436
        .size:           4
        .value_kind:     by_value
      - .offset:         440
        .size:           8
        .value_kind:     by_value
      - .offset:         448
        .size:           416
        .value_kind:     by_value
      - .offset:         864
        .size:           8
        .value_kind:     by_value
      - .offset:         872
        .size:           416
        .value_kind:     by_value
      - .offset:         1288
        .size:           8
        .value_kind:     by_value
      - .offset:         1296
        .size:           4
        .value_kind:     by_value
      - .offset:         1300
        .size:           4
        .value_kind:     by_value
      - .address_space:  global
        .offset:         1304
        .size:           8
        .value_kind:     global_buffer
      - .address_space:  global
        .offset:         1312
        .size:           8
        .value_kind:     global_buffer
      - .address_space:  global
        .offset:         1320
        .size:           8
        .value_kind:     global_buffer
      - .offset:         1328
        .size:           4
        .value_kind:     by_value
      - .offset:         1336
        .size:           4
        .value_kind:     hidden_block_count_x
      - .offset:         1340
        .size:           4
        .value_kind:     hidden_block_count_y
      - .offset:         1344
        .size:           4
        .value_kind:     hidden_block_count_z
      - .offset:         1348
        .size:           2
        .value_kind:     hidden_group_size_x
      - .offset:         1350
        .size:           2
        .value_kind:     hidden_group_size_y
      - .offset:         1352
        .size:           2
        .value_kind:     hidden_group_size_z
      - .offset:         1354
        .size:           2
        .value_kind:     hidden_remainder_x
      - .offset:         1356
        .size:           2
        .value_kind:     hidden_remainder_y
      - .offset:         1358
        .size:           2
        .value_kind:     hidden_remainder_z
      - .offset:         1376
        .size:           8
        .value_kind:     hidden_global_offset_x
      - .offset:         1384
        .size:           8
        .value_kind:     hidden_global_offset_y
      - .offset:         1392
        .size:           8
        .value_kind:     hidden_global_offset_z
      - .offset:         1400
        .size:           2
        .value_kind:     hidden_grid_dims
    .group_segment_fixed_size: 1068
    .kernarg_segment_align: 8
    .kernarg_segment_size: 1592
    .language:       OpenCL C
    .language_version:
      - 2
      - 0
    .max_flat_workgroup_size: 256
    .name:           _ZN2at6native6mbtopk10gatherTopKIsmLin1EEEvNS_4cuda6detail10TensorInfoIKT_T0_EES8_S8_bjS8_NS5_IS6_S8_EES8_NS5_IlS8_EES8_jjPS6_PjSD_j
    .private_segment_fixed_size: 0
    .sgpr_count:     60
    .sgpr_spill_count: 0
    .symbol:         _ZN2at6native6mbtopk10gatherTopKIsmLin1EEEvNS_4cuda6detail10TensorInfoIKT_T0_EES8_S8_bjS8_NS5_IS6_S8_EES8_NS5_IlS8_EES8_jjPS6_PjSD_j.kd
    .uniform_work_group_size: 1
    .uses_dynamic_stack: false
    .vgpr_count:     22
    .vgpr_spill_count: 0
    .wavefront_size: 64
  - .args:
      - .offset:         0
        .size:           416
        .value_kind:     by_value
      - .offset:         416
        .size:           8
        .value_kind:     by_value
      - .offset:         424
        .size:           8
        .value_kind:     by_value
      - .offset:         432
        .size:           1
        .value_kind:     by_value
      - .offset:         440
        .size:           8
        .value_kind:     by_value
      - .offset:         448
        .size:           8
        .value_kind:     by_value
      - .offset:         456
        .size:           416
        .value_kind:     by_value
      - .offset:         872
        .size:           8
        .value_kind:     by_value
      - .offset:         880
        .size:           416
        .value_kind:     by_value
      - .offset:         1296
        .size:           8
        .value_kind:     by_value
      - .address_space:  global
        .offset:         1304
        .size:           8
        .value_kind:     global_buffer
      - .offset:         1312
        .size:           4
        .value_kind:     hidden_block_count_x
      - .offset:         1316
        .size:           4
        .value_kind:     hidden_block_count_y
      - .offset:         1320
        .size:           4
        .value_kind:     hidden_block_count_z
      - .offset:         1324
        .size:           2
        .value_kind:     hidden_group_size_x
      - .offset:         1326
        .size:           2
        .value_kind:     hidden_group_size_y
      - .offset:         1328
        .size:           2
        .value_kind:     hidden_group_size_z
      - .offset:         1330
        .size:           2
        .value_kind:     hidden_remainder_x
      - .offset:         1332
        .size:           2
        .value_kind:     hidden_remainder_y
      - .offset:         1334
        .size:           2
        .value_kind:     hidden_remainder_z
      - .offset:         1352
        .size:           8
        .value_kind:     hidden_global_offset_x
      - .offset:         1360
        .size:           8
        .value_kind:     hidden_global_offset_y
      - .offset:         1368
        .size:           8
        .value_kind:     hidden_global_offset_z
      - .offset:         1376
        .size:           2
        .value_kind:     hidden_grid_dims
    .group_segment_fixed_size: 5152
    .kernarg_segment_align: 8
    .kernarg_segment_size: 1568
    .language:       OpenCL C
    .language_version:
      - 2
      - 0
    .max_flat_workgroup_size: 1024
    .name:           _ZN2at6native6sbtopk10gatherTopKIsmLin1ELb0EEEvNS_4cuda6detail10TensorInfoIKT_T0_EES8_S8_bS8_S8_NS5_IS6_S8_EES8_NS5_IlS8_EES8_PS6_
    .private_segment_fixed_size: 0
    .sgpr_count:     100
    .sgpr_spill_count: 110
    .symbol:         _ZN2at6native6sbtopk10gatherTopKIsmLin1ELb0EEEvNS_4cuda6detail10TensorInfoIKT_T0_EES8_S8_bS8_S8_NS5_IS6_S8_EES8_NS5_IlS8_EES8_PS6_.kd
    .uniform_work_group_size: 1
    .uses_dynamic_stack: false
    .vgpr_count:     57
    .vgpr_spill_count: 0
    .wavefront_size: 64
  - .args:
      - .offset:         0
        .size:           416
        .value_kind:     by_value
      - .offset:         416
        .size:           4
        .value_kind:     by_value
      - .address_space:  global
        .offset:         424
        .size:           8
        .value_kind:     global_buffer
      - .offset:         432
        .size:           4
        .value_kind:     by_value
      - .offset:         440
        .size:           8
        .value_kind:     by_value
      - .offset:         448
        .size:           4
        .value_kind:     by_value
      - .offset:         452
        .size:           4
        .value_kind:     by_value
      - .offset:         456
        .size:           4
        .value_kind:     by_value
      - .offset:         464
        .size:           8
        .value_kind:     by_value
      - .address_space:  global
        .offset:         472
        .size:           8
        .value_kind:     global_buffer
      - .address_space:  global
        .offset:         480
        .size:           8
        .value_kind:     global_buffer
      - .offset:         488
        .size:           4
        .value_kind:     hidden_block_count_x
      - .offset:         492
        .size:           4
        .value_kind:     hidden_block_count_y
      - .offset:         496
        .size:           4
        .value_kind:     hidden_block_count_z
      - .offset:         500
        .size:           2
        .value_kind:     hidden_group_size_x
      - .offset:         502
        .size:           2
        .value_kind:     hidden_group_size_y
      - .offset:         504
        .size:           2
        .value_kind:     hidden_group_size_z
      - .offset:         506
        .size:           2
        .value_kind:     hidden_remainder_x
      - .offset:         508
        .size:           2
        .value_kind:     hidden_remainder_y
      - .offset:         510
        .size:           2
        .value_kind:     hidden_remainder_z
      - .offset:         528
        .size:           8
        .value_kind:     hidden_global_offset_x
      - .offset:         536
        .size:           8
        .value_kind:     hidden_global_offset_y
      - .offset:         544
        .size:           8
        .value_kind:     hidden_global_offset_z
      - .offset:         552
        .size:           2
        .value_kind:     hidden_grid_dims
    .group_segment_fixed_size: 1024
    .kernarg_segment_align: 8
    .kernarg_segment_size: 744
    .language:       OpenCL C
    .language_version:
      - 2
      - 0
    .max_flat_workgroup_size: 256
    .name:           _ZN2at6native6mbtopk23computeBlockDigitCountsIdmmLi1EEEvNS_4cuda6detail10TensorInfoIKT_T0_EEjPjjS8_iijT1_PSB_Ps
    .private_segment_fixed_size: 0
    .sgpr_count:     28
    .sgpr_spill_count: 0
    .symbol:         _ZN2at6native6mbtopk23computeBlockDigitCountsIdmmLi1EEEvNS_4cuda6detail10TensorInfoIKT_T0_EEjPjjS8_iijT1_PSB_Ps.kd
    .uniform_work_group_size: 1
    .uses_dynamic_stack: false
    .vgpr_count:     11
    .vgpr_spill_count: 0
    .wavefront_size: 64
  - .args:
      - .offset:         0
        .size:           416
        .value_kind:     by_value
      - .offset:         416
        .size:           8
        .value_kind:     by_value
      - .offset:         424
        .size:           8
        .value_kind:     by_value
      - .offset:         432
        .size:           1
        .value_kind:     by_value
      - .offset:         436
        .size:           4
        .value_kind:     by_value
      - .offset:         440
        .size:           8
        .value_kind:     by_value
      - .offset:         448
        .size:           416
        .value_kind:     by_value
      - .offset:         864
        .size:           8
        .value_kind:     by_value
      - .offset:         872
        .size:           416
        .value_kind:     by_value
      - .offset:         1288
        .size:           8
        .value_kind:     by_value
      - .offset:         1296
        .size:           4
        .value_kind:     by_value
      - .offset:         1300
        .size:           4
        .value_kind:     by_value
      - .address_space:  global
        .offset:         1304
        .size:           8
        .value_kind:     global_buffer
      - .address_space:  global
        .offset:         1312
        .size:           8
        .value_kind:     global_buffer
      - .address_space:  global
        .offset:         1320
        .size:           8
        .value_kind:     global_buffer
      - .offset:         1328
        .size:           4
        .value_kind:     by_value
      - .offset:         1336
        .size:           4
        .value_kind:     hidden_block_count_x
      - .offset:         1340
        .size:           4
        .value_kind:     hidden_block_count_y
      - .offset:         1344
        .size:           4
        .value_kind:     hidden_block_count_z
      - .offset:         1348
        .size:           2
        .value_kind:     hidden_group_size_x
      - .offset:         1350
        .size:           2
        .value_kind:     hidden_group_size_y
      - .offset:         1352
        .size:           2
        .value_kind:     hidden_group_size_z
      - .offset:         1354
        .size:           2
        .value_kind:     hidden_remainder_x
      - .offset:         1356
        .size:           2
        .value_kind:     hidden_remainder_y
      - .offset:         1358
        .size:           2
        .value_kind:     hidden_remainder_z
      - .offset:         1376
        .size:           8
        .value_kind:     hidden_global_offset_x
      - .offset:         1384
        .size:           8
        .value_kind:     hidden_global_offset_y
      - .offset:         1392
        .size:           8
        .value_kind:     hidden_global_offset_z
      - .offset:         1400
        .size:           2
        .value_kind:     hidden_grid_dims
    .group_segment_fixed_size: 1068
    .kernarg_segment_align: 8
    .kernarg_segment_size: 1592
    .language:       OpenCL C
    .language_version:
      - 2
      - 0
    .max_flat_workgroup_size: 256
    .name:           _ZN2at6native6mbtopk10gatherTopKIdmLi1EEEvNS_4cuda6detail10TensorInfoIKT_T0_EES8_S8_bjS8_NS5_IS6_S8_EES8_NS5_IlS8_EES8_jjPS6_PjSD_j
    .private_segment_fixed_size: 0
    .sgpr_count:     50
    .sgpr_spill_count: 0
    .symbol:         _ZN2at6native6mbtopk10gatherTopKIdmLi1EEEvNS_4cuda6detail10TensorInfoIKT_T0_EES8_S8_bjS8_NS5_IS6_S8_EES8_NS5_IlS8_EES8_jjPS6_PjSD_j.kd
    .uniform_work_group_size: 1
    .uses_dynamic_stack: false
    .vgpr_count:     21
    .vgpr_spill_count: 0
    .wavefront_size: 64
  - .args:
      - .offset:         0
        .size:           416
        .value_kind:     by_value
      - .offset:         416
        .size:           8
        .value_kind:     by_value
      - .offset:         424
        .size:           8
        .value_kind:     by_value
      - .offset:         432
        .size:           1
        .value_kind:     by_value
      - .offset:         440
        .size:           8
        .value_kind:     by_value
      - .offset:         448
        .size:           8
        .value_kind:     by_value
      - .offset:         456
        .size:           416
        .value_kind:     by_value
      - .offset:         872
        .size:           8
        .value_kind:     by_value
      - .offset:         880
        .size:           416
        .value_kind:     by_value
      - .offset:         1296
        .size:           8
        .value_kind:     by_value
      - .address_space:  global
        .offset:         1304
        .size:           8
        .value_kind:     global_buffer
      - .offset:         1312
        .size:           4
        .value_kind:     hidden_block_count_x
      - .offset:         1316
        .size:           4
        .value_kind:     hidden_block_count_y
      - .offset:         1320
        .size:           4
        .value_kind:     hidden_block_count_z
      - .offset:         1324
        .size:           2
        .value_kind:     hidden_group_size_x
      - .offset:         1326
        .size:           2
        .value_kind:     hidden_group_size_y
      - .offset:         1328
        .size:           2
        .value_kind:     hidden_group_size_z
      - .offset:         1330
        .size:           2
        .value_kind:     hidden_remainder_x
      - .offset:         1332
        .size:           2
        .value_kind:     hidden_remainder_y
      - .offset:         1334
        .size:           2
        .value_kind:     hidden_remainder_z
      - .offset:         1352
        .size:           8
        .value_kind:     hidden_global_offset_x
      - .offset:         1360
        .size:           8
        .value_kind:     hidden_global_offset_y
      - .offset:         1368
        .size:           8
        .value_kind:     hidden_global_offset_z
      - .offset:         1376
        .size:           2
        .value_kind:     hidden_grid_dims
    .group_segment_fixed_size: 5152
    .kernarg_segment_align: 8
    .kernarg_segment_size: 1568
    .language:       OpenCL C
    .language_version:
      - 2
      - 0
    .max_flat_workgroup_size: 1024
    .name:           _ZN2at6native6sbtopk10gatherTopKIdmLi1ELb0EEEvNS_4cuda6detail10TensorInfoIKT_T0_EES8_S8_bS8_S8_NS5_IS6_S8_EES8_NS5_IlS8_EES8_PS6_
    .private_segment_fixed_size: 0
    .sgpr_count:     100
    .sgpr_spill_count: 78
    .symbol:         _ZN2at6native6sbtopk10gatherTopKIdmLi1ELb0EEEvNS_4cuda6detail10TensorInfoIKT_T0_EES8_S8_bS8_S8_NS5_IS6_S8_EES8_NS5_IlS8_EES8_PS6_.kd
    .uniform_work_group_size: 1
    .uses_dynamic_stack: false
    .vgpr_count:     57
    .vgpr_spill_count: 0
    .wavefront_size: 64
  - .args:
      - .offset:         0
        .size:           416
        .value_kind:     by_value
      - .offset:         416
        .size:           4
        .value_kind:     by_value
      - .address_space:  global
        .offset:         424
        .size:           8
        .value_kind:     global_buffer
      - .offset:         432
        .size:           4
        .value_kind:     by_value
      - .offset:         440
        .size:           8
        .value_kind:     by_value
      - .offset:         448
        .size:           4
        .value_kind:     by_value
      - .offset:         452
        .size:           4
        .value_kind:     by_value
      - .offset:         456
        .size:           4
        .value_kind:     by_value
      - .offset:         464
        .size:           8
        .value_kind:     by_value
      - .address_space:  global
        .offset:         472
        .size:           8
        .value_kind:     global_buffer
      - .address_space:  global
        .offset:         480
        .size:           8
        .value_kind:     global_buffer
      - .offset:         488
        .size:           4
        .value_kind:     hidden_block_count_x
      - .offset:         492
        .size:           4
        .value_kind:     hidden_block_count_y
      - .offset:         496
        .size:           4
        .value_kind:     hidden_block_count_z
      - .offset:         500
        .size:           2
        .value_kind:     hidden_group_size_x
      - .offset:         502
        .size:           2
        .value_kind:     hidden_group_size_y
      - .offset:         504
        .size:           2
        .value_kind:     hidden_group_size_z
      - .offset:         506
        .size:           2
        .value_kind:     hidden_remainder_x
      - .offset:         508
        .size:           2
        .value_kind:     hidden_remainder_y
      - .offset:         510
        .size:           2
        .value_kind:     hidden_remainder_z
      - .offset:         528
        .size:           8
        .value_kind:     hidden_global_offset_x
      - .offset:         536
        .size:           8
        .value_kind:     hidden_global_offset_y
      - .offset:         544
        .size:           8
        .value_kind:     hidden_global_offset_z
      - .offset:         552
        .size:           2
        .value_kind:     hidden_grid_dims
    .group_segment_fixed_size: 1024
    .kernarg_segment_align: 8
    .kernarg_segment_size: 744
    .language:       OpenCL C
    .language_version:
      - 2
      - 0
    .max_flat_workgroup_size: 256
    .name:           _ZN2at6native6mbtopk23computeBlockDigitCountsIdmmLi2EEEvNS_4cuda6detail10TensorInfoIKT_T0_EEjPjjS8_iijT1_PSB_Ps
    .private_segment_fixed_size: 0
    .sgpr_count:     32
    .sgpr_spill_count: 0
    .symbol:         _ZN2at6native6mbtopk23computeBlockDigitCountsIdmmLi2EEEvNS_4cuda6detail10TensorInfoIKT_T0_EEjPjjS8_iijT1_PSB_Ps.kd
    .uniform_work_group_size: 1
    .uses_dynamic_stack: false
    .vgpr_count:     11
    .vgpr_spill_count: 0
    .wavefront_size: 64
  - .args:
      - .offset:         0
        .size:           416
        .value_kind:     by_value
      - .offset:         416
        .size:           8
        .value_kind:     by_value
      - .offset:         424
        .size:           8
        .value_kind:     by_value
      - .offset:         432
        .size:           1
        .value_kind:     by_value
      - .offset:         436
        .size:           4
        .value_kind:     by_value
      - .offset:         440
        .size:           8
        .value_kind:     by_value
      - .offset:         448
        .size:           416
        .value_kind:     by_value
      - .offset:         864
        .size:           8
        .value_kind:     by_value
      - .offset:         872
        .size:           416
        .value_kind:     by_value
      - .offset:         1288
        .size:           8
        .value_kind:     by_value
      - .offset:         1296
        .size:           4
        .value_kind:     by_value
      - .offset:         1300
        .size:           4
        .value_kind:     by_value
      - .address_space:  global
        .offset:         1304
        .size:           8
        .value_kind:     global_buffer
      - .address_space:  global
        .offset:         1312
        .size:           8
        .value_kind:     global_buffer
      - .address_space:  global
        .offset:         1320
        .size:           8
        .value_kind:     global_buffer
      - .offset:         1328
        .size:           4
        .value_kind:     by_value
      - .offset:         1336
        .size:           4
        .value_kind:     hidden_block_count_x
      - .offset:         1340
        .size:           4
        .value_kind:     hidden_block_count_y
      - .offset:         1344
        .size:           4
        .value_kind:     hidden_block_count_z
      - .offset:         1348
        .size:           2
        .value_kind:     hidden_group_size_x
      - .offset:         1350
        .size:           2
        .value_kind:     hidden_group_size_y
      - .offset:         1352
        .size:           2
        .value_kind:     hidden_group_size_z
      - .offset:         1354
        .size:           2
        .value_kind:     hidden_remainder_x
      - .offset:         1356
        .size:           2
        .value_kind:     hidden_remainder_y
      - .offset:         1358
        .size:           2
        .value_kind:     hidden_remainder_z
      - .offset:         1376
        .size:           8
        .value_kind:     hidden_global_offset_x
      - .offset:         1384
        .size:           8
        .value_kind:     hidden_global_offset_y
      - .offset:         1392
        .size:           8
        .value_kind:     hidden_global_offset_z
      - .offset:         1400
        .size:           2
        .value_kind:     hidden_grid_dims
    .group_segment_fixed_size: 1068
    .kernarg_segment_align: 8
    .kernarg_segment_size: 1592
    .language:       OpenCL C
    .language_version:
      - 2
      - 0
    .max_flat_workgroup_size: 256
    .name:           _ZN2at6native6mbtopk10gatherTopKIdmLi2EEEvNS_4cuda6detail10TensorInfoIKT_T0_EES8_S8_bjS8_NS5_IS6_S8_EES8_NS5_IlS8_EES8_jjPS6_PjSD_j
    .private_segment_fixed_size: 0
    .sgpr_count:     56
    .sgpr_spill_count: 0
    .symbol:         _ZN2at6native6mbtopk10gatherTopKIdmLi2EEEvNS_4cuda6detail10TensorInfoIKT_T0_EES8_S8_bjS8_NS5_IS6_S8_EES8_NS5_IlS8_EES8_jjPS6_PjSD_j.kd
    .uniform_work_group_size: 1
    .uses_dynamic_stack: false
    .vgpr_count:     21
    .vgpr_spill_count: 0
    .wavefront_size: 64
  - .args:
      - .offset:         0
        .size:           416
        .value_kind:     by_value
      - .offset:         416
        .size:           8
        .value_kind:     by_value
      - .offset:         424
        .size:           8
        .value_kind:     by_value
      - .offset:         432
        .size:           1
        .value_kind:     by_value
      - .offset:         440
        .size:           8
        .value_kind:     by_value
      - .offset:         448
        .size:           8
        .value_kind:     by_value
      - .offset:         456
        .size:           416
        .value_kind:     by_value
      - .offset:         872
        .size:           8
        .value_kind:     by_value
      - .offset:         880
        .size:           416
        .value_kind:     by_value
      - .offset:         1296
        .size:           8
        .value_kind:     by_value
      - .address_space:  global
        .offset:         1304
        .size:           8
        .value_kind:     global_buffer
      - .offset:         1312
        .size:           4
        .value_kind:     hidden_block_count_x
      - .offset:         1316
        .size:           4
        .value_kind:     hidden_block_count_y
      - .offset:         1320
        .size:           4
        .value_kind:     hidden_block_count_z
      - .offset:         1324
        .size:           2
        .value_kind:     hidden_group_size_x
      - .offset:         1326
        .size:           2
        .value_kind:     hidden_group_size_y
      - .offset:         1328
        .size:           2
        .value_kind:     hidden_group_size_z
      - .offset:         1330
        .size:           2
        .value_kind:     hidden_remainder_x
      - .offset:         1332
        .size:           2
        .value_kind:     hidden_remainder_y
      - .offset:         1334
        .size:           2
        .value_kind:     hidden_remainder_z
      - .offset:         1352
        .size:           8
        .value_kind:     hidden_global_offset_x
      - .offset:         1360
        .size:           8
        .value_kind:     hidden_global_offset_y
      - .offset:         1368
        .size:           8
        .value_kind:     hidden_global_offset_z
      - .offset:         1376
        .size:           2
        .value_kind:     hidden_grid_dims
    .group_segment_fixed_size: 5152
    .kernarg_segment_align: 8
    .kernarg_segment_size: 1568
    .language:       OpenCL C
    .language_version:
      - 2
      - 0
    .max_flat_workgroup_size: 1024
    .name:           _ZN2at6native6sbtopk10gatherTopKIdmLi2ELb0EEEvNS_4cuda6detail10TensorInfoIKT_T0_EES8_S8_bS8_S8_NS5_IS6_S8_EES8_NS5_IlS8_EES8_PS6_
    .private_segment_fixed_size: 0
    .sgpr_count:     100
    .sgpr_spill_count: 64
    .symbol:         _ZN2at6native6sbtopk10gatherTopKIdmLi2ELb0EEEvNS_4cuda6detail10TensorInfoIKT_T0_EES8_S8_bS8_S8_NS5_IS6_S8_EES8_NS5_IlS8_EES8_PS6_.kd
    .uniform_work_group_size: 1
    .uses_dynamic_stack: false
    .vgpr_count:     47
    .vgpr_spill_count: 0
    .wavefront_size: 64
  - .args:
      - .offset:         0
        .size:           416
        .value_kind:     by_value
      - .offset:         416
        .size:           4
        .value_kind:     by_value
      - .address_space:  global
        .offset:         424
        .size:           8
        .value_kind:     global_buffer
      - .offset:         432
        .size:           4
        .value_kind:     by_value
      - .offset:         440
        .size:           8
        .value_kind:     by_value
      - .offset:         448
        .size:           4
        .value_kind:     by_value
      - .offset:         452
        .size:           4
        .value_kind:     by_value
      - .offset:         456
        .size:           4
        .value_kind:     by_value
      - .offset:         464
        .size:           8
        .value_kind:     by_value
      - .address_space:  global
        .offset:         472
        .size:           8
        .value_kind:     global_buffer
      - .address_space:  global
        .offset:         480
        .size:           8
        .value_kind:     global_buffer
      - .offset:         488
        .size:           4
        .value_kind:     hidden_block_count_x
      - .offset:         492
        .size:           4
        .value_kind:     hidden_block_count_y
      - .offset:         496
        .size:           4
        .value_kind:     hidden_block_count_z
      - .offset:         500
        .size:           2
        .value_kind:     hidden_group_size_x
      - .offset:         502
        .size:           2
        .value_kind:     hidden_group_size_y
      - .offset:         504
        .size:           2
        .value_kind:     hidden_group_size_z
      - .offset:         506
        .size:           2
        .value_kind:     hidden_remainder_x
      - .offset:         508
        .size:           2
        .value_kind:     hidden_remainder_y
      - .offset:         510
        .size:           2
        .value_kind:     hidden_remainder_z
      - .offset:         528
        .size:           8
        .value_kind:     hidden_global_offset_x
      - .offset:         536
        .size:           8
        .value_kind:     hidden_global_offset_y
      - .offset:         544
        .size:           8
        .value_kind:     hidden_global_offset_z
      - .offset:         552
        .size:           2
        .value_kind:     hidden_grid_dims
    .group_segment_fixed_size: 1024
    .kernarg_segment_align: 8
    .kernarg_segment_size: 744
    .language:       OpenCL C
    .language_version:
      - 2
      - 0
    .max_flat_workgroup_size: 256
    .name:           _ZN2at6native6mbtopk23computeBlockDigitCountsIdmmLi3EEEvNS_4cuda6detail10TensorInfoIKT_T0_EEjPjjS8_iijT1_PSB_Ps
    .private_segment_fixed_size: 0
    .sgpr_count:     36
    .sgpr_spill_count: 0
    .symbol:         _ZN2at6native6mbtopk23computeBlockDigitCountsIdmmLi3EEEvNS_4cuda6detail10TensorInfoIKT_T0_EEjPjjS8_iijT1_PSB_Ps.kd
    .uniform_work_group_size: 1
    .uses_dynamic_stack: false
    .vgpr_count:     11
    .vgpr_spill_count: 0
    .wavefront_size: 64
  - .args:
      - .offset:         0
        .size:           416
        .value_kind:     by_value
      - .offset:         416
        .size:           8
        .value_kind:     by_value
      - .offset:         424
        .size:           8
        .value_kind:     by_value
      - .offset:         432
        .size:           1
        .value_kind:     by_value
      - .offset:         436
        .size:           4
        .value_kind:     by_value
      - .offset:         440
        .size:           8
        .value_kind:     by_value
      - .offset:         448
        .size:           416
        .value_kind:     by_value
      - .offset:         864
        .size:           8
        .value_kind:     by_value
      - .offset:         872
        .size:           416
        .value_kind:     by_value
      - .offset:         1288
        .size:           8
        .value_kind:     by_value
      - .offset:         1296
        .size:           4
        .value_kind:     by_value
      - .offset:         1300
        .size:           4
        .value_kind:     by_value
      - .address_space:  global
        .offset:         1304
        .size:           8
        .value_kind:     global_buffer
      - .address_space:  global
        .offset:         1312
        .size:           8
        .value_kind:     global_buffer
      - .address_space:  global
        .offset:         1320
        .size:           8
        .value_kind:     global_buffer
      - .offset:         1328
        .size:           4
        .value_kind:     by_value
      - .offset:         1336
        .size:           4
        .value_kind:     hidden_block_count_x
      - .offset:         1340
        .size:           4
        .value_kind:     hidden_block_count_y
      - .offset:         1344
        .size:           4
        .value_kind:     hidden_block_count_z
      - .offset:         1348
        .size:           2
        .value_kind:     hidden_group_size_x
      - .offset:         1350
        .size:           2
        .value_kind:     hidden_group_size_y
      - .offset:         1352
        .size:           2
        .value_kind:     hidden_group_size_z
      - .offset:         1354
        .size:           2
        .value_kind:     hidden_remainder_x
      - .offset:         1356
        .size:           2
        .value_kind:     hidden_remainder_y
      - .offset:         1358
        .size:           2
        .value_kind:     hidden_remainder_z
      - .offset:         1376
        .size:           8
        .value_kind:     hidden_global_offset_x
      - .offset:         1384
        .size:           8
        .value_kind:     hidden_global_offset_y
      - .offset:         1392
        .size:           8
        .value_kind:     hidden_global_offset_z
      - .offset:         1400
        .size:           2
        .value_kind:     hidden_grid_dims
    .group_segment_fixed_size: 1068
    .kernarg_segment_align: 8
    .kernarg_segment_size: 1592
    .language:       OpenCL C
    .language_version:
      - 2
      - 0
    .max_flat_workgroup_size: 256
    .name:           _ZN2at6native6mbtopk10gatherTopKIdmLi3EEEvNS_4cuda6detail10TensorInfoIKT_T0_EES8_S8_bjS8_NS5_IS6_S8_EES8_NS5_IlS8_EES8_jjPS6_PjSD_j
    .private_segment_fixed_size: 0
    .sgpr_count:     83
    .sgpr_spill_count: 0
    .symbol:         _ZN2at6native6mbtopk10gatherTopKIdmLi3EEEvNS_4cuda6detail10TensorInfoIKT_T0_EES8_S8_bjS8_NS5_IS6_S8_EES8_NS5_IlS8_EES8_jjPS6_PjSD_j.kd
    .uniform_work_group_size: 1
    .uses_dynamic_stack: false
    .vgpr_count:     21
    .vgpr_spill_count: 0
    .wavefront_size: 64
  - .args:
      - .offset:         0
        .size:           416
        .value_kind:     by_value
      - .offset:         416
        .size:           8
        .value_kind:     by_value
      - .offset:         424
        .size:           8
        .value_kind:     by_value
      - .offset:         432
        .size:           1
        .value_kind:     by_value
      - .offset:         440
        .size:           8
        .value_kind:     by_value
      - .offset:         448
        .size:           8
        .value_kind:     by_value
      - .offset:         456
        .size:           416
        .value_kind:     by_value
      - .offset:         872
        .size:           8
        .value_kind:     by_value
      - .offset:         880
        .size:           416
        .value_kind:     by_value
      - .offset:         1296
        .size:           8
        .value_kind:     by_value
      - .address_space:  global
        .offset:         1304
        .size:           8
        .value_kind:     global_buffer
      - .offset:         1312
        .size:           4
        .value_kind:     hidden_block_count_x
      - .offset:         1316
        .size:           4
        .value_kind:     hidden_block_count_y
      - .offset:         1320
        .size:           4
        .value_kind:     hidden_block_count_z
      - .offset:         1324
        .size:           2
        .value_kind:     hidden_group_size_x
      - .offset:         1326
        .size:           2
        .value_kind:     hidden_group_size_y
      - .offset:         1328
        .size:           2
        .value_kind:     hidden_group_size_z
      - .offset:         1330
        .size:           2
        .value_kind:     hidden_remainder_x
      - .offset:         1332
        .size:           2
        .value_kind:     hidden_remainder_y
      - .offset:         1334
        .size:           2
        .value_kind:     hidden_remainder_z
      - .offset:         1352
        .size:           8
        .value_kind:     hidden_global_offset_x
      - .offset:         1360
        .size:           8
        .value_kind:     hidden_global_offset_y
      - .offset:         1368
        .size:           8
        .value_kind:     hidden_global_offset_z
      - .offset:         1376
        .size:           2
        .value_kind:     hidden_grid_dims
    .group_segment_fixed_size: 5152
    .kernarg_segment_align: 8
    .kernarg_segment_size: 1568
    .language:       OpenCL C
    .language_version:
      - 2
      - 0
    .max_flat_workgroup_size: 1024
    .name:           _ZN2at6native6sbtopk10gatherTopKIdmLi3ELb0EEEvNS_4cuda6detail10TensorInfoIKT_T0_EES8_S8_bS8_S8_NS5_IS6_S8_EES8_NS5_IlS8_EES8_PS6_
    .private_segment_fixed_size: 0
    .sgpr_count:     100
    .sgpr_spill_count: 74
    .symbol:         _ZN2at6native6sbtopk10gatherTopKIdmLi3ELb0EEEvNS_4cuda6detail10TensorInfoIKT_T0_EES8_S8_bS8_S8_NS5_IS6_S8_EES8_NS5_IlS8_EES8_PS6_.kd
    .uniform_work_group_size: 1
    .uses_dynamic_stack: false
    .vgpr_count:     46
    .vgpr_spill_count: 0
    .wavefront_size: 64
  - .args:
      - .offset:         0
        .size:           416
        .value_kind:     by_value
      - .offset:         416
        .size:           4
        .value_kind:     by_value
      - .address_space:  global
        .offset:         424
        .size:           8
        .value_kind:     global_buffer
      - .offset:         432
        .size:           4
        .value_kind:     by_value
      - .offset:         440
        .size:           8
        .value_kind:     by_value
      - .offset:         448
        .size:           4
        .value_kind:     by_value
      - .offset:         452
        .size:           4
        .value_kind:     by_value
      - .offset:         456
        .size:           4
        .value_kind:     by_value
      - .offset:         464
        .size:           8
        .value_kind:     by_value
      - .address_space:  global
        .offset:         472
        .size:           8
        .value_kind:     global_buffer
      - .address_space:  global
        .offset:         480
        .size:           8
        .value_kind:     global_buffer
      - .offset:         488
        .size:           4
        .value_kind:     hidden_block_count_x
      - .offset:         492
        .size:           4
        .value_kind:     hidden_block_count_y
      - .offset:         496
        .size:           4
        .value_kind:     hidden_block_count_z
      - .offset:         500
        .size:           2
        .value_kind:     hidden_group_size_x
      - .offset:         502
        .size:           2
        .value_kind:     hidden_group_size_y
      - .offset:         504
        .size:           2
        .value_kind:     hidden_group_size_z
      - .offset:         506
        .size:           2
        .value_kind:     hidden_remainder_x
      - .offset:         508
        .size:           2
        .value_kind:     hidden_remainder_y
      - .offset:         510
        .size:           2
        .value_kind:     hidden_remainder_z
      - .offset:         528
        .size:           8
        .value_kind:     hidden_global_offset_x
      - .offset:         536
        .size:           8
        .value_kind:     hidden_global_offset_y
      - .offset:         544
        .size:           8
        .value_kind:     hidden_global_offset_z
      - .offset:         552
        .size:           2
        .value_kind:     hidden_grid_dims
    .group_segment_fixed_size: 1024
    .kernarg_segment_align: 8
    .kernarg_segment_size: 744
    .language:       OpenCL C
    .language_version:
      - 2
      - 0
    .max_flat_workgroup_size: 256
    .name:           _ZN2at6native6mbtopk23computeBlockDigitCountsIdmmLin1EEEvNS_4cuda6detail10TensorInfoIKT_T0_EEjPjjS8_iijT1_PSB_Ps
    .private_segment_fixed_size: 0
    .sgpr_count:     34
    .sgpr_spill_count: 0
    .symbol:         _ZN2at6native6mbtopk23computeBlockDigitCountsIdmmLin1EEEvNS_4cuda6detail10TensorInfoIKT_T0_EEjPjjS8_iijT1_PSB_Ps.kd
    .uniform_work_group_size: 1
    .uses_dynamic_stack: false
    .vgpr_count:     11
    .vgpr_spill_count: 0
    .wavefront_size: 64
  - .args:
      - .offset:         0
        .size:           416
        .value_kind:     by_value
      - .offset:         416
        .size:           8
        .value_kind:     by_value
      - .offset:         424
        .size:           8
        .value_kind:     by_value
      - .offset:         432
        .size:           1
        .value_kind:     by_value
      - .offset:         436
        .size:           4
        .value_kind:     by_value
      - .offset:         440
        .size:           8
        .value_kind:     by_value
      - .offset:         448
        .size:           416
        .value_kind:     by_value
      - .offset:         864
        .size:           8
        .value_kind:     by_value
      - .offset:         872
        .size:           416
        .value_kind:     by_value
      - .offset:         1288
        .size:           8
        .value_kind:     by_value
      - .offset:         1296
        .size:           4
        .value_kind:     by_value
      - .offset:         1300
        .size:           4
        .value_kind:     by_value
      - .address_space:  global
        .offset:         1304
        .size:           8
        .value_kind:     global_buffer
      - .address_space:  global
        .offset:         1312
        .size:           8
        .value_kind:     global_buffer
      - .address_space:  global
        .offset:         1320
        .size:           8
        .value_kind:     global_buffer
      - .offset:         1328
        .size:           4
        .value_kind:     by_value
      - .offset:         1336
        .size:           4
        .value_kind:     hidden_block_count_x
      - .offset:         1340
        .size:           4
        .value_kind:     hidden_block_count_y
      - .offset:         1344
        .size:           4
        .value_kind:     hidden_block_count_z
      - .offset:         1348
        .size:           2
        .value_kind:     hidden_group_size_x
      - .offset:         1350
        .size:           2
        .value_kind:     hidden_group_size_y
      - .offset:         1352
        .size:           2
        .value_kind:     hidden_group_size_z
      - .offset:         1354
        .size:           2
        .value_kind:     hidden_remainder_x
      - .offset:         1356
        .size:           2
        .value_kind:     hidden_remainder_y
      - .offset:         1358
        .size:           2
        .value_kind:     hidden_remainder_z
      - .offset:         1376
        .size:           8
        .value_kind:     hidden_global_offset_x
      - .offset:         1384
        .size:           8
        .value_kind:     hidden_global_offset_y
      - .offset:         1392
        .size:           8
        .value_kind:     hidden_global_offset_z
      - .offset:         1400
        .size:           2
        .value_kind:     hidden_grid_dims
    .group_segment_fixed_size: 1068
    .kernarg_segment_align: 8
    .kernarg_segment_size: 1592
    .language:       OpenCL C
    .language_version:
      - 2
      - 0
    .max_flat_workgroup_size: 256
    .name:           _ZN2at6native6mbtopk10gatherTopKIdmLin1EEEvNS_4cuda6detail10TensorInfoIKT_T0_EES8_S8_bjS8_NS5_IS6_S8_EES8_NS5_IlS8_EES8_jjPS6_PjSD_j
    .private_segment_fixed_size: 0
    .sgpr_count:     62
    .sgpr_spill_count: 0
    .symbol:         _ZN2at6native6mbtopk10gatherTopKIdmLin1EEEvNS_4cuda6detail10TensorInfoIKT_T0_EES8_S8_bjS8_NS5_IS6_S8_EES8_NS5_IlS8_EES8_jjPS6_PjSD_j.kd
    .uniform_work_group_size: 1
    .uses_dynamic_stack: false
    .vgpr_count:     21
    .vgpr_spill_count: 0
    .wavefront_size: 64
  - .args:
      - .offset:         0
        .size:           416
        .value_kind:     by_value
      - .offset:         416
        .size:           8
        .value_kind:     by_value
      - .offset:         424
        .size:           8
        .value_kind:     by_value
      - .offset:         432
        .size:           1
        .value_kind:     by_value
      - .offset:         440
        .size:           8
        .value_kind:     by_value
      - .offset:         448
        .size:           8
        .value_kind:     by_value
      - .offset:         456
        .size:           416
        .value_kind:     by_value
      - .offset:         872
        .size:           8
        .value_kind:     by_value
      - .offset:         880
        .size:           416
        .value_kind:     by_value
      - .offset:         1296
        .size:           8
        .value_kind:     by_value
      - .address_space:  global
        .offset:         1304
        .size:           8
        .value_kind:     global_buffer
      - .offset:         1312
        .size:           4
        .value_kind:     hidden_block_count_x
      - .offset:         1316
        .size:           4
        .value_kind:     hidden_block_count_y
      - .offset:         1320
        .size:           4
        .value_kind:     hidden_block_count_z
      - .offset:         1324
        .size:           2
        .value_kind:     hidden_group_size_x
      - .offset:         1326
        .size:           2
        .value_kind:     hidden_group_size_y
      - .offset:         1328
        .size:           2
        .value_kind:     hidden_group_size_z
      - .offset:         1330
        .size:           2
        .value_kind:     hidden_remainder_x
      - .offset:         1332
        .size:           2
        .value_kind:     hidden_remainder_y
      - .offset:         1334
        .size:           2
        .value_kind:     hidden_remainder_z
      - .offset:         1352
        .size:           8
        .value_kind:     hidden_global_offset_x
      - .offset:         1360
        .size:           8
        .value_kind:     hidden_global_offset_y
      - .offset:         1368
        .size:           8
        .value_kind:     hidden_global_offset_z
      - .offset:         1376
        .size:           2
        .value_kind:     hidden_grid_dims
    .group_segment_fixed_size: 5152
    .kernarg_segment_align: 8
    .kernarg_segment_size: 1568
    .language:       OpenCL C
    .language_version:
      - 2
      - 0
    .max_flat_workgroup_size: 1024
    .name:           _ZN2at6native6sbtopk10gatherTopKIdmLin1ELb0EEEvNS_4cuda6detail10TensorInfoIKT_T0_EES8_S8_bS8_S8_NS5_IS6_S8_EES8_NS5_IlS8_EES8_PS6_
    .private_segment_fixed_size: 0
    .sgpr_count:     100
    .sgpr_spill_count: 104
    .symbol:         _ZN2at6native6sbtopk10gatherTopKIdmLin1ELb0EEEvNS_4cuda6detail10TensorInfoIKT_T0_EES8_S8_bS8_S8_NS5_IS6_S8_EES8_NS5_IlS8_EES8_PS6_.kd
    .uniform_work_group_size: 1
    .uses_dynamic_stack: false
    .vgpr_count:     60
    .vgpr_spill_count: 0
    .wavefront_size: 64
  - .args:
      - .offset:         0
        .size:           416
        .value_kind:     by_value
      - .offset:         416
        .size:           4
        .value_kind:     by_value
      - .address_space:  global
        .offset:         424
        .size:           8
        .value_kind:     global_buffer
      - .offset:         432
        .size:           4
        .value_kind:     by_value
      - .offset:         440
        .size:           8
        .value_kind:     by_value
      - .offset:         448
        .size:           4
        .value_kind:     by_value
      - .offset:         452
        .size:           4
        .value_kind:     by_value
      - .offset:         456
        .size:           4
        .value_kind:     by_value
      - .offset:         460
        .size:           4
        .value_kind:     by_value
      - .address_space:  global
        .offset:         464
        .size:           8
        .value_kind:     global_buffer
      - .address_space:  global
        .offset:         472
        .size:           8
        .value_kind:     global_buffer
      - .offset:         480
        .size:           4
        .value_kind:     hidden_block_count_x
      - .offset:         484
        .size:           4
        .value_kind:     hidden_block_count_y
      - .offset:         488
        .size:           4
        .value_kind:     hidden_block_count_z
      - .offset:         492
        .size:           2
        .value_kind:     hidden_group_size_x
      - .offset:         494
        .size:           2
        .value_kind:     hidden_group_size_y
      - .offset:         496
        .size:           2
        .value_kind:     hidden_group_size_z
      - .offset:         498
        .size:           2
        .value_kind:     hidden_remainder_x
      - .offset:         500
        .size:           2
        .value_kind:     hidden_remainder_y
      - .offset:         502
        .size:           2
        .value_kind:     hidden_remainder_z
      - .offset:         520
        .size:           8
        .value_kind:     hidden_global_offset_x
      - .offset:         528
        .size:           8
        .value_kind:     hidden_global_offset_y
      - .offset:         536
        .size:           8
        .value_kind:     hidden_global_offset_z
      - .offset:         544
        .size:           2
        .value_kind:     hidden_grid_dims
    .group_segment_fixed_size: 1024
    .kernarg_segment_align: 8
    .kernarg_segment_size: 736
    .language:       OpenCL C
    .language_version:
      - 2
      - 0
    .max_flat_workgroup_size: 256
    .name:           _ZN2at6native6mbtopk23computeBlockDigitCountsIfmjLi1EEEvNS_4cuda6detail10TensorInfoIKT_T0_EEjPjjS8_iijT1_PSB_Ps
    .private_segment_fixed_size: 0
    .sgpr_count:     26
    .sgpr_spill_count: 0
    .symbol:         _ZN2at6native6mbtopk23computeBlockDigitCountsIfmjLi1EEEvNS_4cuda6detail10TensorInfoIKT_T0_EEjPjjS8_iijT1_PSB_Ps.kd
    .uniform_work_group_size: 1
    .uses_dynamic_stack: false
    .vgpr_count:     10
    .vgpr_spill_count: 0
    .wavefront_size: 64
  - .args:
      - .offset:         0
        .size:           416
        .value_kind:     by_value
      - .offset:         416
        .size:           8
        .value_kind:     by_value
      - .offset:         424
        .size:           8
        .value_kind:     by_value
      - .offset:         432
        .size:           1
        .value_kind:     by_value
      - .offset:         436
        .size:           4
        .value_kind:     by_value
      - .offset:         440
        .size:           8
        .value_kind:     by_value
      - .offset:         448
        .size:           416
        .value_kind:     by_value
      - .offset:         864
        .size:           8
        .value_kind:     by_value
      - .offset:         872
        .size:           416
        .value_kind:     by_value
      - .offset:         1288
        .size:           8
        .value_kind:     by_value
      - .offset:         1296
        .size:           4
        .value_kind:     by_value
      - .offset:         1300
        .size:           4
        .value_kind:     by_value
      - .address_space:  global
        .offset:         1304
        .size:           8
        .value_kind:     global_buffer
      - .address_space:  global
        .offset:         1312
        .size:           8
        .value_kind:     global_buffer
      - .address_space:  global
        .offset:         1320
        .size:           8
        .value_kind:     global_buffer
      - .offset:         1328
        .size:           4
        .value_kind:     by_value
      - .offset:         1336
        .size:           4
        .value_kind:     hidden_block_count_x
      - .offset:         1340
        .size:           4
        .value_kind:     hidden_block_count_y
      - .offset:         1344
        .size:           4
        .value_kind:     hidden_block_count_z
      - .offset:         1348
        .size:           2
        .value_kind:     hidden_group_size_x
      - .offset:         1350
        .size:           2
        .value_kind:     hidden_group_size_y
      - .offset:         1352
        .size:           2
        .value_kind:     hidden_group_size_z
      - .offset:         1354
        .size:           2
        .value_kind:     hidden_remainder_x
      - .offset:         1356
        .size:           2
        .value_kind:     hidden_remainder_y
      - .offset:         1358
        .size:           2
        .value_kind:     hidden_remainder_z
      - .offset:         1376
        .size:           8
        .value_kind:     hidden_global_offset_x
      - .offset:         1384
        .size:           8
        .value_kind:     hidden_global_offset_y
      - .offset:         1392
        .size:           8
        .value_kind:     hidden_global_offset_z
      - .offset:         1400
        .size:           2
        .value_kind:     hidden_grid_dims
    .group_segment_fixed_size: 1068
    .kernarg_segment_align: 8
    .kernarg_segment_size: 1592
    .language:       OpenCL C
    .language_version:
      - 2
      - 0
    .max_flat_workgroup_size: 256
    .name:           _ZN2at6native6mbtopk10gatherTopKIfmLi1EEEvNS_4cuda6detail10TensorInfoIKT_T0_EES8_S8_bjS8_NS5_IS6_S8_EES8_NS5_IlS8_EES8_jjPS6_PjSD_j
    .private_segment_fixed_size: 0
    .sgpr_count:     49
    .sgpr_spill_count: 0
    .symbol:         _ZN2at6native6mbtopk10gatherTopKIfmLi1EEEvNS_4cuda6detail10TensorInfoIKT_T0_EES8_S8_bjS8_NS5_IS6_S8_EES8_NS5_IlS8_EES8_jjPS6_PjSD_j.kd
    .uniform_work_group_size: 1
    .uses_dynamic_stack: false
    .vgpr_count:     21
    .vgpr_spill_count: 0
    .wavefront_size: 64
  - .args:
      - .offset:         0
        .size:           416
        .value_kind:     by_value
      - .offset:         416
        .size:           8
        .value_kind:     by_value
      - .offset:         424
        .size:           8
        .value_kind:     by_value
      - .offset:         432
        .size:           1
        .value_kind:     by_value
      - .offset:         440
        .size:           8
        .value_kind:     by_value
      - .offset:         448
        .size:           8
        .value_kind:     by_value
      - .offset:         456
        .size:           416
        .value_kind:     by_value
      - .offset:         872
        .size:           8
        .value_kind:     by_value
      - .offset:         880
        .size:           416
        .value_kind:     by_value
      - .offset:         1296
        .size:           8
        .value_kind:     by_value
      - .address_space:  global
        .offset:         1304
        .size:           8
        .value_kind:     global_buffer
      - .offset:         1312
        .size:           4
        .value_kind:     hidden_block_count_x
      - .offset:         1316
        .size:           4
        .value_kind:     hidden_block_count_y
      - .offset:         1320
        .size:           4
        .value_kind:     hidden_block_count_z
      - .offset:         1324
        .size:           2
        .value_kind:     hidden_group_size_x
      - .offset:         1326
        .size:           2
        .value_kind:     hidden_group_size_y
      - .offset:         1328
        .size:           2
        .value_kind:     hidden_group_size_z
      - .offset:         1330
        .size:           2
        .value_kind:     hidden_remainder_x
      - .offset:         1332
        .size:           2
        .value_kind:     hidden_remainder_y
      - .offset:         1334
        .size:           2
        .value_kind:     hidden_remainder_z
      - .offset:         1352
        .size:           8
        .value_kind:     hidden_global_offset_x
      - .offset:         1360
        .size:           8
        .value_kind:     hidden_global_offset_y
      - .offset:         1368
        .size:           8
        .value_kind:     hidden_global_offset_z
      - .offset:         1376
        .size:           2
        .value_kind:     hidden_grid_dims
    .group_segment_fixed_size: 5152
    .kernarg_segment_align: 8
    .kernarg_segment_size: 1568
    .language:       OpenCL C
    .language_version:
      - 2
      - 0
    .max_flat_workgroup_size: 1024
    .name:           _ZN2at6native6sbtopk10gatherTopKIfmLi1ELb0EEEvNS_4cuda6detail10TensorInfoIKT_T0_EES8_S8_bS8_S8_NS5_IS6_S8_EES8_NS5_IlS8_EES8_PS6_
    .private_segment_fixed_size: 0
    .sgpr_count:     100
    .sgpr_spill_count: 72
    .symbol:         _ZN2at6native6sbtopk10gatherTopKIfmLi1ELb0EEEvNS_4cuda6detail10TensorInfoIKT_T0_EES8_S8_bS8_S8_NS5_IS6_S8_EES8_NS5_IlS8_EES8_PS6_.kd
    .uniform_work_group_size: 1
    .uses_dynamic_stack: false
    .vgpr_count:     56
    .vgpr_spill_count: 0
    .wavefront_size: 64
  - .args:
      - .offset:         0
        .size:           416
        .value_kind:     by_value
      - .offset:         416
        .size:           4
        .value_kind:     by_value
      - .address_space:  global
        .offset:         424
        .size:           8
        .value_kind:     global_buffer
      - .offset:         432
        .size:           4
        .value_kind:     by_value
      - .offset:         440
        .size:           8
        .value_kind:     by_value
      - .offset:         448
        .size:           4
        .value_kind:     by_value
      - .offset:         452
        .size:           4
        .value_kind:     by_value
      - .offset:         456
        .size:           4
        .value_kind:     by_value
      - .offset:         460
        .size:           4
        .value_kind:     by_value
      - .address_space:  global
        .offset:         464
        .size:           8
        .value_kind:     global_buffer
      - .address_space:  global
        .offset:         472
        .size:           8
        .value_kind:     global_buffer
      - .offset:         480
        .size:           4
        .value_kind:     hidden_block_count_x
      - .offset:         484
        .size:           4
        .value_kind:     hidden_block_count_y
      - .offset:         488
        .size:           4
        .value_kind:     hidden_block_count_z
      - .offset:         492
        .size:           2
        .value_kind:     hidden_group_size_x
      - .offset:         494
        .size:           2
        .value_kind:     hidden_group_size_y
      - .offset:         496
        .size:           2
        .value_kind:     hidden_group_size_z
      - .offset:         498
        .size:           2
        .value_kind:     hidden_remainder_x
      - .offset:         500
        .size:           2
        .value_kind:     hidden_remainder_y
      - .offset:         502
        .size:           2
        .value_kind:     hidden_remainder_z
      - .offset:         520
        .size:           8
        .value_kind:     hidden_global_offset_x
      - .offset:         528
        .size:           8
        .value_kind:     hidden_global_offset_y
      - .offset:         536
        .size:           8
        .value_kind:     hidden_global_offset_z
      - .offset:         544
        .size:           2
        .value_kind:     hidden_grid_dims
    .group_segment_fixed_size: 1024
    .kernarg_segment_align: 8
    .kernarg_segment_size: 736
    .language:       OpenCL C
    .language_version:
      - 2
      - 0
    .max_flat_workgroup_size: 256
    .name:           _ZN2at6native6mbtopk23computeBlockDigitCountsIfmjLi2EEEvNS_4cuda6detail10TensorInfoIKT_T0_EEjPjjS8_iijT1_PSB_Ps
    .private_segment_fixed_size: 0
    .sgpr_count:     30
    .sgpr_spill_count: 0
    .symbol:         _ZN2at6native6mbtopk23computeBlockDigitCountsIfmjLi2EEEvNS_4cuda6detail10TensorInfoIKT_T0_EEjPjjS8_iijT1_PSB_Ps.kd
    .uniform_work_group_size: 1
    .uses_dynamic_stack: false
    .vgpr_count:     10
    .vgpr_spill_count: 0
    .wavefront_size: 64
  - .args:
      - .offset:         0
        .size:           416
        .value_kind:     by_value
      - .offset:         416
        .size:           8
        .value_kind:     by_value
      - .offset:         424
        .size:           8
        .value_kind:     by_value
      - .offset:         432
        .size:           1
        .value_kind:     by_value
      - .offset:         436
        .size:           4
        .value_kind:     by_value
      - .offset:         440
        .size:           8
        .value_kind:     by_value
      - .offset:         448
        .size:           416
        .value_kind:     by_value
      - .offset:         864
        .size:           8
        .value_kind:     by_value
      - .offset:         872
        .size:           416
        .value_kind:     by_value
      - .offset:         1288
        .size:           8
        .value_kind:     by_value
      - .offset:         1296
        .size:           4
        .value_kind:     by_value
      - .offset:         1300
        .size:           4
        .value_kind:     by_value
      - .address_space:  global
        .offset:         1304
        .size:           8
        .value_kind:     global_buffer
      - .address_space:  global
        .offset:         1312
        .size:           8
        .value_kind:     global_buffer
      - .address_space:  global
        .offset:         1320
        .size:           8
        .value_kind:     global_buffer
      - .offset:         1328
        .size:           4
        .value_kind:     by_value
      - .offset:         1336
        .size:           4
        .value_kind:     hidden_block_count_x
      - .offset:         1340
        .size:           4
        .value_kind:     hidden_block_count_y
      - .offset:         1344
        .size:           4
        .value_kind:     hidden_block_count_z
      - .offset:         1348
        .size:           2
        .value_kind:     hidden_group_size_x
      - .offset:         1350
        .size:           2
        .value_kind:     hidden_group_size_y
      - .offset:         1352
        .size:           2
        .value_kind:     hidden_group_size_z
      - .offset:         1354
        .size:           2
        .value_kind:     hidden_remainder_x
      - .offset:         1356
        .size:           2
        .value_kind:     hidden_remainder_y
      - .offset:         1358
        .size:           2
        .value_kind:     hidden_remainder_z
      - .offset:         1376
        .size:           8
        .value_kind:     hidden_global_offset_x
      - .offset:         1384
        .size:           8
        .value_kind:     hidden_global_offset_y
      - .offset:         1392
        .size:           8
        .value_kind:     hidden_global_offset_z
      - .offset:         1400
        .size:           2
        .value_kind:     hidden_grid_dims
    .group_segment_fixed_size: 1068
    .kernarg_segment_align: 8
    .kernarg_segment_size: 1592
    .language:       OpenCL C
    .language_version:
      - 2
      - 0
    .max_flat_workgroup_size: 256
    .name:           _ZN2at6native6mbtopk10gatherTopKIfmLi2EEEvNS_4cuda6detail10TensorInfoIKT_T0_EES8_S8_bjS8_NS5_IS6_S8_EES8_NS5_IlS8_EES8_jjPS6_PjSD_j
    .private_segment_fixed_size: 0
    .sgpr_count:     54
    .sgpr_spill_count: 0
    .symbol:         _ZN2at6native6mbtopk10gatherTopKIfmLi2EEEvNS_4cuda6detail10TensorInfoIKT_T0_EES8_S8_bjS8_NS5_IS6_S8_EES8_NS5_IlS8_EES8_jjPS6_PjSD_j.kd
    .uniform_work_group_size: 1
    .uses_dynamic_stack: false
    .vgpr_count:     21
    .vgpr_spill_count: 0
    .wavefront_size: 64
  - .args:
      - .offset:         0
        .size:           416
        .value_kind:     by_value
      - .offset:         416
        .size:           8
        .value_kind:     by_value
      - .offset:         424
        .size:           8
        .value_kind:     by_value
      - .offset:         432
        .size:           1
        .value_kind:     by_value
      - .offset:         440
        .size:           8
        .value_kind:     by_value
      - .offset:         448
        .size:           8
        .value_kind:     by_value
      - .offset:         456
        .size:           416
        .value_kind:     by_value
      - .offset:         872
        .size:           8
        .value_kind:     by_value
      - .offset:         880
        .size:           416
        .value_kind:     by_value
      - .offset:         1296
        .size:           8
        .value_kind:     by_value
      - .address_space:  global
        .offset:         1304
        .size:           8
        .value_kind:     global_buffer
      - .offset:         1312
        .size:           4
        .value_kind:     hidden_block_count_x
      - .offset:         1316
        .size:           4
        .value_kind:     hidden_block_count_y
      - .offset:         1320
        .size:           4
        .value_kind:     hidden_block_count_z
      - .offset:         1324
        .size:           2
        .value_kind:     hidden_group_size_x
      - .offset:         1326
        .size:           2
        .value_kind:     hidden_group_size_y
      - .offset:         1328
        .size:           2
        .value_kind:     hidden_group_size_z
      - .offset:         1330
        .size:           2
        .value_kind:     hidden_remainder_x
      - .offset:         1332
        .size:           2
        .value_kind:     hidden_remainder_y
      - .offset:         1334
        .size:           2
        .value_kind:     hidden_remainder_z
      - .offset:         1352
        .size:           8
        .value_kind:     hidden_global_offset_x
      - .offset:         1360
        .size:           8
        .value_kind:     hidden_global_offset_y
      - .offset:         1368
        .size:           8
        .value_kind:     hidden_global_offset_z
      - .offset:         1376
        .size:           2
        .value_kind:     hidden_grid_dims
    .group_segment_fixed_size: 5152
    .kernarg_segment_align: 8
    .kernarg_segment_size: 1568
    .language:       OpenCL C
    .language_version:
      - 2
      - 0
    .max_flat_workgroup_size: 1024
    .name:           _ZN2at6native6sbtopk10gatherTopKIfmLi2ELb0EEEvNS_4cuda6detail10TensorInfoIKT_T0_EES8_S8_bS8_S8_NS5_IS6_S8_EES8_NS5_IlS8_EES8_PS6_
    .private_segment_fixed_size: 0
    .sgpr_count:     100
    .sgpr_spill_count: 66
    .symbol:         _ZN2at6native6sbtopk10gatherTopKIfmLi2ELb0EEEvNS_4cuda6detail10TensorInfoIKT_T0_EES8_S8_bS8_S8_NS5_IS6_S8_EES8_NS5_IlS8_EES8_PS6_.kd
    .uniform_work_group_size: 1
    .uses_dynamic_stack: false
    .vgpr_count:     49
    .vgpr_spill_count: 0
    .wavefront_size: 64
  - .args:
      - .offset:         0
        .size:           416
        .value_kind:     by_value
      - .offset:         416
        .size:           4
        .value_kind:     by_value
      - .address_space:  global
        .offset:         424
        .size:           8
        .value_kind:     global_buffer
      - .offset:         432
        .size:           4
        .value_kind:     by_value
      - .offset:         440
        .size:           8
        .value_kind:     by_value
      - .offset:         448
        .size:           4
        .value_kind:     by_value
      - .offset:         452
        .size:           4
        .value_kind:     by_value
      - .offset:         456
        .size:           4
        .value_kind:     by_value
      - .offset:         460
        .size:           4
        .value_kind:     by_value
      - .address_space:  global
        .offset:         464
        .size:           8
        .value_kind:     global_buffer
      - .address_space:  global
        .offset:         472
        .size:           8
        .value_kind:     global_buffer
      - .offset:         480
        .size:           4
        .value_kind:     hidden_block_count_x
      - .offset:         484
        .size:           4
        .value_kind:     hidden_block_count_y
      - .offset:         488
        .size:           4
        .value_kind:     hidden_block_count_z
      - .offset:         492
        .size:           2
        .value_kind:     hidden_group_size_x
      - .offset:         494
        .size:           2
        .value_kind:     hidden_group_size_y
      - .offset:         496
        .size:           2
        .value_kind:     hidden_group_size_z
      - .offset:         498
        .size:           2
        .value_kind:     hidden_remainder_x
      - .offset:         500
        .size:           2
        .value_kind:     hidden_remainder_y
      - .offset:         502
        .size:           2
        .value_kind:     hidden_remainder_z
      - .offset:         520
        .size:           8
        .value_kind:     hidden_global_offset_x
      - .offset:         528
        .size:           8
        .value_kind:     hidden_global_offset_y
      - .offset:         536
        .size:           8
        .value_kind:     hidden_global_offset_z
      - .offset:         544
        .size:           2
        .value_kind:     hidden_grid_dims
    .group_segment_fixed_size: 1024
    .kernarg_segment_align: 8
    .kernarg_segment_size: 736
    .language:       OpenCL C
    .language_version:
      - 2
      - 0
    .max_flat_workgroup_size: 256
    .name:           _ZN2at6native6mbtopk23computeBlockDigitCountsIfmjLi3EEEvNS_4cuda6detail10TensorInfoIKT_T0_EEjPjjS8_iijT1_PSB_Ps
    .private_segment_fixed_size: 0
    .sgpr_count:     34
    .sgpr_spill_count: 0
    .symbol:         _ZN2at6native6mbtopk23computeBlockDigitCountsIfmjLi3EEEvNS_4cuda6detail10TensorInfoIKT_T0_EEjPjjS8_iijT1_PSB_Ps.kd
    .uniform_work_group_size: 1
    .uses_dynamic_stack: false
    .vgpr_count:     10
    .vgpr_spill_count: 0
    .wavefront_size: 64
  - .args:
      - .offset:         0
        .size:           416
        .value_kind:     by_value
      - .offset:         416
        .size:           8
        .value_kind:     by_value
      - .offset:         424
        .size:           8
        .value_kind:     by_value
      - .offset:         432
        .size:           1
        .value_kind:     by_value
      - .offset:         436
        .size:           4
        .value_kind:     by_value
      - .offset:         440
        .size:           8
        .value_kind:     by_value
      - .offset:         448
        .size:           416
        .value_kind:     by_value
      - .offset:         864
        .size:           8
        .value_kind:     by_value
      - .offset:         872
        .size:           416
        .value_kind:     by_value
      - .offset:         1288
        .size:           8
        .value_kind:     by_value
      - .offset:         1296
        .size:           4
        .value_kind:     by_value
      - .offset:         1300
        .size:           4
        .value_kind:     by_value
      - .address_space:  global
        .offset:         1304
        .size:           8
        .value_kind:     global_buffer
      - .address_space:  global
        .offset:         1312
        .size:           8
        .value_kind:     global_buffer
      - .address_space:  global
        .offset:         1320
        .size:           8
        .value_kind:     global_buffer
      - .offset:         1328
        .size:           4
        .value_kind:     by_value
      - .offset:         1336
        .size:           4
        .value_kind:     hidden_block_count_x
      - .offset:         1340
        .size:           4
        .value_kind:     hidden_block_count_y
      - .offset:         1344
        .size:           4
        .value_kind:     hidden_block_count_z
      - .offset:         1348
        .size:           2
        .value_kind:     hidden_group_size_x
      - .offset:         1350
        .size:           2
        .value_kind:     hidden_group_size_y
      - .offset:         1352
        .size:           2
        .value_kind:     hidden_group_size_z
      - .offset:         1354
        .size:           2
        .value_kind:     hidden_remainder_x
      - .offset:         1356
        .size:           2
        .value_kind:     hidden_remainder_y
      - .offset:         1358
        .size:           2
        .value_kind:     hidden_remainder_z
      - .offset:         1376
        .size:           8
        .value_kind:     hidden_global_offset_x
      - .offset:         1384
        .size:           8
        .value_kind:     hidden_global_offset_y
      - .offset:         1392
        .size:           8
        .value_kind:     hidden_global_offset_z
      - .offset:         1400
        .size:           2
        .value_kind:     hidden_grid_dims
    .group_segment_fixed_size: 1068
    .kernarg_segment_align: 8
    .kernarg_segment_size: 1592
    .language:       OpenCL C
    .language_version:
      - 2
      - 0
    .max_flat_workgroup_size: 256
    .name:           _ZN2at6native6mbtopk10gatherTopKIfmLi3EEEvNS_4cuda6detail10TensorInfoIKT_T0_EES8_S8_bjS8_NS5_IS6_S8_EES8_NS5_IlS8_EES8_jjPS6_PjSD_j
    .private_segment_fixed_size: 0
    .sgpr_count:     82
    .sgpr_spill_count: 0
    .symbol:         _ZN2at6native6mbtopk10gatherTopKIfmLi3EEEvNS_4cuda6detail10TensorInfoIKT_T0_EES8_S8_bjS8_NS5_IS6_S8_EES8_NS5_IlS8_EES8_jjPS6_PjSD_j.kd
    .uniform_work_group_size: 1
    .uses_dynamic_stack: false
    .vgpr_count:     21
    .vgpr_spill_count: 0
    .wavefront_size: 64
  - .args:
      - .offset:         0
        .size:           416
        .value_kind:     by_value
      - .offset:         416
        .size:           8
        .value_kind:     by_value
      - .offset:         424
        .size:           8
        .value_kind:     by_value
      - .offset:         432
        .size:           1
        .value_kind:     by_value
      - .offset:         440
        .size:           8
        .value_kind:     by_value
      - .offset:         448
        .size:           8
        .value_kind:     by_value
      - .offset:         456
        .size:           416
        .value_kind:     by_value
      - .offset:         872
        .size:           8
        .value_kind:     by_value
      - .offset:         880
        .size:           416
        .value_kind:     by_value
      - .offset:         1296
        .size:           8
        .value_kind:     by_value
      - .address_space:  global
        .offset:         1304
        .size:           8
        .value_kind:     global_buffer
      - .offset:         1312
        .size:           4
        .value_kind:     hidden_block_count_x
      - .offset:         1316
        .size:           4
        .value_kind:     hidden_block_count_y
      - .offset:         1320
        .size:           4
        .value_kind:     hidden_block_count_z
      - .offset:         1324
        .size:           2
        .value_kind:     hidden_group_size_x
      - .offset:         1326
        .size:           2
        .value_kind:     hidden_group_size_y
      - .offset:         1328
        .size:           2
        .value_kind:     hidden_group_size_z
      - .offset:         1330
        .size:           2
        .value_kind:     hidden_remainder_x
      - .offset:         1332
        .size:           2
        .value_kind:     hidden_remainder_y
      - .offset:         1334
        .size:           2
        .value_kind:     hidden_remainder_z
      - .offset:         1352
        .size:           8
        .value_kind:     hidden_global_offset_x
      - .offset:         1360
        .size:           8
        .value_kind:     hidden_global_offset_y
      - .offset:         1368
        .size:           8
        .value_kind:     hidden_global_offset_z
      - .offset:         1376
        .size:           2
        .value_kind:     hidden_grid_dims
    .group_segment_fixed_size: 5152
    .kernarg_segment_align: 8
    .kernarg_segment_size: 1568
    .language:       OpenCL C
    .language_version:
      - 2
      - 0
    .max_flat_workgroup_size: 1024
    .name:           _ZN2at6native6sbtopk10gatherTopKIfmLi3ELb0EEEvNS_4cuda6detail10TensorInfoIKT_T0_EES8_S8_bS8_S8_NS5_IS6_S8_EES8_NS5_IlS8_EES8_PS6_
    .private_segment_fixed_size: 0
    .sgpr_count:     100
    .sgpr_spill_count: 92
    .symbol:         _ZN2at6native6sbtopk10gatherTopKIfmLi3ELb0EEEvNS_4cuda6detail10TensorInfoIKT_T0_EES8_S8_bS8_S8_NS5_IS6_S8_EES8_NS5_IlS8_EES8_PS6_.kd
    .uniform_work_group_size: 1
    .uses_dynamic_stack: false
    .vgpr_count:     50
    .vgpr_spill_count: 0
    .wavefront_size: 64
  - .args:
      - .offset:         0
        .size:           416
        .value_kind:     by_value
      - .offset:         416
        .size:           4
        .value_kind:     by_value
      - .address_space:  global
        .offset:         424
        .size:           8
        .value_kind:     global_buffer
      - .offset:         432
        .size:           4
        .value_kind:     by_value
      - .offset:         440
        .size:           8
        .value_kind:     by_value
      - .offset:         448
        .size:           4
        .value_kind:     by_value
      - .offset:         452
        .size:           4
        .value_kind:     by_value
      - .offset:         456
        .size:           4
        .value_kind:     by_value
      - .offset:         460
        .size:           4
        .value_kind:     by_value
      - .address_space:  global
        .offset:         464
        .size:           8
        .value_kind:     global_buffer
      - .address_space:  global
        .offset:         472
        .size:           8
        .value_kind:     global_buffer
      - .offset:         480
        .size:           4
        .value_kind:     hidden_block_count_x
      - .offset:         484
        .size:           4
        .value_kind:     hidden_block_count_y
      - .offset:         488
        .size:           4
        .value_kind:     hidden_block_count_z
      - .offset:         492
        .size:           2
        .value_kind:     hidden_group_size_x
      - .offset:         494
        .size:           2
        .value_kind:     hidden_group_size_y
      - .offset:         496
        .size:           2
        .value_kind:     hidden_group_size_z
      - .offset:         498
        .size:           2
        .value_kind:     hidden_remainder_x
      - .offset:         500
        .size:           2
        .value_kind:     hidden_remainder_y
      - .offset:         502
        .size:           2
        .value_kind:     hidden_remainder_z
      - .offset:         520
        .size:           8
        .value_kind:     hidden_global_offset_x
      - .offset:         528
        .size:           8
        .value_kind:     hidden_global_offset_y
      - .offset:         536
        .size:           8
        .value_kind:     hidden_global_offset_z
      - .offset:         544
        .size:           2
        .value_kind:     hidden_grid_dims
    .group_segment_fixed_size: 1024
    .kernarg_segment_align: 8
    .kernarg_segment_size: 736
    .language:       OpenCL C
    .language_version:
      - 2
      - 0
    .max_flat_workgroup_size: 256
    .name:           _ZN2at6native6mbtopk23computeBlockDigitCountsIfmjLin1EEEvNS_4cuda6detail10TensorInfoIKT_T0_EEjPjjS8_iijT1_PSB_Ps
    .private_segment_fixed_size: 0
    .sgpr_count:     32
    .sgpr_spill_count: 0
    .symbol:         _ZN2at6native6mbtopk23computeBlockDigitCountsIfmjLin1EEEvNS_4cuda6detail10TensorInfoIKT_T0_EEjPjjS8_iijT1_PSB_Ps.kd
    .uniform_work_group_size: 1
    .uses_dynamic_stack: false
    .vgpr_count:     10
    .vgpr_spill_count: 0
    .wavefront_size: 64
  - .args:
      - .offset:         0
        .size:           416
        .value_kind:     by_value
      - .offset:         416
        .size:           8
        .value_kind:     by_value
      - .offset:         424
        .size:           8
        .value_kind:     by_value
      - .offset:         432
        .size:           1
        .value_kind:     by_value
      - .offset:         436
        .size:           4
        .value_kind:     by_value
      - .offset:         440
        .size:           8
        .value_kind:     by_value
      - .offset:         448
        .size:           416
        .value_kind:     by_value
      - .offset:         864
        .size:           8
        .value_kind:     by_value
      - .offset:         872
        .size:           416
        .value_kind:     by_value
      - .offset:         1288
        .size:           8
        .value_kind:     by_value
      - .offset:         1296
        .size:           4
        .value_kind:     by_value
      - .offset:         1300
        .size:           4
        .value_kind:     by_value
      - .address_space:  global
        .offset:         1304
        .size:           8
        .value_kind:     global_buffer
      - .address_space:  global
        .offset:         1312
        .size:           8
        .value_kind:     global_buffer
      - .address_space:  global
        .offset:         1320
        .size:           8
        .value_kind:     global_buffer
      - .offset:         1328
        .size:           4
        .value_kind:     by_value
      - .offset:         1336
        .size:           4
        .value_kind:     hidden_block_count_x
      - .offset:         1340
        .size:           4
        .value_kind:     hidden_block_count_y
      - .offset:         1344
        .size:           4
        .value_kind:     hidden_block_count_z
      - .offset:         1348
        .size:           2
        .value_kind:     hidden_group_size_x
      - .offset:         1350
        .size:           2
        .value_kind:     hidden_group_size_y
      - .offset:         1352
        .size:           2
        .value_kind:     hidden_group_size_z
      - .offset:         1354
        .size:           2
        .value_kind:     hidden_remainder_x
      - .offset:         1356
        .size:           2
        .value_kind:     hidden_remainder_y
      - .offset:         1358
        .size:           2
        .value_kind:     hidden_remainder_z
      - .offset:         1376
        .size:           8
        .value_kind:     hidden_global_offset_x
      - .offset:         1384
        .size:           8
        .value_kind:     hidden_global_offset_y
      - .offset:         1392
        .size:           8
        .value_kind:     hidden_global_offset_z
      - .offset:         1400
        .size:           2
        .value_kind:     hidden_grid_dims
    .group_segment_fixed_size: 1068
    .kernarg_segment_align: 8
    .kernarg_segment_size: 1592
    .language:       OpenCL C
    .language_version:
      - 2
      - 0
    .max_flat_workgroup_size: 256
    .name:           _ZN2at6native6mbtopk10gatherTopKIfmLin1EEEvNS_4cuda6detail10TensorInfoIKT_T0_EES8_S8_bjS8_NS5_IS6_S8_EES8_NS5_IlS8_EES8_jjPS6_PjSD_j
    .private_segment_fixed_size: 0
    .sgpr_count:     61
    .sgpr_spill_count: 0
    .symbol:         _ZN2at6native6mbtopk10gatherTopKIfmLin1EEEvNS_4cuda6detail10TensorInfoIKT_T0_EES8_S8_bjS8_NS5_IS6_S8_EES8_NS5_IlS8_EES8_jjPS6_PjSD_j.kd
    .uniform_work_group_size: 1
    .uses_dynamic_stack: false
    .vgpr_count:     21
    .vgpr_spill_count: 0
    .wavefront_size: 64
  - .args:
      - .offset:         0
        .size:           416
        .value_kind:     by_value
      - .offset:         416
        .size:           8
        .value_kind:     by_value
      - .offset:         424
        .size:           8
        .value_kind:     by_value
      - .offset:         432
        .size:           1
        .value_kind:     by_value
      - .offset:         440
        .size:           8
        .value_kind:     by_value
      - .offset:         448
        .size:           8
        .value_kind:     by_value
      - .offset:         456
        .size:           416
        .value_kind:     by_value
      - .offset:         872
        .size:           8
        .value_kind:     by_value
      - .offset:         880
        .size:           416
        .value_kind:     by_value
      - .offset:         1296
        .size:           8
        .value_kind:     by_value
      - .address_space:  global
        .offset:         1304
        .size:           8
        .value_kind:     global_buffer
      - .offset:         1312
        .size:           4
        .value_kind:     hidden_block_count_x
      - .offset:         1316
        .size:           4
        .value_kind:     hidden_block_count_y
      - .offset:         1320
        .size:           4
        .value_kind:     hidden_block_count_z
      - .offset:         1324
        .size:           2
        .value_kind:     hidden_group_size_x
      - .offset:         1326
        .size:           2
        .value_kind:     hidden_group_size_y
      - .offset:         1328
        .size:           2
        .value_kind:     hidden_group_size_z
      - .offset:         1330
        .size:           2
        .value_kind:     hidden_remainder_x
      - .offset:         1332
        .size:           2
        .value_kind:     hidden_remainder_y
      - .offset:         1334
        .size:           2
        .value_kind:     hidden_remainder_z
      - .offset:         1352
        .size:           8
        .value_kind:     hidden_global_offset_x
      - .offset:         1360
        .size:           8
        .value_kind:     hidden_global_offset_y
      - .offset:         1368
        .size:           8
        .value_kind:     hidden_global_offset_z
      - .offset:         1376
        .size:           2
        .value_kind:     hidden_grid_dims
    .group_segment_fixed_size: 5152
    .kernarg_segment_align: 8
    .kernarg_segment_size: 1568
    .language:       OpenCL C
    .language_version:
      - 2
      - 0
    .max_flat_workgroup_size: 1024
    .name:           _ZN2at6native6sbtopk10gatherTopKIfmLin1ELb0EEEvNS_4cuda6detail10TensorInfoIKT_T0_EES8_S8_bS8_S8_NS5_IS6_S8_EES8_NS5_IlS8_EES8_PS6_
    .private_segment_fixed_size: 0
    .sgpr_count:     100
    .sgpr_spill_count: 84
    .symbol:         _ZN2at6native6sbtopk10gatherTopKIfmLin1ELb0EEEvNS_4cuda6detail10TensorInfoIKT_T0_EES8_S8_bS8_S8_NS5_IS6_S8_EES8_NS5_IlS8_EES8_PS6_.kd
    .uniform_work_group_size: 1
    .uses_dynamic_stack: false
    .vgpr_count:     55
    .vgpr_spill_count: 0
    .wavefront_size: 64
  - .args:
      - .offset:         0
        .size:           416
        .value_kind:     by_value
      - .offset:         416
        .size:           4
        .value_kind:     by_value
      - .address_space:  global
        .offset:         424
        .size:           8
        .value_kind:     global_buffer
      - .offset:         432
        .size:           4
        .value_kind:     by_value
      - .offset:         440
        .size:           8
        .value_kind:     by_value
      - .offset:         448
        .size:           4
        .value_kind:     by_value
      - .offset:         452
        .size:           4
        .value_kind:     by_value
      - .offset:         456
        .size:           4
        .value_kind:     by_value
      - .offset:         460
        .size:           4
        .value_kind:     by_value
      - .address_space:  global
        .offset:         464
        .size:           8
        .value_kind:     global_buffer
      - .address_space:  global
        .offset:         472
        .size:           8
        .value_kind:     global_buffer
      - .offset:         480
        .size:           4
        .value_kind:     hidden_block_count_x
      - .offset:         484
        .size:           4
        .value_kind:     hidden_block_count_y
      - .offset:         488
        .size:           4
        .value_kind:     hidden_block_count_z
      - .offset:         492
        .size:           2
        .value_kind:     hidden_group_size_x
      - .offset:         494
        .size:           2
        .value_kind:     hidden_group_size_y
      - .offset:         496
        .size:           2
        .value_kind:     hidden_group_size_z
      - .offset:         498
        .size:           2
        .value_kind:     hidden_remainder_x
      - .offset:         500
        .size:           2
        .value_kind:     hidden_remainder_y
      - .offset:         502
        .size:           2
        .value_kind:     hidden_remainder_z
      - .offset:         520
        .size:           8
        .value_kind:     hidden_global_offset_x
      - .offset:         528
        .size:           8
        .value_kind:     hidden_global_offset_y
      - .offset:         536
        .size:           8
        .value_kind:     hidden_global_offset_z
      - .offset:         544
        .size:           2
        .value_kind:     hidden_grid_dims
    .group_segment_fixed_size: 1024
    .kernarg_segment_align: 8
    .kernarg_segment_size: 736
    .language:       OpenCL C
    .language_version:
      - 2
      - 0
    .max_flat_workgroup_size: 256
    .name:           _ZN2at6native6mbtopk23computeBlockDigitCountsIN3c104HalfEmjLi1EEEvNS_4cuda6detail10TensorInfoIKT_T0_EEjPjjSA_iijT1_PSD_Ps
    .private_segment_fixed_size: 0
    .sgpr_count:     26
    .sgpr_spill_count: 0
    .symbol:         _ZN2at6native6mbtopk23computeBlockDigitCountsIN3c104HalfEmjLi1EEEvNS_4cuda6detail10TensorInfoIKT_T0_EEjPjjSA_iijT1_PSD_Ps.kd
    .uniform_work_group_size: 1
    .uses_dynamic_stack: false
    .vgpr_count:     11
    .vgpr_spill_count: 0
    .wavefront_size: 64
  - .args:
      - .offset:         0
        .size:           416
        .value_kind:     by_value
      - .offset:         416
        .size:           8
        .value_kind:     by_value
      - .offset:         424
        .size:           8
        .value_kind:     by_value
      - .offset:         432
        .size:           1
        .value_kind:     by_value
      - .offset:         436
        .size:           4
        .value_kind:     by_value
      - .offset:         440
        .size:           8
        .value_kind:     by_value
      - .offset:         448
        .size:           416
        .value_kind:     by_value
      - .offset:         864
        .size:           8
        .value_kind:     by_value
      - .offset:         872
        .size:           416
        .value_kind:     by_value
      - .offset:         1288
        .size:           8
        .value_kind:     by_value
      - .offset:         1296
        .size:           4
        .value_kind:     by_value
      - .offset:         1300
        .size:           4
        .value_kind:     by_value
      - .address_space:  global
        .offset:         1304
        .size:           8
        .value_kind:     global_buffer
      - .address_space:  global
        .offset:         1312
        .size:           8
        .value_kind:     global_buffer
      - .address_space:  global
        .offset:         1320
        .size:           8
        .value_kind:     global_buffer
      - .offset:         1328
        .size:           4
        .value_kind:     by_value
      - .offset:         1336
        .size:           4
        .value_kind:     hidden_block_count_x
      - .offset:         1340
        .size:           4
        .value_kind:     hidden_block_count_y
      - .offset:         1344
        .size:           4
        .value_kind:     hidden_block_count_z
      - .offset:         1348
        .size:           2
        .value_kind:     hidden_group_size_x
      - .offset:         1350
        .size:           2
        .value_kind:     hidden_group_size_y
      - .offset:         1352
        .size:           2
        .value_kind:     hidden_group_size_z
      - .offset:         1354
        .size:           2
        .value_kind:     hidden_remainder_x
      - .offset:         1356
        .size:           2
        .value_kind:     hidden_remainder_y
      - .offset:         1358
        .size:           2
        .value_kind:     hidden_remainder_z
      - .offset:         1376
        .size:           8
        .value_kind:     hidden_global_offset_x
      - .offset:         1384
        .size:           8
        .value_kind:     hidden_global_offset_y
      - .offset:         1392
        .size:           8
        .value_kind:     hidden_global_offset_z
      - .offset:         1400
        .size:           2
        .value_kind:     hidden_grid_dims
    .group_segment_fixed_size: 1068
    .kernarg_segment_align: 8
    .kernarg_segment_size: 1592
    .language:       OpenCL C
    .language_version:
      - 2
      - 0
    .max_flat_workgroup_size: 256
    .name:           _ZN2at6native6mbtopk10gatherTopKIN3c104HalfEmLi1EEEvNS_4cuda6detail10TensorInfoIKT_T0_EESA_SA_bjSA_NS7_IS8_SA_EESA_NS7_IlSA_EESA_jjPS8_PjSF_j
    .private_segment_fixed_size: 0
    .sgpr_count:     49
    .sgpr_spill_count: 0
    .symbol:         _ZN2at6native6mbtopk10gatherTopKIN3c104HalfEmLi1EEEvNS_4cuda6detail10TensorInfoIKT_T0_EESA_SA_bjSA_NS7_IS8_SA_EESA_NS7_IlSA_EESA_jjPS8_PjSF_j.kd
    .uniform_work_group_size: 1
    .uses_dynamic_stack: false
    .vgpr_count:     22
    .vgpr_spill_count: 0
    .wavefront_size: 64
  - .args:
      - .offset:         0
        .size:           416
        .value_kind:     by_value
      - .offset:         416
        .size:           8
        .value_kind:     by_value
      - .offset:         424
        .size:           8
        .value_kind:     by_value
      - .offset:         432
        .size:           1
        .value_kind:     by_value
      - .offset:         440
        .size:           8
        .value_kind:     by_value
      - .offset:         448
        .size:           8
        .value_kind:     by_value
      - .offset:         456
        .size:           416
        .value_kind:     by_value
      - .offset:         872
        .size:           8
        .value_kind:     by_value
      - .offset:         880
        .size:           416
        .value_kind:     by_value
      - .offset:         1296
        .size:           8
        .value_kind:     by_value
      - .address_space:  global
        .offset:         1304
        .size:           8
        .value_kind:     global_buffer
      - .offset:         1312
        .size:           4
        .value_kind:     hidden_block_count_x
      - .offset:         1316
        .size:           4
        .value_kind:     hidden_block_count_y
      - .offset:         1320
        .size:           4
        .value_kind:     hidden_block_count_z
      - .offset:         1324
        .size:           2
        .value_kind:     hidden_group_size_x
      - .offset:         1326
        .size:           2
        .value_kind:     hidden_group_size_y
      - .offset:         1328
        .size:           2
        .value_kind:     hidden_group_size_z
      - .offset:         1330
        .size:           2
        .value_kind:     hidden_remainder_x
      - .offset:         1332
        .size:           2
        .value_kind:     hidden_remainder_y
      - .offset:         1334
        .size:           2
        .value_kind:     hidden_remainder_z
      - .offset:         1352
        .size:           8
        .value_kind:     hidden_global_offset_x
      - .offset:         1360
        .size:           8
        .value_kind:     hidden_global_offset_y
      - .offset:         1368
        .size:           8
        .value_kind:     hidden_global_offset_z
      - .offset:         1376
        .size:           2
        .value_kind:     hidden_grid_dims
    .group_segment_fixed_size: 5152
    .kernarg_segment_align: 8
    .kernarg_segment_size: 1568
    .language:       OpenCL C
    .language_version:
      - 2
      - 0
    .max_flat_workgroup_size: 1024
    .name:           _ZN2at6native6sbtopk10gatherTopKIN3c104HalfEmLi1ELb0EEEvNS_4cuda6detail10TensorInfoIKT_T0_EESA_SA_bSA_SA_NS7_IS8_SA_EESA_NS7_IlSA_EESA_PS8_
    .private_segment_fixed_size: 0
    .sgpr_count:     100
    .sgpr_spill_count: 72
    .symbol:         _ZN2at6native6sbtopk10gatherTopKIN3c104HalfEmLi1ELb0EEEvNS_4cuda6detail10TensorInfoIKT_T0_EESA_SA_bSA_SA_NS7_IS8_SA_EESA_NS7_IlSA_EESA_PS8_.kd
    .uniform_work_group_size: 1
    .uses_dynamic_stack: false
    .vgpr_count:     53
    .vgpr_spill_count: 0
    .wavefront_size: 64
  - .args:
      - .offset:         0
        .size:           416
        .value_kind:     by_value
      - .offset:         416
        .size:           4
        .value_kind:     by_value
      - .address_space:  global
        .offset:         424
        .size:           8
        .value_kind:     global_buffer
      - .offset:         432
        .size:           4
        .value_kind:     by_value
      - .offset:         440
        .size:           8
        .value_kind:     by_value
      - .offset:         448
        .size:           4
        .value_kind:     by_value
      - .offset:         452
        .size:           4
        .value_kind:     by_value
      - .offset:         456
        .size:           4
        .value_kind:     by_value
      - .offset:         460
        .size:           4
        .value_kind:     by_value
      - .address_space:  global
        .offset:         464
        .size:           8
        .value_kind:     global_buffer
      - .address_space:  global
        .offset:         472
        .size:           8
        .value_kind:     global_buffer
      - .offset:         480
        .size:           4
        .value_kind:     hidden_block_count_x
      - .offset:         484
        .size:           4
        .value_kind:     hidden_block_count_y
      - .offset:         488
        .size:           4
        .value_kind:     hidden_block_count_z
      - .offset:         492
        .size:           2
        .value_kind:     hidden_group_size_x
      - .offset:         494
        .size:           2
        .value_kind:     hidden_group_size_y
      - .offset:         496
        .size:           2
        .value_kind:     hidden_group_size_z
      - .offset:         498
        .size:           2
        .value_kind:     hidden_remainder_x
      - .offset:         500
        .size:           2
        .value_kind:     hidden_remainder_y
      - .offset:         502
        .size:           2
        .value_kind:     hidden_remainder_z
      - .offset:         520
        .size:           8
        .value_kind:     hidden_global_offset_x
      - .offset:         528
        .size:           8
        .value_kind:     hidden_global_offset_y
      - .offset:         536
        .size:           8
        .value_kind:     hidden_global_offset_z
      - .offset:         544
        .size:           2
        .value_kind:     hidden_grid_dims
    .group_segment_fixed_size: 1024
    .kernarg_segment_align: 8
    .kernarg_segment_size: 736
    .language:       OpenCL C
    .language_version:
      - 2
      - 0
    .max_flat_workgroup_size: 256
    .name:           _ZN2at6native6mbtopk23computeBlockDigitCountsIN3c104HalfEmjLi2EEEvNS_4cuda6detail10TensorInfoIKT_T0_EEjPjjSA_iijT1_PSD_Ps
    .private_segment_fixed_size: 0
    .sgpr_count:     30
    .sgpr_spill_count: 0
    .symbol:         _ZN2at6native6mbtopk23computeBlockDigitCountsIN3c104HalfEmjLi2EEEvNS_4cuda6detail10TensorInfoIKT_T0_EEjPjjSA_iijT1_PSD_Ps.kd
    .uniform_work_group_size: 1
    .uses_dynamic_stack: false
    .vgpr_count:     11
    .vgpr_spill_count: 0
    .wavefront_size: 64
  - .args:
      - .offset:         0
        .size:           416
        .value_kind:     by_value
      - .offset:         416
        .size:           8
        .value_kind:     by_value
      - .offset:         424
        .size:           8
        .value_kind:     by_value
      - .offset:         432
        .size:           1
        .value_kind:     by_value
      - .offset:         436
        .size:           4
        .value_kind:     by_value
      - .offset:         440
        .size:           8
        .value_kind:     by_value
      - .offset:         448
        .size:           416
        .value_kind:     by_value
      - .offset:         864
        .size:           8
        .value_kind:     by_value
      - .offset:         872
        .size:           416
        .value_kind:     by_value
      - .offset:         1288
        .size:           8
        .value_kind:     by_value
      - .offset:         1296
        .size:           4
        .value_kind:     by_value
      - .offset:         1300
        .size:           4
        .value_kind:     by_value
      - .address_space:  global
        .offset:         1304
        .size:           8
        .value_kind:     global_buffer
      - .address_space:  global
        .offset:         1312
        .size:           8
        .value_kind:     global_buffer
      - .address_space:  global
        .offset:         1320
        .size:           8
        .value_kind:     global_buffer
      - .offset:         1328
        .size:           4
        .value_kind:     by_value
      - .offset:         1336
        .size:           4
        .value_kind:     hidden_block_count_x
      - .offset:         1340
        .size:           4
        .value_kind:     hidden_block_count_y
      - .offset:         1344
        .size:           4
        .value_kind:     hidden_block_count_z
      - .offset:         1348
        .size:           2
        .value_kind:     hidden_group_size_x
      - .offset:         1350
        .size:           2
        .value_kind:     hidden_group_size_y
      - .offset:         1352
        .size:           2
        .value_kind:     hidden_group_size_z
      - .offset:         1354
        .size:           2
        .value_kind:     hidden_remainder_x
      - .offset:         1356
        .size:           2
        .value_kind:     hidden_remainder_y
      - .offset:         1358
        .size:           2
        .value_kind:     hidden_remainder_z
      - .offset:         1376
        .size:           8
        .value_kind:     hidden_global_offset_x
      - .offset:         1384
        .size:           8
        .value_kind:     hidden_global_offset_y
      - .offset:         1392
        .size:           8
        .value_kind:     hidden_global_offset_z
      - .offset:         1400
        .size:           2
        .value_kind:     hidden_grid_dims
    .group_segment_fixed_size: 1068
    .kernarg_segment_align: 8
    .kernarg_segment_size: 1592
    .language:       OpenCL C
    .language_version:
      - 2
      - 0
    .max_flat_workgroup_size: 256
    .name:           _ZN2at6native6mbtopk10gatherTopKIN3c104HalfEmLi2EEEvNS_4cuda6detail10TensorInfoIKT_T0_EESA_SA_bjSA_NS7_IS8_SA_EESA_NS7_IlSA_EESA_jjPS8_PjSF_j
    .private_segment_fixed_size: 0
    .sgpr_count:     54
    .sgpr_spill_count: 0
    .symbol:         _ZN2at6native6mbtopk10gatherTopKIN3c104HalfEmLi2EEEvNS_4cuda6detail10TensorInfoIKT_T0_EESA_SA_bjSA_NS7_IS8_SA_EESA_NS7_IlSA_EESA_jjPS8_PjSF_j.kd
    .uniform_work_group_size: 1
    .uses_dynamic_stack: false
    .vgpr_count:     22
    .vgpr_spill_count: 0
    .wavefront_size: 64
  - .args:
      - .offset:         0
        .size:           416
        .value_kind:     by_value
      - .offset:         416
        .size:           8
        .value_kind:     by_value
      - .offset:         424
        .size:           8
        .value_kind:     by_value
      - .offset:         432
        .size:           1
        .value_kind:     by_value
      - .offset:         440
        .size:           8
        .value_kind:     by_value
      - .offset:         448
        .size:           8
        .value_kind:     by_value
      - .offset:         456
        .size:           416
        .value_kind:     by_value
      - .offset:         872
        .size:           8
        .value_kind:     by_value
      - .offset:         880
        .size:           416
        .value_kind:     by_value
      - .offset:         1296
        .size:           8
        .value_kind:     by_value
      - .address_space:  global
        .offset:         1304
        .size:           8
        .value_kind:     global_buffer
      - .offset:         1312
        .size:           4
        .value_kind:     hidden_block_count_x
      - .offset:         1316
        .size:           4
        .value_kind:     hidden_block_count_y
      - .offset:         1320
        .size:           4
        .value_kind:     hidden_block_count_z
      - .offset:         1324
        .size:           2
        .value_kind:     hidden_group_size_x
      - .offset:         1326
        .size:           2
        .value_kind:     hidden_group_size_y
      - .offset:         1328
        .size:           2
        .value_kind:     hidden_group_size_z
      - .offset:         1330
        .size:           2
        .value_kind:     hidden_remainder_x
      - .offset:         1332
        .size:           2
        .value_kind:     hidden_remainder_y
      - .offset:         1334
        .size:           2
        .value_kind:     hidden_remainder_z
      - .offset:         1352
        .size:           8
        .value_kind:     hidden_global_offset_x
      - .offset:         1360
        .size:           8
        .value_kind:     hidden_global_offset_y
      - .offset:         1368
        .size:           8
        .value_kind:     hidden_global_offset_z
      - .offset:         1376
        .size:           2
        .value_kind:     hidden_grid_dims
    .group_segment_fixed_size: 5152
    .kernarg_segment_align: 8
    .kernarg_segment_size: 1568
    .language:       OpenCL C
    .language_version:
      - 2
      - 0
    .max_flat_workgroup_size: 1024
    .name:           _ZN2at6native6sbtopk10gatherTopKIN3c104HalfEmLi2ELb0EEEvNS_4cuda6detail10TensorInfoIKT_T0_EESA_SA_bSA_SA_NS7_IS8_SA_EESA_NS7_IlSA_EESA_PS8_
    .private_segment_fixed_size: 0
    .sgpr_count:     100
    .sgpr_spill_count: 85
    .symbol:         _ZN2at6native6sbtopk10gatherTopKIN3c104HalfEmLi2ELb0EEEvNS_4cuda6detail10TensorInfoIKT_T0_EESA_SA_bSA_SA_NS7_IS8_SA_EESA_NS7_IlSA_EESA_PS8_.kd
    .uniform_work_group_size: 1
    .uses_dynamic_stack: false
    .vgpr_count:     48
    .vgpr_spill_count: 0
    .wavefront_size: 64
  - .args:
      - .offset:         0
        .size:           416
        .value_kind:     by_value
      - .offset:         416
        .size:           4
        .value_kind:     by_value
      - .address_space:  global
        .offset:         424
        .size:           8
        .value_kind:     global_buffer
      - .offset:         432
        .size:           4
        .value_kind:     by_value
      - .offset:         440
        .size:           8
        .value_kind:     by_value
      - .offset:         448
        .size:           4
        .value_kind:     by_value
      - .offset:         452
        .size:           4
        .value_kind:     by_value
      - .offset:         456
        .size:           4
        .value_kind:     by_value
      - .offset:         460
        .size:           4
        .value_kind:     by_value
      - .address_space:  global
        .offset:         464
        .size:           8
        .value_kind:     global_buffer
      - .address_space:  global
        .offset:         472
        .size:           8
        .value_kind:     global_buffer
      - .offset:         480
        .size:           4
        .value_kind:     hidden_block_count_x
      - .offset:         484
        .size:           4
        .value_kind:     hidden_block_count_y
      - .offset:         488
        .size:           4
        .value_kind:     hidden_block_count_z
      - .offset:         492
        .size:           2
        .value_kind:     hidden_group_size_x
      - .offset:         494
        .size:           2
        .value_kind:     hidden_group_size_y
      - .offset:         496
        .size:           2
        .value_kind:     hidden_group_size_z
      - .offset:         498
        .size:           2
        .value_kind:     hidden_remainder_x
      - .offset:         500
        .size:           2
        .value_kind:     hidden_remainder_y
      - .offset:         502
        .size:           2
        .value_kind:     hidden_remainder_z
      - .offset:         520
        .size:           8
        .value_kind:     hidden_global_offset_x
      - .offset:         528
        .size:           8
        .value_kind:     hidden_global_offset_y
      - .offset:         536
        .size:           8
        .value_kind:     hidden_global_offset_z
      - .offset:         544
        .size:           2
        .value_kind:     hidden_grid_dims
    .group_segment_fixed_size: 1024
    .kernarg_segment_align: 8
    .kernarg_segment_size: 736
    .language:       OpenCL C
    .language_version:
      - 2
      - 0
    .max_flat_workgroup_size: 256
    .name:           _ZN2at6native6mbtopk23computeBlockDigitCountsIN3c104HalfEmjLi3EEEvNS_4cuda6detail10TensorInfoIKT_T0_EEjPjjSA_iijT1_PSD_Ps
    .private_segment_fixed_size: 0
    .sgpr_count:     34
    .sgpr_spill_count: 0
    .symbol:         _ZN2at6native6mbtopk23computeBlockDigitCountsIN3c104HalfEmjLi3EEEvNS_4cuda6detail10TensorInfoIKT_T0_EEjPjjSA_iijT1_PSD_Ps.kd
    .uniform_work_group_size: 1
    .uses_dynamic_stack: false
    .vgpr_count:     11
    .vgpr_spill_count: 0
    .wavefront_size: 64
  - .args:
      - .offset:         0
        .size:           416
        .value_kind:     by_value
      - .offset:         416
        .size:           8
        .value_kind:     by_value
      - .offset:         424
        .size:           8
        .value_kind:     by_value
      - .offset:         432
        .size:           1
        .value_kind:     by_value
      - .offset:         436
        .size:           4
        .value_kind:     by_value
      - .offset:         440
        .size:           8
        .value_kind:     by_value
      - .offset:         448
        .size:           416
        .value_kind:     by_value
      - .offset:         864
        .size:           8
        .value_kind:     by_value
      - .offset:         872
        .size:           416
        .value_kind:     by_value
      - .offset:         1288
        .size:           8
        .value_kind:     by_value
      - .offset:         1296
        .size:           4
        .value_kind:     by_value
      - .offset:         1300
        .size:           4
        .value_kind:     by_value
      - .address_space:  global
        .offset:         1304
        .size:           8
        .value_kind:     global_buffer
      - .address_space:  global
        .offset:         1312
        .size:           8
        .value_kind:     global_buffer
      - .address_space:  global
        .offset:         1320
        .size:           8
        .value_kind:     global_buffer
      - .offset:         1328
        .size:           4
        .value_kind:     by_value
      - .offset:         1336
        .size:           4
        .value_kind:     hidden_block_count_x
      - .offset:         1340
        .size:           4
        .value_kind:     hidden_block_count_y
      - .offset:         1344
        .size:           4
        .value_kind:     hidden_block_count_z
      - .offset:         1348
        .size:           2
        .value_kind:     hidden_group_size_x
      - .offset:         1350
        .size:           2
        .value_kind:     hidden_group_size_y
      - .offset:         1352
        .size:           2
        .value_kind:     hidden_group_size_z
      - .offset:         1354
        .size:           2
        .value_kind:     hidden_remainder_x
      - .offset:         1356
        .size:           2
        .value_kind:     hidden_remainder_y
      - .offset:         1358
        .size:           2
        .value_kind:     hidden_remainder_z
      - .offset:         1376
        .size:           8
        .value_kind:     hidden_global_offset_x
      - .offset:         1384
        .size:           8
        .value_kind:     hidden_global_offset_y
      - .offset:         1392
        .size:           8
        .value_kind:     hidden_global_offset_z
      - .offset:         1400
        .size:           2
        .value_kind:     hidden_grid_dims
    .group_segment_fixed_size: 1068
    .kernarg_segment_align: 8
    .kernarg_segment_size: 1592
    .language:       OpenCL C
    .language_version:
      - 2
      - 0
    .max_flat_workgroup_size: 256
    .name:           _ZN2at6native6mbtopk10gatherTopKIN3c104HalfEmLi3EEEvNS_4cuda6detail10TensorInfoIKT_T0_EESA_SA_bjSA_NS7_IS8_SA_EESA_NS7_IlSA_EESA_jjPS8_PjSF_j
    .private_segment_fixed_size: 0
    .sgpr_count:     82
    .sgpr_spill_count: 0
    .symbol:         _ZN2at6native6mbtopk10gatherTopKIN3c104HalfEmLi3EEEvNS_4cuda6detail10TensorInfoIKT_T0_EESA_SA_bjSA_NS7_IS8_SA_EESA_NS7_IlSA_EESA_jjPS8_PjSF_j.kd
    .uniform_work_group_size: 1
    .uses_dynamic_stack: false
    .vgpr_count:     22
    .vgpr_spill_count: 0
    .wavefront_size: 64
  - .args:
      - .offset:         0
        .size:           416
        .value_kind:     by_value
      - .offset:         416
        .size:           8
        .value_kind:     by_value
      - .offset:         424
        .size:           8
        .value_kind:     by_value
      - .offset:         432
        .size:           1
        .value_kind:     by_value
      - .offset:         440
        .size:           8
        .value_kind:     by_value
      - .offset:         448
        .size:           8
        .value_kind:     by_value
      - .offset:         456
        .size:           416
        .value_kind:     by_value
      - .offset:         872
        .size:           8
        .value_kind:     by_value
      - .offset:         880
        .size:           416
        .value_kind:     by_value
      - .offset:         1296
        .size:           8
        .value_kind:     by_value
      - .address_space:  global
        .offset:         1304
        .size:           8
        .value_kind:     global_buffer
      - .offset:         1312
        .size:           4
        .value_kind:     hidden_block_count_x
      - .offset:         1316
        .size:           4
        .value_kind:     hidden_block_count_y
      - .offset:         1320
        .size:           4
        .value_kind:     hidden_block_count_z
      - .offset:         1324
        .size:           2
        .value_kind:     hidden_group_size_x
      - .offset:         1326
        .size:           2
        .value_kind:     hidden_group_size_y
      - .offset:         1328
        .size:           2
        .value_kind:     hidden_group_size_z
      - .offset:         1330
        .size:           2
        .value_kind:     hidden_remainder_x
      - .offset:         1332
        .size:           2
        .value_kind:     hidden_remainder_y
      - .offset:         1334
        .size:           2
        .value_kind:     hidden_remainder_z
      - .offset:         1352
        .size:           8
        .value_kind:     hidden_global_offset_x
      - .offset:         1360
        .size:           8
        .value_kind:     hidden_global_offset_y
      - .offset:         1368
        .size:           8
        .value_kind:     hidden_global_offset_z
      - .offset:         1376
        .size:           2
        .value_kind:     hidden_grid_dims
    .group_segment_fixed_size: 5152
    .kernarg_segment_align: 8
    .kernarg_segment_size: 1568
    .language:       OpenCL C
    .language_version:
      - 2
      - 0
    .max_flat_workgroup_size: 1024
    .name:           _ZN2at6native6sbtopk10gatherTopKIN3c104HalfEmLi3ELb0EEEvNS_4cuda6detail10TensorInfoIKT_T0_EESA_SA_bSA_SA_NS7_IS8_SA_EESA_NS7_IlSA_EESA_PS8_
    .private_segment_fixed_size: 0
    .sgpr_count:     100
    .sgpr_spill_count: 96
    .symbol:         _ZN2at6native6sbtopk10gatherTopKIN3c104HalfEmLi3ELb0EEEvNS_4cuda6detail10TensorInfoIKT_T0_EESA_SA_bSA_SA_NS7_IS8_SA_EESA_NS7_IlSA_EESA_PS8_.kd
    .uniform_work_group_size: 1
    .uses_dynamic_stack: false
    .vgpr_count:     49
    .vgpr_spill_count: 0
    .wavefront_size: 64
  - .args:
      - .offset:         0
        .size:           416
        .value_kind:     by_value
      - .offset:         416
        .size:           4
        .value_kind:     by_value
      - .address_space:  global
        .offset:         424
        .size:           8
        .value_kind:     global_buffer
      - .offset:         432
        .size:           4
        .value_kind:     by_value
      - .offset:         440
        .size:           8
        .value_kind:     by_value
      - .offset:         448
        .size:           4
        .value_kind:     by_value
      - .offset:         452
        .size:           4
        .value_kind:     by_value
      - .offset:         456
        .size:           4
        .value_kind:     by_value
      - .offset:         460
        .size:           4
        .value_kind:     by_value
      - .address_space:  global
        .offset:         464
        .size:           8
        .value_kind:     global_buffer
      - .address_space:  global
        .offset:         472
        .size:           8
        .value_kind:     global_buffer
      - .offset:         480
        .size:           4
        .value_kind:     hidden_block_count_x
      - .offset:         484
        .size:           4
        .value_kind:     hidden_block_count_y
      - .offset:         488
        .size:           4
        .value_kind:     hidden_block_count_z
      - .offset:         492
        .size:           2
        .value_kind:     hidden_group_size_x
      - .offset:         494
        .size:           2
        .value_kind:     hidden_group_size_y
      - .offset:         496
        .size:           2
        .value_kind:     hidden_group_size_z
      - .offset:         498
        .size:           2
        .value_kind:     hidden_remainder_x
      - .offset:         500
        .size:           2
        .value_kind:     hidden_remainder_y
      - .offset:         502
        .size:           2
        .value_kind:     hidden_remainder_z
      - .offset:         520
        .size:           8
        .value_kind:     hidden_global_offset_x
      - .offset:         528
        .size:           8
        .value_kind:     hidden_global_offset_y
      - .offset:         536
        .size:           8
        .value_kind:     hidden_global_offset_z
      - .offset:         544
        .size:           2
        .value_kind:     hidden_grid_dims
    .group_segment_fixed_size: 1024
    .kernarg_segment_align: 8
    .kernarg_segment_size: 736
    .language:       OpenCL C
    .language_version:
      - 2
      - 0
    .max_flat_workgroup_size: 256
    .name:           _ZN2at6native6mbtopk23computeBlockDigitCountsIN3c104HalfEmjLin1EEEvNS_4cuda6detail10TensorInfoIKT_T0_EEjPjjSA_iijT1_PSD_Ps
    .private_segment_fixed_size: 0
    .sgpr_count:     32
    .sgpr_spill_count: 0
    .symbol:         _ZN2at6native6mbtopk23computeBlockDigitCountsIN3c104HalfEmjLin1EEEvNS_4cuda6detail10TensorInfoIKT_T0_EEjPjjSA_iijT1_PSD_Ps.kd
    .uniform_work_group_size: 1
    .uses_dynamic_stack: false
    .vgpr_count:     11
    .vgpr_spill_count: 0
    .wavefront_size: 64
  - .args:
      - .offset:         0
        .size:           416
        .value_kind:     by_value
      - .offset:         416
        .size:           8
        .value_kind:     by_value
      - .offset:         424
        .size:           8
        .value_kind:     by_value
      - .offset:         432
        .size:           1
        .value_kind:     by_value
      - .offset:         436
        .size:           4
        .value_kind:     by_value
      - .offset:         440
        .size:           8
        .value_kind:     by_value
      - .offset:         448
        .size:           416
        .value_kind:     by_value
      - .offset:         864
        .size:           8
        .value_kind:     by_value
      - .offset:         872
        .size:           416
        .value_kind:     by_value
      - .offset:         1288
        .size:           8
        .value_kind:     by_value
      - .offset:         1296
        .size:           4
        .value_kind:     by_value
      - .offset:         1300
        .size:           4
        .value_kind:     by_value
      - .address_space:  global
        .offset:         1304
        .size:           8
        .value_kind:     global_buffer
      - .address_space:  global
        .offset:         1312
        .size:           8
        .value_kind:     global_buffer
      - .address_space:  global
        .offset:         1320
        .size:           8
        .value_kind:     global_buffer
      - .offset:         1328
        .size:           4
        .value_kind:     by_value
      - .offset:         1336
        .size:           4
        .value_kind:     hidden_block_count_x
      - .offset:         1340
        .size:           4
        .value_kind:     hidden_block_count_y
      - .offset:         1344
        .size:           4
        .value_kind:     hidden_block_count_z
      - .offset:         1348
        .size:           2
        .value_kind:     hidden_group_size_x
      - .offset:         1350
        .size:           2
        .value_kind:     hidden_group_size_y
      - .offset:         1352
        .size:           2
        .value_kind:     hidden_group_size_z
      - .offset:         1354
        .size:           2
        .value_kind:     hidden_remainder_x
      - .offset:         1356
        .size:           2
        .value_kind:     hidden_remainder_y
      - .offset:         1358
        .size:           2
        .value_kind:     hidden_remainder_z
      - .offset:         1376
        .size:           8
        .value_kind:     hidden_global_offset_x
      - .offset:         1384
        .size:           8
        .value_kind:     hidden_global_offset_y
      - .offset:         1392
        .size:           8
        .value_kind:     hidden_global_offset_z
      - .offset:         1400
        .size:           2
        .value_kind:     hidden_grid_dims
    .group_segment_fixed_size: 1068
    .kernarg_segment_align: 8
    .kernarg_segment_size: 1592
    .language:       OpenCL C
    .language_version:
      - 2
      - 0
    .max_flat_workgroup_size: 256
    .name:           _ZN2at6native6mbtopk10gatherTopKIN3c104HalfEmLin1EEEvNS_4cuda6detail10TensorInfoIKT_T0_EESA_SA_bjSA_NS7_IS8_SA_EESA_NS7_IlSA_EESA_jjPS8_PjSF_j
    .private_segment_fixed_size: 0
    .sgpr_count:     61
    .sgpr_spill_count: 0
    .symbol:         _ZN2at6native6mbtopk10gatherTopKIN3c104HalfEmLin1EEEvNS_4cuda6detail10TensorInfoIKT_T0_EESA_SA_bjSA_NS7_IS8_SA_EESA_NS7_IlSA_EESA_jjPS8_PjSF_j.kd
    .uniform_work_group_size: 1
    .uses_dynamic_stack: false
    .vgpr_count:     22
    .vgpr_spill_count: 0
    .wavefront_size: 64
  - .args:
      - .offset:         0
        .size:           416
        .value_kind:     by_value
      - .offset:         416
        .size:           8
        .value_kind:     by_value
      - .offset:         424
        .size:           8
        .value_kind:     by_value
      - .offset:         432
        .size:           1
        .value_kind:     by_value
      - .offset:         440
        .size:           8
        .value_kind:     by_value
      - .offset:         448
        .size:           8
        .value_kind:     by_value
      - .offset:         456
        .size:           416
        .value_kind:     by_value
      - .offset:         872
        .size:           8
        .value_kind:     by_value
      - .offset:         880
        .size:           416
        .value_kind:     by_value
      - .offset:         1296
        .size:           8
        .value_kind:     by_value
      - .address_space:  global
        .offset:         1304
        .size:           8
        .value_kind:     global_buffer
      - .offset:         1312
        .size:           4
        .value_kind:     hidden_block_count_x
      - .offset:         1316
        .size:           4
        .value_kind:     hidden_block_count_y
      - .offset:         1320
        .size:           4
        .value_kind:     hidden_block_count_z
      - .offset:         1324
        .size:           2
        .value_kind:     hidden_group_size_x
      - .offset:         1326
        .size:           2
        .value_kind:     hidden_group_size_y
      - .offset:         1328
        .size:           2
        .value_kind:     hidden_group_size_z
      - .offset:         1330
        .size:           2
        .value_kind:     hidden_remainder_x
      - .offset:         1332
        .size:           2
        .value_kind:     hidden_remainder_y
      - .offset:         1334
        .size:           2
        .value_kind:     hidden_remainder_z
      - .offset:         1352
        .size:           8
        .value_kind:     hidden_global_offset_x
      - .offset:         1360
        .size:           8
        .value_kind:     hidden_global_offset_y
      - .offset:         1368
        .size:           8
        .value_kind:     hidden_global_offset_z
      - .offset:         1376
        .size:           2
        .value_kind:     hidden_grid_dims
    .group_segment_fixed_size: 5152
    .kernarg_segment_align: 8
    .kernarg_segment_size: 1568
    .language:       OpenCL C
    .language_version:
      - 2
      - 0
    .max_flat_workgroup_size: 1024
    .name:           _ZN2at6native6sbtopk10gatherTopKIN3c104HalfEmLin1ELb0EEEvNS_4cuda6detail10TensorInfoIKT_T0_EESA_SA_bSA_SA_NS7_IS8_SA_EESA_NS7_IlSA_EESA_PS8_
    .private_segment_fixed_size: 0
    .sgpr_count:     100
    .sgpr_spill_count: 95
    .symbol:         _ZN2at6native6sbtopk10gatherTopKIN3c104HalfEmLin1ELb0EEEvNS_4cuda6detail10TensorInfoIKT_T0_EESA_SA_bSA_SA_NS7_IS8_SA_EESA_NS7_IlSA_EESA_PS8_.kd
    .uniform_work_group_size: 1
    .uses_dynamic_stack: false
    .vgpr_count:     60
    .vgpr_spill_count: 0
    .wavefront_size: 64
  - .args:
      - .offset:         0
        .size:           416
        .value_kind:     by_value
      - .offset:         416
        .size:           4
        .value_kind:     by_value
      - .address_space:  global
        .offset:         424
        .size:           8
        .value_kind:     global_buffer
      - .offset:         432
        .size:           4
        .value_kind:     by_value
      - .offset:         440
        .size:           8
        .value_kind:     by_value
      - .offset:         448
        .size:           4
        .value_kind:     by_value
      - .offset:         452
        .size:           4
        .value_kind:     by_value
      - .offset:         456
        .size:           4
        .value_kind:     by_value
      - .offset:         460
        .size:           4
        .value_kind:     by_value
      - .address_space:  global
        .offset:         464
        .size:           8
        .value_kind:     global_buffer
      - .address_space:  global
        .offset:         472
        .size:           8
        .value_kind:     global_buffer
      - .offset:         480
        .size:           4
        .value_kind:     hidden_block_count_x
      - .offset:         484
        .size:           4
        .value_kind:     hidden_block_count_y
      - .offset:         488
        .size:           4
        .value_kind:     hidden_block_count_z
      - .offset:         492
        .size:           2
        .value_kind:     hidden_group_size_x
      - .offset:         494
        .size:           2
        .value_kind:     hidden_group_size_y
      - .offset:         496
        .size:           2
        .value_kind:     hidden_group_size_z
      - .offset:         498
        .size:           2
        .value_kind:     hidden_remainder_x
      - .offset:         500
        .size:           2
        .value_kind:     hidden_remainder_y
      - .offset:         502
        .size:           2
        .value_kind:     hidden_remainder_z
      - .offset:         520
        .size:           8
        .value_kind:     hidden_global_offset_x
      - .offset:         528
        .size:           8
        .value_kind:     hidden_global_offset_y
      - .offset:         536
        .size:           8
        .value_kind:     hidden_global_offset_z
      - .offset:         544
        .size:           2
        .value_kind:     hidden_grid_dims
    .group_segment_fixed_size: 1024
    .kernarg_segment_align: 8
    .kernarg_segment_size: 736
    .language:       OpenCL C
    .language_version:
      - 2
      - 0
    .max_flat_workgroup_size: 256
    .name:           _ZN2at6native6mbtopk23computeBlockDigitCountsIN3c108BFloat16EmjLi1EEEvNS_4cuda6detail10TensorInfoIKT_T0_EEjPjjSA_iijT1_PSD_Ps
    .private_segment_fixed_size: 0
    .sgpr_count:     26
    .sgpr_spill_count: 0
    .symbol:         _ZN2at6native6mbtopk23computeBlockDigitCountsIN3c108BFloat16EmjLi1EEEvNS_4cuda6detail10TensorInfoIKT_T0_EEjPjjSA_iijT1_PSD_Ps.kd
    .uniform_work_group_size: 1
    .uses_dynamic_stack: false
    .vgpr_count:     11
    .vgpr_spill_count: 0
    .wavefront_size: 64
  - .args:
      - .offset:         0
        .size:           416
        .value_kind:     by_value
      - .offset:         416
        .size:           8
        .value_kind:     by_value
      - .offset:         424
        .size:           8
        .value_kind:     by_value
      - .offset:         432
        .size:           1
        .value_kind:     by_value
      - .offset:         436
        .size:           4
        .value_kind:     by_value
      - .offset:         440
        .size:           8
        .value_kind:     by_value
      - .offset:         448
        .size:           416
        .value_kind:     by_value
      - .offset:         864
        .size:           8
        .value_kind:     by_value
      - .offset:         872
        .size:           416
        .value_kind:     by_value
      - .offset:         1288
        .size:           8
        .value_kind:     by_value
      - .offset:         1296
        .size:           4
        .value_kind:     by_value
      - .offset:         1300
        .size:           4
        .value_kind:     by_value
      - .address_space:  global
        .offset:         1304
        .size:           8
        .value_kind:     global_buffer
      - .address_space:  global
        .offset:         1312
        .size:           8
        .value_kind:     global_buffer
      - .address_space:  global
        .offset:         1320
        .size:           8
        .value_kind:     global_buffer
      - .offset:         1328
        .size:           4
        .value_kind:     by_value
      - .offset:         1336
        .size:           4
        .value_kind:     hidden_block_count_x
      - .offset:         1340
        .size:           4
        .value_kind:     hidden_block_count_y
      - .offset:         1344
        .size:           4
        .value_kind:     hidden_block_count_z
      - .offset:         1348
        .size:           2
        .value_kind:     hidden_group_size_x
      - .offset:         1350
        .size:           2
        .value_kind:     hidden_group_size_y
      - .offset:         1352
        .size:           2
        .value_kind:     hidden_group_size_z
      - .offset:         1354
        .size:           2
        .value_kind:     hidden_remainder_x
      - .offset:         1356
        .size:           2
        .value_kind:     hidden_remainder_y
      - .offset:         1358
        .size:           2
        .value_kind:     hidden_remainder_z
      - .offset:         1376
        .size:           8
        .value_kind:     hidden_global_offset_x
      - .offset:         1384
        .size:           8
        .value_kind:     hidden_global_offset_y
      - .offset:         1392
        .size:           8
        .value_kind:     hidden_global_offset_z
      - .offset:         1400
        .size:           2
        .value_kind:     hidden_grid_dims
    .group_segment_fixed_size: 1068
    .kernarg_segment_align: 8
    .kernarg_segment_size: 1592
    .language:       OpenCL C
    .language_version:
      - 2
      - 0
    .max_flat_workgroup_size: 256
    .name:           _ZN2at6native6mbtopk10gatherTopKIN3c108BFloat16EmLi1EEEvNS_4cuda6detail10TensorInfoIKT_T0_EESA_SA_bjSA_NS7_IS8_SA_EESA_NS7_IlSA_EESA_jjPS8_PjSF_j
    .private_segment_fixed_size: 0
    .sgpr_count:     49
    .sgpr_spill_count: 0
    .symbol:         _ZN2at6native6mbtopk10gatherTopKIN3c108BFloat16EmLi1EEEvNS_4cuda6detail10TensorInfoIKT_T0_EESA_SA_bjSA_NS7_IS8_SA_EESA_NS7_IlSA_EESA_jjPS8_PjSF_j.kd
    .uniform_work_group_size: 1
    .uses_dynamic_stack: false
    .vgpr_count:     22
    .vgpr_spill_count: 0
    .wavefront_size: 64
  - .args:
      - .offset:         0
        .size:           416
        .value_kind:     by_value
      - .offset:         416
        .size:           8
        .value_kind:     by_value
      - .offset:         424
        .size:           8
        .value_kind:     by_value
      - .offset:         432
        .size:           1
        .value_kind:     by_value
      - .offset:         440
        .size:           8
        .value_kind:     by_value
      - .offset:         448
        .size:           8
        .value_kind:     by_value
      - .offset:         456
        .size:           416
        .value_kind:     by_value
      - .offset:         872
        .size:           8
        .value_kind:     by_value
      - .offset:         880
        .size:           416
        .value_kind:     by_value
      - .offset:         1296
        .size:           8
        .value_kind:     by_value
      - .address_space:  global
        .offset:         1304
        .size:           8
        .value_kind:     global_buffer
      - .offset:         1312
        .size:           4
        .value_kind:     hidden_block_count_x
      - .offset:         1316
        .size:           4
        .value_kind:     hidden_block_count_y
      - .offset:         1320
        .size:           4
        .value_kind:     hidden_block_count_z
      - .offset:         1324
        .size:           2
        .value_kind:     hidden_group_size_x
      - .offset:         1326
        .size:           2
        .value_kind:     hidden_group_size_y
      - .offset:         1328
        .size:           2
        .value_kind:     hidden_group_size_z
      - .offset:         1330
        .size:           2
        .value_kind:     hidden_remainder_x
      - .offset:         1332
        .size:           2
        .value_kind:     hidden_remainder_y
      - .offset:         1334
        .size:           2
        .value_kind:     hidden_remainder_z
      - .offset:         1352
        .size:           8
        .value_kind:     hidden_global_offset_x
      - .offset:         1360
        .size:           8
        .value_kind:     hidden_global_offset_y
      - .offset:         1368
        .size:           8
        .value_kind:     hidden_global_offset_z
      - .offset:         1376
        .size:           2
        .value_kind:     hidden_grid_dims
    .group_segment_fixed_size: 5152
    .kernarg_segment_align: 8
    .kernarg_segment_size: 1568
    .language:       OpenCL C
    .language_version:
      - 2
      - 0
    .max_flat_workgroup_size: 1024
    .name:           _ZN2at6native6sbtopk10gatherTopKIN3c108BFloat16EmLi1ELb0EEEvNS_4cuda6detail10TensorInfoIKT_T0_EESA_SA_bSA_SA_NS7_IS8_SA_EESA_NS7_IlSA_EESA_PS8_
    .private_segment_fixed_size: 0
    .sgpr_count:     100
    .sgpr_spill_count: 91
    .symbol:         _ZN2at6native6sbtopk10gatherTopKIN3c108BFloat16EmLi1ELb0EEEvNS_4cuda6detail10TensorInfoIKT_T0_EESA_SA_bSA_SA_NS7_IS8_SA_EESA_NS7_IlSA_EESA_PS8_.kd
    .uniform_work_group_size: 1
    .uses_dynamic_stack: false
    .vgpr_count:     53
    .vgpr_spill_count: 0
    .wavefront_size: 64
  - .args:
      - .offset:         0
        .size:           416
        .value_kind:     by_value
      - .offset:         416
        .size:           4
        .value_kind:     by_value
      - .address_space:  global
        .offset:         424
        .size:           8
        .value_kind:     global_buffer
      - .offset:         432
        .size:           4
        .value_kind:     by_value
      - .offset:         440
        .size:           8
        .value_kind:     by_value
      - .offset:         448
        .size:           4
        .value_kind:     by_value
      - .offset:         452
        .size:           4
        .value_kind:     by_value
      - .offset:         456
        .size:           4
        .value_kind:     by_value
      - .offset:         460
        .size:           4
        .value_kind:     by_value
      - .address_space:  global
        .offset:         464
        .size:           8
        .value_kind:     global_buffer
      - .address_space:  global
        .offset:         472
        .size:           8
        .value_kind:     global_buffer
      - .offset:         480
        .size:           4
        .value_kind:     hidden_block_count_x
      - .offset:         484
        .size:           4
        .value_kind:     hidden_block_count_y
      - .offset:         488
        .size:           4
        .value_kind:     hidden_block_count_z
      - .offset:         492
        .size:           2
        .value_kind:     hidden_group_size_x
      - .offset:         494
        .size:           2
        .value_kind:     hidden_group_size_y
      - .offset:         496
        .size:           2
        .value_kind:     hidden_group_size_z
      - .offset:         498
        .size:           2
        .value_kind:     hidden_remainder_x
      - .offset:         500
        .size:           2
        .value_kind:     hidden_remainder_y
      - .offset:         502
        .size:           2
        .value_kind:     hidden_remainder_z
      - .offset:         520
        .size:           8
        .value_kind:     hidden_global_offset_x
      - .offset:         528
        .size:           8
        .value_kind:     hidden_global_offset_y
      - .offset:         536
        .size:           8
        .value_kind:     hidden_global_offset_z
      - .offset:         544
        .size:           2
        .value_kind:     hidden_grid_dims
    .group_segment_fixed_size: 1024
    .kernarg_segment_align: 8
    .kernarg_segment_size: 736
    .language:       OpenCL C
    .language_version:
      - 2
      - 0
    .max_flat_workgroup_size: 256
    .name:           _ZN2at6native6mbtopk23computeBlockDigitCountsIN3c108BFloat16EmjLi2EEEvNS_4cuda6detail10TensorInfoIKT_T0_EEjPjjSA_iijT1_PSD_Ps
    .private_segment_fixed_size: 0
    .sgpr_count:     30
    .sgpr_spill_count: 0
    .symbol:         _ZN2at6native6mbtopk23computeBlockDigitCountsIN3c108BFloat16EmjLi2EEEvNS_4cuda6detail10TensorInfoIKT_T0_EEjPjjSA_iijT1_PSD_Ps.kd
    .uniform_work_group_size: 1
    .uses_dynamic_stack: false
    .vgpr_count:     11
    .vgpr_spill_count: 0
    .wavefront_size: 64
  - .args:
      - .offset:         0
        .size:           416
        .value_kind:     by_value
      - .offset:         416
        .size:           8
        .value_kind:     by_value
      - .offset:         424
        .size:           8
        .value_kind:     by_value
      - .offset:         432
        .size:           1
        .value_kind:     by_value
      - .offset:         436
        .size:           4
        .value_kind:     by_value
      - .offset:         440
        .size:           8
        .value_kind:     by_value
      - .offset:         448
        .size:           416
        .value_kind:     by_value
      - .offset:         864
        .size:           8
        .value_kind:     by_value
      - .offset:         872
        .size:           416
        .value_kind:     by_value
      - .offset:         1288
        .size:           8
        .value_kind:     by_value
      - .offset:         1296
        .size:           4
        .value_kind:     by_value
      - .offset:         1300
        .size:           4
        .value_kind:     by_value
      - .address_space:  global
        .offset:         1304
        .size:           8
        .value_kind:     global_buffer
      - .address_space:  global
        .offset:         1312
        .size:           8
        .value_kind:     global_buffer
      - .address_space:  global
        .offset:         1320
        .size:           8
        .value_kind:     global_buffer
      - .offset:         1328
        .size:           4
        .value_kind:     by_value
      - .offset:         1336
        .size:           4
        .value_kind:     hidden_block_count_x
      - .offset:         1340
        .size:           4
        .value_kind:     hidden_block_count_y
      - .offset:         1344
        .size:           4
        .value_kind:     hidden_block_count_z
      - .offset:         1348
        .size:           2
        .value_kind:     hidden_group_size_x
      - .offset:         1350
        .size:           2
        .value_kind:     hidden_group_size_y
      - .offset:         1352
        .size:           2
        .value_kind:     hidden_group_size_z
      - .offset:         1354
        .size:           2
        .value_kind:     hidden_remainder_x
      - .offset:         1356
        .size:           2
        .value_kind:     hidden_remainder_y
      - .offset:         1358
        .size:           2
        .value_kind:     hidden_remainder_z
      - .offset:         1376
        .size:           8
        .value_kind:     hidden_global_offset_x
      - .offset:         1384
        .size:           8
        .value_kind:     hidden_global_offset_y
      - .offset:         1392
        .size:           8
        .value_kind:     hidden_global_offset_z
      - .offset:         1400
        .size:           2
        .value_kind:     hidden_grid_dims
    .group_segment_fixed_size: 1068
    .kernarg_segment_align: 8
    .kernarg_segment_size: 1592
    .language:       OpenCL C
    .language_version:
      - 2
      - 0
    .max_flat_workgroup_size: 256
    .name:           _ZN2at6native6mbtopk10gatherTopKIN3c108BFloat16EmLi2EEEvNS_4cuda6detail10TensorInfoIKT_T0_EESA_SA_bjSA_NS7_IS8_SA_EESA_NS7_IlSA_EESA_jjPS8_PjSF_j
    .private_segment_fixed_size: 0
    .sgpr_count:     54
    .sgpr_spill_count: 0
    .symbol:         _ZN2at6native6mbtopk10gatherTopKIN3c108BFloat16EmLi2EEEvNS_4cuda6detail10TensorInfoIKT_T0_EESA_SA_bjSA_NS7_IS8_SA_EESA_NS7_IlSA_EESA_jjPS8_PjSF_j.kd
    .uniform_work_group_size: 1
    .uses_dynamic_stack: false
    .vgpr_count:     22
    .vgpr_spill_count: 0
    .wavefront_size: 64
  - .args:
      - .offset:         0
        .size:           416
        .value_kind:     by_value
      - .offset:         416
        .size:           8
        .value_kind:     by_value
      - .offset:         424
        .size:           8
        .value_kind:     by_value
      - .offset:         432
        .size:           1
        .value_kind:     by_value
      - .offset:         440
        .size:           8
        .value_kind:     by_value
      - .offset:         448
        .size:           8
        .value_kind:     by_value
      - .offset:         456
        .size:           416
        .value_kind:     by_value
      - .offset:         872
        .size:           8
        .value_kind:     by_value
      - .offset:         880
        .size:           416
        .value_kind:     by_value
      - .offset:         1296
        .size:           8
        .value_kind:     by_value
      - .address_space:  global
        .offset:         1304
        .size:           8
        .value_kind:     global_buffer
      - .offset:         1312
        .size:           4
        .value_kind:     hidden_block_count_x
      - .offset:         1316
        .size:           4
        .value_kind:     hidden_block_count_y
      - .offset:         1320
        .size:           4
        .value_kind:     hidden_block_count_z
      - .offset:         1324
        .size:           2
        .value_kind:     hidden_group_size_x
      - .offset:         1326
        .size:           2
        .value_kind:     hidden_group_size_y
      - .offset:         1328
        .size:           2
        .value_kind:     hidden_group_size_z
      - .offset:         1330
        .size:           2
        .value_kind:     hidden_remainder_x
      - .offset:         1332
        .size:           2
        .value_kind:     hidden_remainder_y
      - .offset:         1334
        .size:           2
        .value_kind:     hidden_remainder_z
      - .offset:         1352
        .size:           8
        .value_kind:     hidden_global_offset_x
      - .offset:         1360
        .size:           8
        .value_kind:     hidden_global_offset_y
      - .offset:         1368
        .size:           8
        .value_kind:     hidden_global_offset_z
      - .offset:         1376
        .size:           2
        .value_kind:     hidden_grid_dims
    .group_segment_fixed_size: 5152
    .kernarg_segment_align: 8
    .kernarg_segment_size: 1568
    .language:       OpenCL C
    .language_version:
      - 2
      - 0
    .max_flat_workgroup_size: 1024
    .name:           _ZN2at6native6sbtopk10gatherTopKIN3c108BFloat16EmLi2ELb0EEEvNS_4cuda6detail10TensorInfoIKT_T0_EESA_SA_bSA_SA_NS7_IS8_SA_EESA_NS7_IlSA_EESA_PS8_
    .private_segment_fixed_size: 0
    .sgpr_count:     100
    .sgpr_spill_count: 85
    .symbol:         _ZN2at6native6sbtopk10gatherTopKIN3c108BFloat16EmLi2ELb0EEEvNS_4cuda6detail10TensorInfoIKT_T0_EESA_SA_bSA_SA_NS7_IS8_SA_EESA_NS7_IlSA_EESA_PS8_.kd
    .uniform_work_group_size: 1
    .uses_dynamic_stack: false
    .vgpr_count:     48
    .vgpr_spill_count: 0
    .wavefront_size: 64
  - .args:
      - .offset:         0
        .size:           416
        .value_kind:     by_value
      - .offset:         416
        .size:           4
        .value_kind:     by_value
      - .address_space:  global
        .offset:         424
        .size:           8
        .value_kind:     global_buffer
      - .offset:         432
        .size:           4
        .value_kind:     by_value
      - .offset:         440
        .size:           8
        .value_kind:     by_value
      - .offset:         448
        .size:           4
        .value_kind:     by_value
      - .offset:         452
        .size:           4
        .value_kind:     by_value
      - .offset:         456
        .size:           4
        .value_kind:     by_value
      - .offset:         460
        .size:           4
        .value_kind:     by_value
      - .address_space:  global
        .offset:         464
        .size:           8
        .value_kind:     global_buffer
      - .address_space:  global
        .offset:         472
        .size:           8
        .value_kind:     global_buffer
      - .offset:         480
        .size:           4
        .value_kind:     hidden_block_count_x
      - .offset:         484
        .size:           4
        .value_kind:     hidden_block_count_y
      - .offset:         488
        .size:           4
        .value_kind:     hidden_block_count_z
      - .offset:         492
        .size:           2
        .value_kind:     hidden_group_size_x
      - .offset:         494
        .size:           2
        .value_kind:     hidden_group_size_y
      - .offset:         496
        .size:           2
        .value_kind:     hidden_group_size_z
      - .offset:         498
        .size:           2
        .value_kind:     hidden_remainder_x
      - .offset:         500
        .size:           2
        .value_kind:     hidden_remainder_y
      - .offset:         502
        .size:           2
        .value_kind:     hidden_remainder_z
      - .offset:         520
        .size:           8
        .value_kind:     hidden_global_offset_x
      - .offset:         528
        .size:           8
        .value_kind:     hidden_global_offset_y
      - .offset:         536
        .size:           8
        .value_kind:     hidden_global_offset_z
      - .offset:         544
        .size:           2
        .value_kind:     hidden_grid_dims
    .group_segment_fixed_size: 1024
    .kernarg_segment_align: 8
    .kernarg_segment_size: 736
    .language:       OpenCL C
    .language_version:
      - 2
      - 0
    .max_flat_workgroup_size: 256
    .name:           _ZN2at6native6mbtopk23computeBlockDigitCountsIN3c108BFloat16EmjLi3EEEvNS_4cuda6detail10TensorInfoIKT_T0_EEjPjjSA_iijT1_PSD_Ps
    .private_segment_fixed_size: 0
    .sgpr_count:     34
    .sgpr_spill_count: 0
    .symbol:         _ZN2at6native6mbtopk23computeBlockDigitCountsIN3c108BFloat16EmjLi3EEEvNS_4cuda6detail10TensorInfoIKT_T0_EEjPjjSA_iijT1_PSD_Ps.kd
    .uniform_work_group_size: 1
    .uses_dynamic_stack: false
    .vgpr_count:     11
    .vgpr_spill_count: 0
    .wavefront_size: 64
  - .args:
      - .offset:         0
        .size:           416
        .value_kind:     by_value
      - .offset:         416
        .size:           8
        .value_kind:     by_value
      - .offset:         424
        .size:           8
        .value_kind:     by_value
      - .offset:         432
        .size:           1
        .value_kind:     by_value
      - .offset:         436
        .size:           4
        .value_kind:     by_value
      - .offset:         440
        .size:           8
        .value_kind:     by_value
      - .offset:         448
        .size:           416
        .value_kind:     by_value
      - .offset:         864
        .size:           8
        .value_kind:     by_value
      - .offset:         872
        .size:           416
        .value_kind:     by_value
      - .offset:         1288
        .size:           8
        .value_kind:     by_value
      - .offset:         1296
        .size:           4
        .value_kind:     by_value
      - .offset:         1300
        .size:           4
        .value_kind:     by_value
      - .address_space:  global
        .offset:         1304
        .size:           8
        .value_kind:     global_buffer
      - .address_space:  global
        .offset:         1312
        .size:           8
        .value_kind:     global_buffer
      - .address_space:  global
        .offset:         1320
        .size:           8
        .value_kind:     global_buffer
      - .offset:         1328
        .size:           4
        .value_kind:     by_value
      - .offset:         1336
        .size:           4
        .value_kind:     hidden_block_count_x
      - .offset:         1340
        .size:           4
        .value_kind:     hidden_block_count_y
      - .offset:         1344
        .size:           4
        .value_kind:     hidden_block_count_z
      - .offset:         1348
        .size:           2
        .value_kind:     hidden_group_size_x
      - .offset:         1350
        .size:           2
        .value_kind:     hidden_group_size_y
      - .offset:         1352
        .size:           2
        .value_kind:     hidden_group_size_z
      - .offset:         1354
        .size:           2
        .value_kind:     hidden_remainder_x
      - .offset:         1356
        .size:           2
        .value_kind:     hidden_remainder_y
      - .offset:         1358
        .size:           2
        .value_kind:     hidden_remainder_z
      - .offset:         1376
        .size:           8
        .value_kind:     hidden_global_offset_x
      - .offset:         1384
        .size:           8
        .value_kind:     hidden_global_offset_y
      - .offset:         1392
        .size:           8
        .value_kind:     hidden_global_offset_z
      - .offset:         1400
        .size:           2
        .value_kind:     hidden_grid_dims
    .group_segment_fixed_size: 1068
    .kernarg_segment_align: 8
    .kernarg_segment_size: 1592
    .language:       OpenCL C
    .language_version:
      - 2
      - 0
    .max_flat_workgroup_size: 256
    .name:           _ZN2at6native6mbtopk10gatherTopKIN3c108BFloat16EmLi3EEEvNS_4cuda6detail10TensorInfoIKT_T0_EESA_SA_bjSA_NS7_IS8_SA_EESA_NS7_IlSA_EESA_jjPS8_PjSF_j
    .private_segment_fixed_size: 0
    .sgpr_count:     82
    .sgpr_spill_count: 0
    .symbol:         _ZN2at6native6mbtopk10gatherTopKIN3c108BFloat16EmLi3EEEvNS_4cuda6detail10TensorInfoIKT_T0_EESA_SA_bjSA_NS7_IS8_SA_EESA_NS7_IlSA_EESA_jjPS8_PjSF_j.kd
    .uniform_work_group_size: 1
    .uses_dynamic_stack: false
    .vgpr_count:     22
    .vgpr_spill_count: 0
    .wavefront_size: 64
  - .args:
      - .offset:         0
        .size:           416
        .value_kind:     by_value
      - .offset:         416
        .size:           8
        .value_kind:     by_value
      - .offset:         424
        .size:           8
        .value_kind:     by_value
      - .offset:         432
        .size:           1
        .value_kind:     by_value
      - .offset:         440
        .size:           8
        .value_kind:     by_value
      - .offset:         448
        .size:           8
        .value_kind:     by_value
      - .offset:         456
        .size:           416
        .value_kind:     by_value
      - .offset:         872
        .size:           8
        .value_kind:     by_value
      - .offset:         880
        .size:           416
        .value_kind:     by_value
      - .offset:         1296
        .size:           8
        .value_kind:     by_value
      - .address_space:  global
        .offset:         1304
        .size:           8
        .value_kind:     global_buffer
      - .offset:         1312
        .size:           4
        .value_kind:     hidden_block_count_x
      - .offset:         1316
        .size:           4
        .value_kind:     hidden_block_count_y
      - .offset:         1320
        .size:           4
        .value_kind:     hidden_block_count_z
      - .offset:         1324
        .size:           2
        .value_kind:     hidden_group_size_x
      - .offset:         1326
        .size:           2
        .value_kind:     hidden_group_size_y
      - .offset:         1328
        .size:           2
        .value_kind:     hidden_group_size_z
      - .offset:         1330
        .size:           2
        .value_kind:     hidden_remainder_x
      - .offset:         1332
        .size:           2
        .value_kind:     hidden_remainder_y
      - .offset:         1334
        .size:           2
        .value_kind:     hidden_remainder_z
      - .offset:         1352
        .size:           8
        .value_kind:     hidden_global_offset_x
      - .offset:         1360
        .size:           8
        .value_kind:     hidden_global_offset_y
      - .offset:         1368
        .size:           8
        .value_kind:     hidden_global_offset_z
      - .offset:         1376
        .size:           2
        .value_kind:     hidden_grid_dims
    .group_segment_fixed_size: 5152
    .kernarg_segment_align: 8
    .kernarg_segment_size: 1568
    .language:       OpenCL C
    .language_version:
      - 2
      - 0
    .max_flat_workgroup_size: 1024
    .name:           _ZN2at6native6sbtopk10gatherTopKIN3c108BFloat16EmLi3ELb0EEEvNS_4cuda6detail10TensorInfoIKT_T0_EESA_SA_bSA_SA_NS7_IS8_SA_EESA_NS7_IlSA_EESA_PS8_
    .private_segment_fixed_size: 0
    .sgpr_count:     100
    .sgpr_spill_count: 99
    .symbol:         _ZN2at6native6sbtopk10gatherTopKIN3c108BFloat16EmLi3ELb0EEEvNS_4cuda6detail10TensorInfoIKT_T0_EESA_SA_bSA_SA_NS7_IS8_SA_EESA_NS7_IlSA_EESA_PS8_.kd
    .uniform_work_group_size: 1
    .uses_dynamic_stack: false
    .vgpr_count:     49
    .vgpr_spill_count: 0
    .wavefront_size: 64
  - .args:
      - .offset:         0
        .size:           416
        .value_kind:     by_value
      - .offset:         416
        .size:           4
        .value_kind:     by_value
      - .address_space:  global
        .offset:         424
        .size:           8
        .value_kind:     global_buffer
      - .offset:         432
        .size:           4
        .value_kind:     by_value
      - .offset:         440
        .size:           8
        .value_kind:     by_value
      - .offset:         448
        .size:           4
        .value_kind:     by_value
      - .offset:         452
        .size:           4
        .value_kind:     by_value
      - .offset:         456
        .size:           4
        .value_kind:     by_value
      - .offset:         460
        .size:           4
        .value_kind:     by_value
      - .address_space:  global
        .offset:         464
        .size:           8
        .value_kind:     global_buffer
      - .address_space:  global
        .offset:         472
        .size:           8
        .value_kind:     global_buffer
      - .offset:         480
        .size:           4
        .value_kind:     hidden_block_count_x
      - .offset:         484
        .size:           4
        .value_kind:     hidden_block_count_y
      - .offset:         488
        .size:           4
        .value_kind:     hidden_block_count_z
      - .offset:         492
        .size:           2
        .value_kind:     hidden_group_size_x
      - .offset:         494
        .size:           2
        .value_kind:     hidden_group_size_y
      - .offset:         496
        .size:           2
        .value_kind:     hidden_group_size_z
      - .offset:         498
        .size:           2
        .value_kind:     hidden_remainder_x
      - .offset:         500
        .size:           2
        .value_kind:     hidden_remainder_y
      - .offset:         502
        .size:           2
        .value_kind:     hidden_remainder_z
      - .offset:         520
        .size:           8
        .value_kind:     hidden_global_offset_x
      - .offset:         528
        .size:           8
        .value_kind:     hidden_global_offset_y
      - .offset:         536
        .size:           8
        .value_kind:     hidden_global_offset_z
      - .offset:         544
        .size:           2
        .value_kind:     hidden_grid_dims
    .group_segment_fixed_size: 1024
    .kernarg_segment_align: 8
    .kernarg_segment_size: 736
    .language:       OpenCL C
    .language_version:
      - 2
      - 0
    .max_flat_workgroup_size: 256
    .name:           _ZN2at6native6mbtopk23computeBlockDigitCountsIN3c108BFloat16EmjLin1EEEvNS_4cuda6detail10TensorInfoIKT_T0_EEjPjjSA_iijT1_PSD_Ps
    .private_segment_fixed_size: 0
    .sgpr_count:     32
    .sgpr_spill_count: 0
    .symbol:         _ZN2at6native6mbtopk23computeBlockDigitCountsIN3c108BFloat16EmjLin1EEEvNS_4cuda6detail10TensorInfoIKT_T0_EEjPjjSA_iijT1_PSD_Ps.kd
    .uniform_work_group_size: 1
    .uses_dynamic_stack: false
    .vgpr_count:     11
    .vgpr_spill_count: 0
    .wavefront_size: 64
  - .args:
      - .offset:         0
        .size:           416
        .value_kind:     by_value
      - .offset:         416
        .size:           8
        .value_kind:     by_value
      - .offset:         424
        .size:           8
        .value_kind:     by_value
      - .offset:         432
        .size:           1
        .value_kind:     by_value
      - .offset:         436
        .size:           4
        .value_kind:     by_value
      - .offset:         440
        .size:           8
        .value_kind:     by_value
      - .offset:         448
        .size:           416
        .value_kind:     by_value
      - .offset:         864
        .size:           8
        .value_kind:     by_value
      - .offset:         872
        .size:           416
        .value_kind:     by_value
      - .offset:         1288
        .size:           8
        .value_kind:     by_value
      - .offset:         1296
        .size:           4
        .value_kind:     by_value
      - .offset:         1300
        .size:           4
        .value_kind:     by_value
      - .address_space:  global
        .offset:         1304
        .size:           8
        .value_kind:     global_buffer
      - .address_space:  global
        .offset:         1312
        .size:           8
        .value_kind:     global_buffer
      - .address_space:  global
        .offset:         1320
        .size:           8
        .value_kind:     global_buffer
      - .offset:         1328
        .size:           4
        .value_kind:     by_value
      - .offset:         1336
        .size:           4
        .value_kind:     hidden_block_count_x
      - .offset:         1340
        .size:           4
        .value_kind:     hidden_block_count_y
      - .offset:         1344
        .size:           4
        .value_kind:     hidden_block_count_z
      - .offset:         1348
        .size:           2
        .value_kind:     hidden_group_size_x
      - .offset:         1350
        .size:           2
        .value_kind:     hidden_group_size_y
      - .offset:         1352
        .size:           2
        .value_kind:     hidden_group_size_z
      - .offset:         1354
        .size:           2
        .value_kind:     hidden_remainder_x
      - .offset:         1356
        .size:           2
        .value_kind:     hidden_remainder_y
      - .offset:         1358
        .size:           2
        .value_kind:     hidden_remainder_z
      - .offset:         1376
        .size:           8
        .value_kind:     hidden_global_offset_x
      - .offset:         1384
        .size:           8
        .value_kind:     hidden_global_offset_y
      - .offset:         1392
        .size:           8
        .value_kind:     hidden_global_offset_z
      - .offset:         1400
        .size:           2
        .value_kind:     hidden_grid_dims
    .group_segment_fixed_size: 1068
    .kernarg_segment_align: 8
    .kernarg_segment_size: 1592
    .language:       OpenCL C
    .language_version:
      - 2
      - 0
    .max_flat_workgroup_size: 256
    .name:           _ZN2at6native6mbtopk10gatherTopKIN3c108BFloat16EmLin1EEEvNS_4cuda6detail10TensorInfoIKT_T0_EESA_SA_bjSA_NS7_IS8_SA_EESA_NS7_IlSA_EESA_jjPS8_PjSF_j
    .private_segment_fixed_size: 0
    .sgpr_count:     61
    .sgpr_spill_count: 0
    .symbol:         _ZN2at6native6mbtopk10gatherTopKIN3c108BFloat16EmLin1EEEvNS_4cuda6detail10TensorInfoIKT_T0_EESA_SA_bjSA_NS7_IS8_SA_EESA_NS7_IlSA_EESA_jjPS8_PjSF_j.kd
    .uniform_work_group_size: 1
    .uses_dynamic_stack: false
    .vgpr_count:     22
    .vgpr_spill_count: 0
    .wavefront_size: 64
  - .args:
      - .offset:         0
        .size:           416
        .value_kind:     by_value
      - .offset:         416
        .size:           8
        .value_kind:     by_value
      - .offset:         424
        .size:           8
        .value_kind:     by_value
      - .offset:         432
        .size:           1
        .value_kind:     by_value
      - .offset:         440
        .size:           8
        .value_kind:     by_value
      - .offset:         448
        .size:           8
        .value_kind:     by_value
      - .offset:         456
        .size:           416
        .value_kind:     by_value
      - .offset:         872
        .size:           8
        .value_kind:     by_value
      - .offset:         880
        .size:           416
        .value_kind:     by_value
      - .offset:         1296
        .size:           8
        .value_kind:     by_value
      - .address_space:  global
        .offset:         1304
        .size:           8
        .value_kind:     global_buffer
      - .offset:         1312
        .size:           4
        .value_kind:     hidden_block_count_x
      - .offset:         1316
        .size:           4
        .value_kind:     hidden_block_count_y
      - .offset:         1320
        .size:           4
        .value_kind:     hidden_block_count_z
      - .offset:         1324
        .size:           2
        .value_kind:     hidden_group_size_x
      - .offset:         1326
        .size:           2
        .value_kind:     hidden_group_size_y
      - .offset:         1328
        .size:           2
        .value_kind:     hidden_group_size_z
      - .offset:         1330
        .size:           2
        .value_kind:     hidden_remainder_x
      - .offset:         1332
        .size:           2
        .value_kind:     hidden_remainder_y
      - .offset:         1334
        .size:           2
        .value_kind:     hidden_remainder_z
      - .offset:         1352
        .size:           8
        .value_kind:     hidden_global_offset_x
      - .offset:         1360
        .size:           8
        .value_kind:     hidden_global_offset_y
      - .offset:         1368
        .size:           8
        .value_kind:     hidden_global_offset_z
      - .offset:         1376
        .size:           2
        .value_kind:     hidden_grid_dims
    .group_segment_fixed_size: 5152
    .kernarg_segment_align: 8
    .kernarg_segment_size: 1568
    .language:       OpenCL C
    .language_version:
      - 2
      - 0
    .max_flat_workgroup_size: 1024
    .name:           _ZN2at6native6sbtopk10gatherTopKIN3c108BFloat16EmLin1ELb0EEEvNS_4cuda6detail10TensorInfoIKT_T0_EESA_SA_bSA_SA_NS7_IS8_SA_EESA_NS7_IlSA_EESA_PS8_
    .private_segment_fixed_size: 0
    .sgpr_count:     100
    .sgpr_spill_count: 109
    .symbol:         _ZN2at6native6sbtopk10gatherTopKIN3c108BFloat16EmLin1ELb0EEEvNS_4cuda6detail10TensorInfoIKT_T0_EESA_SA_bSA_SA_NS7_IS8_SA_EESA_NS7_IlSA_EESA_PS8_.kd
    .uniform_work_group_size: 1
    .uses_dynamic_stack: false
    .vgpr_count:     60
    .vgpr_spill_count: 0
    .wavefront_size: 64
amdhsa.target:   amdgcn-amd-amdhsa--gfx906
amdhsa.version:
  - 1
  - 2
...

	.end_amdgpu_metadata
